;; amdgpu-corpus repo=pytorch/pytorch kind=compiled arch=gfx90a opt=O3
	.text
	.amdgcn_target "amdgcn-amd-amdhsa--gfx90a"
	.amdhsa_code_object_version 6
	.section	.text._ZN12_GLOBAL__N_120softmax_warp_forwardIdddLi0ELb1ELb0ELi64EEEvPT0_PKT_iiiPKbib,"axG",@progbits,_ZN12_GLOBAL__N_120softmax_warp_forwardIdddLi0ELb1ELb0ELi64EEEvPT0_PKT_iiiPKbib,comdat
	.globl	_ZN12_GLOBAL__N_120softmax_warp_forwardIdddLi0ELb1ELb0ELi64EEEvPT0_PKT_iiiPKbib ; -- Begin function _ZN12_GLOBAL__N_120softmax_warp_forwardIdddLi0ELb1ELb0ELi64EEEvPT0_PKT_iiiPKbib
	.p2align	8
	.type	_ZN12_GLOBAL__N_120softmax_warp_forwardIdddLi0ELb1ELb0ELi64EEEvPT0_PKT_iiiPKbib,@function
_ZN12_GLOBAL__N_120softmax_warp_forwardIdddLi0ELb1ELb0ELi64EEEvPT0_PKT_iiiPKbib: ; @_ZN12_GLOBAL__N_120softmax_warp_forwardIdddLi0ELb1ELb0ELi64EEEvPT0_PKT_iiiPKbib
; %bb.0:
	s_load_dword s0, s[4:5], 0x3c
	s_load_dwordx8 s[8:15], s[4:5], 0x0
	v_bfe_u32 v1, v0, 10, 10
	v_and_b32_e32 v2, 0x3ff, v0
	s_waitcnt lgkmcnt(0)
	s_lshr_b32 s0, s0, 16
	s_mul_i32 s6, s6, s0
	v_add_lshl_u32 v1, s6, v1, 1
	v_sub_u32_e32 v8, s12, v1
	v_mad_u64_u32 v[0:1], s[0:1], v1, s13, v[2:3]
	v_ashrrev_i32_e32 v1, 31, v0
	v_lshlrev_b64 v[0:1], 3, v[0:1]
	v_mov_b32_e32 v3, s11
	v_add_co_u32_e32 v6, vcc, s10, v0
	v_addc_co_u32_e32 v7, vcc, v3, v1, vcc
	v_cmp_gt_i32_e32 vcc, s14, v2
	v_mov_b32_e32 v2, 0
	v_cmp_lt_i32_e64 s[0:1], 0, v8
	v_mov_b32_e32 v3, 0xfff00000
	s_and_b64 s[4:5], vcc, s[0:1]
	v_pk_mov_b32 v[4:5], v[2:3], v[2:3] op_sel:[0,1]
	s_and_saveexec_b64 s[2:3], s[4:5]
	s_cbranch_execz .LBB0_2
; %bb.1:
	global_load_dwordx2 v[4:5], v[6:7], off
.LBB0_2:
	s_or_b64 exec, exec, s[2:3]
	v_cmp_lt_i32_e64 s[2:3], 1, v8
	s_and_b64 s[2:3], vcc, s[2:3]
	s_and_saveexec_b64 s[4:5], s[2:3]
	s_cbranch_execz .LBB0_4
; %bb.3:
	s_mov_b32 s15, 0
	s_lshl_b64 s[2:3], s[14:15], 3
	v_mov_b32_e32 v3, s3
	v_add_co_u32_e64 v2, s[2:3], s2, v6
	v_addc_co_u32_e64 v3, s[2:3], v7, v3, s[2:3]
	global_load_dwordx2 v[2:3], v[2:3], off
.LBB0_4:
	s_or_b64 exec, exec, s[4:5]
	s_and_saveexec_b64 s[2:3], s[0:1]
	s_cbranch_execz .LBB0_10
; %bb.5:
	v_mov_b32_e32 v6, s9
	v_add_co_u32_e64 v0, s[0:1], s8, v0
	v_addc_co_u32_e64 v1, s[0:1], v6, v1, s[0:1]
	s_and_saveexec_b64 s[6:7], vcc
	s_cbranch_execz .LBB0_7
; %bb.6:
	s_mov_b32 s4, 0x652b82fe
	s_waitcnt vmcnt(0)
	v_add_f64 v[4:5], v[4:5], -v[4:5]
	s_mov_b32 s5, 0x3ff71547
	v_mul_f64 v[6:7], v[4:5], s[4:5]
	v_rndne_f64_e32 v[6:7], v[6:7]
	s_mov_b32 s13, 0xbfe62e42
	s_mov_b32 s12, 0xfefa39ef
	v_fma_f64 v[10:11], s[12:13], v[6:7], v[4:5]
	s_mov_b32 s11, 0xbc7abc9e
	s_mov_b32 s10, 0x3b39803f
	s_mov_b32 s4, 0x6a5dcb37
	v_fmac_f64_e32 v[10:11], s[10:11], v[6:7]
	v_mov_b32_e32 v12, 0xfca7ab0c
	v_mov_b32_e32 v13, 0x3e928af3
	s_mov_b32 s5, 0x3e5ade15
	v_fmac_f64_e32 v[12:13], s[4:5], v[10:11]
	v_mov_b32_e32 v14, 0x623fde64
	v_mov_b32_e32 v15, 0x3ec71dee
	v_fmac_f64_e32 v[14:15], v[10:11], v[12:13]
	v_mov_b32_e32 v12, 0x7c89e6b0
	v_mov_b32_e32 v13, 0x3efa0199
	;; [unrolled: 3-line block ×8, first 2 shown]
	v_fmac_f64_e32 v[12:13], v[10:11], v[14:15]
	v_fma_f64 v[12:13], v[10:11], v[12:13], 1.0
	s_mov_b32 s2, 0
	v_fma_f64 v[10:11], v[10:11], v[12:13], 1.0
	v_cvt_i32_f64_e32 v6, v[6:7]
	s_mov_b32 s3, 0x40900000
	v_ldexp_f64 v[6:7], v[10:11], v6
	s_mov_b32 s0, 0
	v_add_f64 v[10:11], v[6:7], 0
	v_cmp_lt_f64_e64 s[2:3], s[2:3], v[4:5]
	v_mov_b32_e32 v7, 0x7ff00000
	s_mov_b32 s4, 0
	s_mov_b32 s1, 0xc090cc00
	v_cndmask_b32_e64 v7, v11, v7, s[2:3]
	v_and_b32_e32 v11, 0x7fffffff, v11
	s_mov_b32 s5, 0x7ff00000
	v_cndmask_b32_e64 v6, v10, 0, s[2:3]
	v_cmp_ngt_f64_e64 s[0:1], s[0:1], v[4:5]
	v_cmp_eq_f64_e64 s[4:5], s[4:5], v[10:11]
	v_cndmask_b32_e64 v7, 0, v7, s[0:1]
	v_cndmask_b32_e64 v6, 0, v6, s[0:1]
	s_or_b64 s[8:9], s[2:3], s[4:5]
	s_mov_b32 s2, 0x55555555
	v_frexp_mant_f64_e32 v[10:11], v[6:7]
	s_mov_b32 s3, 0x3fe55555
	v_frexp_exp_i32_f64_e32 v9, v[6:7]
	v_cmp_gt_f64_e64 s[2:3], s[2:3], v[10:11]
	v_subbrev_co_u32_e64 v9, s[4:5], 0, v9, s[2:3]
	v_cvt_f64_i32_e32 v[14:15], v9
	v_mov_b32_e32 v9, 0x3ff00000
	v_mov_b32_e32 v12, 0
	v_cndmask_b32_e64 v13, v9, 2.0, s[2:3]
	v_mul_f64 v[10:11], v[10:11], v[12:13]
	v_add_f64 v[12:13], v[10:11], 1.0
	v_rcp_f64_e32 v[20:21], v[12:13]
	v_add_f64 v[22:23], v[10:11], -1.0
	v_add_f64 v[28:29], v[12:13], -1.0
	v_add_f64 v[10:11], v[10:11], -v[28:29]
	v_fma_f64 v[24:25], -v[12:13], v[20:21], 1.0
	v_fmac_f64_e32 v[20:21], v[24:25], v[20:21]
	v_fma_f64 v[24:25], -v[12:13], v[20:21], 1.0
	v_fmac_f64_e32 v[20:21], v[24:25], v[20:21]
	v_mul_f64 v[24:25], v[22:23], v[20:21]
	v_mul_f64 v[26:27], v[12:13], v[24:25]
	v_fma_f64 v[12:13], v[24:25], v[12:13], -v[26:27]
	v_fmac_f64_e32 v[12:13], v[24:25], v[10:11]
	v_add_f64 v[10:11], v[26:27], v[12:13]
	v_add_f64 v[28:29], v[22:23], -v[10:11]
	v_add_f64 v[26:27], v[10:11], -v[26:27]
	;; [unrolled: 1-line block ×5, first 2 shown]
	v_add_f64 v[10:11], v[12:13], v[10:11]
	v_add_f64 v[10:11], v[28:29], v[10:11]
	v_mul_f64 v[10:11], v[20:21], v[10:11]
	v_add_f64 v[12:13], v[24:25], v[10:11]
	s_mov_b32 s2, 0xbf559e2b
	v_mul_f64 v[22:23], v[12:13], v[12:13]
	v_mov_b32_e32 v28, 0x6b47b09a
	v_mov_b32_e32 v29, 0x3fc38538
	s_mov_b32 s3, 0x3fc3ab76
	v_fmac_f64_e32 v[28:29], s[2:3], v[22:23]
	v_mov_b32_e32 v30, 0xd7f4df2e
	v_mov_b32_e32 v31, 0x3fc7474d
	v_fmac_f64_e32 v[30:31], v[22:23], v[28:29]
	v_mov_b32_e32 v28, 0x16291751
	v_mov_b32_e32 v29, 0x3fcc71c0
	;; [unrolled: 3-line block ×5, first 2 shown]
	v_mul_f64 v[26:27], v[12:13], v[22:23]
	v_fmac_f64_e32 v[30:31], v[22:23], v[28:29]
	v_ldexp_f64 v[20:21], v[12:13], 1
	v_mul_f64 v[22:23], v[26:27], v[30:31]
	s_mov_b32 s13, 0x3fe62e42
	v_add_f64 v[26:27], v[20:21], v[22:23]
	v_add_f64 v[12:13], v[12:13], -v[24:25]
	v_mul_f64 v[16:17], v[14:15], s[12:13]
	v_add_f64 v[10:11], v[10:11], -v[12:13]
	v_add_f64 v[12:13], v[26:27], -v[20:21]
	v_fma_f64 v[18:19], v[14:15], s[12:13], -v[16:17]
	s_mov_b32 s11, 0x3c7abc9e
	v_ldexp_f64 v[10:11], v[10:11], 1
	v_add_f64 v[12:13], v[22:23], -v[12:13]
	v_fmac_f64_e32 v[18:19], s[10:11], v[14:15]
	v_add_f64 v[10:11], v[10:11], v[12:13]
	v_add_f64 v[14:15], v[16:17], v[18:19]
	;; [unrolled: 1-line block ×4, first 2 shown]
	v_add_f64 v[16:17], v[14:15], -v[16:17]
	v_add_f64 v[16:17], v[18:19], -v[16:17]
	;; [unrolled: 1-line block ×7, first 2 shown]
	v_add_f64 v[18:19], v[16:17], v[10:11]
	v_add_f64 v[14:15], v[14:15], -v[22:23]
	v_add_f64 v[12:13], v[12:13], v[14:15]
	v_add_f64 v[22:23], v[18:19], -v[16:17]
	;; [unrolled: 2-line block ×4, first 2 shown]
	v_add_f64 v[16:17], v[16:17], -v[18:19]
	v_add_f64 v[10:11], v[10:11], v[16:17]
	v_add_f64 v[16:17], v[14:15], -v[20:21]
	v_add_f64 v[12:13], v[12:13], -v[16:17]
	v_add_f64 v[10:11], v[10:11], v[12:13]
	v_add_f64 v[10:11], v[14:15], v[10:11]
	s_and_b64 s[0:1], s[0:1], s[8:9]
	v_cndmask_b32_e64 v9, v10, v6, s[0:1]
	v_cndmask_b32_e64 v10, v11, v7, s[0:1]
	v_mov_b32_e32 v11, 0x7ff80000
	v_cmp_ngt_f64_e64 s[0:1], 0, v[6:7]
	v_cndmask_b32_e64 v11, v11, v10, s[0:1]
	v_cmp_nge_f64_e64 s[0:1], 0, v[6:7]
	v_cndmask_b32_e64 v10, 0, v9, s[0:1]
	v_mov_b32_e32 v9, 0xfff00000
	v_cmp_neq_f64_e64 s[0:1], 0, v[6:7]
	v_cndmask_b32_e64 v11, v9, v11, s[0:1]
	v_add_f64 v[4:5], v[4:5], -v[10:11]
	global_store_dwordx2 v[0:1], v[4:5], off
.LBB0_7:
	s_or_b64 exec, exec, s[6:7]
	v_cmp_ne_u32_e64 s[0:1], 1, v8
	s_and_b64 exec, exec, s[0:1]
	s_cbranch_execz .LBB0_10
; %bb.8:
	s_and_b64 exec, exec, vcc
	s_cbranch_execz .LBB0_10
; %bb.9:
	s_mov_b32 s4, 0x652b82fe
	s_waitcnt vmcnt(0)
	v_add_f64 v[2:3], v[2:3], -v[2:3]
	s_mov_b32 s5, 0x3ff71547
	v_mul_f64 v[4:5], v[2:3], s[4:5]
	v_rndne_f64_e32 v[4:5], v[4:5]
	s_mov_b32 s9, 0xbfe62e42
	s_mov_b32 s8, 0xfefa39ef
	v_fma_f64 v[6:7], s[8:9], v[4:5], v[2:3]
	s_mov_b32 s7, 0xbc7abc9e
	s_mov_b32 s6, 0x3b39803f
	s_mov_b32 s4, 0x6a5dcb37
	v_fmac_f64_e32 v[6:7], s[6:7], v[4:5]
	v_mov_b32_e32 v8, 0xfca7ab0c
	v_mov_b32_e32 v9, 0x3e928af3
	s_mov_b32 s5, 0x3e5ade15
	v_fmac_f64_e32 v[8:9], s[4:5], v[6:7]
	v_mov_b32_e32 v10, 0x623fde64
	v_mov_b32_e32 v11, 0x3ec71dee
	v_fmac_f64_e32 v[10:11], v[6:7], v[8:9]
	v_mov_b32_e32 v8, 0x7c89e6b0
	v_mov_b32_e32 v9, 0x3efa0199
	;; [unrolled: 3-line block ×8, first 2 shown]
	v_fmac_f64_e32 v[8:9], v[6:7], v[10:11]
	v_fma_f64 v[8:9], v[6:7], v[8:9], 1.0
	s_mov_b32 s2, 0
	s_mov_b32 s0, 0
	v_fma_f64 v[6:7], v[6:7], v[8:9], 1.0
	v_cvt_i32_f64_e32 v4, v[4:5]
	s_mov_b32 s3, 0xc090cc00
	s_mov_b32 s1, 0x40900000
	v_ldexp_f64 v[4:5], v[6:7], v4
	v_add_f64 v[6:7], v[4:5], 0
	v_cmp_lt_f64_e64 s[0:1], s[0:1], v[2:3]
	v_mov_b32_e32 v5, 0x7ff00000
	v_cmp_ngt_f64_e32 vcc, s[2:3], v[2:3]
	s_mov_b32 s2, 0
	v_cndmask_b32_e64 v5, v7, v5, s[0:1]
	v_and_b32_e32 v7, 0x7fffffff, v7
	s_mov_b32 s3, 0x7ff00000
	v_cndmask_b32_e64 v4, v6, 0, s[0:1]
	v_cmp_eq_f64_e64 s[2:3], s[2:3], v[6:7]
	v_cndmask_b32_e32 v5, 0, v5, vcc
	v_cndmask_b32_e32 v4, 0, v4, vcc
	s_or_b64 s[4:5], s[0:1], s[2:3]
	s_mov_b32 s0, 0x55555555
	v_frexp_mant_f64_e32 v[6:7], v[4:5]
	s_mov_b32 s1, 0x3fe55555
	v_frexp_exp_i32_f64_e32 v9, v[4:5]
	v_cmp_gt_f64_e64 s[0:1], s[0:1], v[6:7]
	v_subbrev_co_u32_e64 v9, s[2:3], 0, v9, s[0:1]
	v_cvt_f64_i32_e32 v[10:11], v9
	v_mov_b32_e32 v9, 0x3ff00000
	v_mov_b32_e32 v8, 0
	v_cndmask_b32_e64 v9, v9, 2.0, s[0:1]
	v_mul_f64 v[6:7], v[6:7], v[8:9]
	v_add_f64 v[8:9], v[6:7], 1.0
	v_rcp_f64_e32 v[16:17], v[8:9]
	v_add_f64 v[18:19], v[6:7], -1.0
	v_add_f64 v[24:25], v[8:9], -1.0
	v_add_f64 v[6:7], v[6:7], -v[24:25]
	v_fma_f64 v[20:21], -v[8:9], v[16:17], 1.0
	v_fmac_f64_e32 v[16:17], v[20:21], v[16:17]
	v_fma_f64 v[20:21], -v[8:9], v[16:17], 1.0
	v_fmac_f64_e32 v[16:17], v[20:21], v[16:17]
	v_mul_f64 v[20:21], v[18:19], v[16:17]
	v_mul_f64 v[22:23], v[8:9], v[20:21]
	v_fma_f64 v[8:9], v[20:21], v[8:9], -v[22:23]
	v_fmac_f64_e32 v[8:9], v[20:21], v[6:7]
	v_add_f64 v[6:7], v[22:23], v[8:9]
	v_add_f64 v[24:25], v[18:19], -v[6:7]
	v_add_f64 v[22:23], v[6:7], -v[22:23]
	;; [unrolled: 1-line block ×5, first 2 shown]
	v_add_f64 v[6:7], v[8:9], v[6:7]
	v_add_f64 v[6:7], v[24:25], v[6:7]
	v_mul_f64 v[6:7], v[16:17], v[6:7]
	v_add_f64 v[8:9], v[20:21], v[6:7]
	s_mov_b32 s0, 0xbf559e2b
	v_mul_f64 v[18:19], v[8:9], v[8:9]
	v_mov_b32_e32 v24, 0x6b47b09a
	v_mov_b32_e32 v25, 0x3fc38538
	s_mov_b32 s1, 0x3fc3ab76
	v_fmac_f64_e32 v[24:25], s[0:1], v[18:19]
	v_mov_b32_e32 v26, 0xd7f4df2e
	v_mov_b32_e32 v27, 0x3fc7474d
	v_fmac_f64_e32 v[26:27], v[18:19], v[24:25]
	v_mov_b32_e32 v24, 0x16291751
	v_mov_b32_e32 v25, 0x3fcc71c0
	;; [unrolled: 3-line block ×5, first 2 shown]
	v_mul_f64 v[22:23], v[8:9], v[18:19]
	v_fmac_f64_e32 v[26:27], v[18:19], v[24:25]
	v_ldexp_f64 v[16:17], v[8:9], 1
	v_mul_f64 v[18:19], v[22:23], v[26:27]
	s_mov_b32 s9, 0x3fe62e42
	v_add_f64 v[22:23], v[16:17], v[18:19]
	v_add_f64 v[8:9], v[8:9], -v[20:21]
	v_mul_f64 v[12:13], v[10:11], s[8:9]
	v_add_f64 v[6:7], v[6:7], -v[8:9]
	v_add_f64 v[8:9], v[22:23], -v[16:17]
	v_fma_f64 v[14:15], v[10:11], s[8:9], -v[12:13]
	s_mov_b32 s7, 0x3c7abc9e
	v_ldexp_f64 v[6:7], v[6:7], 1
	v_add_f64 v[8:9], v[18:19], -v[8:9]
	v_fmac_f64_e32 v[14:15], s[6:7], v[10:11]
	v_add_f64 v[6:7], v[6:7], v[8:9]
	v_add_f64 v[10:11], v[12:13], v[14:15]
	;; [unrolled: 1-line block ×4, first 2 shown]
	v_add_f64 v[12:13], v[10:11], -v[12:13]
	v_add_f64 v[12:13], v[14:15], -v[12:13]
	;; [unrolled: 1-line block ×7, first 2 shown]
	v_add_f64 v[14:15], v[12:13], v[6:7]
	v_add_f64 v[10:11], v[10:11], -v[18:19]
	v_add_f64 v[8:9], v[8:9], v[10:11]
	v_add_f64 v[18:19], v[14:15], -v[12:13]
	;; [unrolled: 2-line block ×4, first 2 shown]
	v_add_f64 v[12:13], v[12:13], -v[14:15]
	v_add_f64 v[6:7], v[6:7], v[12:13]
	v_add_f64 v[12:13], v[10:11], -v[16:17]
	v_add_f64 v[8:9], v[8:9], -v[12:13]
	v_add_f64 v[6:7], v[6:7], v[8:9]
	v_add_f64 v[6:7], v[10:11], v[6:7]
	s_and_b64 vcc, vcc, s[4:5]
	v_cndmask_b32_e32 v6, v6, v4, vcc
	v_cndmask_b32_e32 v7, v7, v5, vcc
	v_mov_b32_e32 v8, 0x7ff80000
	v_cmp_ngt_f64_e32 vcc, 0, v[4:5]
	s_mov_b32 s15, 0
	v_cndmask_b32_e32 v7, v8, v7, vcc
	v_cmp_nge_f64_e32 vcc, 0, v[4:5]
	v_cndmask_b32_e32 v6, 0, v6, vcc
	v_mov_b32_e32 v8, 0xfff00000
	v_cmp_neq_f64_e32 vcc, 0, v[4:5]
	s_lshl_b64 s[0:1], s[14:15], 3
	v_cndmask_b32_e32 v7, v8, v7, vcc
	v_mov_b32_e32 v4, s1
	v_add_co_u32_e32 v0, vcc, s0, v0
	v_add_f64 v[2:3], v[2:3], -v[6:7]
	v_addc_co_u32_e32 v1, vcc, v1, v4, vcc
	global_store_dwordx2 v[0:1], v[2:3], off
.LBB0_10:
	s_endpgm
	.section	.rodata,"a",@progbits
	.p2align	6, 0x0
	.amdhsa_kernel _ZN12_GLOBAL__N_120softmax_warp_forwardIdddLi0ELb1ELb0ELi64EEEvPT0_PKT_iiiPKbib
		.amdhsa_group_segment_fixed_size 0
		.amdhsa_private_segment_fixed_size 0
		.amdhsa_kernarg_size 304
		.amdhsa_user_sgpr_count 6
		.amdhsa_user_sgpr_private_segment_buffer 1
		.amdhsa_user_sgpr_dispatch_ptr 0
		.amdhsa_user_sgpr_queue_ptr 0
		.amdhsa_user_sgpr_kernarg_segment_ptr 1
		.amdhsa_user_sgpr_dispatch_id 0
		.amdhsa_user_sgpr_flat_scratch_init 0
		.amdhsa_user_sgpr_kernarg_preload_length 0
		.amdhsa_user_sgpr_kernarg_preload_offset 0
		.amdhsa_user_sgpr_private_segment_size 0
		.amdhsa_uses_dynamic_stack 0
		.amdhsa_system_sgpr_private_segment_wavefront_offset 0
		.amdhsa_system_sgpr_workgroup_id_x 1
		.amdhsa_system_sgpr_workgroup_id_y 0
		.amdhsa_system_sgpr_workgroup_id_z 0
		.amdhsa_system_sgpr_workgroup_info 0
		.amdhsa_system_vgpr_workitem_id 1
		.amdhsa_next_free_vgpr 32
		.amdhsa_next_free_sgpr 16
		.amdhsa_accum_offset 32
		.amdhsa_reserve_vcc 1
		.amdhsa_reserve_flat_scratch 0
		.amdhsa_float_round_mode_32 0
		.amdhsa_float_round_mode_16_64 0
		.amdhsa_float_denorm_mode_32 3
		.amdhsa_float_denorm_mode_16_64 3
		.amdhsa_dx10_clamp 1
		.amdhsa_ieee_mode 1
		.amdhsa_fp16_overflow 0
		.amdhsa_tg_split 0
		.amdhsa_exception_fp_ieee_invalid_op 0
		.amdhsa_exception_fp_denorm_src 0
		.amdhsa_exception_fp_ieee_div_zero 0
		.amdhsa_exception_fp_ieee_overflow 0
		.amdhsa_exception_fp_ieee_underflow 0
		.amdhsa_exception_fp_ieee_inexact 0
		.amdhsa_exception_int_div_zero 0
	.end_amdhsa_kernel
	.section	.text._ZN12_GLOBAL__N_120softmax_warp_forwardIdddLi0ELb1ELb0ELi64EEEvPT0_PKT_iiiPKbib,"axG",@progbits,_ZN12_GLOBAL__N_120softmax_warp_forwardIdddLi0ELb1ELb0ELi64EEEvPT0_PKT_iiiPKbib,comdat
.Lfunc_end0:
	.size	_ZN12_GLOBAL__N_120softmax_warp_forwardIdddLi0ELb1ELb0ELi64EEEvPT0_PKT_iiiPKbib, .Lfunc_end0-_ZN12_GLOBAL__N_120softmax_warp_forwardIdddLi0ELb1ELb0ELi64EEEvPT0_PKT_iiiPKbib
                                        ; -- End function
	.section	.AMDGPU.csdata,"",@progbits
; Kernel info:
; codeLenInByte = 2680
; NumSgprs: 20
; NumVgprs: 32
; NumAgprs: 0
; TotalNumVgprs: 32
; ScratchSize: 0
; MemoryBound: 0
; FloatMode: 240
; IeeeMode: 1
; LDSByteSize: 0 bytes/workgroup (compile time only)
; SGPRBlocks: 2
; VGPRBlocks: 3
; NumSGPRsForWavesPerEU: 20
; NumVGPRsForWavesPerEU: 32
; AccumOffset: 32
; Occupancy: 8
; WaveLimiterHint : 0
; COMPUTE_PGM_RSRC2:SCRATCH_EN: 0
; COMPUTE_PGM_RSRC2:USER_SGPR: 6
; COMPUTE_PGM_RSRC2:TRAP_HANDLER: 0
; COMPUTE_PGM_RSRC2:TGID_X_EN: 1
; COMPUTE_PGM_RSRC2:TGID_Y_EN: 0
; COMPUTE_PGM_RSRC2:TGID_Z_EN: 0
; COMPUTE_PGM_RSRC2:TIDIG_COMP_CNT: 1
; COMPUTE_PGM_RSRC3_GFX90A:ACCUM_OFFSET: 7
; COMPUTE_PGM_RSRC3_GFX90A:TG_SPLIT: 0
	.section	.text._ZN12_GLOBAL__N_120softmax_warp_forwardIdddLi0ELb1ELb0ELi32EEEvPT0_PKT_iiiPKbib,"axG",@progbits,_ZN12_GLOBAL__N_120softmax_warp_forwardIdddLi0ELb1ELb0ELi32EEEvPT0_PKT_iiiPKbib,comdat
	.globl	_ZN12_GLOBAL__N_120softmax_warp_forwardIdddLi0ELb1ELb0ELi32EEEvPT0_PKT_iiiPKbib ; -- Begin function _ZN12_GLOBAL__N_120softmax_warp_forwardIdddLi0ELb1ELb0ELi32EEEvPT0_PKT_iiiPKbib
	.p2align	8
	.type	_ZN12_GLOBAL__N_120softmax_warp_forwardIdddLi0ELb1ELb0ELi32EEEvPT0_PKT_iiiPKbib,@function
_ZN12_GLOBAL__N_120softmax_warp_forwardIdddLi0ELb1ELb0ELi32EEEvPT0_PKT_iiiPKbib: ; @_ZN12_GLOBAL__N_120softmax_warp_forwardIdddLi0ELb1ELb0ELi32EEEvPT0_PKT_iiiPKbib
; %bb.0:
	s_load_dword s0, s[4:5], 0x3c
	s_load_dwordx8 s[8:15], s[4:5], 0x0
	v_bfe_u32 v1, v0, 10, 10
	v_and_b32_e32 v2, 0x3ff, v0
	s_waitcnt lgkmcnt(0)
	s_lshr_b32 s0, s0, 16
	s_mul_i32 s6, s6, s0
	v_add_lshl_u32 v1, s6, v1, 1
	v_sub_u32_e32 v8, s12, v1
	v_mad_u64_u32 v[0:1], s[0:1], v1, s13, v[2:3]
	v_ashrrev_i32_e32 v1, 31, v0
	v_lshlrev_b64 v[0:1], 3, v[0:1]
	v_mov_b32_e32 v3, s11
	v_add_co_u32_e32 v6, vcc, s10, v0
	v_addc_co_u32_e32 v7, vcc, v3, v1, vcc
	v_cmp_gt_i32_e32 vcc, s14, v2
	v_mov_b32_e32 v2, 0
	v_cmp_lt_i32_e64 s[0:1], 0, v8
	v_mov_b32_e32 v3, 0xfff00000
	s_and_b64 s[4:5], vcc, s[0:1]
	v_pk_mov_b32 v[4:5], v[2:3], v[2:3] op_sel:[0,1]
	s_and_saveexec_b64 s[2:3], s[4:5]
	s_cbranch_execz .LBB1_2
; %bb.1:
	global_load_dwordx2 v[4:5], v[6:7], off
.LBB1_2:
	s_or_b64 exec, exec, s[2:3]
	v_cmp_lt_i32_e64 s[2:3], 1, v8
	s_and_b64 s[2:3], vcc, s[2:3]
	s_and_saveexec_b64 s[4:5], s[2:3]
	s_cbranch_execz .LBB1_4
; %bb.3:
	s_mov_b32 s15, 0
	s_lshl_b64 s[2:3], s[14:15], 3
	v_mov_b32_e32 v3, s3
	v_add_co_u32_e64 v2, s[2:3], s2, v6
	v_addc_co_u32_e64 v3, s[2:3], v7, v3, s[2:3]
	global_load_dwordx2 v[2:3], v[2:3], off
.LBB1_4:
	s_or_b64 exec, exec, s[4:5]
	s_and_saveexec_b64 s[2:3], s[0:1]
	s_cbranch_execz .LBB1_10
; %bb.5:
	v_mov_b32_e32 v6, s9
	v_add_co_u32_e64 v0, s[0:1], s8, v0
	v_addc_co_u32_e64 v1, s[0:1], v6, v1, s[0:1]
	s_and_saveexec_b64 s[6:7], vcc
	s_cbranch_execz .LBB1_7
; %bb.6:
	s_mov_b32 s4, 0x652b82fe
	s_waitcnt vmcnt(0)
	v_add_f64 v[4:5], v[4:5], -v[4:5]
	s_mov_b32 s5, 0x3ff71547
	v_mul_f64 v[6:7], v[4:5], s[4:5]
	v_rndne_f64_e32 v[6:7], v[6:7]
	s_mov_b32 s13, 0xbfe62e42
	s_mov_b32 s12, 0xfefa39ef
	v_fma_f64 v[10:11], s[12:13], v[6:7], v[4:5]
	s_mov_b32 s11, 0xbc7abc9e
	s_mov_b32 s10, 0x3b39803f
	s_mov_b32 s4, 0x6a5dcb37
	v_fmac_f64_e32 v[10:11], s[10:11], v[6:7]
	v_mov_b32_e32 v12, 0xfca7ab0c
	v_mov_b32_e32 v13, 0x3e928af3
	s_mov_b32 s5, 0x3e5ade15
	v_fmac_f64_e32 v[12:13], s[4:5], v[10:11]
	v_mov_b32_e32 v14, 0x623fde64
	v_mov_b32_e32 v15, 0x3ec71dee
	v_fmac_f64_e32 v[14:15], v[10:11], v[12:13]
	v_mov_b32_e32 v12, 0x7c89e6b0
	v_mov_b32_e32 v13, 0x3efa0199
	;; [unrolled: 3-line block ×8, first 2 shown]
	v_fmac_f64_e32 v[12:13], v[10:11], v[14:15]
	v_fma_f64 v[12:13], v[10:11], v[12:13], 1.0
	s_mov_b32 s2, 0
	v_fma_f64 v[10:11], v[10:11], v[12:13], 1.0
	v_cvt_i32_f64_e32 v6, v[6:7]
	s_mov_b32 s3, 0x40900000
	v_ldexp_f64 v[6:7], v[10:11], v6
	s_mov_b32 s0, 0
	v_add_f64 v[10:11], v[6:7], 0
	v_cmp_lt_f64_e64 s[2:3], s[2:3], v[4:5]
	v_mov_b32_e32 v7, 0x7ff00000
	s_mov_b32 s4, 0
	s_mov_b32 s1, 0xc090cc00
	v_cndmask_b32_e64 v7, v11, v7, s[2:3]
	v_and_b32_e32 v11, 0x7fffffff, v11
	s_mov_b32 s5, 0x7ff00000
	v_cndmask_b32_e64 v6, v10, 0, s[2:3]
	v_cmp_ngt_f64_e64 s[0:1], s[0:1], v[4:5]
	v_cmp_eq_f64_e64 s[4:5], s[4:5], v[10:11]
	v_cndmask_b32_e64 v7, 0, v7, s[0:1]
	v_cndmask_b32_e64 v6, 0, v6, s[0:1]
	s_or_b64 s[8:9], s[2:3], s[4:5]
	s_mov_b32 s2, 0x55555555
	v_frexp_mant_f64_e32 v[10:11], v[6:7]
	s_mov_b32 s3, 0x3fe55555
	v_frexp_exp_i32_f64_e32 v9, v[6:7]
	v_cmp_gt_f64_e64 s[2:3], s[2:3], v[10:11]
	v_subbrev_co_u32_e64 v9, s[4:5], 0, v9, s[2:3]
	v_cvt_f64_i32_e32 v[14:15], v9
	v_mov_b32_e32 v9, 0x3ff00000
	v_mov_b32_e32 v12, 0
	v_cndmask_b32_e64 v13, v9, 2.0, s[2:3]
	v_mul_f64 v[10:11], v[10:11], v[12:13]
	v_add_f64 v[12:13], v[10:11], 1.0
	v_rcp_f64_e32 v[20:21], v[12:13]
	v_add_f64 v[22:23], v[10:11], -1.0
	v_add_f64 v[28:29], v[12:13], -1.0
	v_add_f64 v[10:11], v[10:11], -v[28:29]
	v_fma_f64 v[24:25], -v[12:13], v[20:21], 1.0
	v_fmac_f64_e32 v[20:21], v[24:25], v[20:21]
	v_fma_f64 v[24:25], -v[12:13], v[20:21], 1.0
	v_fmac_f64_e32 v[20:21], v[24:25], v[20:21]
	v_mul_f64 v[24:25], v[22:23], v[20:21]
	v_mul_f64 v[26:27], v[12:13], v[24:25]
	v_fma_f64 v[12:13], v[24:25], v[12:13], -v[26:27]
	v_fmac_f64_e32 v[12:13], v[24:25], v[10:11]
	v_add_f64 v[10:11], v[26:27], v[12:13]
	v_add_f64 v[28:29], v[22:23], -v[10:11]
	v_add_f64 v[26:27], v[10:11], -v[26:27]
	;; [unrolled: 1-line block ×5, first 2 shown]
	v_add_f64 v[10:11], v[12:13], v[10:11]
	v_add_f64 v[10:11], v[28:29], v[10:11]
	v_mul_f64 v[10:11], v[20:21], v[10:11]
	v_add_f64 v[12:13], v[24:25], v[10:11]
	s_mov_b32 s2, 0xbf559e2b
	v_mul_f64 v[22:23], v[12:13], v[12:13]
	v_mov_b32_e32 v28, 0x6b47b09a
	v_mov_b32_e32 v29, 0x3fc38538
	s_mov_b32 s3, 0x3fc3ab76
	v_fmac_f64_e32 v[28:29], s[2:3], v[22:23]
	v_mov_b32_e32 v30, 0xd7f4df2e
	v_mov_b32_e32 v31, 0x3fc7474d
	v_fmac_f64_e32 v[30:31], v[22:23], v[28:29]
	v_mov_b32_e32 v28, 0x16291751
	v_mov_b32_e32 v29, 0x3fcc71c0
	;; [unrolled: 3-line block ×5, first 2 shown]
	v_mul_f64 v[26:27], v[12:13], v[22:23]
	v_fmac_f64_e32 v[30:31], v[22:23], v[28:29]
	v_ldexp_f64 v[20:21], v[12:13], 1
	v_mul_f64 v[22:23], v[26:27], v[30:31]
	s_mov_b32 s13, 0x3fe62e42
	v_add_f64 v[26:27], v[20:21], v[22:23]
	v_add_f64 v[12:13], v[12:13], -v[24:25]
	v_mul_f64 v[16:17], v[14:15], s[12:13]
	v_add_f64 v[10:11], v[10:11], -v[12:13]
	v_add_f64 v[12:13], v[26:27], -v[20:21]
	v_fma_f64 v[18:19], v[14:15], s[12:13], -v[16:17]
	s_mov_b32 s11, 0x3c7abc9e
	v_ldexp_f64 v[10:11], v[10:11], 1
	v_add_f64 v[12:13], v[22:23], -v[12:13]
	v_fmac_f64_e32 v[18:19], s[10:11], v[14:15]
	v_add_f64 v[10:11], v[10:11], v[12:13]
	v_add_f64 v[14:15], v[16:17], v[18:19]
	;; [unrolled: 1-line block ×4, first 2 shown]
	v_add_f64 v[16:17], v[14:15], -v[16:17]
	v_add_f64 v[16:17], v[18:19], -v[16:17]
	;; [unrolled: 1-line block ×7, first 2 shown]
	v_add_f64 v[18:19], v[16:17], v[10:11]
	v_add_f64 v[14:15], v[14:15], -v[22:23]
	v_add_f64 v[12:13], v[12:13], v[14:15]
	v_add_f64 v[22:23], v[18:19], -v[16:17]
	;; [unrolled: 2-line block ×4, first 2 shown]
	v_add_f64 v[16:17], v[16:17], -v[18:19]
	v_add_f64 v[10:11], v[10:11], v[16:17]
	v_add_f64 v[16:17], v[14:15], -v[20:21]
	v_add_f64 v[12:13], v[12:13], -v[16:17]
	v_add_f64 v[10:11], v[10:11], v[12:13]
	v_add_f64 v[10:11], v[14:15], v[10:11]
	s_and_b64 s[0:1], s[0:1], s[8:9]
	v_cndmask_b32_e64 v9, v10, v6, s[0:1]
	v_cndmask_b32_e64 v10, v11, v7, s[0:1]
	v_mov_b32_e32 v11, 0x7ff80000
	v_cmp_ngt_f64_e64 s[0:1], 0, v[6:7]
	v_cndmask_b32_e64 v11, v11, v10, s[0:1]
	v_cmp_nge_f64_e64 s[0:1], 0, v[6:7]
	v_cndmask_b32_e64 v10, 0, v9, s[0:1]
	v_mov_b32_e32 v9, 0xfff00000
	v_cmp_neq_f64_e64 s[0:1], 0, v[6:7]
	v_cndmask_b32_e64 v11, v9, v11, s[0:1]
	v_add_f64 v[4:5], v[4:5], -v[10:11]
	global_store_dwordx2 v[0:1], v[4:5], off
.LBB1_7:
	s_or_b64 exec, exec, s[6:7]
	v_cmp_ne_u32_e64 s[0:1], 1, v8
	s_and_b64 exec, exec, s[0:1]
	s_cbranch_execz .LBB1_10
; %bb.8:
	s_and_b64 exec, exec, vcc
	s_cbranch_execz .LBB1_10
; %bb.9:
	s_mov_b32 s4, 0x652b82fe
	s_waitcnt vmcnt(0)
	v_add_f64 v[2:3], v[2:3], -v[2:3]
	s_mov_b32 s5, 0x3ff71547
	v_mul_f64 v[4:5], v[2:3], s[4:5]
	v_rndne_f64_e32 v[4:5], v[4:5]
	s_mov_b32 s9, 0xbfe62e42
	s_mov_b32 s8, 0xfefa39ef
	v_fma_f64 v[6:7], s[8:9], v[4:5], v[2:3]
	s_mov_b32 s7, 0xbc7abc9e
	s_mov_b32 s6, 0x3b39803f
	;; [unrolled: 1-line block ×3, first 2 shown]
	v_fmac_f64_e32 v[6:7], s[6:7], v[4:5]
	v_mov_b32_e32 v8, 0xfca7ab0c
	v_mov_b32_e32 v9, 0x3e928af3
	s_mov_b32 s5, 0x3e5ade15
	v_fmac_f64_e32 v[8:9], s[4:5], v[6:7]
	v_mov_b32_e32 v10, 0x623fde64
	v_mov_b32_e32 v11, 0x3ec71dee
	v_fmac_f64_e32 v[10:11], v[6:7], v[8:9]
	v_mov_b32_e32 v8, 0x7c89e6b0
	v_mov_b32_e32 v9, 0x3efa0199
	;; [unrolled: 3-line block ×8, first 2 shown]
	v_fmac_f64_e32 v[8:9], v[6:7], v[10:11]
	v_fma_f64 v[8:9], v[6:7], v[8:9], 1.0
	s_mov_b32 s2, 0
	s_mov_b32 s0, 0
	v_fma_f64 v[6:7], v[6:7], v[8:9], 1.0
	v_cvt_i32_f64_e32 v4, v[4:5]
	s_mov_b32 s3, 0xc090cc00
	s_mov_b32 s1, 0x40900000
	v_ldexp_f64 v[4:5], v[6:7], v4
	v_add_f64 v[6:7], v[4:5], 0
	v_cmp_lt_f64_e64 s[0:1], s[0:1], v[2:3]
	v_mov_b32_e32 v5, 0x7ff00000
	v_cmp_ngt_f64_e32 vcc, s[2:3], v[2:3]
	s_mov_b32 s2, 0
	v_cndmask_b32_e64 v5, v7, v5, s[0:1]
	v_and_b32_e32 v7, 0x7fffffff, v7
	s_mov_b32 s3, 0x7ff00000
	v_cndmask_b32_e64 v4, v6, 0, s[0:1]
	v_cmp_eq_f64_e64 s[2:3], s[2:3], v[6:7]
	v_cndmask_b32_e32 v5, 0, v5, vcc
	v_cndmask_b32_e32 v4, 0, v4, vcc
	s_or_b64 s[4:5], s[0:1], s[2:3]
	s_mov_b32 s0, 0x55555555
	v_frexp_mant_f64_e32 v[6:7], v[4:5]
	s_mov_b32 s1, 0x3fe55555
	v_frexp_exp_i32_f64_e32 v9, v[4:5]
	v_cmp_gt_f64_e64 s[0:1], s[0:1], v[6:7]
	v_subbrev_co_u32_e64 v9, s[2:3], 0, v9, s[0:1]
	v_cvt_f64_i32_e32 v[10:11], v9
	v_mov_b32_e32 v9, 0x3ff00000
	v_mov_b32_e32 v8, 0
	v_cndmask_b32_e64 v9, v9, 2.0, s[0:1]
	v_mul_f64 v[6:7], v[6:7], v[8:9]
	v_add_f64 v[8:9], v[6:7], 1.0
	v_rcp_f64_e32 v[16:17], v[8:9]
	v_add_f64 v[18:19], v[6:7], -1.0
	v_add_f64 v[24:25], v[8:9], -1.0
	v_add_f64 v[6:7], v[6:7], -v[24:25]
	v_fma_f64 v[20:21], -v[8:9], v[16:17], 1.0
	v_fmac_f64_e32 v[16:17], v[20:21], v[16:17]
	v_fma_f64 v[20:21], -v[8:9], v[16:17], 1.0
	v_fmac_f64_e32 v[16:17], v[20:21], v[16:17]
	v_mul_f64 v[20:21], v[18:19], v[16:17]
	v_mul_f64 v[22:23], v[8:9], v[20:21]
	v_fma_f64 v[8:9], v[20:21], v[8:9], -v[22:23]
	v_fmac_f64_e32 v[8:9], v[20:21], v[6:7]
	v_add_f64 v[6:7], v[22:23], v[8:9]
	v_add_f64 v[24:25], v[18:19], -v[6:7]
	v_add_f64 v[22:23], v[6:7], -v[22:23]
	;; [unrolled: 1-line block ×5, first 2 shown]
	v_add_f64 v[6:7], v[8:9], v[6:7]
	v_add_f64 v[6:7], v[24:25], v[6:7]
	v_mul_f64 v[6:7], v[16:17], v[6:7]
	v_add_f64 v[8:9], v[20:21], v[6:7]
	s_mov_b32 s0, 0xbf559e2b
	v_mul_f64 v[18:19], v[8:9], v[8:9]
	v_mov_b32_e32 v24, 0x6b47b09a
	v_mov_b32_e32 v25, 0x3fc38538
	s_mov_b32 s1, 0x3fc3ab76
	v_fmac_f64_e32 v[24:25], s[0:1], v[18:19]
	v_mov_b32_e32 v26, 0xd7f4df2e
	v_mov_b32_e32 v27, 0x3fc7474d
	v_fmac_f64_e32 v[26:27], v[18:19], v[24:25]
	v_mov_b32_e32 v24, 0x16291751
	v_mov_b32_e32 v25, 0x3fcc71c0
	;; [unrolled: 3-line block ×5, first 2 shown]
	v_mul_f64 v[22:23], v[8:9], v[18:19]
	v_fmac_f64_e32 v[26:27], v[18:19], v[24:25]
	v_ldexp_f64 v[16:17], v[8:9], 1
	v_mul_f64 v[18:19], v[22:23], v[26:27]
	s_mov_b32 s9, 0x3fe62e42
	v_add_f64 v[22:23], v[16:17], v[18:19]
	v_add_f64 v[8:9], v[8:9], -v[20:21]
	v_mul_f64 v[12:13], v[10:11], s[8:9]
	v_add_f64 v[6:7], v[6:7], -v[8:9]
	v_add_f64 v[8:9], v[22:23], -v[16:17]
	v_fma_f64 v[14:15], v[10:11], s[8:9], -v[12:13]
	s_mov_b32 s7, 0x3c7abc9e
	v_ldexp_f64 v[6:7], v[6:7], 1
	v_add_f64 v[8:9], v[18:19], -v[8:9]
	v_fmac_f64_e32 v[14:15], s[6:7], v[10:11]
	v_add_f64 v[6:7], v[6:7], v[8:9]
	v_add_f64 v[10:11], v[12:13], v[14:15]
	;; [unrolled: 1-line block ×4, first 2 shown]
	v_add_f64 v[12:13], v[10:11], -v[12:13]
	v_add_f64 v[12:13], v[14:15], -v[12:13]
	v_add_f64 v[14:15], v[8:9], -v[22:23]
	v_add_f64 v[18:19], v[16:17], -v[10:11]
	v_add_f64 v[6:7], v[6:7], -v[14:15]
	v_add_f64 v[8:9], v[8:9], -v[18:19]
	v_add_f64 v[18:19], v[16:17], -v[18:19]
	v_add_f64 v[14:15], v[12:13], v[6:7]
	v_add_f64 v[10:11], v[10:11], -v[18:19]
	v_add_f64 v[8:9], v[8:9], v[10:11]
	v_add_f64 v[18:19], v[14:15], -v[12:13]
	v_add_f64 v[8:9], v[14:15], v[8:9]
	v_add_f64 v[14:15], v[14:15], -v[18:19]
	v_add_f64 v[10:11], v[16:17], v[8:9]
	v_add_f64 v[6:7], v[6:7], -v[18:19]
	v_add_f64 v[12:13], v[12:13], -v[14:15]
	v_add_f64 v[6:7], v[6:7], v[12:13]
	v_add_f64 v[12:13], v[10:11], -v[16:17]
	v_add_f64 v[8:9], v[8:9], -v[12:13]
	v_add_f64 v[6:7], v[6:7], v[8:9]
	v_add_f64 v[6:7], v[10:11], v[6:7]
	s_and_b64 vcc, vcc, s[4:5]
	v_cndmask_b32_e32 v6, v6, v4, vcc
	v_cndmask_b32_e32 v7, v7, v5, vcc
	v_mov_b32_e32 v8, 0x7ff80000
	v_cmp_ngt_f64_e32 vcc, 0, v[4:5]
	s_mov_b32 s15, 0
	v_cndmask_b32_e32 v7, v8, v7, vcc
	v_cmp_nge_f64_e32 vcc, 0, v[4:5]
	v_cndmask_b32_e32 v6, 0, v6, vcc
	v_mov_b32_e32 v8, 0xfff00000
	v_cmp_neq_f64_e32 vcc, 0, v[4:5]
	s_lshl_b64 s[0:1], s[14:15], 3
	v_cndmask_b32_e32 v7, v8, v7, vcc
	v_mov_b32_e32 v4, s1
	v_add_co_u32_e32 v0, vcc, s0, v0
	v_add_f64 v[2:3], v[2:3], -v[6:7]
	v_addc_co_u32_e32 v1, vcc, v1, v4, vcc
	global_store_dwordx2 v[0:1], v[2:3], off
.LBB1_10:
	s_endpgm
	.section	.rodata,"a",@progbits
	.p2align	6, 0x0
	.amdhsa_kernel _ZN12_GLOBAL__N_120softmax_warp_forwardIdddLi0ELb1ELb0ELi32EEEvPT0_PKT_iiiPKbib
		.amdhsa_group_segment_fixed_size 0
		.amdhsa_private_segment_fixed_size 0
		.amdhsa_kernarg_size 304
		.amdhsa_user_sgpr_count 6
		.amdhsa_user_sgpr_private_segment_buffer 1
		.amdhsa_user_sgpr_dispatch_ptr 0
		.amdhsa_user_sgpr_queue_ptr 0
		.amdhsa_user_sgpr_kernarg_segment_ptr 1
		.amdhsa_user_sgpr_dispatch_id 0
		.amdhsa_user_sgpr_flat_scratch_init 0
		.amdhsa_user_sgpr_kernarg_preload_length 0
		.amdhsa_user_sgpr_kernarg_preload_offset 0
		.amdhsa_user_sgpr_private_segment_size 0
		.amdhsa_uses_dynamic_stack 0
		.amdhsa_system_sgpr_private_segment_wavefront_offset 0
		.amdhsa_system_sgpr_workgroup_id_x 1
		.amdhsa_system_sgpr_workgroup_id_y 0
		.amdhsa_system_sgpr_workgroup_id_z 0
		.amdhsa_system_sgpr_workgroup_info 0
		.amdhsa_system_vgpr_workitem_id 1
		.amdhsa_next_free_vgpr 32
		.amdhsa_next_free_sgpr 16
		.amdhsa_accum_offset 32
		.amdhsa_reserve_vcc 1
		.amdhsa_reserve_flat_scratch 0
		.amdhsa_float_round_mode_32 0
		.amdhsa_float_round_mode_16_64 0
		.amdhsa_float_denorm_mode_32 3
		.amdhsa_float_denorm_mode_16_64 3
		.amdhsa_dx10_clamp 1
		.amdhsa_ieee_mode 1
		.amdhsa_fp16_overflow 0
		.amdhsa_tg_split 0
		.amdhsa_exception_fp_ieee_invalid_op 0
		.amdhsa_exception_fp_denorm_src 0
		.amdhsa_exception_fp_ieee_div_zero 0
		.amdhsa_exception_fp_ieee_overflow 0
		.amdhsa_exception_fp_ieee_underflow 0
		.amdhsa_exception_fp_ieee_inexact 0
		.amdhsa_exception_int_div_zero 0
	.end_amdhsa_kernel
	.section	.text._ZN12_GLOBAL__N_120softmax_warp_forwardIdddLi0ELb1ELb0ELi32EEEvPT0_PKT_iiiPKbib,"axG",@progbits,_ZN12_GLOBAL__N_120softmax_warp_forwardIdddLi0ELb1ELb0ELi32EEEvPT0_PKT_iiiPKbib,comdat
.Lfunc_end1:
	.size	_ZN12_GLOBAL__N_120softmax_warp_forwardIdddLi0ELb1ELb0ELi32EEEvPT0_PKT_iiiPKbib, .Lfunc_end1-_ZN12_GLOBAL__N_120softmax_warp_forwardIdddLi0ELb1ELb0ELi32EEEvPT0_PKT_iiiPKbib
                                        ; -- End function
	.section	.AMDGPU.csdata,"",@progbits
; Kernel info:
; codeLenInByte = 2680
; NumSgprs: 20
; NumVgprs: 32
; NumAgprs: 0
; TotalNumVgprs: 32
; ScratchSize: 0
; MemoryBound: 0
; FloatMode: 240
; IeeeMode: 1
; LDSByteSize: 0 bytes/workgroup (compile time only)
; SGPRBlocks: 2
; VGPRBlocks: 3
; NumSGPRsForWavesPerEU: 20
; NumVGPRsForWavesPerEU: 32
; AccumOffset: 32
; Occupancy: 8
; WaveLimiterHint : 0
; COMPUTE_PGM_RSRC2:SCRATCH_EN: 0
; COMPUTE_PGM_RSRC2:USER_SGPR: 6
; COMPUTE_PGM_RSRC2:TRAP_HANDLER: 0
; COMPUTE_PGM_RSRC2:TGID_X_EN: 1
; COMPUTE_PGM_RSRC2:TGID_Y_EN: 0
; COMPUTE_PGM_RSRC2:TGID_Z_EN: 0
; COMPUTE_PGM_RSRC2:TIDIG_COMP_CNT: 1
; COMPUTE_PGM_RSRC3_GFX90A:ACCUM_OFFSET: 7
; COMPUTE_PGM_RSRC3_GFX90A:TG_SPLIT: 0
	.section	.text._ZN12_GLOBAL__N_120softmax_warp_forwardIdddLi1ELb1ELb0ELi64EEEvPT0_PKT_iiiPKbib,"axG",@progbits,_ZN12_GLOBAL__N_120softmax_warp_forwardIdddLi1ELb1ELb0ELi64EEEvPT0_PKT_iiiPKbib,comdat
	.globl	_ZN12_GLOBAL__N_120softmax_warp_forwardIdddLi1ELb1ELb0ELi64EEEvPT0_PKT_iiiPKbib ; -- Begin function _ZN12_GLOBAL__N_120softmax_warp_forwardIdddLi1ELb1ELb0ELi64EEEvPT0_PKT_iiiPKbib
	.p2align	8
	.type	_ZN12_GLOBAL__N_120softmax_warp_forwardIdddLi1ELb1ELb0ELi64EEEvPT0_PKT_iiiPKbib,@function
_ZN12_GLOBAL__N_120softmax_warp_forwardIdddLi1ELb1ELb0ELi64EEEvPT0_PKT_iiiPKbib: ; @_ZN12_GLOBAL__N_120softmax_warp_forwardIdddLi1ELb1ELb0ELi64EEEvPT0_PKT_iiiPKbib
; %bb.0:
	s_load_dword s0, s[4:5], 0x3c
	s_load_dwordx8 s[8:15], s[4:5], 0x0
	v_bfe_u32 v1, v0, 10, 10
	v_and_b32_e32 v0, 0x3ff, v0
	s_waitcnt lgkmcnt(0)
	s_lshr_b32 s0, s0, 16
	s_mul_i32 s6, s6, s0
	v_add_lshl_u32 v1, s6, v1, 1
	v_mad_u64_u32 v[2:3], s[0:1], v1, s13, v[0:1]
	v_ashrrev_i32_e32 v3, 31, v2
	v_lshlrev_b64 v[2:3], 3, v[2:3]
	v_sub_u32_e32 v14, s12, v1
	v_mov_b32_e32 v1, s11
	v_add_co_u32_e32 v6, vcc, s10, v2
	v_addc_co_u32_e32 v7, vcc, v1, v3, vcc
	v_cmp_gt_i32_e32 vcc, s14, v0
	v_mov_b32_e32 v0, 0
	v_cmp_lt_i32_e64 s[0:1], 0, v14
	v_mov_b32_e32 v1, 0xfff00000
	s_and_b64 s[4:5], vcc, s[0:1]
	v_pk_mov_b32 v[4:5], v[0:1], v[0:1] op_sel:[0,1]
	s_and_saveexec_b64 s[2:3], s[4:5]
	s_cbranch_execz .LBB2_2
; %bb.1:
	global_load_dwordx2 v[4:5], v[6:7], off
.LBB2_2:
	s_or_b64 exec, exec, s[2:3]
	v_cmp_lt_i32_e64 s[2:3], 1, v14
	s_and_b64 s[2:3], vcc, s[2:3]
	s_and_saveexec_b64 s[4:5], s[2:3]
	s_cbranch_execz .LBB2_4
; %bb.3:
	s_mov_b32 s15, 0
	s_lshl_b64 s[2:3], s[14:15], 3
	v_mov_b32_e32 v1, s3
	v_add_co_u32_e64 v0, s[2:3], s2, v6
	v_addc_co_u32_e64 v1, s[2:3], v7, v1, s[2:3]
	global_load_dwordx2 v[0:1], v[0:1], off
.LBB2_4:
	s_or_b64 exec, exec, s[4:5]
	v_mbcnt_lo_u32_b32 v6, -1, 0
	v_mbcnt_hi_u32_b32 v6, -1, v6
	v_and_b32_e32 v8, 0x7e, v6
	v_xor_b32_e32 v7, 1, v6
	v_add_u32_e32 v8, 2, v8
	v_cmp_lt_i32_e64 s[2:3], v7, v8
	v_cndmask_b32_e64 v6, v6, v7, s[2:3]
	v_lshlrev_b32_e32 v15, 2, v6
	s_waitcnt vmcnt(0)
	ds_bpermute_b32 v6, v15, v4
	ds_bpermute_b32 v7, v15, v5
	;; [unrolled: 1-line block ×4, first 2 shown]
	s_mov_b32 s6, 0x652b82fe
	s_mov_b32 s7, 0x3ff71547
	s_waitcnt lgkmcnt(2)
	v_cmp_lt_f64_e64 s[2:3], v[4:5], v[6:7]
	v_cndmask_b32_e64 v7, v5, v7, s[2:3]
	v_cndmask_b32_e64 v6, v4, v6, s[2:3]
	v_add_f64 v[4:5], v[4:5], -v[6:7]
	s_waitcnt lgkmcnt(0)
	v_cmp_lt_f64_e64 s[2:3], v[0:1], v[8:9]
	v_mul_f64 v[6:7], v[4:5], s[6:7]
	s_mov_b32 s10, 0xfefa39ef
	v_cndmask_b32_e64 v9, v1, v9, s[2:3]
	v_cndmask_b32_e64 v8, v0, v8, s[2:3]
	v_rndne_f64_e32 v[6:7], v[6:7]
	s_mov_b32 s11, 0xbfe62e42
	s_mov_b32 s12, 0x3b39803f
	;; [unrolled: 1-line block ×3, first 2 shown]
	v_fma_f64 v[10:11], s[10:11], v[6:7], v[4:5]
	s_mov_b32 s13, 0xbc7abc9e
	s_mov_b32 s3, 0x3e928af3
	;; [unrolled: 1-line block ×3, first 2 shown]
	v_fmac_f64_e32 v[10:11], s[12:13], v[6:7]
	s_mov_b32 s17, 0x3e5ade15
	v_pk_mov_b32 v[12:13], s[2:3], s[2:3] op_sel:[0,1]
	s_mov_b32 s18, 0x623fde64
	v_fma_f64 v[16:17], s[16:17], v[10:11], v[12:13]
	s_mov_b32 s19, 0x3ec71dee
	s_mov_b32 s20, 0x7c89e6b0
	v_fma_f64 v[16:17], v[10:11], v[16:17], s[18:19]
	s_mov_b32 s21, 0x3efa0199
	;; [unrolled: 3-line block ×8, first 2 shown]
	v_fma_f64 v[16:17], v[10:11], v[16:17], s[34:35]
	v_fma_f64 v[16:17], v[10:11], v[16:17], 1.0
	v_fma_f64 v[10:11], v[10:11], v[16:17], 1.0
	v_cvt_i32_f64_e32 v6, v[6:7]
	s_mov_b32 s36, 0
	s_mov_b32 s38, 0
	v_ldexp_f64 v[6:7], v[10:11], v6
	s_mov_b32 s37, 0x40900000
	s_mov_b32 s39, 0xc090cc00
	v_add_f64 v[6:7], v[6:7], 0
	v_mov_b32_e32 v16, 0x7ff00000
	v_cmp_nlt_f64_e64 s[2:3], s[36:37], v[4:5]
	v_cmp_ngt_f64_e64 s[4:5], s[38:39], v[4:5]
	v_cndmask_b32_e64 v7, v16, v7, s[2:3]
	s_and_b64 s[2:3], s[4:5], s[2:3]
	v_add_f64 v[0:1], v[0:1], -v[8:9]
	v_cndmask_b32_e64 v11, 0, v7, s[4:5]
	v_cndmask_b32_e64 v10, 0, v6, s[2:3]
	v_mul_f64 v[6:7], v[0:1], s[6:7]
	v_rndne_f64_e32 v[6:7], v[6:7]
	v_fma_f64 v[8:9], s[10:11], v[6:7], v[0:1]
	v_fmac_f64_e32 v[8:9], s[12:13], v[6:7]
	v_fmac_f64_e32 v[12:13], s[16:17], v[8:9]
	v_fma_f64 v[12:13], v[8:9], v[12:13], s[18:19]
	v_fma_f64 v[12:13], v[8:9], v[12:13], s[20:21]
	;; [unrolled: 1-line block ×8, first 2 shown]
	v_fma_f64 v[12:13], v[8:9], v[12:13], 1.0
	v_fma_f64 v[8:9], v[8:9], v[12:13], 1.0
	v_cvt_i32_f64_e32 v6, v[6:7]
	v_ldexp_f64 v[6:7], v[8:9], v6
	v_add_f64 v[6:7], v[6:7], 0
	v_cmp_nlt_f64_e64 s[2:3], s[36:37], v[0:1]
	v_cmp_ngt_f64_e64 s[4:5], s[38:39], v[0:1]
	v_cndmask_b32_e64 v7, v16, v7, s[2:3]
	s_and_b64 s[2:3], s[4:5], s[2:3]
	v_cndmask_b32_e64 v7, 0, v7, s[4:5]
	v_cndmask_b32_e64 v6, 0, v6, s[2:3]
	ds_bpermute_b32 v12, v15, v10
	ds_bpermute_b32 v13, v15, v11
	;; [unrolled: 1-line block ×4, first 2 shown]
	s_and_saveexec_b64 s[2:3], s[0:1]
	s_cbranch_execz .LBB2_10
; %bb.5:
	v_mov_b32_e32 v15, s9
	v_add_co_u32_e64 v2, s[0:1], s8, v2
	v_addc_co_u32_e64 v3, s[0:1], v15, v3, s[0:1]
	s_and_saveexec_b64 s[4:5], vcc
	s_cbranch_execz .LBB2_7
; %bb.6:
	s_waitcnt lgkmcnt(2)
	v_add_f64 v[10:11], v[10:11], v[12:13]
	s_mov_b32 s0, 0x55555555
	v_frexp_mant_f64_e32 v[12:13], v[10:11]
	s_mov_b32 s1, 0x3fe55555
	v_frexp_exp_i32_f64_e32 v15, v[10:11]
	v_cmp_gt_f64_e64 s[0:1], s[0:1], v[12:13]
	v_subbrev_co_u32_e64 v15, s[2:3], 0, v15, s[0:1]
	v_cvt_f64_i32_e32 v[18:19], v15
	v_mov_b32_e32 v15, 0x3ff00000
	v_mov_b32_e32 v16, 0
	v_cndmask_b32_e64 v17, v15, 2.0, s[0:1]
	v_mul_f64 v[12:13], v[12:13], v[16:17]
	v_add_f64 v[16:17], v[12:13], 1.0
	v_rcp_f64_e32 v[24:25], v[16:17]
	v_add_f64 v[26:27], v[12:13], -1.0
	v_add_f64 v[32:33], v[16:17], -1.0
	v_add_f64 v[12:13], v[12:13], -v[32:33]
	v_fma_f64 v[28:29], -v[16:17], v[24:25], 1.0
	v_fmac_f64_e32 v[24:25], v[28:29], v[24:25]
	v_fma_f64 v[28:29], -v[16:17], v[24:25], 1.0
	v_fmac_f64_e32 v[24:25], v[28:29], v[24:25]
	v_mul_f64 v[28:29], v[26:27], v[24:25]
	v_mul_f64 v[30:31], v[16:17], v[28:29]
	v_fma_f64 v[16:17], v[28:29], v[16:17], -v[30:31]
	v_fmac_f64_e32 v[16:17], v[28:29], v[12:13]
	v_add_f64 v[12:13], v[30:31], v[16:17]
	v_add_f64 v[32:33], v[26:27], -v[12:13]
	v_add_f64 v[30:31], v[12:13], -v[30:31]
	v_add_f64 v[26:27], v[26:27], -v[32:33]
	v_add_f64 v[16:17], v[30:31], -v[16:17]
	v_add_f64 v[12:13], v[26:27], -v[12:13]
	v_add_f64 v[12:13], v[16:17], v[12:13]
	v_add_f64 v[12:13], v[32:33], v[12:13]
	v_mul_f64 v[12:13], v[24:25], v[12:13]
	v_add_f64 v[16:17], v[28:29], v[12:13]
	s_mov_b32 s0, 0xbf559e2b
	v_mul_f64 v[26:27], v[16:17], v[16:17]
	v_mov_b32_e32 v32, 0x6b47b09a
	v_mov_b32_e32 v33, 0x3fc38538
	s_mov_b32 s1, 0x3fc3ab76
	v_fmac_f64_e32 v[32:33], s[0:1], v[26:27]
	v_mov_b32_e32 v34, 0xd7f4df2e
	v_mov_b32_e32 v35, 0x3fc7474d
	v_fmac_f64_e32 v[34:35], v[26:27], v[32:33]
	v_mov_b32_e32 v32, 0x16291751
	v_mov_b32_e32 v33, 0x3fcc71c0
	;; [unrolled: 3-line block ×5, first 2 shown]
	s_mov_b32 s2, 0xfefa39ef
	v_mul_f64 v[30:31], v[16:17], v[26:27]
	v_fmac_f64_e32 v[34:35], v[26:27], v[32:33]
	s_mov_b32 s3, 0x3fe62e42
	v_ldexp_f64 v[24:25], v[16:17], 1
	v_mul_f64 v[26:27], v[30:31], v[34:35]
	v_mul_f64 v[20:21], v[18:19], s[2:3]
	v_add_f64 v[30:31], v[24:25], v[26:27]
	v_add_f64 v[16:17], v[16:17], -v[28:29]
	v_fma_f64 v[22:23], v[18:19], s[2:3], -v[20:21]
	s_mov_b32 s2, 0x3b39803f
	v_add_f64 v[12:13], v[12:13], -v[16:17]
	v_add_f64 v[16:17], v[30:31], -v[24:25]
	s_mov_b32 s3, 0x3c7abc9e
	v_ldexp_f64 v[12:13], v[12:13], 1
	v_add_f64 v[16:17], v[26:27], -v[16:17]
	v_fmac_f64_e32 v[22:23], s[2:3], v[18:19]
	v_add_f64 v[12:13], v[12:13], v[16:17]
	v_add_f64 v[18:19], v[20:21], v[22:23]
	;; [unrolled: 1-line block ×4, first 2 shown]
	v_add_f64 v[20:21], v[18:19], -v[20:21]
	v_add_f64 v[20:21], v[22:23], -v[20:21]
	;; [unrolled: 1-line block ×7, first 2 shown]
	v_add_f64 v[22:23], v[20:21], v[12:13]
	v_add_f64 v[18:19], v[18:19], -v[26:27]
	v_add_f64 v[16:17], v[16:17], v[18:19]
	v_add_f64 v[26:27], v[22:23], -v[20:21]
	;; [unrolled: 2-line block ×4, first 2 shown]
	v_add_f64 v[20:21], v[20:21], -v[22:23]
	v_add_f64 v[12:13], v[12:13], v[20:21]
	v_add_f64 v[20:21], v[18:19], -v[24:25]
	v_add_f64 v[16:17], v[16:17], -v[20:21]
	s_movk_i32 s6, 0x204
	v_add_f64 v[12:13], v[12:13], v[16:17]
	v_add_f64 v[12:13], v[18:19], v[12:13]
	v_cmp_class_f64_e64 s[0:1], v[10:11], s6
	v_cndmask_b32_e64 v12, v12, v10, s[0:1]
	v_cndmask_b32_e64 v13, v13, v11, s[0:1]
	v_mov_b32_e32 v15, 0x7ff80000
	v_cmp_ngt_f64_e64 s[0:1], 0, v[10:11]
	v_cndmask_b32_e64 v13, v15, v13, s[0:1]
	v_cmp_nge_f64_e64 s[0:1], 0, v[10:11]
	v_cndmask_b32_e64 v12, 0, v12, s[0:1]
	v_mov_b32_e32 v15, 0xfff00000
	v_cmp_neq_f64_e64 s[0:1], 0, v[10:11]
	v_cndmask_b32_e64 v13, v15, v13, s[0:1]
	v_add_f64 v[4:5], v[4:5], -v[12:13]
	global_store_dwordx2 v[2:3], v[4:5], off
.LBB2_7:
	s_or_b64 exec, exec, s[4:5]
	v_cmp_ne_u32_e64 s[0:1], 1, v14
	s_and_b64 exec, exec, s[0:1]
	s_cbranch_execz .LBB2_10
; %bb.8:
	s_and_b64 exec, exec, vcc
	s_cbranch_execz .LBB2_10
; %bb.9:
	s_waitcnt lgkmcnt(0)
	v_add_f64 v[4:5], v[6:7], v[8:9]
	s_mov_b32 s0, 0x55555555
	v_frexp_mant_f64_e32 v[6:7], v[4:5]
	s_mov_b32 s1, 0x3fe55555
	v_frexp_exp_i32_f64_e32 v9, v[4:5]
	v_cmp_gt_f64_e32 vcc, s[0:1], v[6:7]
	v_subbrev_co_u32_e64 v9, s[0:1], 0, v9, vcc
	v_cvt_f64_i32_e32 v[10:11], v9
	v_mov_b32_e32 v9, 0x3ff00000
	v_mov_b32_e32 v8, 0
	v_cndmask_b32_e64 v9, v9, 2.0, vcc
	v_mul_f64 v[6:7], v[6:7], v[8:9]
	v_add_f64 v[8:9], v[6:7], 1.0
	v_rcp_f64_e32 v[16:17], v[8:9]
	v_add_f64 v[18:19], v[6:7], -1.0
	v_add_f64 v[24:25], v[8:9], -1.0
	v_add_f64 v[6:7], v[6:7], -v[24:25]
	v_fma_f64 v[20:21], -v[8:9], v[16:17], 1.0
	v_fmac_f64_e32 v[16:17], v[20:21], v[16:17]
	v_fma_f64 v[20:21], -v[8:9], v[16:17], 1.0
	v_fmac_f64_e32 v[16:17], v[20:21], v[16:17]
	v_mul_f64 v[20:21], v[18:19], v[16:17]
	v_mul_f64 v[22:23], v[8:9], v[20:21]
	v_fma_f64 v[8:9], v[20:21], v[8:9], -v[22:23]
	v_fmac_f64_e32 v[8:9], v[20:21], v[6:7]
	v_add_f64 v[6:7], v[22:23], v[8:9]
	v_add_f64 v[24:25], v[18:19], -v[6:7]
	s_mov_b32 s0, 0xfefa39ef
	v_add_f64 v[22:23], v[6:7], -v[22:23]
	v_add_f64 v[18:19], v[18:19], -v[24:25]
	s_mov_b32 s1, 0x3fe62e42
	v_add_f64 v[8:9], v[22:23], -v[8:9]
	v_add_f64 v[6:7], v[18:19], -v[6:7]
	v_mul_f64 v[12:13], v[10:11], s[0:1]
	v_add_f64 v[6:7], v[8:9], v[6:7]
	v_fma_f64 v[14:15], v[10:11], s[0:1], -v[12:13]
	s_mov_b32 s0, 0x3b39803f
	v_add_f64 v[6:7], v[24:25], v[6:7]
	s_mov_b32 s1, 0x3c7abc9e
	v_mul_f64 v[6:7], v[16:17], v[6:7]
	v_fmac_f64_e32 v[14:15], s[0:1], v[10:11]
	v_add_f64 v[8:9], v[20:21], v[6:7]
	s_mov_b32 s0, 0xbf559e2b
	v_mul_f64 v[18:19], v[8:9], v[8:9]
	v_mov_b32_e32 v24, 0x6b47b09a
	v_mov_b32_e32 v25, 0x3fc38538
	s_mov_b32 s1, 0x3fc3ab76
	v_fmac_f64_e32 v[24:25], s[0:1], v[18:19]
	v_mov_b32_e32 v26, 0xd7f4df2e
	v_mov_b32_e32 v27, 0x3fc7474d
	v_fmac_f64_e32 v[26:27], v[18:19], v[24:25]
	v_mov_b32_e32 v24, 0x16291751
	v_mov_b32_e32 v25, 0x3fcc71c0
	;; [unrolled: 3-line block ×5, first 2 shown]
	v_mul_f64 v[22:23], v[8:9], v[18:19]
	v_fmac_f64_e32 v[26:27], v[18:19], v[24:25]
	v_ldexp_f64 v[16:17], v[8:9], 1
	v_mul_f64 v[18:19], v[22:23], v[26:27]
	v_add_f64 v[22:23], v[16:17], v[18:19]
	v_add_f64 v[8:9], v[8:9], -v[20:21]
	v_add_f64 v[6:7], v[6:7], -v[8:9]
	;; [unrolled: 1-line block ×3, first 2 shown]
	v_ldexp_f64 v[6:7], v[6:7], 1
	v_add_f64 v[8:9], v[18:19], -v[8:9]
	v_add_f64 v[6:7], v[6:7], v[8:9]
	v_add_f64 v[10:11], v[12:13], v[14:15]
	;; [unrolled: 1-line block ×4, first 2 shown]
	v_add_f64 v[12:13], v[10:11], -v[12:13]
	v_add_f64 v[12:13], v[14:15], -v[12:13]
	;; [unrolled: 1-line block ×7, first 2 shown]
	v_add_f64 v[14:15], v[12:13], v[6:7]
	v_add_f64 v[10:11], v[10:11], -v[18:19]
	v_add_f64 v[8:9], v[8:9], v[10:11]
	v_add_f64 v[18:19], v[14:15], -v[12:13]
	;; [unrolled: 2-line block ×4, first 2 shown]
	v_add_f64 v[12:13], v[12:13], -v[14:15]
	v_add_f64 v[6:7], v[6:7], v[12:13]
	v_add_f64 v[12:13], v[10:11], -v[16:17]
	v_add_f64 v[8:9], v[8:9], -v[12:13]
	s_movk_i32 s2, 0x204
	v_add_f64 v[6:7], v[6:7], v[8:9]
	v_add_f64 v[6:7], v[10:11], v[6:7]
	v_cmp_class_f64_e64 vcc, v[4:5], s2
	v_cndmask_b32_e32 v6, v6, v4, vcc
	v_cndmask_b32_e32 v7, v7, v5, vcc
	v_mov_b32_e32 v8, 0x7ff80000
	v_cmp_ngt_f64_e32 vcc, 0, v[4:5]
	s_mov_b32 s15, 0
	v_cndmask_b32_e32 v7, v8, v7, vcc
	v_cmp_nge_f64_e32 vcc, 0, v[4:5]
	v_cndmask_b32_e32 v6, 0, v6, vcc
	v_mov_b32_e32 v8, 0xfff00000
	v_cmp_neq_f64_e32 vcc, 0, v[4:5]
	s_lshl_b64 s[0:1], s[14:15], 3
	v_cndmask_b32_e32 v7, v8, v7, vcc
	v_mov_b32_e32 v4, s1
	v_add_co_u32_e32 v2, vcc, s0, v2
	v_add_f64 v[0:1], v[0:1], -v[6:7]
	v_addc_co_u32_e32 v3, vcc, v3, v4, vcc
	global_store_dwordx2 v[2:3], v[0:1], off
.LBB2_10:
	s_endpgm
	.section	.rodata,"a",@progbits
	.p2align	6, 0x0
	.amdhsa_kernel _ZN12_GLOBAL__N_120softmax_warp_forwardIdddLi1ELb1ELb0ELi64EEEvPT0_PKT_iiiPKbib
		.amdhsa_group_segment_fixed_size 0
		.amdhsa_private_segment_fixed_size 0
		.amdhsa_kernarg_size 304
		.amdhsa_user_sgpr_count 6
		.amdhsa_user_sgpr_private_segment_buffer 1
		.amdhsa_user_sgpr_dispatch_ptr 0
		.amdhsa_user_sgpr_queue_ptr 0
		.amdhsa_user_sgpr_kernarg_segment_ptr 1
		.amdhsa_user_sgpr_dispatch_id 0
		.amdhsa_user_sgpr_flat_scratch_init 0
		.amdhsa_user_sgpr_kernarg_preload_length 0
		.amdhsa_user_sgpr_kernarg_preload_offset 0
		.amdhsa_user_sgpr_private_segment_size 0
		.amdhsa_uses_dynamic_stack 0
		.amdhsa_system_sgpr_private_segment_wavefront_offset 0
		.amdhsa_system_sgpr_workgroup_id_x 1
		.amdhsa_system_sgpr_workgroup_id_y 0
		.amdhsa_system_sgpr_workgroup_id_z 0
		.amdhsa_system_sgpr_workgroup_info 0
		.amdhsa_system_vgpr_workitem_id 1
		.amdhsa_next_free_vgpr 36
		.amdhsa_next_free_sgpr 40
		.amdhsa_accum_offset 36
		.amdhsa_reserve_vcc 1
		.amdhsa_reserve_flat_scratch 0
		.amdhsa_float_round_mode_32 0
		.amdhsa_float_round_mode_16_64 0
		.amdhsa_float_denorm_mode_32 3
		.amdhsa_float_denorm_mode_16_64 3
		.amdhsa_dx10_clamp 1
		.amdhsa_ieee_mode 1
		.amdhsa_fp16_overflow 0
		.amdhsa_tg_split 0
		.amdhsa_exception_fp_ieee_invalid_op 0
		.amdhsa_exception_fp_denorm_src 0
		.amdhsa_exception_fp_ieee_div_zero 0
		.amdhsa_exception_fp_ieee_overflow 0
		.amdhsa_exception_fp_ieee_underflow 0
		.amdhsa_exception_fp_ieee_inexact 0
		.amdhsa_exception_int_div_zero 0
	.end_amdhsa_kernel
	.section	.text._ZN12_GLOBAL__N_120softmax_warp_forwardIdddLi1ELb1ELb0ELi64EEEvPT0_PKT_iiiPKbib,"axG",@progbits,_ZN12_GLOBAL__N_120softmax_warp_forwardIdddLi1ELb1ELb0ELi64EEEvPT0_PKT_iiiPKbib,comdat
.Lfunc_end2:
	.size	_ZN12_GLOBAL__N_120softmax_warp_forwardIdddLi1ELb1ELb0ELi64EEEvPT0_PKT_iiiPKbib, .Lfunc_end2-_ZN12_GLOBAL__N_120softmax_warp_forwardIdddLi1ELb1ELb0ELi64EEEvPT0_PKT_iiiPKbib
                                        ; -- End function
	.section	.AMDGPU.csdata,"",@progbits
; Kernel info:
; codeLenInByte = 2696
; NumSgprs: 44
; NumVgprs: 36
; NumAgprs: 0
; TotalNumVgprs: 36
; ScratchSize: 0
; MemoryBound: 0
; FloatMode: 240
; IeeeMode: 1
; LDSByteSize: 0 bytes/workgroup (compile time only)
; SGPRBlocks: 5
; VGPRBlocks: 4
; NumSGPRsForWavesPerEU: 44
; NumVGPRsForWavesPerEU: 36
; AccumOffset: 36
; Occupancy: 8
; WaveLimiterHint : 0
; COMPUTE_PGM_RSRC2:SCRATCH_EN: 0
; COMPUTE_PGM_RSRC2:USER_SGPR: 6
; COMPUTE_PGM_RSRC2:TRAP_HANDLER: 0
; COMPUTE_PGM_RSRC2:TGID_X_EN: 1
; COMPUTE_PGM_RSRC2:TGID_Y_EN: 0
; COMPUTE_PGM_RSRC2:TGID_Z_EN: 0
; COMPUTE_PGM_RSRC2:TIDIG_COMP_CNT: 1
; COMPUTE_PGM_RSRC3_GFX90A:ACCUM_OFFSET: 8
; COMPUTE_PGM_RSRC3_GFX90A:TG_SPLIT: 0
	.section	.text._ZN12_GLOBAL__N_120softmax_warp_forwardIdddLi1ELb1ELb0ELi32EEEvPT0_PKT_iiiPKbib,"axG",@progbits,_ZN12_GLOBAL__N_120softmax_warp_forwardIdddLi1ELb1ELb0ELi32EEEvPT0_PKT_iiiPKbib,comdat
	.globl	_ZN12_GLOBAL__N_120softmax_warp_forwardIdddLi1ELb1ELb0ELi32EEEvPT0_PKT_iiiPKbib ; -- Begin function _ZN12_GLOBAL__N_120softmax_warp_forwardIdddLi1ELb1ELb0ELi32EEEvPT0_PKT_iiiPKbib
	.p2align	8
	.type	_ZN12_GLOBAL__N_120softmax_warp_forwardIdddLi1ELb1ELb0ELi32EEEvPT0_PKT_iiiPKbib,@function
_ZN12_GLOBAL__N_120softmax_warp_forwardIdddLi1ELb1ELb0ELi32EEEvPT0_PKT_iiiPKbib: ; @_ZN12_GLOBAL__N_120softmax_warp_forwardIdddLi1ELb1ELb0ELi32EEEvPT0_PKT_iiiPKbib
; %bb.0:
	s_load_dword s0, s[4:5], 0x3c
	s_load_dwordx8 s[8:15], s[4:5], 0x0
	v_bfe_u32 v1, v0, 10, 10
	v_and_b32_e32 v0, 0x3ff, v0
	s_waitcnt lgkmcnt(0)
	s_lshr_b32 s0, s0, 16
	s_mul_i32 s6, s6, s0
	v_add_lshl_u32 v1, s6, v1, 1
	v_mad_u64_u32 v[2:3], s[0:1], v1, s13, v[0:1]
	v_ashrrev_i32_e32 v3, 31, v2
	v_lshlrev_b64 v[2:3], 3, v[2:3]
	v_sub_u32_e32 v14, s12, v1
	v_mov_b32_e32 v1, s11
	v_add_co_u32_e32 v6, vcc, s10, v2
	v_addc_co_u32_e32 v7, vcc, v1, v3, vcc
	v_cmp_gt_i32_e32 vcc, s14, v0
	v_mov_b32_e32 v0, 0
	v_cmp_lt_i32_e64 s[0:1], 0, v14
	v_mov_b32_e32 v1, 0xfff00000
	s_and_b64 s[4:5], vcc, s[0:1]
	v_pk_mov_b32 v[4:5], v[0:1], v[0:1] op_sel:[0,1]
	s_and_saveexec_b64 s[2:3], s[4:5]
	s_cbranch_execz .LBB3_2
; %bb.1:
	global_load_dwordx2 v[4:5], v[6:7], off
.LBB3_2:
	s_or_b64 exec, exec, s[2:3]
	v_cmp_lt_i32_e64 s[2:3], 1, v14
	s_and_b64 s[2:3], vcc, s[2:3]
	s_and_saveexec_b64 s[4:5], s[2:3]
	s_cbranch_execz .LBB3_4
; %bb.3:
	s_mov_b32 s15, 0
	s_lshl_b64 s[2:3], s[14:15], 3
	v_mov_b32_e32 v1, s3
	v_add_co_u32_e64 v0, s[2:3], s2, v6
	v_addc_co_u32_e64 v1, s[2:3], v7, v1, s[2:3]
	global_load_dwordx2 v[0:1], v[0:1], off
.LBB3_4:
	s_or_b64 exec, exec, s[4:5]
	v_mbcnt_lo_u32_b32 v6, -1, 0
	v_mbcnt_hi_u32_b32 v6, -1, v6
	v_and_b32_e32 v8, 0x7e, v6
	v_xor_b32_e32 v7, 1, v6
	v_add_u32_e32 v8, 2, v8
	v_cmp_lt_i32_e64 s[2:3], v7, v8
	v_cndmask_b32_e64 v6, v6, v7, s[2:3]
	v_lshlrev_b32_e32 v15, 2, v6
	s_waitcnt vmcnt(0)
	ds_bpermute_b32 v6, v15, v4
	ds_bpermute_b32 v7, v15, v5
	ds_bpermute_b32 v8, v15, v0
	ds_bpermute_b32 v9, v15, v1
	s_mov_b32 s6, 0x652b82fe
	s_mov_b32 s7, 0x3ff71547
	s_waitcnt lgkmcnt(2)
	v_cmp_lt_f64_e64 s[2:3], v[4:5], v[6:7]
	v_cndmask_b32_e64 v7, v5, v7, s[2:3]
	v_cndmask_b32_e64 v6, v4, v6, s[2:3]
	v_add_f64 v[4:5], v[4:5], -v[6:7]
	s_waitcnt lgkmcnt(0)
	v_cmp_lt_f64_e64 s[2:3], v[0:1], v[8:9]
	v_mul_f64 v[6:7], v[4:5], s[6:7]
	s_mov_b32 s10, 0xfefa39ef
	v_cndmask_b32_e64 v9, v1, v9, s[2:3]
	v_cndmask_b32_e64 v8, v0, v8, s[2:3]
	v_rndne_f64_e32 v[6:7], v[6:7]
	s_mov_b32 s11, 0xbfe62e42
	s_mov_b32 s12, 0x3b39803f
	;; [unrolled: 1-line block ×3, first 2 shown]
	v_fma_f64 v[10:11], s[10:11], v[6:7], v[4:5]
	s_mov_b32 s13, 0xbc7abc9e
	s_mov_b32 s3, 0x3e928af3
	;; [unrolled: 1-line block ×3, first 2 shown]
	v_fmac_f64_e32 v[10:11], s[12:13], v[6:7]
	s_mov_b32 s17, 0x3e5ade15
	v_pk_mov_b32 v[12:13], s[2:3], s[2:3] op_sel:[0,1]
	s_mov_b32 s18, 0x623fde64
	v_fma_f64 v[16:17], s[16:17], v[10:11], v[12:13]
	s_mov_b32 s19, 0x3ec71dee
	s_mov_b32 s20, 0x7c89e6b0
	v_fma_f64 v[16:17], v[10:11], v[16:17], s[18:19]
	s_mov_b32 s21, 0x3efa0199
	;; [unrolled: 3-line block ×8, first 2 shown]
	v_fma_f64 v[16:17], v[10:11], v[16:17], s[34:35]
	v_fma_f64 v[16:17], v[10:11], v[16:17], 1.0
	v_fma_f64 v[10:11], v[10:11], v[16:17], 1.0
	v_cvt_i32_f64_e32 v6, v[6:7]
	s_mov_b32 s36, 0
	s_mov_b32 s38, 0
	v_ldexp_f64 v[6:7], v[10:11], v6
	s_mov_b32 s37, 0x40900000
	s_mov_b32 s39, 0xc090cc00
	v_add_f64 v[6:7], v[6:7], 0
	v_mov_b32_e32 v16, 0x7ff00000
	v_cmp_nlt_f64_e64 s[2:3], s[36:37], v[4:5]
	v_cmp_ngt_f64_e64 s[4:5], s[38:39], v[4:5]
	v_cndmask_b32_e64 v7, v16, v7, s[2:3]
	s_and_b64 s[2:3], s[4:5], s[2:3]
	v_add_f64 v[0:1], v[0:1], -v[8:9]
	v_cndmask_b32_e64 v11, 0, v7, s[4:5]
	v_cndmask_b32_e64 v10, 0, v6, s[2:3]
	v_mul_f64 v[6:7], v[0:1], s[6:7]
	v_rndne_f64_e32 v[6:7], v[6:7]
	v_fma_f64 v[8:9], s[10:11], v[6:7], v[0:1]
	v_fmac_f64_e32 v[8:9], s[12:13], v[6:7]
	v_fmac_f64_e32 v[12:13], s[16:17], v[8:9]
	v_fma_f64 v[12:13], v[8:9], v[12:13], s[18:19]
	v_fma_f64 v[12:13], v[8:9], v[12:13], s[20:21]
	;; [unrolled: 1-line block ×8, first 2 shown]
	v_fma_f64 v[12:13], v[8:9], v[12:13], 1.0
	v_fma_f64 v[8:9], v[8:9], v[12:13], 1.0
	v_cvt_i32_f64_e32 v6, v[6:7]
	v_ldexp_f64 v[6:7], v[8:9], v6
	v_add_f64 v[6:7], v[6:7], 0
	v_cmp_nlt_f64_e64 s[2:3], s[36:37], v[0:1]
	v_cmp_ngt_f64_e64 s[4:5], s[38:39], v[0:1]
	v_cndmask_b32_e64 v7, v16, v7, s[2:3]
	s_and_b64 s[2:3], s[4:5], s[2:3]
	v_cndmask_b32_e64 v7, 0, v7, s[4:5]
	v_cndmask_b32_e64 v6, 0, v6, s[2:3]
	ds_bpermute_b32 v12, v15, v10
	ds_bpermute_b32 v13, v15, v11
	;; [unrolled: 1-line block ×4, first 2 shown]
	s_and_saveexec_b64 s[2:3], s[0:1]
	s_cbranch_execz .LBB3_10
; %bb.5:
	v_mov_b32_e32 v15, s9
	v_add_co_u32_e64 v2, s[0:1], s8, v2
	v_addc_co_u32_e64 v3, s[0:1], v15, v3, s[0:1]
	s_and_saveexec_b64 s[4:5], vcc
	s_cbranch_execz .LBB3_7
; %bb.6:
	s_waitcnt lgkmcnt(2)
	v_add_f64 v[10:11], v[10:11], v[12:13]
	s_mov_b32 s0, 0x55555555
	v_frexp_mant_f64_e32 v[12:13], v[10:11]
	s_mov_b32 s1, 0x3fe55555
	v_frexp_exp_i32_f64_e32 v15, v[10:11]
	v_cmp_gt_f64_e64 s[0:1], s[0:1], v[12:13]
	v_subbrev_co_u32_e64 v15, s[2:3], 0, v15, s[0:1]
	v_cvt_f64_i32_e32 v[18:19], v15
	v_mov_b32_e32 v15, 0x3ff00000
	v_mov_b32_e32 v16, 0
	v_cndmask_b32_e64 v17, v15, 2.0, s[0:1]
	v_mul_f64 v[12:13], v[12:13], v[16:17]
	v_add_f64 v[16:17], v[12:13], 1.0
	v_rcp_f64_e32 v[24:25], v[16:17]
	v_add_f64 v[26:27], v[12:13], -1.0
	v_add_f64 v[32:33], v[16:17], -1.0
	v_add_f64 v[12:13], v[12:13], -v[32:33]
	v_fma_f64 v[28:29], -v[16:17], v[24:25], 1.0
	v_fmac_f64_e32 v[24:25], v[28:29], v[24:25]
	v_fma_f64 v[28:29], -v[16:17], v[24:25], 1.0
	v_fmac_f64_e32 v[24:25], v[28:29], v[24:25]
	v_mul_f64 v[28:29], v[26:27], v[24:25]
	v_mul_f64 v[30:31], v[16:17], v[28:29]
	v_fma_f64 v[16:17], v[28:29], v[16:17], -v[30:31]
	v_fmac_f64_e32 v[16:17], v[28:29], v[12:13]
	v_add_f64 v[12:13], v[30:31], v[16:17]
	v_add_f64 v[32:33], v[26:27], -v[12:13]
	v_add_f64 v[30:31], v[12:13], -v[30:31]
	;; [unrolled: 1-line block ×5, first 2 shown]
	v_add_f64 v[12:13], v[16:17], v[12:13]
	v_add_f64 v[12:13], v[32:33], v[12:13]
	v_mul_f64 v[12:13], v[24:25], v[12:13]
	v_add_f64 v[16:17], v[28:29], v[12:13]
	s_mov_b32 s0, 0xbf559e2b
	v_mul_f64 v[26:27], v[16:17], v[16:17]
	v_mov_b32_e32 v32, 0x6b47b09a
	v_mov_b32_e32 v33, 0x3fc38538
	s_mov_b32 s1, 0x3fc3ab76
	v_fmac_f64_e32 v[32:33], s[0:1], v[26:27]
	v_mov_b32_e32 v34, 0xd7f4df2e
	v_mov_b32_e32 v35, 0x3fc7474d
	v_fmac_f64_e32 v[34:35], v[26:27], v[32:33]
	v_mov_b32_e32 v32, 0x16291751
	v_mov_b32_e32 v33, 0x3fcc71c0
	;; [unrolled: 3-line block ×5, first 2 shown]
	s_mov_b32 s2, 0xfefa39ef
	v_mul_f64 v[30:31], v[16:17], v[26:27]
	v_fmac_f64_e32 v[34:35], v[26:27], v[32:33]
	s_mov_b32 s3, 0x3fe62e42
	v_ldexp_f64 v[24:25], v[16:17], 1
	v_mul_f64 v[26:27], v[30:31], v[34:35]
	v_mul_f64 v[20:21], v[18:19], s[2:3]
	v_add_f64 v[30:31], v[24:25], v[26:27]
	v_add_f64 v[16:17], v[16:17], -v[28:29]
	v_fma_f64 v[22:23], v[18:19], s[2:3], -v[20:21]
	s_mov_b32 s2, 0x3b39803f
	v_add_f64 v[12:13], v[12:13], -v[16:17]
	v_add_f64 v[16:17], v[30:31], -v[24:25]
	s_mov_b32 s3, 0x3c7abc9e
	v_ldexp_f64 v[12:13], v[12:13], 1
	v_add_f64 v[16:17], v[26:27], -v[16:17]
	v_fmac_f64_e32 v[22:23], s[2:3], v[18:19]
	v_add_f64 v[12:13], v[12:13], v[16:17]
	v_add_f64 v[18:19], v[20:21], v[22:23]
	;; [unrolled: 1-line block ×4, first 2 shown]
	v_add_f64 v[20:21], v[18:19], -v[20:21]
	v_add_f64 v[20:21], v[22:23], -v[20:21]
	;; [unrolled: 1-line block ×7, first 2 shown]
	v_add_f64 v[22:23], v[20:21], v[12:13]
	v_add_f64 v[18:19], v[18:19], -v[26:27]
	v_add_f64 v[16:17], v[16:17], v[18:19]
	v_add_f64 v[26:27], v[22:23], -v[20:21]
	;; [unrolled: 2-line block ×4, first 2 shown]
	v_add_f64 v[20:21], v[20:21], -v[22:23]
	v_add_f64 v[12:13], v[12:13], v[20:21]
	v_add_f64 v[20:21], v[18:19], -v[24:25]
	v_add_f64 v[16:17], v[16:17], -v[20:21]
	s_movk_i32 s6, 0x204
	v_add_f64 v[12:13], v[12:13], v[16:17]
	v_add_f64 v[12:13], v[18:19], v[12:13]
	v_cmp_class_f64_e64 s[0:1], v[10:11], s6
	v_cndmask_b32_e64 v12, v12, v10, s[0:1]
	v_cndmask_b32_e64 v13, v13, v11, s[0:1]
	v_mov_b32_e32 v15, 0x7ff80000
	v_cmp_ngt_f64_e64 s[0:1], 0, v[10:11]
	v_cndmask_b32_e64 v13, v15, v13, s[0:1]
	v_cmp_nge_f64_e64 s[0:1], 0, v[10:11]
	v_cndmask_b32_e64 v12, 0, v12, s[0:1]
	v_mov_b32_e32 v15, 0xfff00000
	v_cmp_neq_f64_e64 s[0:1], 0, v[10:11]
	v_cndmask_b32_e64 v13, v15, v13, s[0:1]
	v_add_f64 v[4:5], v[4:5], -v[12:13]
	global_store_dwordx2 v[2:3], v[4:5], off
.LBB3_7:
	s_or_b64 exec, exec, s[4:5]
	v_cmp_ne_u32_e64 s[0:1], 1, v14
	s_and_b64 exec, exec, s[0:1]
	s_cbranch_execz .LBB3_10
; %bb.8:
	s_and_b64 exec, exec, vcc
	s_cbranch_execz .LBB3_10
; %bb.9:
	s_waitcnt lgkmcnt(0)
	v_add_f64 v[4:5], v[6:7], v[8:9]
	s_mov_b32 s0, 0x55555555
	v_frexp_mant_f64_e32 v[6:7], v[4:5]
	s_mov_b32 s1, 0x3fe55555
	v_frexp_exp_i32_f64_e32 v9, v[4:5]
	v_cmp_gt_f64_e32 vcc, s[0:1], v[6:7]
	v_subbrev_co_u32_e64 v9, s[0:1], 0, v9, vcc
	v_cvt_f64_i32_e32 v[10:11], v9
	v_mov_b32_e32 v9, 0x3ff00000
	v_mov_b32_e32 v8, 0
	v_cndmask_b32_e64 v9, v9, 2.0, vcc
	v_mul_f64 v[6:7], v[6:7], v[8:9]
	v_add_f64 v[8:9], v[6:7], 1.0
	v_rcp_f64_e32 v[16:17], v[8:9]
	v_add_f64 v[18:19], v[6:7], -1.0
	v_add_f64 v[24:25], v[8:9], -1.0
	v_add_f64 v[6:7], v[6:7], -v[24:25]
	v_fma_f64 v[20:21], -v[8:9], v[16:17], 1.0
	v_fmac_f64_e32 v[16:17], v[20:21], v[16:17]
	v_fma_f64 v[20:21], -v[8:9], v[16:17], 1.0
	v_fmac_f64_e32 v[16:17], v[20:21], v[16:17]
	v_mul_f64 v[20:21], v[18:19], v[16:17]
	v_mul_f64 v[22:23], v[8:9], v[20:21]
	v_fma_f64 v[8:9], v[20:21], v[8:9], -v[22:23]
	v_fmac_f64_e32 v[8:9], v[20:21], v[6:7]
	v_add_f64 v[6:7], v[22:23], v[8:9]
	v_add_f64 v[24:25], v[18:19], -v[6:7]
	s_mov_b32 s0, 0xfefa39ef
	v_add_f64 v[22:23], v[6:7], -v[22:23]
	v_add_f64 v[18:19], v[18:19], -v[24:25]
	s_mov_b32 s1, 0x3fe62e42
	v_add_f64 v[8:9], v[22:23], -v[8:9]
	v_add_f64 v[6:7], v[18:19], -v[6:7]
	v_mul_f64 v[12:13], v[10:11], s[0:1]
	v_add_f64 v[6:7], v[8:9], v[6:7]
	v_fma_f64 v[14:15], v[10:11], s[0:1], -v[12:13]
	s_mov_b32 s0, 0x3b39803f
	v_add_f64 v[6:7], v[24:25], v[6:7]
	s_mov_b32 s1, 0x3c7abc9e
	v_mul_f64 v[6:7], v[16:17], v[6:7]
	v_fmac_f64_e32 v[14:15], s[0:1], v[10:11]
	v_add_f64 v[8:9], v[20:21], v[6:7]
	s_mov_b32 s0, 0xbf559e2b
	v_mul_f64 v[18:19], v[8:9], v[8:9]
	v_mov_b32_e32 v24, 0x6b47b09a
	v_mov_b32_e32 v25, 0x3fc38538
	s_mov_b32 s1, 0x3fc3ab76
	v_fmac_f64_e32 v[24:25], s[0:1], v[18:19]
	v_mov_b32_e32 v26, 0xd7f4df2e
	v_mov_b32_e32 v27, 0x3fc7474d
	v_fmac_f64_e32 v[26:27], v[18:19], v[24:25]
	v_mov_b32_e32 v24, 0x16291751
	v_mov_b32_e32 v25, 0x3fcc71c0
	;; [unrolled: 3-line block ×5, first 2 shown]
	v_mul_f64 v[22:23], v[8:9], v[18:19]
	v_fmac_f64_e32 v[26:27], v[18:19], v[24:25]
	v_ldexp_f64 v[16:17], v[8:9], 1
	v_mul_f64 v[18:19], v[22:23], v[26:27]
	v_add_f64 v[22:23], v[16:17], v[18:19]
	v_add_f64 v[8:9], v[8:9], -v[20:21]
	v_add_f64 v[6:7], v[6:7], -v[8:9]
	;; [unrolled: 1-line block ×3, first 2 shown]
	v_ldexp_f64 v[6:7], v[6:7], 1
	v_add_f64 v[8:9], v[18:19], -v[8:9]
	v_add_f64 v[6:7], v[6:7], v[8:9]
	v_add_f64 v[10:11], v[12:13], v[14:15]
	;; [unrolled: 1-line block ×4, first 2 shown]
	v_add_f64 v[12:13], v[10:11], -v[12:13]
	v_add_f64 v[12:13], v[14:15], -v[12:13]
	;; [unrolled: 1-line block ×7, first 2 shown]
	v_add_f64 v[14:15], v[12:13], v[6:7]
	v_add_f64 v[10:11], v[10:11], -v[18:19]
	v_add_f64 v[8:9], v[8:9], v[10:11]
	v_add_f64 v[18:19], v[14:15], -v[12:13]
	;; [unrolled: 2-line block ×4, first 2 shown]
	v_add_f64 v[12:13], v[12:13], -v[14:15]
	v_add_f64 v[6:7], v[6:7], v[12:13]
	v_add_f64 v[12:13], v[10:11], -v[16:17]
	v_add_f64 v[8:9], v[8:9], -v[12:13]
	s_movk_i32 s2, 0x204
	v_add_f64 v[6:7], v[6:7], v[8:9]
	v_add_f64 v[6:7], v[10:11], v[6:7]
	v_cmp_class_f64_e64 vcc, v[4:5], s2
	v_cndmask_b32_e32 v6, v6, v4, vcc
	v_cndmask_b32_e32 v7, v7, v5, vcc
	v_mov_b32_e32 v8, 0x7ff80000
	v_cmp_ngt_f64_e32 vcc, 0, v[4:5]
	s_mov_b32 s15, 0
	v_cndmask_b32_e32 v7, v8, v7, vcc
	v_cmp_nge_f64_e32 vcc, 0, v[4:5]
	v_cndmask_b32_e32 v6, 0, v6, vcc
	v_mov_b32_e32 v8, 0xfff00000
	v_cmp_neq_f64_e32 vcc, 0, v[4:5]
	s_lshl_b64 s[0:1], s[14:15], 3
	v_cndmask_b32_e32 v7, v8, v7, vcc
	v_mov_b32_e32 v4, s1
	v_add_co_u32_e32 v2, vcc, s0, v2
	v_add_f64 v[0:1], v[0:1], -v[6:7]
	v_addc_co_u32_e32 v3, vcc, v3, v4, vcc
	global_store_dwordx2 v[2:3], v[0:1], off
.LBB3_10:
	s_endpgm
	.section	.rodata,"a",@progbits
	.p2align	6, 0x0
	.amdhsa_kernel _ZN12_GLOBAL__N_120softmax_warp_forwardIdddLi1ELb1ELb0ELi32EEEvPT0_PKT_iiiPKbib
		.amdhsa_group_segment_fixed_size 0
		.amdhsa_private_segment_fixed_size 0
		.amdhsa_kernarg_size 304
		.amdhsa_user_sgpr_count 6
		.amdhsa_user_sgpr_private_segment_buffer 1
		.amdhsa_user_sgpr_dispatch_ptr 0
		.amdhsa_user_sgpr_queue_ptr 0
		.amdhsa_user_sgpr_kernarg_segment_ptr 1
		.amdhsa_user_sgpr_dispatch_id 0
		.amdhsa_user_sgpr_flat_scratch_init 0
		.amdhsa_user_sgpr_kernarg_preload_length 0
		.amdhsa_user_sgpr_kernarg_preload_offset 0
		.amdhsa_user_sgpr_private_segment_size 0
		.amdhsa_uses_dynamic_stack 0
		.amdhsa_system_sgpr_private_segment_wavefront_offset 0
		.amdhsa_system_sgpr_workgroup_id_x 1
		.amdhsa_system_sgpr_workgroup_id_y 0
		.amdhsa_system_sgpr_workgroup_id_z 0
		.amdhsa_system_sgpr_workgroup_info 0
		.amdhsa_system_vgpr_workitem_id 1
		.amdhsa_next_free_vgpr 36
		.amdhsa_next_free_sgpr 40
		.amdhsa_accum_offset 36
		.amdhsa_reserve_vcc 1
		.amdhsa_reserve_flat_scratch 0
		.amdhsa_float_round_mode_32 0
		.amdhsa_float_round_mode_16_64 0
		.amdhsa_float_denorm_mode_32 3
		.amdhsa_float_denorm_mode_16_64 3
		.amdhsa_dx10_clamp 1
		.amdhsa_ieee_mode 1
		.amdhsa_fp16_overflow 0
		.amdhsa_tg_split 0
		.amdhsa_exception_fp_ieee_invalid_op 0
		.amdhsa_exception_fp_denorm_src 0
		.amdhsa_exception_fp_ieee_div_zero 0
		.amdhsa_exception_fp_ieee_overflow 0
		.amdhsa_exception_fp_ieee_underflow 0
		.amdhsa_exception_fp_ieee_inexact 0
		.amdhsa_exception_int_div_zero 0
	.end_amdhsa_kernel
	.section	.text._ZN12_GLOBAL__N_120softmax_warp_forwardIdddLi1ELb1ELb0ELi32EEEvPT0_PKT_iiiPKbib,"axG",@progbits,_ZN12_GLOBAL__N_120softmax_warp_forwardIdddLi1ELb1ELb0ELi32EEEvPT0_PKT_iiiPKbib,comdat
.Lfunc_end3:
	.size	_ZN12_GLOBAL__N_120softmax_warp_forwardIdddLi1ELb1ELb0ELi32EEEvPT0_PKT_iiiPKbib, .Lfunc_end3-_ZN12_GLOBAL__N_120softmax_warp_forwardIdddLi1ELb1ELb0ELi32EEEvPT0_PKT_iiiPKbib
                                        ; -- End function
	.section	.AMDGPU.csdata,"",@progbits
; Kernel info:
; codeLenInByte = 2696
; NumSgprs: 44
; NumVgprs: 36
; NumAgprs: 0
; TotalNumVgprs: 36
; ScratchSize: 0
; MemoryBound: 0
; FloatMode: 240
; IeeeMode: 1
; LDSByteSize: 0 bytes/workgroup (compile time only)
; SGPRBlocks: 5
; VGPRBlocks: 4
; NumSGPRsForWavesPerEU: 44
; NumVGPRsForWavesPerEU: 36
; AccumOffset: 36
; Occupancy: 8
; WaveLimiterHint : 0
; COMPUTE_PGM_RSRC2:SCRATCH_EN: 0
; COMPUTE_PGM_RSRC2:USER_SGPR: 6
; COMPUTE_PGM_RSRC2:TRAP_HANDLER: 0
; COMPUTE_PGM_RSRC2:TGID_X_EN: 1
; COMPUTE_PGM_RSRC2:TGID_Y_EN: 0
; COMPUTE_PGM_RSRC2:TGID_Z_EN: 0
; COMPUTE_PGM_RSRC2:TIDIG_COMP_CNT: 1
; COMPUTE_PGM_RSRC3_GFX90A:ACCUM_OFFSET: 8
; COMPUTE_PGM_RSRC3_GFX90A:TG_SPLIT: 0
	.section	.text._ZN12_GLOBAL__N_120softmax_warp_forwardIdddLi2ELb1ELb0ELi64EEEvPT0_PKT_iiiPKbib,"axG",@progbits,_ZN12_GLOBAL__N_120softmax_warp_forwardIdddLi2ELb1ELb0ELi64EEEvPT0_PKT_iiiPKbib,comdat
	.globl	_ZN12_GLOBAL__N_120softmax_warp_forwardIdddLi2ELb1ELb0ELi64EEEvPT0_PKT_iiiPKbib ; -- Begin function _ZN12_GLOBAL__N_120softmax_warp_forwardIdddLi2ELb1ELb0ELi64EEEvPT0_PKT_iiiPKbib
	.p2align	8
	.type	_ZN12_GLOBAL__N_120softmax_warp_forwardIdddLi2ELb1ELb0ELi64EEEvPT0_PKT_iiiPKbib,@function
_ZN12_GLOBAL__N_120softmax_warp_forwardIdddLi2ELb1ELb0ELi64EEEvPT0_PKT_iiiPKbib: ; @_ZN12_GLOBAL__N_120softmax_warp_forwardIdddLi2ELb1ELb0ELi64EEEvPT0_PKT_iiiPKbib
; %bb.0:
	s_load_dword s0, s[4:5], 0x3c
	s_load_dwordx8 s[8:15], s[4:5], 0x0
	v_bfe_u32 v1, v0, 10, 10
	v_and_b32_e32 v0, 0x3ff, v0
	s_waitcnt lgkmcnt(0)
	s_lshr_b32 s0, s0, 16
	s_mul_i32 s6, s6, s0
	v_add_lshl_u32 v1, s6, v1, 1
	v_mad_u64_u32 v[2:3], s[0:1], v1, s13, v[0:1]
	v_ashrrev_i32_e32 v3, 31, v2
	v_lshlrev_b64 v[2:3], 3, v[2:3]
	v_sub_u32_e32 v14, s12, v1
	v_mov_b32_e32 v1, s11
	v_add_co_u32_e32 v6, vcc, s10, v2
	v_addc_co_u32_e32 v7, vcc, v1, v3, vcc
	v_cmp_gt_i32_e32 vcc, s14, v0
	v_mov_b32_e32 v0, 0
	v_cmp_lt_i32_e64 s[0:1], 0, v14
	v_mov_b32_e32 v1, 0xfff00000
	s_and_b64 s[4:5], vcc, s[0:1]
	v_pk_mov_b32 v[4:5], v[0:1], v[0:1] op_sel:[0,1]
	s_and_saveexec_b64 s[2:3], s[4:5]
	s_cbranch_execz .LBB4_2
; %bb.1:
	global_load_dwordx2 v[4:5], v[6:7], off
.LBB4_2:
	s_or_b64 exec, exec, s[2:3]
	v_cmp_lt_i32_e64 s[2:3], 1, v14
	s_and_b64 s[2:3], vcc, s[2:3]
	s_and_saveexec_b64 s[4:5], s[2:3]
	s_cbranch_execz .LBB4_4
; %bb.3:
	s_mov_b32 s15, 0
	s_lshl_b64 s[2:3], s[14:15], 3
	v_mov_b32_e32 v1, s3
	v_add_co_u32_e64 v0, s[2:3], s2, v6
	v_addc_co_u32_e64 v1, s[2:3], v7, v1, s[2:3]
	global_load_dwordx2 v[0:1], v[0:1], off
.LBB4_4:
	s_or_b64 exec, exec, s[4:5]
	v_mbcnt_lo_u32_b32 v6, -1, 0
	v_mbcnt_hi_u32_b32 v10, -1, v6
	v_and_b32_e32 v6, 0x7c, v10
	v_add_u32_e32 v11, 4, v6
	v_xor_b32_e32 v6, 2, v10
	v_cmp_lt_i32_e64 s[2:3], v6, v11
	v_cndmask_b32_e64 v6, v10, v6, s[2:3]
	v_lshlrev_b32_e32 v15, 2, v6
	s_waitcnt vmcnt(0)
	ds_bpermute_b32 v6, v15, v4
	ds_bpermute_b32 v7, v15, v5
	ds_bpermute_b32 v8, v15, v0
	ds_bpermute_b32 v9, v15, v1
	v_xor_b32_e32 v12, 1, v10
	v_cmp_lt_i32_e64 s[4:5], v12, v11
	s_waitcnt lgkmcnt(2)
	v_cmp_lt_f64_e64 s[2:3], v[4:5], v[6:7]
	v_cndmask_b32_e64 v10, v10, v12, s[4:5]
	v_cndmask_b32_e64 v7, v5, v7, s[2:3]
	;; [unrolled: 1-line block ×3, first 2 shown]
	v_lshlrev_b32_e32 v18, 2, v10
	ds_bpermute_b32 v10, v18, v6
	ds_bpermute_b32 v11, v18, v7
	s_waitcnt lgkmcnt(2)
	v_cmp_lt_f64_e64 s[2:3], v[0:1], v[8:9]
	v_cndmask_b32_e64 v9, v1, v9, s[2:3]
	v_cndmask_b32_e64 v8, v0, v8, s[2:3]
	ds_bpermute_b32 v12, v18, v8
	ds_bpermute_b32 v13, v18, v9
	s_waitcnt lgkmcnt(2)
	v_cmp_lt_f64_e64 s[2:3], v[6:7], v[10:11]
	v_cndmask_b32_e64 v7, v7, v11, s[2:3]
	v_cndmask_b32_e64 v6, v6, v10, s[2:3]
	s_mov_b32 s6, 0x652b82fe
	v_add_f64 v[4:5], v[4:5], -v[6:7]
	s_mov_b32 s7, 0x3ff71547
	s_waitcnt lgkmcnt(0)
	v_cmp_lt_f64_e64 s[2:3], v[8:9], v[12:13]
	v_mul_f64 v[6:7], v[4:5], s[6:7]
	s_mov_b32 s10, 0xfefa39ef
	v_cndmask_b32_e64 v9, v9, v13, s[2:3]
	v_cndmask_b32_e64 v8, v8, v12, s[2:3]
	v_rndne_f64_e32 v[6:7], v[6:7]
	s_mov_b32 s11, 0xbfe62e42
	s_mov_b32 s12, 0x3b39803f
	;; [unrolled: 1-line block ×3, first 2 shown]
	v_fma_f64 v[10:11], s[10:11], v[6:7], v[4:5]
	s_mov_b32 s13, 0xbc7abc9e
	s_mov_b32 s3, 0x3e928af3
	;; [unrolled: 1-line block ×3, first 2 shown]
	v_fmac_f64_e32 v[10:11], s[12:13], v[6:7]
	s_mov_b32 s17, 0x3e5ade15
	v_pk_mov_b32 v[12:13], s[2:3], s[2:3] op_sel:[0,1]
	s_mov_b32 s18, 0x623fde64
	v_fma_f64 v[16:17], s[16:17], v[10:11], v[12:13]
	s_mov_b32 s19, 0x3ec71dee
	s_mov_b32 s20, 0x7c89e6b0
	v_fma_f64 v[16:17], v[10:11], v[16:17], s[18:19]
	s_mov_b32 s21, 0x3efa0199
	s_mov_b32 s22, 0x14761f6e
	v_fma_f64 v[16:17], v[10:11], v[16:17], s[20:21]
	s_mov_b32 s23, 0x3f2a01a0
	s_mov_b32 s24, 0x1852b7b0
	v_fma_f64 v[16:17], v[10:11], v[16:17], s[22:23]
	s_mov_b32 s25, 0x3f56c16c
	s_mov_b32 s26, 0x11122322
	v_fma_f64 v[16:17], v[10:11], v[16:17], s[24:25]
	s_mov_b32 s27, 0x3f811111
	s_mov_b32 s28, 0x555502a1
	v_fma_f64 v[16:17], v[10:11], v[16:17], s[26:27]
	s_mov_b32 s29, 0x3fa55555
	s_mov_b32 s30, 0x55555511
	v_fma_f64 v[16:17], v[10:11], v[16:17], s[28:29]
	s_mov_b32 s31, 0x3fc55555
	s_mov_b32 s34, 11
	v_fma_f64 v[16:17], v[10:11], v[16:17], s[30:31]
	s_mov_b32 s35, 0x3fe00000
	v_fma_f64 v[16:17], v[10:11], v[16:17], s[34:35]
	v_add_f64 v[0:1], v[0:1], -v[8:9]
	v_fma_f64 v[16:17], v[10:11], v[16:17], 1.0
	v_mul_f64 v[8:9], v[0:1], s[6:7]
	v_fma_f64 v[10:11], v[10:11], v[16:17], 1.0
	v_cvt_i32_f64_e32 v6, v[6:7]
	v_rndne_f64_e32 v[8:9], v[8:9]
	v_ldexp_f64 v[6:7], v[10:11], v6
	v_fma_f64 v[10:11], s[10:11], v[8:9], v[0:1]
	v_fmac_f64_e32 v[10:11], s[12:13], v[8:9]
	v_fmac_f64_e32 v[12:13], s[16:17], v[10:11]
	v_fma_f64 v[12:13], v[10:11], v[12:13], s[18:19]
	v_fma_f64 v[12:13], v[10:11], v[12:13], s[20:21]
	;; [unrolled: 1-line block ×7, first 2 shown]
	s_mov_b32 s36, 0
	s_mov_b32 s38, 0
	v_fma_f64 v[12:13], v[10:11], v[12:13], s[34:35]
	s_mov_b32 s37, 0x40900000
	s_mov_b32 s39, 0xc090cc00
	v_fma_f64 v[12:13], v[10:11], v[12:13], 1.0
	v_add_f64 v[6:7], v[6:7], 0
	v_mov_b32_e32 v16, 0x7ff00000
	v_cmp_nlt_f64_e64 s[2:3], s[36:37], v[4:5]
	v_cmp_ngt_f64_e64 s[4:5], s[38:39], v[4:5]
	v_fma_f64 v[10:11], v[10:11], v[12:13], 1.0
	v_cvt_i32_f64_e32 v8, v[8:9]
	v_cndmask_b32_e64 v7, v16, v7, s[2:3]
	s_and_b64 s[2:3], s[4:5], s[2:3]
	v_ldexp_f64 v[8:9], v[10:11], v8
	v_cndmask_b32_e64 v7, 0, v7, s[4:5]
	v_cndmask_b32_e64 v6, 0, v6, s[2:3]
	v_add_f64 v[8:9], v[8:9], 0
	v_cmp_nlt_f64_e64 s[2:3], s[36:37], v[0:1]
	v_cmp_ngt_f64_e64 s[4:5], s[38:39], v[0:1]
	v_cndmask_b32_e64 v9, v16, v9, s[2:3]
	s_and_b64 s[2:3], s[4:5], s[2:3]
	v_cndmask_b32_e64 v9, 0, v9, s[4:5]
	v_cndmask_b32_e64 v8, 0, v8, s[2:3]
	ds_bpermute_b32 v10, v15, v6
	ds_bpermute_b32 v11, v15, v7
	;; [unrolled: 1-line block ×4, first 2 shown]
	s_waitcnt lgkmcnt(2)
	v_add_f64 v[10:11], v[6:7], v[10:11]
	s_waitcnt lgkmcnt(0)
	v_add_f64 v[6:7], v[8:9], v[12:13]
	ds_bpermute_b32 v12, v18, v10
	ds_bpermute_b32 v13, v18, v11
	;; [unrolled: 1-line block ×4, first 2 shown]
	s_and_saveexec_b64 s[2:3], s[0:1]
	s_cbranch_execz .LBB4_10
; %bb.5:
	v_mov_b32_e32 v15, s9
	v_add_co_u32_e64 v2, s[0:1], s8, v2
	v_addc_co_u32_e64 v3, s[0:1], v15, v3, s[0:1]
	s_and_saveexec_b64 s[4:5], vcc
	s_cbranch_execz .LBB4_7
; %bb.6:
	s_waitcnt lgkmcnt(2)
	v_add_f64 v[10:11], v[10:11], v[12:13]
	s_mov_b32 s0, 0x55555555
	v_frexp_mant_f64_e32 v[12:13], v[10:11]
	s_mov_b32 s1, 0x3fe55555
	v_frexp_exp_i32_f64_e32 v15, v[10:11]
	v_cmp_gt_f64_e64 s[0:1], s[0:1], v[12:13]
	v_subbrev_co_u32_e64 v15, s[2:3], 0, v15, s[0:1]
	v_cvt_f64_i32_e32 v[18:19], v15
	v_mov_b32_e32 v15, 0x3ff00000
	v_mov_b32_e32 v16, 0
	v_cndmask_b32_e64 v17, v15, 2.0, s[0:1]
	v_mul_f64 v[12:13], v[12:13], v[16:17]
	v_add_f64 v[16:17], v[12:13], 1.0
	v_rcp_f64_e32 v[24:25], v[16:17]
	v_add_f64 v[26:27], v[12:13], -1.0
	v_add_f64 v[32:33], v[16:17], -1.0
	v_add_f64 v[12:13], v[12:13], -v[32:33]
	v_fma_f64 v[28:29], -v[16:17], v[24:25], 1.0
	v_fmac_f64_e32 v[24:25], v[28:29], v[24:25]
	v_fma_f64 v[28:29], -v[16:17], v[24:25], 1.0
	v_fmac_f64_e32 v[24:25], v[28:29], v[24:25]
	v_mul_f64 v[28:29], v[26:27], v[24:25]
	v_mul_f64 v[30:31], v[16:17], v[28:29]
	v_fma_f64 v[16:17], v[28:29], v[16:17], -v[30:31]
	v_fmac_f64_e32 v[16:17], v[28:29], v[12:13]
	v_add_f64 v[12:13], v[30:31], v[16:17]
	v_add_f64 v[32:33], v[26:27], -v[12:13]
	v_add_f64 v[30:31], v[12:13], -v[30:31]
	;; [unrolled: 1-line block ×5, first 2 shown]
	v_add_f64 v[12:13], v[16:17], v[12:13]
	v_add_f64 v[12:13], v[32:33], v[12:13]
	v_mul_f64 v[12:13], v[24:25], v[12:13]
	v_add_f64 v[16:17], v[28:29], v[12:13]
	s_mov_b32 s0, 0xbf559e2b
	v_mul_f64 v[26:27], v[16:17], v[16:17]
	v_mov_b32_e32 v32, 0x6b47b09a
	v_mov_b32_e32 v33, 0x3fc38538
	s_mov_b32 s1, 0x3fc3ab76
	v_fmac_f64_e32 v[32:33], s[0:1], v[26:27]
	v_mov_b32_e32 v34, 0xd7f4df2e
	v_mov_b32_e32 v35, 0x3fc7474d
	v_fmac_f64_e32 v[34:35], v[26:27], v[32:33]
	v_mov_b32_e32 v32, 0x16291751
	v_mov_b32_e32 v33, 0x3fcc71c0
	;; [unrolled: 3-line block ×5, first 2 shown]
	s_mov_b32 s2, 0xfefa39ef
	v_mul_f64 v[30:31], v[16:17], v[26:27]
	v_fmac_f64_e32 v[34:35], v[26:27], v[32:33]
	s_mov_b32 s3, 0x3fe62e42
	v_ldexp_f64 v[24:25], v[16:17], 1
	v_mul_f64 v[26:27], v[30:31], v[34:35]
	v_mul_f64 v[20:21], v[18:19], s[2:3]
	v_add_f64 v[30:31], v[24:25], v[26:27]
	v_add_f64 v[16:17], v[16:17], -v[28:29]
	v_fma_f64 v[22:23], v[18:19], s[2:3], -v[20:21]
	s_mov_b32 s2, 0x3b39803f
	v_add_f64 v[12:13], v[12:13], -v[16:17]
	v_add_f64 v[16:17], v[30:31], -v[24:25]
	s_mov_b32 s3, 0x3c7abc9e
	v_ldexp_f64 v[12:13], v[12:13], 1
	v_add_f64 v[16:17], v[26:27], -v[16:17]
	v_fmac_f64_e32 v[22:23], s[2:3], v[18:19]
	v_add_f64 v[12:13], v[12:13], v[16:17]
	v_add_f64 v[18:19], v[20:21], v[22:23]
	;; [unrolled: 1-line block ×4, first 2 shown]
	v_add_f64 v[20:21], v[18:19], -v[20:21]
	v_add_f64 v[20:21], v[22:23], -v[20:21]
	;; [unrolled: 1-line block ×7, first 2 shown]
	v_add_f64 v[22:23], v[20:21], v[12:13]
	v_add_f64 v[18:19], v[18:19], -v[26:27]
	v_add_f64 v[16:17], v[16:17], v[18:19]
	v_add_f64 v[26:27], v[22:23], -v[20:21]
	;; [unrolled: 2-line block ×4, first 2 shown]
	v_add_f64 v[20:21], v[20:21], -v[22:23]
	v_add_f64 v[12:13], v[12:13], v[20:21]
	v_add_f64 v[20:21], v[18:19], -v[24:25]
	v_add_f64 v[16:17], v[16:17], -v[20:21]
	s_movk_i32 s6, 0x204
	v_add_f64 v[12:13], v[12:13], v[16:17]
	v_add_f64 v[12:13], v[18:19], v[12:13]
	v_cmp_class_f64_e64 s[0:1], v[10:11], s6
	v_cndmask_b32_e64 v12, v12, v10, s[0:1]
	v_cndmask_b32_e64 v13, v13, v11, s[0:1]
	v_mov_b32_e32 v15, 0x7ff80000
	v_cmp_ngt_f64_e64 s[0:1], 0, v[10:11]
	v_cndmask_b32_e64 v13, v15, v13, s[0:1]
	v_cmp_nge_f64_e64 s[0:1], 0, v[10:11]
	v_cndmask_b32_e64 v12, 0, v12, s[0:1]
	v_mov_b32_e32 v15, 0xfff00000
	v_cmp_neq_f64_e64 s[0:1], 0, v[10:11]
	v_cndmask_b32_e64 v13, v15, v13, s[0:1]
	v_add_f64 v[4:5], v[4:5], -v[12:13]
	global_store_dwordx2 v[2:3], v[4:5], off
.LBB4_7:
	s_or_b64 exec, exec, s[4:5]
	v_cmp_ne_u32_e64 s[0:1], 1, v14
	s_and_b64 exec, exec, s[0:1]
	s_cbranch_execz .LBB4_10
; %bb.8:
	s_and_b64 exec, exec, vcc
	s_cbranch_execz .LBB4_10
; %bb.9:
	s_waitcnt lgkmcnt(0)
	v_add_f64 v[4:5], v[6:7], v[8:9]
	s_mov_b32 s0, 0x55555555
	v_frexp_mant_f64_e32 v[6:7], v[4:5]
	s_mov_b32 s1, 0x3fe55555
	v_frexp_exp_i32_f64_e32 v9, v[4:5]
	v_cmp_gt_f64_e32 vcc, s[0:1], v[6:7]
	v_subbrev_co_u32_e64 v9, s[0:1], 0, v9, vcc
	v_cvt_f64_i32_e32 v[10:11], v9
	v_mov_b32_e32 v9, 0x3ff00000
	v_mov_b32_e32 v8, 0
	v_cndmask_b32_e64 v9, v9, 2.0, vcc
	v_mul_f64 v[6:7], v[6:7], v[8:9]
	v_add_f64 v[8:9], v[6:7], 1.0
	v_rcp_f64_e32 v[16:17], v[8:9]
	v_add_f64 v[18:19], v[6:7], -1.0
	v_add_f64 v[24:25], v[8:9], -1.0
	v_add_f64 v[6:7], v[6:7], -v[24:25]
	v_fma_f64 v[20:21], -v[8:9], v[16:17], 1.0
	v_fmac_f64_e32 v[16:17], v[20:21], v[16:17]
	v_fma_f64 v[20:21], -v[8:9], v[16:17], 1.0
	v_fmac_f64_e32 v[16:17], v[20:21], v[16:17]
	v_mul_f64 v[20:21], v[18:19], v[16:17]
	v_mul_f64 v[22:23], v[8:9], v[20:21]
	v_fma_f64 v[8:9], v[20:21], v[8:9], -v[22:23]
	v_fmac_f64_e32 v[8:9], v[20:21], v[6:7]
	v_add_f64 v[6:7], v[22:23], v[8:9]
	v_add_f64 v[24:25], v[18:19], -v[6:7]
	s_mov_b32 s0, 0xfefa39ef
	v_add_f64 v[22:23], v[6:7], -v[22:23]
	v_add_f64 v[18:19], v[18:19], -v[24:25]
	s_mov_b32 s1, 0x3fe62e42
	v_add_f64 v[8:9], v[22:23], -v[8:9]
	v_add_f64 v[6:7], v[18:19], -v[6:7]
	v_mul_f64 v[12:13], v[10:11], s[0:1]
	v_add_f64 v[6:7], v[8:9], v[6:7]
	v_fma_f64 v[14:15], v[10:11], s[0:1], -v[12:13]
	s_mov_b32 s0, 0x3b39803f
	v_add_f64 v[6:7], v[24:25], v[6:7]
	s_mov_b32 s1, 0x3c7abc9e
	v_mul_f64 v[6:7], v[16:17], v[6:7]
	v_fmac_f64_e32 v[14:15], s[0:1], v[10:11]
	v_add_f64 v[8:9], v[20:21], v[6:7]
	s_mov_b32 s0, 0xbf559e2b
	v_mul_f64 v[18:19], v[8:9], v[8:9]
	v_mov_b32_e32 v24, 0x6b47b09a
	v_mov_b32_e32 v25, 0x3fc38538
	s_mov_b32 s1, 0x3fc3ab76
	v_fmac_f64_e32 v[24:25], s[0:1], v[18:19]
	v_mov_b32_e32 v26, 0xd7f4df2e
	v_mov_b32_e32 v27, 0x3fc7474d
	v_fmac_f64_e32 v[26:27], v[18:19], v[24:25]
	v_mov_b32_e32 v24, 0x16291751
	v_mov_b32_e32 v25, 0x3fcc71c0
	;; [unrolled: 3-line block ×5, first 2 shown]
	v_mul_f64 v[22:23], v[8:9], v[18:19]
	v_fmac_f64_e32 v[26:27], v[18:19], v[24:25]
	v_ldexp_f64 v[16:17], v[8:9], 1
	v_mul_f64 v[18:19], v[22:23], v[26:27]
	v_add_f64 v[22:23], v[16:17], v[18:19]
	v_add_f64 v[8:9], v[8:9], -v[20:21]
	v_add_f64 v[6:7], v[6:7], -v[8:9]
	;; [unrolled: 1-line block ×3, first 2 shown]
	v_ldexp_f64 v[6:7], v[6:7], 1
	v_add_f64 v[8:9], v[18:19], -v[8:9]
	v_add_f64 v[6:7], v[6:7], v[8:9]
	v_add_f64 v[10:11], v[12:13], v[14:15]
	;; [unrolled: 1-line block ×4, first 2 shown]
	v_add_f64 v[12:13], v[10:11], -v[12:13]
	v_add_f64 v[12:13], v[14:15], -v[12:13]
	;; [unrolled: 1-line block ×7, first 2 shown]
	v_add_f64 v[14:15], v[12:13], v[6:7]
	v_add_f64 v[10:11], v[10:11], -v[18:19]
	v_add_f64 v[8:9], v[8:9], v[10:11]
	v_add_f64 v[18:19], v[14:15], -v[12:13]
	;; [unrolled: 2-line block ×4, first 2 shown]
	v_add_f64 v[12:13], v[12:13], -v[14:15]
	v_add_f64 v[6:7], v[6:7], v[12:13]
	v_add_f64 v[12:13], v[10:11], -v[16:17]
	v_add_f64 v[8:9], v[8:9], -v[12:13]
	s_movk_i32 s2, 0x204
	v_add_f64 v[6:7], v[6:7], v[8:9]
	v_add_f64 v[6:7], v[10:11], v[6:7]
	v_cmp_class_f64_e64 vcc, v[4:5], s2
	v_cndmask_b32_e32 v6, v6, v4, vcc
	v_cndmask_b32_e32 v7, v7, v5, vcc
	v_mov_b32_e32 v8, 0x7ff80000
	v_cmp_ngt_f64_e32 vcc, 0, v[4:5]
	s_mov_b32 s15, 0
	v_cndmask_b32_e32 v7, v8, v7, vcc
	v_cmp_nge_f64_e32 vcc, 0, v[4:5]
	v_cndmask_b32_e32 v6, 0, v6, vcc
	v_mov_b32_e32 v8, 0xfff00000
	v_cmp_neq_f64_e32 vcc, 0, v[4:5]
	s_lshl_b64 s[0:1], s[14:15], 3
	v_cndmask_b32_e32 v7, v8, v7, vcc
	v_mov_b32_e32 v4, s1
	v_add_co_u32_e32 v2, vcc, s0, v2
	v_add_f64 v[0:1], v[0:1], -v[6:7]
	v_addc_co_u32_e32 v3, vcc, v3, v4, vcc
	global_store_dwordx2 v[2:3], v[0:1], off
.LBB4_10:
	s_endpgm
	.section	.rodata,"a",@progbits
	.p2align	6, 0x0
	.amdhsa_kernel _ZN12_GLOBAL__N_120softmax_warp_forwardIdddLi2ELb1ELb0ELi64EEEvPT0_PKT_iiiPKbib
		.amdhsa_group_segment_fixed_size 0
		.amdhsa_private_segment_fixed_size 0
		.amdhsa_kernarg_size 304
		.amdhsa_user_sgpr_count 6
		.amdhsa_user_sgpr_private_segment_buffer 1
		.amdhsa_user_sgpr_dispatch_ptr 0
		.amdhsa_user_sgpr_queue_ptr 0
		.amdhsa_user_sgpr_kernarg_segment_ptr 1
		.amdhsa_user_sgpr_dispatch_id 0
		.amdhsa_user_sgpr_flat_scratch_init 0
		.amdhsa_user_sgpr_kernarg_preload_length 0
		.amdhsa_user_sgpr_kernarg_preload_offset 0
		.amdhsa_user_sgpr_private_segment_size 0
		.amdhsa_uses_dynamic_stack 0
		.amdhsa_system_sgpr_private_segment_wavefront_offset 0
		.amdhsa_system_sgpr_workgroup_id_x 1
		.amdhsa_system_sgpr_workgroup_id_y 0
		.amdhsa_system_sgpr_workgroup_id_z 0
		.amdhsa_system_sgpr_workgroup_info 0
		.amdhsa_system_vgpr_workitem_id 1
		.amdhsa_next_free_vgpr 36
		.amdhsa_next_free_sgpr 40
		.amdhsa_accum_offset 36
		.amdhsa_reserve_vcc 1
		.amdhsa_reserve_flat_scratch 0
		.amdhsa_float_round_mode_32 0
		.amdhsa_float_round_mode_16_64 0
		.amdhsa_float_denorm_mode_32 3
		.amdhsa_float_denorm_mode_16_64 3
		.amdhsa_dx10_clamp 1
		.amdhsa_ieee_mode 1
		.amdhsa_fp16_overflow 0
		.amdhsa_tg_split 0
		.amdhsa_exception_fp_ieee_invalid_op 0
		.amdhsa_exception_fp_denorm_src 0
		.amdhsa_exception_fp_ieee_div_zero 0
		.amdhsa_exception_fp_ieee_overflow 0
		.amdhsa_exception_fp_ieee_underflow 0
		.amdhsa_exception_fp_ieee_inexact 0
		.amdhsa_exception_int_div_zero 0
	.end_amdhsa_kernel
	.section	.text._ZN12_GLOBAL__N_120softmax_warp_forwardIdddLi2ELb1ELb0ELi64EEEvPT0_PKT_iiiPKbib,"axG",@progbits,_ZN12_GLOBAL__N_120softmax_warp_forwardIdddLi2ELb1ELb0ELi64EEEvPT0_PKT_iiiPKbib,comdat
.Lfunc_end4:
	.size	_ZN12_GLOBAL__N_120softmax_warp_forwardIdddLi2ELb1ELb0ELi64EEEvPT0_PKT_iiiPKbib, .Lfunc_end4-_ZN12_GLOBAL__N_120softmax_warp_forwardIdddLi2ELb1ELb0ELi64EEEvPT0_PKT_iiiPKbib
                                        ; -- End function
	.section	.AMDGPU.csdata,"",@progbits
; Kernel info:
; codeLenInByte = 2864
; NumSgprs: 44
; NumVgprs: 36
; NumAgprs: 0
; TotalNumVgprs: 36
; ScratchSize: 0
; MemoryBound: 0
; FloatMode: 240
; IeeeMode: 1
; LDSByteSize: 0 bytes/workgroup (compile time only)
; SGPRBlocks: 5
; VGPRBlocks: 4
; NumSGPRsForWavesPerEU: 44
; NumVGPRsForWavesPerEU: 36
; AccumOffset: 36
; Occupancy: 8
; WaveLimiterHint : 0
; COMPUTE_PGM_RSRC2:SCRATCH_EN: 0
; COMPUTE_PGM_RSRC2:USER_SGPR: 6
; COMPUTE_PGM_RSRC2:TRAP_HANDLER: 0
; COMPUTE_PGM_RSRC2:TGID_X_EN: 1
; COMPUTE_PGM_RSRC2:TGID_Y_EN: 0
; COMPUTE_PGM_RSRC2:TGID_Z_EN: 0
; COMPUTE_PGM_RSRC2:TIDIG_COMP_CNT: 1
; COMPUTE_PGM_RSRC3_GFX90A:ACCUM_OFFSET: 8
; COMPUTE_PGM_RSRC3_GFX90A:TG_SPLIT: 0
	.section	.text._ZN12_GLOBAL__N_120softmax_warp_forwardIdddLi2ELb1ELb0ELi32EEEvPT0_PKT_iiiPKbib,"axG",@progbits,_ZN12_GLOBAL__N_120softmax_warp_forwardIdddLi2ELb1ELb0ELi32EEEvPT0_PKT_iiiPKbib,comdat
	.globl	_ZN12_GLOBAL__N_120softmax_warp_forwardIdddLi2ELb1ELb0ELi32EEEvPT0_PKT_iiiPKbib ; -- Begin function _ZN12_GLOBAL__N_120softmax_warp_forwardIdddLi2ELb1ELb0ELi32EEEvPT0_PKT_iiiPKbib
	.p2align	8
	.type	_ZN12_GLOBAL__N_120softmax_warp_forwardIdddLi2ELb1ELb0ELi32EEEvPT0_PKT_iiiPKbib,@function
_ZN12_GLOBAL__N_120softmax_warp_forwardIdddLi2ELb1ELb0ELi32EEEvPT0_PKT_iiiPKbib: ; @_ZN12_GLOBAL__N_120softmax_warp_forwardIdddLi2ELb1ELb0ELi32EEEvPT0_PKT_iiiPKbib
; %bb.0:
	s_load_dword s0, s[4:5], 0x3c
	s_load_dwordx8 s[8:15], s[4:5], 0x0
	v_bfe_u32 v1, v0, 10, 10
	v_and_b32_e32 v0, 0x3ff, v0
	s_waitcnt lgkmcnt(0)
	s_lshr_b32 s0, s0, 16
	s_mul_i32 s6, s6, s0
	v_add_lshl_u32 v1, s6, v1, 1
	v_mad_u64_u32 v[2:3], s[0:1], v1, s13, v[0:1]
	v_ashrrev_i32_e32 v3, 31, v2
	v_lshlrev_b64 v[2:3], 3, v[2:3]
	v_sub_u32_e32 v14, s12, v1
	v_mov_b32_e32 v1, s11
	v_add_co_u32_e32 v6, vcc, s10, v2
	v_addc_co_u32_e32 v7, vcc, v1, v3, vcc
	v_cmp_gt_i32_e32 vcc, s14, v0
	v_mov_b32_e32 v0, 0
	v_cmp_lt_i32_e64 s[0:1], 0, v14
	v_mov_b32_e32 v1, 0xfff00000
	s_and_b64 s[4:5], vcc, s[0:1]
	v_pk_mov_b32 v[4:5], v[0:1], v[0:1] op_sel:[0,1]
	s_and_saveexec_b64 s[2:3], s[4:5]
	s_cbranch_execz .LBB5_2
; %bb.1:
	global_load_dwordx2 v[4:5], v[6:7], off
.LBB5_2:
	s_or_b64 exec, exec, s[2:3]
	v_cmp_lt_i32_e64 s[2:3], 1, v14
	s_and_b64 s[2:3], vcc, s[2:3]
	s_and_saveexec_b64 s[4:5], s[2:3]
	s_cbranch_execz .LBB5_4
; %bb.3:
	s_mov_b32 s15, 0
	s_lshl_b64 s[2:3], s[14:15], 3
	v_mov_b32_e32 v1, s3
	v_add_co_u32_e64 v0, s[2:3], s2, v6
	v_addc_co_u32_e64 v1, s[2:3], v7, v1, s[2:3]
	global_load_dwordx2 v[0:1], v[0:1], off
.LBB5_4:
	s_or_b64 exec, exec, s[4:5]
	v_mbcnt_lo_u32_b32 v6, -1, 0
	v_mbcnt_hi_u32_b32 v10, -1, v6
	v_and_b32_e32 v6, 0x7c, v10
	v_add_u32_e32 v11, 4, v6
	v_xor_b32_e32 v6, 2, v10
	v_cmp_lt_i32_e64 s[2:3], v6, v11
	v_cndmask_b32_e64 v6, v10, v6, s[2:3]
	v_lshlrev_b32_e32 v15, 2, v6
	s_waitcnt vmcnt(0)
	ds_bpermute_b32 v6, v15, v4
	ds_bpermute_b32 v7, v15, v5
	;; [unrolled: 1-line block ×4, first 2 shown]
	v_xor_b32_e32 v12, 1, v10
	v_cmp_lt_i32_e64 s[4:5], v12, v11
	s_waitcnt lgkmcnt(2)
	v_cmp_lt_f64_e64 s[2:3], v[4:5], v[6:7]
	v_cndmask_b32_e64 v10, v10, v12, s[4:5]
	v_cndmask_b32_e64 v7, v5, v7, s[2:3]
	;; [unrolled: 1-line block ×3, first 2 shown]
	v_lshlrev_b32_e32 v18, 2, v10
	ds_bpermute_b32 v10, v18, v6
	ds_bpermute_b32 v11, v18, v7
	s_waitcnt lgkmcnt(2)
	v_cmp_lt_f64_e64 s[2:3], v[0:1], v[8:9]
	v_cndmask_b32_e64 v9, v1, v9, s[2:3]
	v_cndmask_b32_e64 v8, v0, v8, s[2:3]
	ds_bpermute_b32 v12, v18, v8
	ds_bpermute_b32 v13, v18, v9
	s_waitcnt lgkmcnt(2)
	v_cmp_lt_f64_e64 s[2:3], v[6:7], v[10:11]
	v_cndmask_b32_e64 v7, v7, v11, s[2:3]
	v_cndmask_b32_e64 v6, v6, v10, s[2:3]
	s_mov_b32 s6, 0x652b82fe
	v_add_f64 v[4:5], v[4:5], -v[6:7]
	s_mov_b32 s7, 0x3ff71547
	s_waitcnt lgkmcnt(0)
	v_cmp_lt_f64_e64 s[2:3], v[8:9], v[12:13]
	v_mul_f64 v[6:7], v[4:5], s[6:7]
	s_mov_b32 s10, 0xfefa39ef
	v_cndmask_b32_e64 v9, v9, v13, s[2:3]
	v_cndmask_b32_e64 v8, v8, v12, s[2:3]
	v_rndne_f64_e32 v[6:7], v[6:7]
	s_mov_b32 s11, 0xbfe62e42
	s_mov_b32 s12, 0x3b39803f
	;; [unrolled: 1-line block ×3, first 2 shown]
	v_fma_f64 v[10:11], s[10:11], v[6:7], v[4:5]
	s_mov_b32 s13, 0xbc7abc9e
	s_mov_b32 s3, 0x3e928af3
	s_mov_b32 s16, 0x6a5dcb37
	v_fmac_f64_e32 v[10:11], s[12:13], v[6:7]
	s_mov_b32 s17, 0x3e5ade15
	v_pk_mov_b32 v[12:13], s[2:3], s[2:3] op_sel:[0,1]
	s_mov_b32 s18, 0x623fde64
	v_fma_f64 v[16:17], s[16:17], v[10:11], v[12:13]
	s_mov_b32 s19, 0x3ec71dee
	s_mov_b32 s20, 0x7c89e6b0
	v_fma_f64 v[16:17], v[10:11], v[16:17], s[18:19]
	s_mov_b32 s21, 0x3efa0199
	;; [unrolled: 3-line block ×8, first 2 shown]
	v_fma_f64 v[16:17], v[10:11], v[16:17], s[34:35]
	v_add_f64 v[0:1], v[0:1], -v[8:9]
	v_fma_f64 v[16:17], v[10:11], v[16:17], 1.0
	v_mul_f64 v[8:9], v[0:1], s[6:7]
	v_fma_f64 v[10:11], v[10:11], v[16:17], 1.0
	v_cvt_i32_f64_e32 v6, v[6:7]
	v_rndne_f64_e32 v[8:9], v[8:9]
	v_ldexp_f64 v[6:7], v[10:11], v6
	v_fma_f64 v[10:11], s[10:11], v[8:9], v[0:1]
	v_fmac_f64_e32 v[10:11], s[12:13], v[8:9]
	v_fmac_f64_e32 v[12:13], s[16:17], v[10:11]
	v_fma_f64 v[12:13], v[10:11], v[12:13], s[18:19]
	v_fma_f64 v[12:13], v[10:11], v[12:13], s[20:21]
	;; [unrolled: 1-line block ×7, first 2 shown]
	s_mov_b32 s36, 0
	s_mov_b32 s38, 0
	v_fma_f64 v[12:13], v[10:11], v[12:13], s[34:35]
	s_mov_b32 s37, 0x40900000
	s_mov_b32 s39, 0xc090cc00
	v_fma_f64 v[12:13], v[10:11], v[12:13], 1.0
	v_add_f64 v[6:7], v[6:7], 0
	v_mov_b32_e32 v16, 0x7ff00000
	v_cmp_nlt_f64_e64 s[2:3], s[36:37], v[4:5]
	v_cmp_ngt_f64_e64 s[4:5], s[38:39], v[4:5]
	v_fma_f64 v[10:11], v[10:11], v[12:13], 1.0
	v_cvt_i32_f64_e32 v8, v[8:9]
	v_cndmask_b32_e64 v7, v16, v7, s[2:3]
	s_and_b64 s[2:3], s[4:5], s[2:3]
	v_ldexp_f64 v[8:9], v[10:11], v8
	v_cndmask_b32_e64 v7, 0, v7, s[4:5]
	v_cndmask_b32_e64 v6, 0, v6, s[2:3]
	v_add_f64 v[8:9], v[8:9], 0
	v_cmp_nlt_f64_e64 s[2:3], s[36:37], v[0:1]
	v_cmp_ngt_f64_e64 s[4:5], s[38:39], v[0:1]
	v_cndmask_b32_e64 v9, v16, v9, s[2:3]
	s_and_b64 s[2:3], s[4:5], s[2:3]
	v_cndmask_b32_e64 v9, 0, v9, s[4:5]
	v_cndmask_b32_e64 v8, 0, v8, s[2:3]
	ds_bpermute_b32 v10, v15, v6
	ds_bpermute_b32 v11, v15, v7
	;; [unrolled: 1-line block ×4, first 2 shown]
	s_waitcnt lgkmcnt(2)
	v_add_f64 v[10:11], v[6:7], v[10:11]
	s_waitcnt lgkmcnt(0)
	v_add_f64 v[6:7], v[8:9], v[12:13]
	ds_bpermute_b32 v12, v18, v10
	ds_bpermute_b32 v13, v18, v11
	;; [unrolled: 1-line block ×4, first 2 shown]
	s_and_saveexec_b64 s[2:3], s[0:1]
	s_cbranch_execz .LBB5_10
; %bb.5:
	v_mov_b32_e32 v15, s9
	v_add_co_u32_e64 v2, s[0:1], s8, v2
	v_addc_co_u32_e64 v3, s[0:1], v15, v3, s[0:1]
	s_and_saveexec_b64 s[4:5], vcc
	s_cbranch_execz .LBB5_7
; %bb.6:
	s_waitcnt lgkmcnt(2)
	v_add_f64 v[10:11], v[10:11], v[12:13]
	s_mov_b32 s0, 0x55555555
	v_frexp_mant_f64_e32 v[12:13], v[10:11]
	s_mov_b32 s1, 0x3fe55555
	v_frexp_exp_i32_f64_e32 v15, v[10:11]
	v_cmp_gt_f64_e64 s[0:1], s[0:1], v[12:13]
	v_subbrev_co_u32_e64 v15, s[2:3], 0, v15, s[0:1]
	v_cvt_f64_i32_e32 v[18:19], v15
	v_mov_b32_e32 v15, 0x3ff00000
	v_mov_b32_e32 v16, 0
	v_cndmask_b32_e64 v17, v15, 2.0, s[0:1]
	v_mul_f64 v[12:13], v[12:13], v[16:17]
	v_add_f64 v[16:17], v[12:13], 1.0
	v_rcp_f64_e32 v[24:25], v[16:17]
	v_add_f64 v[26:27], v[12:13], -1.0
	v_add_f64 v[32:33], v[16:17], -1.0
	v_add_f64 v[12:13], v[12:13], -v[32:33]
	v_fma_f64 v[28:29], -v[16:17], v[24:25], 1.0
	v_fmac_f64_e32 v[24:25], v[28:29], v[24:25]
	v_fma_f64 v[28:29], -v[16:17], v[24:25], 1.0
	v_fmac_f64_e32 v[24:25], v[28:29], v[24:25]
	v_mul_f64 v[28:29], v[26:27], v[24:25]
	v_mul_f64 v[30:31], v[16:17], v[28:29]
	v_fma_f64 v[16:17], v[28:29], v[16:17], -v[30:31]
	v_fmac_f64_e32 v[16:17], v[28:29], v[12:13]
	v_add_f64 v[12:13], v[30:31], v[16:17]
	v_add_f64 v[32:33], v[26:27], -v[12:13]
	v_add_f64 v[30:31], v[12:13], -v[30:31]
	;; [unrolled: 1-line block ×5, first 2 shown]
	v_add_f64 v[12:13], v[16:17], v[12:13]
	v_add_f64 v[12:13], v[32:33], v[12:13]
	v_mul_f64 v[12:13], v[24:25], v[12:13]
	v_add_f64 v[16:17], v[28:29], v[12:13]
	s_mov_b32 s0, 0xbf559e2b
	v_mul_f64 v[26:27], v[16:17], v[16:17]
	v_mov_b32_e32 v32, 0x6b47b09a
	v_mov_b32_e32 v33, 0x3fc38538
	s_mov_b32 s1, 0x3fc3ab76
	v_fmac_f64_e32 v[32:33], s[0:1], v[26:27]
	v_mov_b32_e32 v34, 0xd7f4df2e
	v_mov_b32_e32 v35, 0x3fc7474d
	v_fmac_f64_e32 v[34:35], v[26:27], v[32:33]
	v_mov_b32_e32 v32, 0x16291751
	v_mov_b32_e32 v33, 0x3fcc71c0
	v_fmac_f64_e32 v[32:33], v[26:27], v[34:35]
	v_mov_b32_e32 v34, 0x9b27acf1
	v_mov_b32_e32 v35, 0x3fd24924
	v_fmac_f64_e32 v[34:35], v[26:27], v[32:33]
	v_mov_b32_e32 v32, 0x998ef7b6
	v_mov_b32_e32 v33, 0x3fd99999
	v_fmac_f64_e32 v[32:33], v[26:27], v[34:35]
	v_mov_b32_e32 v34, 0x55555780
	v_mov_b32_e32 v35, 0x3fe55555
	s_mov_b32 s2, 0xfefa39ef
	v_mul_f64 v[30:31], v[16:17], v[26:27]
	v_fmac_f64_e32 v[34:35], v[26:27], v[32:33]
	s_mov_b32 s3, 0x3fe62e42
	v_ldexp_f64 v[24:25], v[16:17], 1
	v_mul_f64 v[26:27], v[30:31], v[34:35]
	v_mul_f64 v[20:21], v[18:19], s[2:3]
	v_add_f64 v[30:31], v[24:25], v[26:27]
	v_add_f64 v[16:17], v[16:17], -v[28:29]
	v_fma_f64 v[22:23], v[18:19], s[2:3], -v[20:21]
	s_mov_b32 s2, 0x3b39803f
	v_add_f64 v[12:13], v[12:13], -v[16:17]
	v_add_f64 v[16:17], v[30:31], -v[24:25]
	s_mov_b32 s3, 0x3c7abc9e
	v_ldexp_f64 v[12:13], v[12:13], 1
	v_add_f64 v[16:17], v[26:27], -v[16:17]
	v_fmac_f64_e32 v[22:23], s[2:3], v[18:19]
	v_add_f64 v[12:13], v[12:13], v[16:17]
	v_add_f64 v[18:19], v[20:21], v[22:23]
	;; [unrolled: 1-line block ×4, first 2 shown]
	v_add_f64 v[20:21], v[18:19], -v[20:21]
	v_add_f64 v[20:21], v[22:23], -v[20:21]
	;; [unrolled: 1-line block ×7, first 2 shown]
	v_add_f64 v[22:23], v[20:21], v[12:13]
	v_add_f64 v[18:19], v[18:19], -v[26:27]
	v_add_f64 v[16:17], v[16:17], v[18:19]
	v_add_f64 v[26:27], v[22:23], -v[20:21]
	;; [unrolled: 2-line block ×4, first 2 shown]
	v_add_f64 v[20:21], v[20:21], -v[22:23]
	v_add_f64 v[12:13], v[12:13], v[20:21]
	v_add_f64 v[20:21], v[18:19], -v[24:25]
	v_add_f64 v[16:17], v[16:17], -v[20:21]
	s_movk_i32 s6, 0x204
	v_add_f64 v[12:13], v[12:13], v[16:17]
	v_add_f64 v[12:13], v[18:19], v[12:13]
	v_cmp_class_f64_e64 s[0:1], v[10:11], s6
	v_cndmask_b32_e64 v12, v12, v10, s[0:1]
	v_cndmask_b32_e64 v13, v13, v11, s[0:1]
	v_mov_b32_e32 v15, 0x7ff80000
	v_cmp_ngt_f64_e64 s[0:1], 0, v[10:11]
	v_cndmask_b32_e64 v13, v15, v13, s[0:1]
	v_cmp_nge_f64_e64 s[0:1], 0, v[10:11]
	v_cndmask_b32_e64 v12, 0, v12, s[0:1]
	v_mov_b32_e32 v15, 0xfff00000
	v_cmp_neq_f64_e64 s[0:1], 0, v[10:11]
	v_cndmask_b32_e64 v13, v15, v13, s[0:1]
	v_add_f64 v[4:5], v[4:5], -v[12:13]
	global_store_dwordx2 v[2:3], v[4:5], off
.LBB5_7:
	s_or_b64 exec, exec, s[4:5]
	v_cmp_ne_u32_e64 s[0:1], 1, v14
	s_and_b64 exec, exec, s[0:1]
	s_cbranch_execz .LBB5_10
; %bb.8:
	s_and_b64 exec, exec, vcc
	s_cbranch_execz .LBB5_10
; %bb.9:
	s_waitcnt lgkmcnt(0)
	v_add_f64 v[4:5], v[6:7], v[8:9]
	s_mov_b32 s0, 0x55555555
	v_frexp_mant_f64_e32 v[6:7], v[4:5]
	s_mov_b32 s1, 0x3fe55555
	v_frexp_exp_i32_f64_e32 v9, v[4:5]
	v_cmp_gt_f64_e32 vcc, s[0:1], v[6:7]
	v_subbrev_co_u32_e64 v9, s[0:1], 0, v9, vcc
	v_cvt_f64_i32_e32 v[10:11], v9
	v_mov_b32_e32 v9, 0x3ff00000
	v_mov_b32_e32 v8, 0
	v_cndmask_b32_e64 v9, v9, 2.0, vcc
	v_mul_f64 v[6:7], v[6:7], v[8:9]
	v_add_f64 v[8:9], v[6:7], 1.0
	v_rcp_f64_e32 v[16:17], v[8:9]
	v_add_f64 v[18:19], v[6:7], -1.0
	v_add_f64 v[24:25], v[8:9], -1.0
	v_add_f64 v[6:7], v[6:7], -v[24:25]
	v_fma_f64 v[20:21], -v[8:9], v[16:17], 1.0
	v_fmac_f64_e32 v[16:17], v[20:21], v[16:17]
	v_fma_f64 v[20:21], -v[8:9], v[16:17], 1.0
	v_fmac_f64_e32 v[16:17], v[20:21], v[16:17]
	v_mul_f64 v[20:21], v[18:19], v[16:17]
	v_mul_f64 v[22:23], v[8:9], v[20:21]
	v_fma_f64 v[8:9], v[20:21], v[8:9], -v[22:23]
	v_fmac_f64_e32 v[8:9], v[20:21], v[6:7]
	v_add_f64 v[6:7], v[22:23], v[8:9]
	v_add_f64 v[24:25], v[18:19], -v[6:7]
	s_mov_b32 s0, 0xfefa39ef
	v_add_f64 v[22:23], v[6:7], -v[22:23]
	v_add_f64 v[18:19], v[18:19], -v[24:25]
	s_mov_b32 s1, 0x3fe62e42
	v_add_f64 v[8:9], v[22:23], -v[8:9]
	v_add_f64 v[6:7], v[18:19], -v[6:7]
	v_mul_f64 v[12:13], v[10:11], s[0:1]
	v_add_f64 v[6:7], v[8:9], v[6:7]
	v_fma_f64 v[14:15], v[10:11], s[0:1], -v[12:13]
	s_mov_b32 s0, 0x3b39803f
	v_add_f64 v[6:7], v[24:25], v[6:7]
	s_mov_b32 s1, 0x3c7abc9e
	v_mul_f64 v[6:7], v[16:17], v[6:7]
	v_fmac_f64_e32 v[14:15], s[0:1], v[10:11]
	v_add_f64 v[8:9], v[20:21], v[6:7]
	s_mov_b32 s0, 0xbf559e2b
	v_mul_f64 v[18:19], v[8:9], v[8:9]
	v_mov_b32_e32 v24, 0x6b47b09a
	v_mov_b32_e32 v25, 0x3fc38538
	s_mov_b32 s1, 0x3fc3ab76
	v_fmac_f64_e32 v[24:25], s[0:1], v[18:19]
	v_mov_b32_e32 v26, 0xd7f4df2e
	v_mov_b32_e32 v27, 0x3fc7474d
	v_fmac_f64_e32 v[26:27], v[18:19], v[24:25]
	v_mov_b32_e32 v24, 0x16291751
	v_mov_b32_e32 v25, 0x3fcc71c0
	;; [unrolled: 3-line block ×5, first 2 shown]
	v_mul_f64 v[22:23], v[8:9], v[18:19]
	v_fmac_f64_e32 v[26:27], v[18:19], v[24:25]
	v_ldexp_f64 v[16:17], v[8:9], 1
	v_mul_f64 v[18:19], v[22:23], v[26:27]
	v_add_f64 v[22:23], v[16:17], v[18:19]
	v_add_f64 v[8:9], v[8:9], -v[20:21]
	v_add_f64 v[6:7], v[6:7], -v[8:9]
	;; [unrolled: 1-line block ×3, first 2 shown]
	v_ldexp_f64 v[6:7], v[6:7], 1
	v_add_f64 v[8:9], v[18:19], -v[8:9]
	v_add_f64 v[6:7], v[6:7], v[8:9]
	v_add_f64 v[10:11], v[12:13], v[14:15]
	;; [unrolled: 1-line block ×4, first 2 shown]
	v_add_f64 v[12:13], v[10:11], -v[12:13]
	v_add_f64 v[12:13], v[14:15], -v[12:13]
	;; [unrolled: 1-line block ×7, first 2 shown]
	v_add_f64 v[14:15], v[12:13], v[6:7]
	v_add_f64 v[10:11], v[10:11], -v[18:19]
	v_add_f64 v[8:9], v[8:9], v[10:11]
	v_add_f64 v[18:19], v[14:15], -v[12:13]
	;; [unrolled: 2-line block ×4, first 2 shown]
	v_add_f64 v[12:13], v[12:13], -v[14:15]
	v_add_f64 v[6:7], v[6:7], v[12:13]
	v_add_f64 v[12:13], v[10:11], -v[16:17]
	v_add_f64 v[8:9], v[8:9], -v[12:13]
	s_movk_i32 s2, 0x204
	v_add_f64 v[6:7], v[6:7], v[8:9]
	v_add_f64 v[6:7], v[10:11], v[6:7]
	v_cmp_class_f64_e64 vcc, v[4:5], s2
	v_cndmask_b32_e32 v6, v6, v4, vcc
	v_cndmask_b32_e32 v7, v7, v5, vcc
	v_mov_b32_e32 v8, 0x7ff80000
	v_cmp_ngt_f64_e32 vcc, 0, v[4:5]
	s_mov_b32 s15, 0
	v_cndmask_b32_e32 v7, v8, v7, vcc
	v_cmp_nge_f64_e32 vcc, 0, v[4:5]
	v_cndmask_b32_e32 v6, 0, v6, vcc
	v_mov_b32_e32 v8, 0xfff00000
	v_cmp_neq_f64_e32 vcc, 0, v[4:5]
	s_lshl_b64 s[0:1], s[14:15], 3
	v_cndmask_b32_e32 v7, v8, v7, vcc
	v_mov_b32_e32 v4, s1
	v_add_co_u32_e32 v2, vcc, s0, v2
	v_add_f64 v[0:1], v[0:1], -v[6:7]
	v_addc_co_u32_e32 v3, vcc, v3, v4, vcc
	global_store_dwordx2 v[2:3], v[0:1], off
.LBB5_10:
	s_endpgm
	.section	.rodata,"a",@progbits
	.p2align	6, 0x0
	.amdhsa_kernel _ZN12_GLOBAL__N_120softmax_warp_forwardIdddLi2ELb1ELb0ELi32EEEvPT0_PKT_iiiPKbib
		.amdhsa_group_segment_fixed_size 0
		.amdhsa_private_segment_fixed_size 0
		.amdhsa_kernarg_size 304
		.amdhsa_user_sgpr_count 6
		.amdhsa_user_sgpr_private_segment_buffer 1
		.amdhsa_user_sgpr_dispatch_ptr 0
		.amdhsa_user_sgpr_queue_ptr 0
		.amdhsa_user_sgpr_kernarg_segment_ptr 1
		.amdhsa_user_sgpr_dispatch_id 0
		.amdhsa_user_sgpr_flat_scratch_init 0
		.amdhsa_user_sgpr_kernarg_preload_length 0
		.amdhsa_user_sgpr_kernarg_preload_offset 0
		.amdhsa_user_sgpr_private_segment_size 0
		.amdhsa_uses_dynamic_stack 0
		.amdhsa_system_sgpr_private_segment_wavefront_offset 0
		.amdhsa_system_sgpr_workgroup_id_x 1
		.amdhsa_system_sgpr_workgroup_id_y 0
		.amdhsa_system_sgpr_workgroup_id_z 0
		.amdhsa_system_sgpr_workgroup_info 0
		.amdhsa_system_vgpr_workitem_id 1
		.amdhsa_next_free_vgpr 36
		.amdhsa_next_free_sgpr 40
		.amdhsa_accum_offset 36
		.amdhsa_reserve_vcc 1
		.amdhsa_reserve_flat_scratch 0
		.amdhsa_float_round_mode_32 0
		.amdhsa_float_round_mode_16_64 0
		.amdhsa_float_denorm_mode_32 3
		.amdhsa_float_denorm_mode_16_64 3
		.amdhsa_dx10_clamp 1
		.amdhsa_ieee_mode 1
		.amdhsa_fp16_overflow 0
		.amdhsa_tg_split 0
		.amdhsa_exception_fp_ieee_invalid_op 0
		.amdhsa_exception_fp_denorm_src 0
		.amdhsa_exception_fp_ieee_div_zero 0
		.amdhsa_exception_fp_ieee_overflow 0
		.amdhsa_exception_fp_ieee_underflow 0
		.amdhsa_exception_fp_ieee_inexact 0
		.amdhsa_exception_int_div_zero 0
	.end_amdhsa_kernel
	.section	.text._ZN12_GLOBAL__N_120softmax_warp_forwardIdddLi2ELb1ELb0ELi32EEEvPT0_PKT_iiiPKbib,"axG",@progbits,_ZN12_GLOBAL__N_120softmax_warp_forwardIdddLi2ELb1ELb0ELi32EEEvPT0_PKT_iiiPKbib,comdat
.Lfunc_end5:
	.size	_ZN12_GLOBAL__N_120softmax_warp_forwardIdddLi2ELb1ELb0ELi32EEEvPT0_PKT_iiiPKbib, .Lfunc_end5-_ZN12_GLOBAL__N_120softmax_warp_forwardIdddLi2ELb1ELb0ELi32EEEvPT0_PKT_iiiPKbib
                                        ; -- End function
	.section	.AMDGPU.csdata,"",@progbits
; Kernel info:
; codeLenInByte = 2864
; NumSgprs: 44
; NumVgprs: 36
; NumAgprs: 0
; TotalNumVgprs: 36
; ScratchSize: 0
; MemoryBound: 0
; FloatMode: 240
; IeeeMode: 1
; LDSByteSize: 0 bytes/workgroup (compile time only)
; SGPRBlocks: 5
; VGPRBlocks: 4
; NumSGPRsForWavesPerEU: 44
; NumVGPRsForWavesPerEU: 36
; AccumOffset: 36
; Occupancy: 8
; WaveLimiterHint : 0
; COMPUTE_PGM_RSRC2:SCRATCH_EN: 0
; COMPUTE_PGM_RSRC2:USER_SGPR: 6
; COMPUTE_PGM_RSRC2:TRAP_HANDLER: 0
; COMPUTE_PGM_RSRC2:TGID_X_EN: 1
; COMPUTE_PGM_RSRC2:TGID_Y_EN: 0
; COMPUTE_PGM_RSRC2:TGID_Z_EN: 0
; COMPUTE_PGM_RSRC2:TIDIG_COMP_CNT: 1
; COMPUTE_PGM_RSRC3_GFX90A:ACCUM_OFFSET: 8
; COMPUTE_PGM_RSRC3_GFX90A:TG_SPLIT: 0
	.section	.text._ZN12_GLOBAL__N_120softmax_warp_forwardIdddLi3ELb1ELb0ELi64EEEvPT0_PKT_iiiPKbib,"axG",@progbits,_ZN12_GLOBAL__N_120softmax_warp_forwardIdddLi3ELb1ELb0ELi64EEEvPT0_PKT_iiiPKbib,comdat
	.globl	_ZN12_GLOBAL__N_120softmax_warp_forwardIdddLi3ELb1ELb0ELi64EEEvPT0_PKT_iiiPKbib ; -- Begin function _ZN12_GLOBAL__N_120softmax_warp_forwardIdddLi3ELb1ELb0ELi64EEEvPT0_PKT_iiiPKbib
	.p2align	8
	.type	_ZN12_GLOBAL__N_120softmax_warp_forwardIdddLi3ELb1ELb0ELi64EEEvPT0_PKT_iiiPKbib,@function
_ZN12_GLOBAL__N_120softmax_warp_forwardIdddLi3ELb1ELb0ELi64EEEvPT0_PKT_iiiPKbib: ; @_ZN12_GLOBAL__N_120softmax_warp_forwardIdddLi3ELb1ELb0ELi64EEEvPT0_PKT_iiiPKbib
; %bb.0:
	s_load_dword s0, s[4:5], 0x3c
	s_load_dwordx8 s[8:15], s[4:5], 0x0
	v_bfe_u32 v1, v0, 10, 10
	v_and_b32_e32 v0, 0x3ff, v0
	s_waitcnt lgkmcnt(0)
	s_lshr_b32 s0, s0, 16
	s_mul_i32 s6, s6, s0
	v_add_lshl_u32 v1, s6, v1, 1
	v_mad_u64_u32 v[2:3], s[0:1], v1, s13, v[0:1]
	v_ashrrev_i32_e32 v3, 31, v2
	v_lshlrev_b64 v[2:3], 3, v[2:3]
	v_sub_u32_e32 v14, s12, v1
	v_mov_b32_e32 v1, s11
	v_add_co_u32_e32 v6, vcc, s10, v2
	v_addc_co_u32_e32 v7, vcc, v1, v3, vcc
	v_cmp_gt_i32_e32 vcc, s14, v0
	v_mov_b32_e32 v0, 0
	v_cmp_lt_i32_e64 s[0:1], 0, v14
	v_mov_b32_e32 v1, 0xfff00000
	s_and_b64 s[4:5], vcc, s[0:1]
	v_pk_mov_b32 v[4:5], v[0:1], v[0:1] op_sel:[0,1]
	s_and_saveexec_b64 s[2:3], s[4:5]
	s_cbranch_execz .LBB6_2
; %bb.1:
	global_load_dwordx2 v[4:5], v[6:7], off
.LBB6_2:
	s_or_b64 exec, exec, s[2:3]
	v_cmp_lt_i32_e64 s[2:3], 1, v14
	s_and_b64 s[2:3], vcc, s[2:3]
	s_and_saveexec_b64 s[4:5], s[2:3]
	s_cbranch_execz .LBB6_4
; %bb.3:
	s_mov_b32 s15, 0
	s_lshl_b64 s[2:3], s[14:15], 3
	v_mov_b32_e32 v1, s3
	v_add_co_u32_e64 v0, s[2:3], s2, v6
	v_addc_co_u32_e64 v1, s[2:3], v7, v1, s[2:3]
	global_load_dwordx2 v[0:1], v[0:1], off
.LBB6_4:
	s_or_b64 exec, exec, s[4:5]
	v_mbcnt_lo_u32_b32 v6, -1, 0
	v_mbcnt_hi_u32_b32 v15, -1, v6
	v_and_b32_e32 v6, 0x78, v15
	v_add_u32_e32 v16, 8, v6
	v_xor_b32_e32 v6, 4, v15
	v_cmp_lt_i32_e64 s[2:3], v6, v16
	v_cndmask_b32_e64 v6, v15, v6, s[2:3]
	v_lshlrev_b32_e32 v18, 2, v6
	s_waitcnt vmcnt(0)
	ds_bpermute_b32 v6, v18, v4
	ds_bpermute_b32 v7, v18, v5
	v_xor_b32_e32 v10, 2, v15
	v_cmp_lt_i32_e64 s[4:5], v10, v16
	v_cndmask_b32_e64 v10, v15, v10, s[4:5]
	ds_bpermute_b32 v8, v18, v0
	s_waitcnt lgkmcnt(1)
	v_cmp_lt_f64_e64 s[2:3], v[4:5], v[6:7]
	ds_bpermute_b32 v9, v18, v1
	v_cndmask_b32_e64 v7, v5, v7, s[2:3]
	v_cndmask_b32_e64 v6, v4, v6, s[2:3]
	v_lshlrev_b32_e32 v19, 2, v10
	ds_bpermute_b32 v10, v19, v6
	ds_bpermute_b32 v11, v19, v7
	s_waitcnt lgkmcnt(2)
	v_cmp_lt_f64_e64 s[2:3], v[0:1], v[8:9]
	v_cndmask_b32_e64 v9, v1, v9, s[2:3]
	v_cndmask_b32_e64 v8, v0, v8, s[2:3]
	ds_bpermute_b32 v12, v19, v8
	s_waitcnt lgkmcnt(1)
	v_cmp_lt_f64_e64 s[2:3], v[6:7], v[10:11]
	ds_bpermute_b32 v13, v19, v9
	v_cndmask_b32_e64 v6, v6, v10, s[2:3]
	v_xor_b32_e32 v10, 1, v15
	v_cmp_lt_i32_e64 s[4:5], v10, v16
	v_cndmask_b32_e64 v10, v15, v10, s[4:5]
	v_cndmask_b32_e64 v7, v7, v11, s[2:3]
	v_lshlrev_b32_e32 v15, 2, v10
	ds_bpermute_b32 v10, v15, v6
	ds_bpermute_b32 v11, v15, v7
	s_waitcnt lgkmcnt(2)
	v_cmp_lt_f64_e64 s[2:3], v[8:9], v[12:13]
	v_cndmask_b32_e64 v9, v9, v13, s[2:3]
	v_cndmask_b32_e64 v8, v8, v12, s[2:3]
	ds_bpermute_b32 v12, v15, v8
	ds_bpermute_b32 v13, v15, v9
	s_waitcnt lgkmcnt(2)
	v_cmp_lt_f64_e64 s[2:3], v[6:7], v[10:11]
	v_cndmask_b32_e64 v7, v7, v11, s[2:3]
	v_cndmask_b32_e64 v6, v6, v10, s[2:3]
	s_mov_b32 s6, 0x652b82fe
	v_add_f64 v[4:5], v[4:5], -v[6:7]
	s_mov_b32 s7, 0x3ff71547
	s_waitcnt lgkmcnt(0)
	v_cmp_lt_f64_e64 s[2:3], v[8:9], v[12:13]
	v_mul_f64 v[6:7], v[4:5], s[6:7]
	s_mov_b32 s10, 0xfefa39ef
	v_cndmask_b32_e64 v9, v9, v13, s[2:3]
	v_cndmask_b32_e64 v8, v8, v12, s[2:3]
	v_rndne_f64_e32 v[6:7], v[6:7]
	s_mov_b32 s11, 0xbfe62e42
	s_mov_b32 s12, 0x3b39803f
	;; [unrolled: 1-line block ×3, first 2 shown]
	v_fma_f64 v[10:11], s[10:11], v[6:7], v[4:5]
	s_mov_b32 s13, 0xbc7abc9e
	s_mov_b32 s3, 0x3e928af3
	;; [unrolled: 1-line block ×3, first 2 shown]
	v_fmac_f64_e32 v[10:11], s[12:13], v[6:7]
	s_mov_b32 s17, 0x3e5ade15
	v_pk_mov_b32 v[12:13], s[2:3], s[2:3] op_sel:[0,1]
	s_mov_b32 s18, 0x623fde64
	v_fma_f64 v[16:17], s[16:17], v[10:11], v[12:13]
	s_mov_b32 s19, 0x3ec71dee
	s_mov_b32 s20, 0x7c89e6b0
	v_fma_f64 v[16:17], v[10:11], v[16:17], s[18:19]
	s_mov_b32 s21, 0x3efa0199
	;; [unrolled: 3-line block ×8, first 2 shown]
	v_fma_f64 v[16:17], v[10:11], v[16:17], s[34:35]
	v_add_f64 v[0:1], v[0:1], -v[8:9]
	v_fma_f64 v[16:17], v[10:11], v[16:17], 1.0
	v_mul_f64 v[8:9], v[0:1], s[6:7]
	v_fma_f64 v[10:11], v[10:11], v[16:17], 1.0
	v_cvt_i32_f64_e32 v6, v[6:7]
	v_rndne_f64_e32 v[8:9], v[8:9]
	v_ldexp_f64 v[6:7], v[10:11], v6
	v_fma_f64 v[10:11], s[10:11], v[8:9], v[0:1]
	v_fmac_f64_e32 v[10:11], s[12:13], v[8:9]
	v_fmac_f64_e32 v[12:13], s[16:17], v[10:11]
	v_fma_f64 v[12:13], v[10:11], v[12:13], s[18:19]
	v_fma_f64 v[12:13], v[10:11], v[12:13], s[20:21]
	;; [unrolled: 1-line block ×7, first 2 shown]
	s_mov_b32 s36, 0
	s_mov_b32 s38, 0
	v_fma_f64 v[12:13], v[10:11], v[12:13], s[34:35]
	s_mov_b32 s37, 0x40900000
	s_mov_b32 s39, 0xc090cc00
	v_fma_f64 v[12:13], v[10:11], v[12:13], 1.0
	v_add_f64 v[6:7], v[6:7], 0
	v_mov_b32_e32 v16, 0x7ff00000
	v_cmp_nlt_f64_e64 s[2:3], s[36:37], v[4:5]
	v_cmp_ngt_f64_e64 s[4:5], s[38:39], v[4:5]
	v_fma_f64 v[10:11], v[10:11], v[12:13], 1.0
	v_cvt_i32_f64_e32 v8, v[8:9]
	v_cndmask_b32_e64 v7, v16, v7, s[2:3]
	s_and_b64 s[2:3], s[4:5], s[2:3]
	v_ldexp_f64 v[8:9], v[10:11], v8
	v_cndmask_b32_e64 v7, 0, v7, s[4:5]
	v_cndmask_b32_e64 v6, 0, v6, s[2:3]
	v_add_f64 v[8:9], v[8:9], 0
	v_cmp_nlt_f64_e64 s[2:3], s[36:37], v[0:1]
	v_cmp_ngt_f64_e64 s[4:5], s[38:39], v[0:1]
	v_cndmask_b32_e64 v9, v16, v9, s[2:3]
	s_and_b64 s[2:3], s[4:5], s[2:3]
	v_cndmask_b32_e64 v9, 0, v9, s[4:5]
	v_cndmask_b32_e64 v8, 0, v8, s[2:3]
	ds_bpermute_b32 v10, v18, v6
	ds_bpermute_b32 v11, v18, v7
	;; [unrolled: 1-line block ×4, first 2 shown]
	s_waitcnt lgkmcnt(2)
	v_add_f64 v[6:7], v[6:7], v[10:11]
	ds_bpermute_b32 v10, v19, v6
	s_waitcnt lgkmcnt(1)
	v_add_f64 v[8:9], v[8:9], v[12:13]
	ds_bpermute_b32 v11, v19, v7
	ds_bpermute_b32 v12, v19, v8
	;; [unrolled: 1-line block ×3, first 2 shown]
	s_waitcnt lgkmcnt(2)
	v_add_f64 v[10:11], v[6:7], v[10:11]
	s_waitcnt lgkmcnt(0)
	v_add_f64 v[6:7], v[8:9], v[12:13]
	ds_bpermute_b32 v12, v15, v10
	ds_bpermute_b32 v13, v15, v11
	;; [unrolled: 1-line block ×4, first 2 shown]
	s_and_saveexec_b64 s[2:3], s[0:1]
	s_cbranch_execz .LBB6_10
; %bb.5:
	v_mov_b32_e32 v15, s9
	v_add_co_u32_e64 v2, s[0:1], s8, v2
	v_addc_co_u32_e64 v3, s[0:1], v15, v3, s[0:1]
	s_and_saveexec_b64 s[4:5], vcc
	s_cbranch_execz .LBB6_7
; %bb.6:
	s_waitcnt lgkmcnt(2)
	v_add_f64 v[10:11], v[10:11], v[12:13]
	s_mov_b32 s0, 0x55555555
	v_frexp_mant_f64_e32 v[12:13], v[10:11]
	s_mov_b32 s1, 0x3fe55555
	v_frexp_exp_i32_f64_e32 v15, v[10:11]
	v_cmp_gt_f64_e64 s[0:1], s[0:1], v[12:13]
	v_subbrev_co_u32_e64 v15, s[2:3], 0, v15, s[0:1]
	v_cvt_f64_i32_e32 v[18:19], v15
	v_mov_b32_e32 v15, 0x3ff00000
	v_mov_b32_e32 v16, 0
	v_cndmask_b32_e64 v17, v15, 2.0, s[0:1]
	v_mul_f64 v[12:13], v[12:13], v[16:17]
	v_add_f64 v[16:17], v[12:13], 1.0
	v_rcp_f64_e32 v[24:25], v[16:17]
	v_add_f64 v[26:27], v[12:13], -1.0
	v_add_f64 v[32:33], v[16:17], -1.0
	v_add_f64 v[12:13], v[12:13], -v[32:33]
	v_fma_f64 v[28:29], -v[16:17], v[24:25], 1.0
	v_fmac_f64_e32 v[24:25], v[28:29], v[24:25]
	v_fma_f64 v[28:29], -v[16:17], v[24:25], 1.0
	v_fmac_f64_e32 v[24:25], v[28:29], v[24:25]
	v_mul_f64 v[28:29], v[26:27], v[24:25]
	v_mul_f64 v[30:31], v[16:17], v[28:29]
	v_fma_f64 v[16:17], v[28:29], v[16:17], -v[30:31]
	v_fmac_f64_e32 v[16:17], v[28:29], v[12:13]
	v_add_f64 v[12:13], v[30:31], v[16:17]
	v_add_f64 v[32:33], v[26:27], -v[12:13]
	v_add_f64 v[30:31], v[12:13], -v[30:31]
	;; [unrolled: 1-line block ×5, first 2 shown]
	v_add_f64 v[12:13], v[16:17], v[12:13]
	v_add_f64 v[12:13], v[32:33], v[12:13]
	v_mul_f64 v[12:13], v[24:25], v[12:13]
	v_add_f64 v[16:17], v[28:29], v[12:13]
	s_mov_b32 s0, 0xbf559e2b
	v_mul_f64 v[26:27], v[16:17], v[16:17]
	v_mov_b32_e32 v32, 0x6b47b09a
	v_mov_b32_e32 v33, 0x3fc38538
	s_mov_b32 s1, 0x3fc3ab76
	v_fmac_f64_e32 v[32:33], s[0:1], v[26:27]
	v_mov_b32_e32 v34, 0xd7f4df2e
	v_mov_b32_e32 v35, 0x3fc7474d
	v_fmac_f64_e32 v[34:35], v[26:27], v[32:33]
	v_mov_b32_e32 v32, 0x16291751
	v_mov_b32_e32 v33, 0x3fcc71c0
	;; [unrolled: 3-line block ×5, first 2 shown]
	s_mov_b32 s2, 0xfefa39ef
	v_mul_f64 v[30:31], v[16:17], v[26:27]
	v_fmac_f64_e32 v[34:35], v[26:27], v[32:33]
	s_mov_b32 s3, 0x3fe62e42
	v_ldexp_f64 v[24:25], v[16:17], 1
	v_mul_f64 v[26:27], v[30:31], v[34:35]
	v_mul_f64 v[20:21], v[18:19], s[2:3]
	v_add_f64 v[30:31], v[24:25], v[26:27]
	v_add_f64 v[16:17], v[16:17], -v[28:29]
	v_fma_f64 v[22:23], v[18:19], s[2:3], -v[20:21]
	s_mov_b32 s2, 0x3b39803f
	v_add_f64 v[12:13], v[12:13], -v[16:17]
	v_add_f64 v[16:17], v[30:31], -v[24:25]
	s_mov_b32 s3, 0x3c7abc9e
	v_ldexp_f64 v[12:13], v[12:13], 1
	v_add_f64 v[16:17], v[26:27], -v[16:17]
	v_fmac_f64_e32 v[22:23], s[2:3], v[18:19]
	v_add_f64 v[12:13], v[12:13], v[16:17]
	v_add_f64 v[18:19], v[20:21], v[22:23]
	;; [unrolled: 1-line block ×4, first 2 shown]
	v_add_f64 v[20:21], v[18:19], -v[20:21]
	v_add_f64 v[20:21], v[22:23], -v[20:21]
	;; [unrolled: 1-line block ×7, first 2 shown]
	v_add_f64 v[22:23], v[20:21], v[12:13]
	v_add_f64 v[18:19], v[18:19], -v[26:27]
	v_add_f64 v[16:17], v[16:17], v[18:19]
	v_add_f64 v[26:27], v[22:23], -v[20:21]
	;; [unrolled: 2-line block ×4, first 2 shown]
	v_add_f64 v[20:21], v[20:21], -v[22:23]
	v_add_f64 v[12:13], v[12:13], v[20:21]
	v_add_f64 v[20:21], v[18:19], -v[24:25]
	v_add_f64 v[16:17], v[16:17], -v[20:21]
	s_movk_i32 s6, 0x204
	v_add_f64 v[12:13], v[12:13], v[16:17]
	v_add_f64 v[12:13], v[18:19], v[12:13]
	v_cmp_class_f64_e64 s[0:1], v[10:11], s6
	v_cndmask_b32_e64 v12, v12, v10, s[0:1]
	v_cndmask_b32_e64 v13, v13, v11, s[0:1]
	v_mov_b32_e32 v15, 0x7ff80000
	v_cmp_ngt_f64_e64 s[0:1], 0, v[10:11]
	v_cndmask_b32_e64 v13, v15, v13, s[0:1]
	v_cmp_nge_f64_e64 s[0:1], 0, v[10:11]
	v_cndmask_b32_e64 v12, 0, v12, s[0:1]
	v_mov_b32_e32 v15, 0xfff00000
	v_cmp_neq_f64_e64 s[0:1], 0, v[10:11]
	v_cndmask_b32_e64 v13, v15, v13, s[0:1]
	v_add_f64 v[4:5], v[4:5], -v[12:13]
	global_store_dwordx2 v[2:3], v[4:5], off
.LBB6_7:
	s_or_b64 exec, exec, s[4:5]
	v_cmp_ne_u32_e64 s[0:1], 1, v14
	s_and_b64 exec, exec, s[0:1]
	s_cbranch_execz .LBB6_10
; %bb.8:
	s_and_b64 exec, exec, vcc
	s_cbranch_execz .LBB6_10
; %bb.9:
	s_waitcnt lgkmcnt(0)
	v_add_f64 v[4:5], v[6:7], v[8:9]
	s_mov_b32 s0, 0x55555555
	v_frexp_mant_f64_e32 v[6:7], v[4:5]
	s_mov_b32 s1, 0x3fe55555
	v_frexp_exp_i32_f64_e32 v9, v[4:5]
	v_cmp_gt_f64_e32 vcc, s[0:1], v[6:7]
	v_subbrev_co_u32_e64 v9, s[0:1], 0, v9, vcc
	v_cvt_f64_i32_e32 v[10:11], v9
	v_mov_b32_e32 v9, 0x3ff00000
	v_mov_b32_e32 v8, 0
	v_cndmask_b32_e64 v9, v9, 2.0, vcc
	v_mul_f64 v[6:7], v[6:7], v[8:9]
	v_add_f64 v[8:9], v[6:7], 1.0
	v_rcp_f64_e32 v[16:17], v[8:9]
	v_add_f64 v[18:19], v[6:7], -1.0
	v_add_f64 v[24:25], v[8:9], -1.0
	v_add_f64 v[6:7], v[6:7], -v[24:25]
	v_fma_f64 v[20:21], -v[8:9], v[16:17], 1.0
	v_fmac_f64_e32 v[16:17], v[20:21], v[16:17]
	v_fma_f64 v[20:21], -v[8:9], v[16:17], 1.0
	v_fmac_f64_e32 v[16:17], v[20:21], v[16:17]
	v_mul_f64 v[20:21], v[18:19], v[16:17]
	v_mul_f64 v[22:23], v[8:9], v[20:21]
	v_fma_f64 v[8:9], v[20:21], v[8:9], -v[22:23]
	v_fmac_f64_e32 v[8:9], v[20:21], v[6:7]
	v_add_f64 v[6:7], v[22:23], v[8:9]
	v_add_f64 v[24:25], v[18:19], -v[6:7]
	s_mov_b32 s0, 0xfefa39ef
	v_add_f64 v[22:23], v[6:7], -v[22:23]
	v_add_f64 v[18:19], v[18:19], -v[24:25]
	s_mov_b32 s1, 0x3fe62e42
	v_add_f64 v[8:9], v[22:23], -v[8:9]
	v_add_f64 v[6:7], v[18:19], -v[6:7]
	v_mul_f64 v[12:13], v[10:11], s[0:1]
	v_add_f64 v[6:7], v[8:9], v[6:7]
	v_fma_f64 v[14:15], v[10:11], s[0:1], -v[12:13]
	s_mov_b32 s0, 0x3b39803f
	v_add_f64 v[6:7], v[24:25], v[6:7]
	s_mov_b32 s1, 0x3c7abc9e
	v_mul_f64 v[6:7], v[16:17], v[6:7]
	v_fmac_f64_e32 v[14:15], s[0:1], v[10:11]
	v_add_f64 v[8:9], v[20:21], v[6:7]
	s_mov_b32 s0, 0xbf559e2b
	v_mul_f64 v[18:19], v[8:9], v[8:9]
	v_mov_b32_e32 v24, 0x6b47b09a
	v_mov_b32_e32 v25, 0x3fc38538
	s_mov_b32 s1, 0x3fc3ab76
	v_fmac_f64_e32 v[24:25], s[0:1], v[18:19]
	v_mov_b32_e32 v26, 0xd7f4df2e
	v_mov_b32_e32 v27, 0x3fc7474d
	v_fmac_f64_e32 v[26:27], v[18:19], v[24:25]
	v_mov_b32_e32 v24, 0x16291751
	v_mov_b32_e32 v25, 0x3fcc71c0
	;; [unrolled: 3-line block ×5, first 2 shown]
	v_mul_f64 v[22:23], v[8:9], v[18:19]
	v_fmac_f64_e32 v[26:27], v[18:19], v[24:25]
	v_ldexp_f64 v[16:17], v[8:9], 1
	v_mul_f64 v[18:19], v[22:23], v[26:27]
	v_add_f64 v[22:23], v[16:17], v[18:19]
	v_add_f64 v[8:9], v[8:9], -v[20:21]
	v_add_f64 v[6:7], v[6:7], -v[8:9]
	;; [unrolled: 1-line block ×3, first 2 shown]
	v_ldexp_f64 v[6:7], v[6:7], 1
	v_add_f64 v[8:9], v[18:19], -v[8:9]
	v_add_f64 v[6:7], v[6:7], v[8:9]
	v_add_f64 v[10:11], v[12:13], v[14:15]
	;; [unrolled: 1-line block ×4, first 2 shown]
	v_add_f64 v[12:13], v[10:11], -v[12:13]
	v_add_f64 v[12:13], v[14:15], -v[12:13]
	;; [unrolled: 1-line block ×7, first 2 shown]
	v_add_f64 v[14:15], v[12:13], v[6:7]
	v_add_f64 v[10:11], v[10:11], -v[18:19]
	v_add_f64 v[8:9], v[8:9], v[10:11]
	v_add_f64 v[18:19], v[14:15], -v[12:13]
	;; [unrolled: 2-line block ×4, first 2 shown]
	v_add_f64 v[12:13], v[12:13], -v[14:15]
	v_add_f64 v[6:7], v[6:7], v[12:13]
	v_add_f64 v[12:13], v[10:11], -v[16:17]
	v_add_f64 v[8:9], v[8:9], -v[12:13]
	s_movk_i32 s2, 0x204
	v_add_f64 v[6:7], v[6:7], v[8:9]
	v_add_f64 v[6:7], v[10:11], v[6:7]
	v_cmp_class_f64_e64 vcc, v[4:5], s2
	v_cndmask_b32_e32 v6, v6, v4, vcc
	v_cndmask_b32_e32 v7, v7, v5, vcc
	v_mov_b32_e32 v8, 0x7ff80000
	v_cmp_ngt_f64_e32 vcc, 0, v[4:5]
	s_mov_b32 s15, 0
	v_cndmask_b32_e32 v7, v8, v7, vcc
	v_cmp_nge_f64_e32 vcc, 0, v[4:5]
	v_cndmask_b32_e32 v6, 0, v6, vcc
	v_mov_b32_e32 v8, 0xfff00000
	v_cmp_neq_f64_e32 vcc, 0, v[4:5]
	s_lshl_b64 s[0:1], s[14:15], 3
	v_cndmask_b32_e32 v7, v8, v7, vcc
	v_mov_b32_e32 v4, s1
	v_add_co_u32_e32 v2, vcc, s0, v2
	v_add_f64 v[0:1], v[0:1], -v[6:7]
	v_addc_co_u32_e32 v3, vcc, v3, v4, vcc
	global_store_dwordx2 v[2:3], v[0:1], off
.LBB6_10:
	s_endpgm
	.section	.rodata,"a",@progbits
	.p2align	6, 0x0
	.amdhsa_kernel _ZN12_GLOBAL__N_120softmax_warp_forwardIdddLi3ELb1ELb0ELi64EEEvPT0_PKT_iiiPKbib
		.amdhsa_group_segment_fixed_size 0
		.amdhsa_private_segment_fixed_size 0
		.amdhsa_kernarg_size 304
		.amdhsa_user_sgpr_count 6
		.amdhsa_user_sgpr_private_segment_buffer 1
		.amdhsa_user_sgpr_dispatch_ptr 0
		.amdhsa_user_sgpr_queue_ptr 0
		.amdhsa_user_sgpr_kernarg_segment_ptr 1
		.amdhsa_user_sgpr_dispatch_id 0
		.amdhsa_user_sgpr_flat_scratch_init 0
		.amdhsa_user_sgpr_kernarg_preload_length 0
		.amdhsa_user_sgpr_kernarg_preload_offset 0
		.amdhsa_user_sgpr_private_segment_size 0
		.amdhsa_uses_dynamic_stack 0
		.amdhsa_system_sgpr_private_segment_wavefront_offset 0
		.amdhsa_system_sgpr_workgroup_id_x 1
		.amdhsa_system_sgpr_workgroup_id_y 0
		.amdhsa_system_sgpr_workgroup_id_z 0
		.amdhsa_system_sgpr_workgroup_info 0
		.amdhsa_system_vgpr_workitem_id 1
		.amdhsa_next_free_vgpr 36
		.amdhsa_next_free_sgpr 40
		.amdhsa_accum_offset 36
		.amdhsa_reserve_vcc 1
		.amdhsa_reserve_flat_scratch 0
		.amdhsa_float_round_mode_32 0
		.amdhsa_float_round_mode_16_64 0
		.amdhsa_float_denorm_mode_32 3
		.amdhsa_float_denorm_mode_16_64 3
		.amdhsa_dx10_clamp 1
		.amdhsa_ieee_mode 1
		.amdhsa_fp16_overflow 0
		.amdhsa_tg_split 0
		.amdhsa_exception_fp_ieee_invalid_op 0
		.amdhsa_exception_fp_denorm_src 0
		.amdhsa_exception_fp_ieee_div_zero 0
		.amdhsa_exception_fp_ieee_overflow 0
		.amdhsa_exception_fp_ieee_underflow 0
		.amdhsa_exception_fp_ieee_inexact 0
		.amdhsa_exception_int_div_zero 0
	.end_amdhsa_kernel
	.section	.text._ZN12_GLOBAL__N_120softmax_warp_forwardIdddLi3ELb1ELb0ELi64EEEvPT0_PKT_iiiPKbib,"axG",@progbits,_ZN12_GLOBAL__N_120softmax_warp_forwardIdddLi3ELb1ELb0ELi64EEEvPT0_PKT_iiiPKbib,comdat
.Lfunc_end6:
	.size	_ZN12_GLOBAL__N_120softmax_warp_forwardIdddLi3ELb1ELb0ELi64EEEvPT0_PKT_iiiPKbib, .Lfunc_end6-_ZN12_GLOBAL__N_120softmax_warp_forwardIdddLi3ELb1ELb0ELi64EEEvPT0_PKT_iiiPKbib
                                        ; -- End function
	.section	.AMDGPU.csdata,"",@progbits
; Kernel info:
; codeLenInByte = 3032
; NumSgprs: 44
; NumVgprs: 36
; NumAgprs: 0
; TotalNumVgprs: 36
; ScratchSize: 0
; MemoryBound: 0
; FloatMode: 240
; IeeeMode: 1
; LDSByteSize: 0 bytes/workgroup (compile time only)
; SGPRBlocks: 5
; VGPRBlocks: 4
; NumSGPRsForWavesPerEU: 44
; NumVGPRsForWavesPerEU: 36
; AccumOffset: 36
; Occupancy: 8
; WaveLimiterHint : 0
; COMPUTE_PGM_RSRC2:SCRATCH_EN: 0
; COMPUTE_PGM_RSRC2:USER_SGPR: 6
; COMPUTE_PGM_RSRC2:TRAP_HANDLER: 0
; COMPUTE_PGM_RSRC2:TGID_X_EN: 1
; COMPUTE_PGM_RSRC2:TGID_Y_EN: 0
; COMPUTE_PGM_RSRC2:TGID_Z_EN: 0
; COMPUTE_PGM_RSRC2:TIDIG_COMP_CNT: 1
; COMPUTE_PGM_RSRC3_GFX90A:ACCUM_OFFSET: 8
; COMPUTE_PGM_RSRC3_GFX90A:TG_SPLIT: 0
	.section	.text._ZN12_GLOBAL__N_120softmax_warp_forwardIdddLi3ELb1ELb0ELi32EEEvPT0_PKT_iiiPKbib,"axG",@progbits,_ZN12_GLOBAL__N_120softmax_warp_forwardIdddLi3ELb1ELb0ELi32EEEvPT0_PKT_iiiPKbib,comdat
	.globl	_ZN12_GLOBAL__N_120softmax_warp_forwardIdddLi3ELb1ELb0ELi32EEEvPT0_PKT_iiiPKbib ; -- Begin function _ZN12_GLOBAL__N_120softmax_warp_forwardIdddLi3ELb1ELb0ELi32EEEvPT0_PKT_iiiPKbib
	.p2align	8
	.type	_ZN12_GLOBAL__N_120softmax_warp_forwardIdddLi3ELb1ELb0ELi32EEEvPT0_PKT_iiiPKbib,@function
_ZN12_GLOBAL__N_120softmax_warp_forwardIdddLi3ELb1ELb0ELi32EEEvPT0_PKT_iiiPKbib: ; @_ZN12_GLOBAL__N_120softmax_warp_forwardIdddLi3ELb1ELb0ELi32EEEvPT0_PKT_iiiPKbib
; %bb.0:
	s_load_dword s0, s[4:5], 0x3c
	s_load_dwordx8 s[8:15], s[4:5], 0x0
	v_bfe_u32 v1, v0, 10, 10
	v_and_b32_e32 v0, 0x3ff, v0
	s_waitcnt lgkmcnt(0)
	s_lshr_b32 s0, s0, 16
	s_mul_i32 s6, s6, s0
	v_add_lshl_u32 v1, s6, v1, 1
	v_mad_u64_u32 v[2:3], s[0:1], v1, s13, v[0:1]
	v_ashrrev_i32_e32 v3, 31, v2
	v_lshlrev_b64 v[2:3], 3, v[2:3]
	v_sub_u32_e32 v14, s12, v1
	v_mov_b32_e32 v1, s11
	v_add_co_u32_e32 v6, vcc, s10, v2
	v_addc_co_u32_e32 v7, vcc, v1, v3, vcc
	v_cmp_gt_i32_e32 vcc, s14, v0
	v_mov_b32_e32 v0, 0
	v_cmp_lt_i32_e64 s[0:1], 0, v14
	v_mov_b32_e32 v1, 0xfff00000
	s_and_b64 s[4:5], vcc, s[0:1]
	v_pk_mov_b32 v[4:5], v[0:1], v[0:1] op_sel:[0,1]
	s_and_saveexec_b64 s[2:3], s[4:5]
	s_cbranch_execz .LBB7_2
; %bb.1:
	global_load_dwordx2 v[4:5], v[6:7], off
.LBB7_2:
	s_or_b64 exec, exec, s[2:3]
	v_cmp_lt_i32_e64 s[2:3], 1, v14
	s_and_b64 s[2:3], vcc, s[2:3]
	s_and_saveexec_b64 s[4:5], s[2:3]
	s_cbranch_execz .LBB7_4
; %bb.3:
	s_mov_b32 s15, 0
	s_lshl_b64 s[2:3], s[14:15], 3
	v_mov_b32_e32 v1, s3
	v_add_co_u32_e64 v0, s[2:3], s2, v6
	v_addc_co_u32_e64 v1, s[2:3], v7, v1, s[2:3]
	global_load_dwordx2 v[0:1], v[0:1], off
.LBB7_4:
	s_or_b64 exec, exec, s[4:5]
	v_mbcnt_lo_u32_b32 v6, -1, 0
	v_mbcnt_hi_u32_b32 v15, -1, v6
	v_and_b32_e32 v6, 0x78, v15
	v_add_u32_e32 v16, 8, v6
	v_xor_b32_e32 v6, 4, v15
	v_cmp_lt_i32_e64 s[2:3], v6, v16
	v_cndmask_b32_e64 v6, v15, v6, s[2:3]
	v_lshlrev_b32_e32 v18, 2, v6
	s_waitcnt vmcnt(0)
	ds_bpermute_b32 v6, v18, v4
	ds_bpermute_b32 v7, v18, v5
	v_xor_b32_e32 v10, 2, v15
	v_cmp_lt_i32_e64 s[4:5], v10, v16
	v_cndmask_b32_e64 v10, v15, v10, s[4:5]
	ds_bpermute_b32 v8, v18, v0
	s_waitcnt lgkmcnt(1)
	v_cmp_lt_f64_e64 s[2:3], v[4:5], v[6:7]
	ds_bpermute_b32 v9, v18, v1
	v_cndmask_b32_e64 v7, v5, v7, s[2:3]
	v_cndmask_b32_e64 v6, v4, v6, s[2:3]
	v_lshlrev_b32_e32 v19, 2, v10
	ds_bpermute_b32 v10, v19, v6
	ds_bpermute_b32 v11, v19, v7
	s_waitcnt lgkmcnt(2)
	v_cmp_lt_f64_e64 s[2:3], v[0:1], v[8:9]
	v_cndmask_b32_e64 v9, v1, v9, s[2:3]
	v_cndmask_b32_e64 v8, v0, v8, s[2:3]
	ds_bpermute_b32 v12, v19, v8
	s_waitcnt lgkmcnt(1)
	v_cmp_lt_f64_e64 s[2:3], v[6:7], v[10:11]
	ds_bpermute_b32 v13, v19, v9
	v_cndmask_b32_e64 v6, v6, v10, s[2:3]
	v_xor_b32_e32 v10, 1, v15
	v_cmp_lt_i32_e64 s[4:5], v10, v16
	v_cndmask_b32_e64 v10, v15, v10, s[4:5]
	v_cndmask_b32_e64 v7, v7, v11, s[2:3]
	v_lshlrev_b32_e32 v15, 2, v10
	ds_bpermute_b32 v10, v15, v6
	ds_bpermute_b32 v11, v15, v7
	s_waitcnt lgkmcnt(2)
	v_cmp_lt_f64_e64 s[2:3], v[8:9], v[12:13]
	v_cndmask_b32_e64 v9, v9, v13, s[2:3]
	v_cndmask_b32_e64 v8, v8, v12, s[2:3]
	ds_bpermute_b32 v12, v15, v8
	ds_bpermute_b32 v13, v15, v9
	s_waitcnt lgkmcnt(2)
	v_cmp_lt_f64_e64 s[2:3], v[6:7], v[10:11]
	v_cndmask_b32_e64 v7, v7, v11, s[2:3]
	v_cndmask_b32_e64 v6, v6, v10, s[2:3]
	s_mov_b32 s6, 0x652b82fe
	v_add_f64 v[4:5], v[4:5], -v[6:7]
	s_mov_b32 s7, 0x3ff71547
	s_waitcnt lgkmcnt(0)
	v_cmp_lt_f64_e64 s[2:3], v[8:9], v[12:13]
	v_mul_f64 v[6:7], v[4:5], s[6:7]
	s_mov_b32 s10, 0xfefa39ef
	v_cndmask_b32_e64 v9, v9, v13, s[2:3]
	v_cndmask_b32_e64 v8, v8, v12, s[2:3]
	v_rndne_f64_e32 v[6:7], v[6:7]
	s_mov_b32 s11, 0xbfe62e42
	s_mov_b32 s12, 0x3b39803f
	;; [unrolled: 1-line block ×3, first 2 shown]
	v_fma_f64 v[10:11], s[10:11], v[6:7], v[4:5]
	s_mov_b32 s13, 0xbc7abc9e
	s_mov_b32 s3, 0x3e928af3
	;; [unrolled: 1-line block ×3, first 2 shown]
	v_fmac_f64_e32 v[10:11], s[12:13], v[6:7]
	s_mov_b32 s17, 0x3e5ade15
	v_pk_mov_b32 v[12:13], s[2:3], s[2:3] op_sel:[0,1]
	s_mov_b32 s18, 0x623fde64
	v_fma_f64 v[16:17], s[16:17], v[10:11], v[12:13]
	s_mov_b32 s19, 0x3ec71dee
	s_mov_b32 s20, 0x7c89e6b0
	v_fma_f64 v[16:17], v[10:11], v[16:17], s[18:19]
	s_mov_b32 s21, 0x3efa0199
	;; [unrolled: 3-line block ×8, first 2 shown]
	v_fma_f64 v[16:17], v[10:11], v[16:17], s[34:35]
	v_add_f64 v[0:1], v[0:1], -v[8:9]
	v_fma_f64 v[16:17], v[10:11], v[16:17], 1.0
	v_mul_f64 v[8:9], v[0:1], s[6:7]
	v_fma_f64 v[10:11], v[10:11], v[16:17], 1.0
	v_cvt_i32_f64_e32 v6, v[6:7]
	v_rndne_f64_e32 v[8:9], v[8:9]
	v_ldexp_f64 v[6:7], v[10:11], v6
	v_fma_f64 v[10:11], s[10:11], v[8:9], v[0:1]
	v_fmac_f64_e32 v[10:11], s[12:13], v[8:9]
	v_fmac_f64_e32 v[12:13], s[16:17], v[10:11]
	v_fma_f64 v[12:13], v[10:11], v[12:13], s[18:19]
	v_fma_f64 v[12:13], v[10:11], v[12:13], s[20:21]
	;; [unrolled: 1-line block ×7, first 2 shown]
	s_mov_b32 s36, 0
	s_mov_b32 s38, 0
	v_fma_f64 v[12:13], v[10:11], v[12:13], s[34:35]
	s_mov_b32 s37, 0x40900000
	s_mov_b32 s39, 0xc090cc00
	v_fma_f64 v[12:13], v[10:11], v[12:13], 1.0
	v_add_f64 v[6:7], v[6:7], 0
	v_mov_b32_e32 v16, 0x7ff00000
	v_cmp_nlt_f64_e64 s[2:3], s[36:37], v[4:5]
	v_cmp_ngt_f64_e64 s[4:5], s[38:39], v[4:5]
	v_fma_f64 v[10:11], v[10:11], v[12:13], 1.0
	v_cvt_i32_f64_e32 v8, v[8:9]
	v_cndmask_b32_e64 v7, v16, v7, s[2:3]
	s_and_b64 s[2:3], s[4:5], s[2:3]
	v_ldexp_f64 v[8:9], v[10:11], v8
	v_cndmask_b32_e64 v7, 0, v7, s[4:5]
	v_cndmask_b32_e64 v6, 0, v6, s[2:3]
	v_add_f64 v[8:9], v[8:9], 0
	v_cmp_nlt_f64_e64 s[2:3], s[36:37], v[0:1]
	v_cmp_ngt_f64_e64 s[4:5], s[38:39], v[0:1]
	v_cndmask_b32_e64 v9, v16, v9, s[2:3]
	s_and_b64 s[2:3], s[4:5], s[2:3]
	v_cndmask_b32_e64 v9, 0, v9, s[4:5]
	v_cndmask_b32_e64 v8, 0, v8, s[2:3]
	ds_bpermute_b32 v10, v18, v6
	ds_bpermute_b32 v11, v18, v7
	;; [unrolled: 1-line block ×4, first 2 shown]
	s_waitcnt lgkmcnt(2)
	v_add_f64 v[6:7], v[6:7], v[10:11]
	ds_bpermute_b32 v10, v19, v6
	s_waitcnt lgkmcnt(1)
	v_add_f64 v[8:9], v[8:9], v[12:13]
	ds_bpermute_b32 v11, v19, v7
	ds_bpermute_b32 v12, v19, v8
	;; [unrolled: 1-line block ×3, first 2 shown]
	s_waitcnt lgkmcnt(2)
	v_add_f64 v[10:11], v[6:7], v[10:11]
	s_waitcnt lgkmcnt(0)
	v_add_f64 v[6:7], v[8:9], v[12:13]
	ds_bpermute_b32 v12, v15, v10
	ds_bpermute_b32 v13, v15, v11
	;; [unrolled: 1-line block ×4, first 2 shown]
	s_and_saveexec_b64 s[2:3], s[0:1]
	s_cbranch_execz .LBB7_10
; %bb.5:
	v_mov_b32_e32 v15, s9
	v_add_co_u32_e64 v2, s[0:1], s8, v2
	v_addc_co_u32_e64 v3, s[0:1], v15, v3, s[0:1]
	s_and_saveexec_b64 s[4:5], vcc
	s_cbranch_execz .LBB7_7
; %bb.6:
	s_waitcnt lgkmcnt(2)
	v_add_f64 v[10:11], v[10:11], v[12:13]
	s_mov_b32 s0, 0x55555555
	v_frexp_mant_f64_e32 v[12:13], v[10:11]
	s_mov_b32 s1, 0x3fe55555
	v_frexp_exp_i32_f64_e32 v15, v[10:11]
	v_cmp_gt_f64_e64 s[0:1], s[0:1], v[12:13]
	v_subbrev_co_u32_e64 v15, s[2:3], 0, v15, s[0:1]
	v_cvt_f64_i32_e32 v[18:19], v15
	v_mov_b32_e32 v15, 0x3ff00000
	v_mov_b32_e32 v16, 0
	v_cndmask_b32_e64 v17, v15, 2.0, s[0:1]
	v_mul_f64 v[12:13], v[12:13], v[16:17]
	v_add_f64 v[16:17], v[12:13], 1.0
	v_rcp_f64_e32 v[24:25], v[16:17]
	v_add_f64 v[26:27], v[12:13], -1.0
	v_add_f64 v[32:33], v[16:17], -1.0
	v_add_f64 v[12:13], v[12:13], -v[32:33]
	v_fma_f64 v[28:29], -v[16:17], v[24:25], 1.0
	v_fmac_f64_e32 v[24:25], v[28:29], v[24:25]
	v_fma_f64 v[28:29], -v[16:17], v[24:25], 1.0
	v_fmac_f64_e32 v[24:25], v[28:29], v[24:25]
	v_mul_f64 v[28:29], v[26:27], v[24:25]
	v_mul_f64 v[30:31], v[16:17], v[28:29]
	v_fma_f64 v[16:17], v[28:29], v[16:17], -v[30:31]
	v_fmac_f64_e32 v[16:17], v[28:29], v[12:13]
	v_add_f64 v[12:13], v[30:31], v[16:17]
	v_add_f64 v[32:33], v[26:27], -v[12:13]
	v_add_f64 v[30:31], v[12:13], -v[30:31]
	;; [unrolled: 1-line block ×5, first 2 shown]
	v_add_f64 v[12:13], v[16:17], v[12:13]
	v_add_f64 v[12:13], v[32:33], v[12:13]
	v_mul_f64 v[12:13], v[24:25], v[12:13]
	v_add_f64 v[16:17], v[28:29], v[12:13]
	s_mov_b32 s0, 0xbf559e2b
	v_mul_f64 v[26:27], v[16:17], v[16:17]
	v_mov_b32_e32 v32, 0x6b47b09a
	v_mov_b32_e32 v33, 0x3fc38538
	s_mov_b32 s1, 0x3fc3ab76
	v_fmac_f64_e32 v[32:33], s[0:1], v[26:27]
	v_mov_b32_e32 v34, 0xd7f4df2e
	v_mov_b32_e32 v35, 0x3fc7474d
	v_fmac_f64_e32 v[34:35], v[26:27], v[32:33]
	v_mov_b32_e32 v32, 0x16291751
	v_mov_b32_e32 v33, 0x3fcc71c0
	;; [unrolled: 3-line block ×5, first 2 shown]
	s_mov_b32 s2, 0xfefa39ef
	v_mul_f64 v[30:31], v[16:17], v[26:27]
	v_fmac_f64_e32 v[34:35], v[26:27], v[32:33]
	s_mov_b32 s3, 0x3fe62e42
	v_ldexp_f64 v[24:25], v[16:17], 1
	v_mul_f64 v[26:27], v[30:31], v[34:35]
	v_mul_f64 v[20:21], v[18:19], s[2:3]
	v_add_f64 v[30:31], v[24:25], v[26:27]
	v_add_f64 v[16:17], v[16:17], -v[28:29]
	v_fma_f64 v[22:23], v[18:19], s[2:3], -v[20:21]
	s_mov_b32 s2, 0x3b39803f
	v_add_f64 v[12:13], v[12:13], -v[16:17]
	v_add_f64 v[16:17], v[30:31], -v[24:25]
	s_mov_b32 s3, 0x3c7abc9e
	v_ldexp_f64 v[12:13], v[12:13], 1
	v_add_f64 v[16:17], v[26:27], -v[16:17]
	v_fmac_f64_e32 v[22:23], s[2:3], v[18:19]
	v_add_f64 v[12:13], v[12:13], v[16:17]
	v_add_f64 v[18:19], v[20:21], v[22:23]
	;; [unrolled: 1-line block ×4, first 2 shown]
	v_add_f64 v[20:21], v[18:19], -v[20:21]
	v_add_f64 v[20:21], v[22:23], -v[20:21]
	;; [unrolled: 1-line block ×7, first 2 shown]
	v_add_f64 v[22:23], v[20:21], v[12:13]
	v_add_f64 v[18:19], v[18:19], -v[26:27]
	v_add_f64 v[16:17], v[16:17], v[18:19]
	v_add_f64 v[26:27], v[22:23], -v[20:21]
	;; [unrolled: 2-line block ×4, first 2 shown]
	v_add_f64 v[20:21], v[20:21], -v[22:23]
	v_add_f64 v[12:13], v[12:13], v[20:21]
	v_add_f64 v[20:21], v[18:19], -v[24:25]
	v_add_f64 v[16:17], v[16:17], -v[20:21]
	s_movk_i32 s6, 0x204
	v_add_f64 v[12:13], v[12:13], v[16:17]
	v_add_f64 v[12:13], v[18:19], v[12:13]
	v_cmp_class_f64_e64 s[0:1], v[10:11], s6
	v_cndmask_b32_e64 v12, v12, v10, s[0:1]
	v_cndmask_b32_e64 v13, v13, v11, s[0:1]
	v_mov_b32_e32 v15, 0x7ff80000
	v_cmp_ngt_f64_e64 s[0:1], 0, v[10:11]
	v_cndmask_b32_e64 v13, v15, v13, s[0:1]
	v_cmp_nge_f64_e64 s[0:1], 0, v[10:11]
	v_cndmask_b32_e64 v12, 0, v12, s[0:1]
	v_mov_b32_e32 v15, 0xfff00000
	v_cmp_neq_f64_e64 s[0:1], 0, v[10:11]
	v_cndmask_b32_e64 v13, v15, v13, s[0:1]
	v_add_f64 v[4:5], v[4:5], -v[12:13]
	global_store_dwordx2 v[2:3], v[4:5], off
.LBB7_7:
	s_or_b64 exec, exec, s[4:5]
	v_cmp_ne_u32_e64 s[0:1], 1, v14
	s_and_b64 exec, exec, s[0:1]
	s_cbranch_execz .LBB7_10
; %bb.8:
	s_and_b64 exec, exec, vcc
	s_cbranch_execz .LBB7_10
; %bb.9:
	s_waitcnt lgkmcnt(0)
	v_add_f64 v[4:5], v[6:7], v[8:9]
	s_mov_b32 s0, 0x55555555
	v_frexp_mant_f64_e32 v[6:7], v[4:5]
	s_mov_b32 s1, 0x3fe55555
	v_frexp_exp_i32_f64_e32 v9, v[4:5]
	v_cmp_gt_f64_e32 vcc, s[0:1], v[6:7]
	v_subbrev_co_u32_e64 v9, s[0:1], 0, v9, vcc
	v_cvt_f64_i32_e32 v[10:11], v9
	v_mov_b32_e32 v9, 0x3ff00000
	v_mov_b32_e32 v8, 0
	v_cndmask_b32_e64 v9, v9, 2.0, vcc
	v_mul_f64 v[6:7], v[6:7], v[8:9]
	v_add_f64 v[8:9], v[6:7], 1.0
	v_rcp_f64_e32 v[16:17], v[8:9]
	v_add_f64 v[18:19], v[6:7], -1.0
	v_add_f64 v[24:25], v[8:9], -1.0
	v_add_f64 v[6:7], v[6:7], -v[24:25]
	v_fma_f64 v[20:21], -v[8:9], v[16:17], 1.0
	v_fmac_f64_e32 v[16:17], v[20:21], v[16:17]
	v_fma_f64 v[20:21], -v[8:9], v[16:17], 1.0
	v_fmac_f64_e32 v[16:17], v[20:21], v[16:17]
	v_mul_f64 v[20:21], v[18:19], v[16:17]
	v_mul_f64 v[22:23], v[8:9], v[20:21]
	v_fma_f64 v[8:9], v[20:21], v[8:9], -v[22:23]
	v_fmac_f64_e32 v[8:9], v[20:21], v[6:7]
	v_add_f64 v[6:7], v[22:23], v[8:9]
	v_add_f64 v[24:25], v[18:19], -v[6:7]
	s_mov_b32 s0, 0xfefa39ef
	v_add_f64 v[22:23], v[6:7], -v[22:23]
	v_add_f64 v[18:19], v[18:19], -v[24:25]
	s_mov_b32 s1, 0x3fe62e42
	v_add_f64 v[8:9], v[22:23], -v[8:9]
	v_add_f64 v[6:7], v[18:19], -v[6:7]
	v_mul_f64 v[12:13], v[10:11], s[0:1]
	v_add_f64 v[6:7], v[8:9], v[6:7]
	v_fma_f64 v[14:15], v[10:11], s[0:1], -v[12:13]
	s_mov_b32 s0, 0x3b39803f
	v_add_f64 v[6:7], v[24:25], v[6:7]
	s_mov_b32 s1, 0x3c7abc9e
	v_mul_f64 v[6:7], v[16:17], v[6:7]
	v_fmac_f64_e32 v[14:15], s[0:1], v[10:11]
	v_add_f64 v[8:9], v[20:21], v[6:7]
	s_mov_b32 s0, 0xbf559e2b
	v_mul_f64 v[18:19], v[8:9], v[8:9]
	v_mov_b32_e32 v24, 0x6b47b09a
	v_mov_b32_e32 v25, 0x3fc38538
	s_mov_b32 s1, 0x3fc3ab76
	v_fmac_f64_e32 v[24:25], s[0:1], v[18:19]
	v_mov_b32_e32 v26, 0xd7f4df2e
	v_mov_b32_e32 v27, 0x3fc7474d
	v_fmac_f64_e32 v[26:27], v[18:19], v[24:25]
	v_mov_b32_e32 v24, 0x16291751
	v_mov_b32_e32 v25, 0x3fcc71c0
	;; [unrolled: 3-line block ×5, first 2 shown]
	v_mul_f64 v[22:23], v[8:9], v[18:19]
	v_fmac_f64_e32 v[26:27], v[18:19], v[24:25]
	v_ldexp_f64 v[16:17], v[8:9], 1
	v_mul_f64 v[18:19], v[22:23], v[26:27]
	v_add_f64 v[22:23], v[16:17], v[18:19]
	v_add_f64 v[8:9], v[8:9], -v[20:21]
	v_add_f64 v[6:7], v[6:7], -v[8:9]
	;; [unrolled: 1-line block ×3, first 2 shown]
	v_ldexp_f64 v[6:7], v[6:7], 1
	v_add_f64 v[8:9], v[18:19], -v[8:9]
	v_add_f64 v[6:7], v[6:7], v[8:9]
	v_add_f64 v[10:11], v[12:13], v[14:15]
	;; [unrolled: 1-line block ×4, first 2 shown]
	v_add_f64 v[12:13], v[10:11], -v[12:13]
	v_add_f64 v[12:13], v[14:15], -v[12:13]
	v_add_f64 v[14:15], v[8:9], -v[22:23]
	v_add_f64 v[18:19], v[16:17], -v[10:11]
	v_add_f64 v[6:7], v[6:7], -v[14:15]
	v_add_f64 v[8:9], v[8:9], -v[18:19]
	v_add_f64 v[18:19], v[16:17], -v[18:19]
	v_add_f64 v[14:15], v[12:13], v[6:7]
	v_add_f64 v[10:11], v[10:11], -v[18:19]
	v_add_f64 v[8:9], v[8:9], v[10:11]
	v_add_f64 v[18:19], v[14:15], -v[12:13]
	;; [unrolled: 2-line block ×4, first 2 shown]
	v_add_f64 v[12:13], v[12:13], -v[14:15]
	v_add_f64 v[6:7], v[6:7], v[12:13]
	v_add_f64 v[12:13], v[10:11], -v[16:17]
	v_add_f64 v[8:9], v[8:9], -v[12:13]
	s_movk_i32 s2, 0x204
	v_add_f64 v[6:7], v[6:7], v[8:9]
	v_add_f64 v[6:7], v[10:11], v[6:7]
	v_cmp_class_f64_e64 vcc, v[4:5], s2
	v_cndmask_b32_e32 v6, v6, v4, vcc
	v_cndmask_b32_e32 v7, v7, v5, vcc
	v_mov_b32_e32 v8, 0x7ff80000
	v_cmp_ngt_f64_e32 vcc, 0, v[4:5]
	s_mov_b32 s15, 0
	v_cndmask_b32_e32 v7, v8, v7, vcc
	v_cmp_nge_f64_e32 vcc, 0, v[4:5]
	v_cndmask_b32_e32 v6, 0, v6, vcc
	v_mov_b32_e32 v8, 0xfff00000
	v_cmp_neq_f64_e32 vcc, 0, v[4:5]
	s_lshl_b64 s[0:1], s[14:15], 3
	v_cndmask_b32_e32 v7, v8, v7, vcc
	v_mov_b32_e32 v4, s1
	v_add_co_u32_e32 v2, vcc, s0, v2
	v_add_f64 v[0:1], v[0:1], -v[6:7]
	v_addc_co_u32_e32 v3, vcc, v3, v4, vcc
	global_store_dwordx2 v[2:3], v[0:1], off
.LBB7_10:
	s_endpgm
	.section	.rodata,"a",@progbits
	.p2align	6, 0x0
	.amdhsa_kernel _ZN12_GLOBAL__N_120softmax_warp_forwardIdddLi3ELb1ELb0ELi32EEEvPT0_PKT_iiiPKbib
		.amdhsa_group_segment_fixed_size 0
		.amdhsa_private_segment_fixed_size 0
		.amdhsa_kernarg_size 304
		.amdhsa_user_sgpr_count 6
		.amdhsa_user_sgpr_private_segment_buffer 1
		.amdhsa_user_sgpr_dispatch_ptr 0
		.amdhsa_user_sgpr_queue_ptr 0
		.amdhsa_user_sgpr_kernarg_segment_ptr 1
		.amdhsa_user_sgpr_dispatch_id 0
		.amdhsa_user_sgpr_flat_scratch_init 0
		.amdhsa_user_sgpr_kernarg_preload_length 0
		.amdhsa_user_sgpr_kernarg_preload_offset 0
		.amdhsa_user_sgpr_private_segment_size 0
		.amdhsa_uses_dynamic_stack 0
		.amdhsa_system_sgpr_private_segment_wavefront_offset 0
		.amdhsa_system_sgpr_workgroup_id_x 1
		.amdhsa_system_sgpr_workgroup_id_y 0
		.amdhsa_system_sgpr_workgroup_id_z 0
		.amdhsa_system_sgpr_workgroup_info 0
		.amdhsa_system_vgpr_workitem_id 1
		.amdhsa_next_free_vgpr 36
		.amdhsa_next_free_sgpr 40
		.amdhsa_accum_offset 36
		.amdhsa_reserve_vcc 1
		.amdhsa_reserve_flat_scratch 0
		.amdhsa_float_round_mode_32 0
		.amdhsa_float_round_mode_16_64 0
		.amdhsa_float_denorm_mode_32 3
		.amdhsa_float_denorm_mode_16_64 3
		.amdhsa_dx10_clamp 1
		.amdhsa_ieee_mode 1
		.amdhsa_fp16_overflow 0
		.amdhsa_tg_split 0
		.amdhsa_exception_fp_ieee_invalid_op 0
		.amdhsa_exception_fp_denorm_src 0
		.amdhsa_exception_fp_ieee_div_zero 0
		.amdhsa_exception_fp_ieee_overflow 0
		.amdhsa_exception_fp_ieee_underflow 0
		.amdhsa_exception_fp_ieee_inexact 0
		.amdhsa_exception_int_div_zero 0
	.end_amdhsa_kernel
	.section	.text._ZN12_GLOBAL__N_120softmax_warp_forwardIdddLi3ELb1ELb0ELi32EEEvPT0_PKT_iiiPKbib,"axG",@progbits,_ZN12_GLOBAL__N_120softmax_warp_forwardIdddLi3ELb1ELb0ELi32EEEvPT0_PKT_iiiPKbib,comdat
.Lfunc_end7:
	.size	_ZN12_GLOBAL__N_120softmax_warp_forwardIdddLi3ELb1ELb0ELi32EEEvPT0_PKT_iiiPKbib, .Lfunc_end7-_ZN12_GLOBAL__N_120softmax_warp_forwardIdddLi3ELb1ELb0ELi32EEEvPT0_PKT_iiiPKbib
                                        ; -- End function
	.section	.AMDGPU.csdata,"",@progbits
; Kernel info:
; codeLenInByte = 3032
; NumSgprs: 44
; NumVgprs: 36
; NumAgprs: 0
; TotalNumVgprs: 36
; ScratchSize: 0
; MemoryBound: 0
; FloatMode: 240
; IeeeMode: 1
; LDSByteSize: 0 bytes/workgroup (compile time only)
; SGPRBlocks: 5
; VGPRBlocks: 4
; NumSGPRsForWavesPerEU: 44
; NumVGPRsForWavesPerEU: 36
; AccumOffset: 36
; Occupancy: 8
; WaveLimiterHint : 0
; COMPUTE_PGM_RSRC2:SCRATCH_EN: 0
; COMPUTE_PGM_RSRC2:USER_SGPR: 6
; COMPUTE_PGM_RSRC2:TRAP_HANDLER: 0
; COMPUTE_PGM_RSRC2:TGID_X_EN: 1
; COMPUTE_PGM_RSRC2:TGID_Y_EN: 0
; COMPUTE_PGM_RSRC2:TGID_Z_EN: 0
; COMPUTE_PGM_RSRC2:TIDIG_COMP_CNT: 1
; COMPUTE_PGM_RSRC3_GFX90A:ACCUM_OFFSET: 8
; COMPUTE_PGM_RSRC3_GFX90A:TG_SPLIT: 0
	.section	.text._ZN12_GLOBAL__N_120softmax_warp_forwardIdddLi4ELb1ELb0ELi64EEEvPT0_PKT_iiiPKbib,"axG",@progbits,_ZN12_GLOBAL__N_120softmax_warp_forwardIdddLi4ELb1ELb0ELi64EEEvPT0_PKT_iiiPKbib,comdat
	.globl	_ZN12_GLOBAL__N_120softmax_warp_forwardIdddLi4ELb1ELb0ELi64EEEvPT0_PKT_iiiPKbib ; -- Begin function _ZN12_GLOBAL__N_120softmax_warp_forwardIdddLi4ELb1ELb0ELi64EEEvPT0_PKT_iiiPKbib
	.p2align	8
	.type	_ZN12_GLOBAL__N_120softmax_warp_forwardIdddLi4ELb1ELb0ELi64EEEvPT0_PKT_iiiPKbib,@function
_ZN12_GLOBAL__N_120softmax_warp_forwardIdddLi4ELb1ELb0ELi64EEEvPT0_PKT_iiiPKbib: ; @_ZN12_GLOBAL__N_120softmax_warp_forwardIdddLi4ELb1ELb0ELi64EEEvPT0_PKT_iiiPKbib
; %bb.0:
	s_load_dword s0, s[4:5], 0x3c
	s_load_dwordx8 s[8:15], s[4:5], 0x0
	v_bfe_u32 v1, v0, 10, 10
	v_and_b32_e32 v0, 0x3ff, v0
	s_waitcnt lgkmcnt(0)
	s_lshr_b32 s0, s0, 16
	s_mul_i32 s6, s6, s0
	v_add_lshl_u32 v1, s6, v1, 1
	v_mad_u64_u32 v[2:3], s[0:1], v1, s13, v[0:1]
	v_ashrrev_i32_e32 v3, 31, v2
	v_lshlrev_b64 v[2:3], 3, v[2:3]
	v_sub_u32_e32 v14, s12, v1
	v_mov_b32_e32 v1, s11
	v_add_co_u32_e32 v6, vcc, s10, v2
	v_addc_co_u32_e32 v7, vcc, v1, v3, vcc
	v_cmp_gt_i32_e32 vcc, s14, v0
	v_mov_b32_e32 v0, 0
	v_cmp_lt_i32_e64 s[0:1], 0, v14
	v_mov_b32_e32 v1, 0xfff00000
	s_and_b64 s[4:5], vcc, s[0:1]
	v_pk_mov_b32 v[4:5], v[0:1], v[0:1] op_sel:[0,1]
	s_and_saveexec_b64 s[2:3], s[4:5]
	s_cbranch_execz .LBB8_2
; %bb.1:
	global_load_dwordx2 v[4:5], v[6:7], off
.LBB8_2:
	s_or_b64 exec, exec, s[2:3]
	v_cmp_lt_i32_e64 s[2:3], 1, v14
	s_and_b64 s[2:3], vcc, s[2:3]
	s_and_saveexec_b64 s[4:5], s[2:3]
	s_cbranch_execz .LBB8_4
; %bb.3:
	s_mov_b32 s15, 0
	s_lshl_b64 s[2:3], s[14:15], 3
	v_mov_b32_e32 v1, s3
	v_add_co_u32_e64 v0, s[2:3], s2, v6
	v_addc_co_u32_e64 v1, s[2:3], v7, v1, s[2:3]
	global_load_dwordx2 v[0:1], v[0:1], off
.LBB8_4:
	s_or_b64 exec, exec, s[4:5]
	v_mbcnt_lo_u32_b32 v6, -1, 0
	v_mbcnt_hi_u32_b32 v15, -1, v6
	v_and_b32_e32 v6, 0x70, v15
	v_add_u32_e32 v16, 16, v6
	v_xor_b32_e32 v6, 8, v15
	v_cmp_lt_i32_e64 s[2:3], v6, v16
	v_cndmask_b32_e64 v6, v15, v6, s[2:3]
	v_lshlrev_b32_e32 v18, 2, v6
	s_waitcnt vmcnt(0)
	ds_bpermute_b32 v6, v18, v4
	ds_bpermute_b32 v7, v18, v5
	v_xor_b32_e32 v10, 4, v15
	v_cmp_lt_i32_e64 s[4:5], v10, v16
	v_cndmask_b32_e64 v10, v15, v10, s[4:5]
	ds_bpermute_b32 v8, v18, v0
	s_waitcnt lgkmcnt(1)
	v_cmp_lt_f64_e64 s[2:3], v[4:5], v[6:7]
	ds_bpermute_b32 v9, v18, v1
	v_cndmask_b32_e64 v7, v5, v7, s[2:3]
	v_cndmask_b32_e64 v6, v4, v6, s[2:3]
	v_lshlrev_b32_e32 v19, 2, v10
	ds_bpermute_b32 v10, v19, v6
	ds_bpermute_b32 v11, v19, v7
	s_waitcnt lgkmcnt(2)
	v_cmp_lt_f64_e64 s[2:3], v[0:1], v[8:9]
	v_cndmask_b32_e64 v9, v1, v9, s[2:3]
	v_cndmask_b32_e64 v8, v0, v8, s[2:3]
	ds_bpermute_b32 v12, v19, v8
	s_waitcnt lgkmcnt(1)
	v_cmp_lt_f64_e64 s[2:3], v[6:7], v[10:11]
	v_cndmask_b32_e64 v6, v6, v10, s[2:3]
	v_xor_b32_e32 v10, 2, v15
	v_cmp_lt_i32_e64 s[4:5], v10, v16
	v_cndmask_b32_e64 v10, v15, v10, s[4:5]
	ds_bpermute_b32 v13, v19, v9
	v_cndmask_b32_e64 v7, v7, v11, s[2:3]
	v_lshlrev_b32_e32 v20, 2, v10
	ds_bpermute_b32 v10, v20, v6
	ds_bpermute_b32 v11, v20, v7
	s_waitcnt lgkmcnt(2)
	v_cmp_lt_f64_e64 s[2:3], v[8:9], v[12:13]
	v_cndmask_b32_e64 v9, v9, v13, s[2:3]
	v_cndmask_b32_e64 v8, v8, v12, s[2:3]
	ds_bpermute_b32 v12, v20, v8
	s_waitcnt lgkmcnt(1)
	v_cmp_lt_f64_e64 s[2:3], v[6:7], v[10:11]
	ds_bpermute_b32 v13, v20, v9
	v_cndmask_b32_e64 v6, v6, v10, s[2:3]
	v_xor_b32_e32 v10, 1, v15
	v_cmp_lt_i32_e64 s[4:5], v10, v16
	v_cndmask_b32_e64 v10, v15, v10, s[4:5]
	v_cndmask_b32_e64 v7, v7, v11, s[2:3]
	v_lshlrev_b32_e32 v15, 2, v10
	ds_bpermute_b32 v10, v15, v6
	ds_bpermute_b32 v11, v15, v7
	s_waitcnt lgkmcnt(2)
	v_cmp_lt_f64_e64 s[2:3], v[8:9], v[12:13]
	v_cndmask_b32_e64 v9, v9, v13, s[2:3]
	v_cndmask_b32_e64 v8, v8, v12, s[2:3]
	ds_bpermute_b32 v12, v15, v8
	ds_bpermute_b32 v13, v15, v9
	s_waitcnt lgkmcnt(2)
	v_cmp_lt_f64_e64 s[2:3], v[6:7], v[10:11]
	v_cndmask_b32_e64 v7, v7, v11, s[2:3]
	v_cndmask_b32_e64 v6, v6, v10, s[2:3]
	s_mov_b32 s6, 0x652b82fe
	v_add_f64 v[4:5], v[4:5], -v[6:7]
	s_mov_b32 s7, 0x3ff71547
	s_waitcnt lgkmcnt(0)
	v_cmp_lt_f64_e64 s[2:3], v[8:9], v[12:13]
	v_mul_f64 v[6:7], v[4:5], s[6:7]
	s_mov_b32 s10, 0xfefa39ef
	v_cndmask_b32_e64 v9, v9, v13, s[2:3]
	v_cndmask_b32_e64 v8, v8, v12, s[2:3]
	v_rndne_f64_e32 v[6:7], v[6:7]
	s_mov_b32 s11, 0xbfe62e42
	s_mov_b32 s12, 0x3b39803f
	;; [unrolled: 1-line block ×3, first 2 shown]
	v_fma_f64 v[10:11], s[10:11], v[6:7], v[4:5]
	s_mov_b32 s13, 0xbc7abc9e
	s_mov_b32 s3, 0x3e928af3
	;; [unrolled: 1-line block ×3, first 2 shown]
	v_fmac_f64_e32 v[10:11], s[12:13], v[6:7]
	s_mov_b32 s17, 0x3e5ade15
	v_pk_mov_b32 v[12:13], s[2:3], s[2:3] op_sel:[0,1]
	s_mov_b32 s18, 0x623fde64
	v_fma_f64 v[16:17], s[16:17], v[10:11], v[12:13]
	s_mov_b32 s19, 0x3ec71dee
	s_mov_b32 s20, 0x7c89e6b0
	v_fma_f64 v[16:17], v[10:11], v[16:17], s[18:19]
	s_mov_b32 s21, 0x3efa0199
	;; [unrolled: 3-line block ×8, first 2 shown]
	v_fma_f64 v[16:17], v[10:11], v[16:17], s[34:35]
	v_add_f64 v[0:1], v[0:1], -v[8:9]
	v_fma_f64 v[16:17], v[10:11], v[16:17], 1.0
	v_mul_f64 v[8:9], v[0:1], s[6:7]
	v_fma_f64 v[10:11], v[10:11], v[16:17], 1.0
	v_cvt_i32_f64_e32 v6, v[6:7]
	v_rndne_f64_e32 v[8:9], v[8:9]
	v_ldexp_f64 v[6:7], v[10:11], v6
	v_fma_f64 v[10:11], s[10:11], v[8:9], v[0:1]
	v_fmac_f64_e32 v[10:11], s[12:13], v[8:9]
	v_fmac_f64_e32 v[12:13], s[16:17], v[10:11]
	v_fma_f64 v[12:13], v[10:11], v[12:13], s[18:19]
	v_fma_f64 v[12:13], v[10:11], v[12:13], s[20:21]
	;; [unrolled: 1-line block ×7, first 2 shown]
	s_mov_b32 s36, 0
	s_mov_b32 s38, 0
	v_fma_f64 v[12:13], v[10:11], v[12:13], s[34:35]
	s_mov_b32 s37, 0x40900000
	s_mov_b32 s39, 0xc090cc00
	v_fma_f64 v[12:13], v[10:11], v[12:13], 1.0
	v_add_f64 v[6:7], v[6:7], 0
	v_mov_b32_e32 v16, 0x7ff00000
	v_cmp_nlt_f64_e64 s[2:3], s[36:37], v[4:5]
	v_cmp_ngt_f64_e64 s[4:5], s[38:39], v[4:5]
	v_fma_f64 v[10:11], v[10:11], v[12:13], 1.0
	v_cvt_i32_f64_e32 v8, v[8:9]
	v_cndmask_b32_e64 v7, v16, v7, s[2:3]
	s_and_b64 s[2:3], s[4:5], s[2:3]
	v_ldexp_f64 v[8:9], v[10:11], v8
	v_cndmask_b32_e64 v7, 0, v7, s[4:5]
	v_cndmask_b32_e64 v6, 0, v6, s[2:3]
	v_add_f64 v[8:9], v[8:9], 0
	v_cmp_nlt_f64_e64 s[2:3], s[36:37], v[0:1]
	v_cmp_ngt_f64_e64 s[4:5], s[38:39], v[0:1]
	v_cndmask_b32_e64 v9, v16, v9, s[2:3]
	s_and_b64 s[2:3], s[4:5], s[2:3]
	v_cndmask_b32_e64 v9, 0, v9, s[4:5]
	v_cndmask_b32_e64 v8, 0, v8, s[2:3]
	ds_bpermute_b32 v10, v18, v6
	ds_bpermute_b32 v11, v18, v7
	;; [unrolled: 1-line block ×4, first 2 shown]
	s_waitcnt lgkmcnt(2)
	v_add_f64 v[6:7], v[6:7], v[10:11]
	ds_bpermute_b32 v10, v19, v6
	s_waitcnt lgkmcnt(1)
	v_add_f64 v[8:9], v[8:9], v[12:13]
	ds_bpermute_b32 v11, v19, v7
	ds_bpermute_b32 v12, v19, v8
	;; [unrolled: 1-line block ×3, first 2 shown]
	s_waitcnt lgkmcnt(2)
	v_add_f64 v[6:7], v[6:7], v[10:11]
	ds_bpermute_b32 v10, v20, v6
	s_waitcnt lgkmcnt(1)
	v_add_f64 v[8:9], v[8:9], v[12:13]
	ds_bpermute_b32 v11, v20, v7
	ds_bpermute_b32 v12, v20, v8
	;; [unrolled: 1-line block ×3, first 2 shown]
	s_waitcnt lgkmcnt(2)
	v_add_f64 v[10:11], v[6:7], v[10:11]
	s_waitcnt lgkmcnt(0)
	v_add_f64 v[6:7], v[8:9], v[12:13]
	ds_bpermute_b32 v12, v15, v10
	ds_bpermute_b32 v13, v15, v11
	ds_bpermute_b32 v8, v15, v6
	ds_bpermute_b32 v9, v15, v7
	s_and_saveexec_b64 s[2:3], s[0:1]
	s_cbranch_execz .LBB8_10
; %bb.5:
	v_mov_b32_e32 v15, s9
	v_add_co_u32_e64 v2, s[0:1], s8, v2
	v_addc_co_u32_e64 v3, s[0:1], v15, v3, s[0:1]
	s_and_saveexec_b64 s[4:5], vcc
	s_cbranch_execz .LBB8_7
; %bb.6:
	s_waitcnt lgkmcnt(2)
	v_add_f64 v[10:11], v[10:11], v[12:13]
	s_mov_b32 s0, 0x55555555
	v_frexp_mant_f64_e32 v[12:13], v[10:11]
	s_mov_b32 s1, 0x3fe55555
	v_frexp_exp_i32_f64_e32 v15, v[10:11]
	v_cmp_gt_f64_e64 s[0:1], s[0:1], v[12:13]
	v_subbrev_co_u32_e64 v15, s[2:3], 0, v15, s[0:1]
	v_cvt_f64_i32_e32 v[18:19], v15
	v_mov_b32_e32 v15, 0x3ff00000
	v_mov_b32_e32 v16, 0
	v_cndmask_b32_e64 v17, v15, 2.0, s[0:1]
	v_mul_f64 v[12:13], v[12:13], v[16:17]
	v_add_f64 v[16:17], v[12:13], 1.0
	v_rcp_f64_e32 v[24:25], v[16:17]
	v_add_f64 v[26:27], v[12:13], -1.0
	v_add_f64 v[32:33], v[16:17], -1.0
	v_add_f64 v[12:13], v[12:13], -v[32:33]
	v_fma_f64 v[28:29], -v[16:17], v[24:25], 1.0
	v_fmac_f64_e32 v[24:25], v[28:29], v[24:25]
	v_fma_f64 v[28:29], -v[16:17], v[24:25], 1.0
	v_fmac_f64_e32 v[24:25], v[28:29], v[24:25]
	v_mul_f64 v[28:29], v[26:27], v[24:25]
	v_mul_f64 v[30:31], v[16:17], v[28:29]
	v_fma_f64 v[16:17], v[28:29], v[16:17], -v[30:31]
	v_fmac_f64_e32 v[16:17], v[28:29], v[12:13]
	v_add_f64 v[12:13], v[30:31], v[16:17]
	v_add_f64 v[32:33], v[26:27], -v[12:13]
	v_add_f64 v[30:31], v[12:13], -v[30:31]
	;; [unrolled: 1-line block ×5, first 2 shown]
	v_add_f64 v[12:13], v[16:17], v[12:13]
	v_add_f64 v[12:13], v[32:33], v[12:13]
	v_mul_f64 v[12:13], v[24:25], v[12:13]
	v_add_f64 v[16:17], v[28:29], v[12:13]
	s_mov_b32 s0, 0xbf559e2b
	v_mul_f64 v[26:27], v[16:17], v[16:17]
	v_mov_b32_e32 v32, 0x6b47b09a
	v_mov_b32_e32 v33, 0x3fc38538
	s_mov_b32 s1, 0x3fc3ab76
	v_fmac_f64_e32 v[32:33], s[0:1], v[26:27]
	v_mov_b32_e32 v34, 0xd7f4df2e
	v_mov_b32_e32 v35, 0x3fc7474d
	v_fmac_f64_e32 v[34:35], v[26:27], v[32:33]
	v_mov_b32_e32 v32, 0x16291751
	v_mov_b32_e32 v33, 0x3fcc71c0
	;; [unrolled: 3-line block ×5, first 2 shown]
	s_mov_b32 s2, 0xfefa39ef
	v_mul_f64 v[30:31], v[16:17], v[26:27]
	v_fmac_f64_e32 v[34:35], v[26:27], v[32:33]
	s_mov_b32 s3, 0x3fe62e42
	v_ldexp_f64 v[24:25], v[16:17], 1
	v_mul_f64 v[26:27], v[30:31], v[34:35]
	v_mul_f64 v[20:21], v[18:19], s[2:3]
	v_add_f64 v[30:31], v[24:25], v[26:27]
	v_add_f64 v[16:17], v[16:17], -v[28:29]
	v_fma_f64 v[22:23], v[18:19], s[2:3], -v[20:21]
	s_mov_b32 s2, 0x3b39803f
	v_add_f64 v[12:13], v[12:13], -v[16:17]
	v_add_f64 v[16:17], v[30:31], -v[24:25]
	s_mov_b32 s3, 0x3c7abc9e
	v_ldexp_f64 v[12:13], v[12:13], 1
	v_add_f64 v[16:17], v[26:27], -v[16:17]
	v_fmac_f64_e32 v[22:23], s[2:3], v[18:19]
	v_add_f64 v[12:13], v[12:13], v[16:17]
	v_add_f64 v[18:19], v[20:21], v[22:23]
	;; [unrolled: 1-line block ×4, first 2 shown]
	v_add_f64 v[20:21], v[18:19], -v[20:21]
	v_add_f64 v[20:21], v[22:23], -v[20:21]
	;; [unrolled: 1-line block ×7, first 2 shown]
	v_add_f64 v[22:23], v[20:21], v[12:13]
	v_add_f64 v[18:19], v[18:19], -v[26:27]
	v_add_f64 v[16:17], v[16:17], v[18:19]
	v_add_f64 v[26:27], v[22:23], -v[20:21]
	;; [unrolled: 2-line block ×4, first 2 shown]
	v_add_f64 v[20:21], v[20:21], -v[22:23]
	v_add_f64 v[12:13], v[12:13], v[20:21]
	v_add_f64 v[20:21], v[18:19], -v[24:25]
	v_add_f64 v[16:17], v[16:17], -v[20:21]
	s_movk_i32 s6, 0x204
	v_add_f64 v[12:13], v[12:13], v[16:17]
	v_add_f64 v[12:13], v[18:19], v[12:13]
	v_cmp_class_f64_e64 s[0:1], v[10:11], s6
	v_cndmask_b32_e64 v12, v12, v10, s[0:1]
	v_cndmask_b32_e64 v13, v13, v11, s[0:1]
	v_mov_b32_e32 v15, 0x7ff80000
	v_cmp_ngt_f64_e64 s[0:1], 0, v[10:11]
	v_cndmask_b32_e64 v13, v15, v13, s[0:1]
	v_cmp_nge_f64_e64 s[0:1], 0, v[10:11]
	v_cndmask_b32_e64 v12, 0, v12, s[0:1]
	v_mov_b32_e32 v15, 0xfff00000
	v_cmp_neq_f64_e64 s[0:1], 0, v[10:11]
	v_cndmask_b32_e64 v13, v15, v13, s[0:1]
	v_add_f64 v[4:5], v[4:5], -v[12:13]
	global_store_dwordx2 v[2:3], v[4:5], off
.LBB8_7:
	s_or_b64 exec, exec, s[4:5]
	v_cmp_ne_u32_e64 s[0:1], 1, v14
	s_and_b64 exec, exec, s[0:1]
	s_cbranch_execz .LBB8_10
; %bb.8:
	s_and_b64 exec, exec, vcc
	s_cbranch_execz .LBB8_10
; %bb.9:
	s_waitcnt lgkmcnt(0)
	v_add_f64 v[4:5], v[6:7], v[8:9]
	s_mov_b32 s0, 0x55555555
	v_frexp_mant_f64_e32 v[6:7], v[4:5]
	s_mov_b32 s1, 0x3fe55555
	v_frexp_exp_i32_f64_e32 v9, v[4:5]
	v_cmp_gt_f64_e32 vcc, s[0:1], v[6:7]
	v_subbrev_co_u32_e64 v9, s[0:1], 0, v9, vcc
	v_cvt_f64_i32_e32 v[10:11], v9
	v_mov_b32_e32 v9, 0x3ff00000
	v_mov_b32_e32 v8, 0
	v_cndmask_b32_e64 v9, v9, 2.0, vcc
	v_mul_f64 v[6:7], v[6:7], v[8:9]
	v_add_f64 v[8:9], v[6:7], 1.0
	v_rcp_f64_e32 v[16:17], v[8:9]
	v_add_f64 v[18:19], v[6:7], -1.0
	v_add_f64 v[24:25], v[8:9], -1.0
	v_add_f64 v[6:7], v[6:7], -v[24:25]
	v_fma_f64 v[20:21], -v[8:9], v[16:17], 1.0
	v_fmac_f64_e32 v[16:17], v[20:21], v[16:17]
	v_fma_f64 v[20:21], -v[8:9], v[16:17], 1.0
	v_fmac_f64_e32 v[16:17], v[20:21], v[16:17]
	v_mul_f64 v[20:21], v[18:19], v[16:17]
	v_mul_f64 v[22:23], v[8:9], v[20:21]
	v_fma_f64 v[8:9], v[20:21], v[8:9], -v[22:23]
	v_fmac_f64_e32 v[8:9], v[20:21], v[6:7]
	v_add_f64 v[6:7], v[22:23], v[8:9]
	v_add_f64 v[24:25], v[18:19], -v[6:7]
	s_mov_b32 s0, 0xfefa39ef
	v_add_f64 v[22:23], v[6:7], -v[22:23]
	v_add_f64 v[18:19], v[18:19], -v[24:25]
	s_mov_b32 s1, 0x3fe62e42
	v_add_f64 v[8:9], v[22:23], -v[8:9]
	v_add_f64 v[6:7], v[18:19], -v[6:7]
	v_mul_f64 v[12:13], v[10:11], s[0:1]
	v_add_f64 v[6:7], v[8:9], v[6:7]
	v_fma_f64 v[14:15], v[10:11], s[0:1], -v[12:13]
	s_mov_b32 s0, 0x3b39803f
	v_add_f64 v[6:7], v[24:25], v[6:7]
	s_mov_b32 s1, 0x3c7abc9e
	v_mul_f64 v[6:7], v[16:17], v[6:7]
	v_fmac_f64_e32 v[14:15], s[0:1], v[10:11]
	v_add_f64 v[8:9], v[20:21], v[6:7]
	s_mov_b32 s0, 0xbf559e2b
	v_mul_f64 v[18:19], v[8:9], v[8:9]
	v_mov_b32_e32 v24, 0x6b47b09a
	v_mov_b32_e32 v25, 0x3fc38538
	s_mov_b32 s1, 0x3fc3ab76
	v_fmac_f64_e32 v[24:25], s[0:1], v[18:19]
	v_mov_b32_e32 v26, 0xd7f4df2e
	v_mov_b32_e32 v27, 0x3fc7474d
	v_fmac_f64_e32 v[26:27], v[18:19], v[24:25]
	v_mov_b32_e32 v24, 0x16291751
	v_mov_b32_e32 v25, 0x3fcc71c0
	;; [unrolled: 3-line block ×5, first 2 shown]
	v_mul_f64 v[22:23], v[8:9], v[18:19]
	v_fmac_f64_e32 v[26:27], v[18:19], v[24:25]
	v_ldexp_f64 v[16:17], v[8:9], 1
	v_mul_f64 v[18:19], v[22:23], v[26:27]
	v_add_f64 v[22:23], v[16:17], v[18:19]
	v_add_f64 v[8:9], v[8:9], -v[20:21]
	v_add_f64 v[6:7], v[6:7], -v[8:9]
	;; [unrolled: 1-line block ×3, first 2 shown]
	v_ldexp_f64 v[6:7], v[6:7], 1
	v_add_f64 v[8:9], v[18:19], -v[8:9]
	v_add_f64 v[6:7], v[6:7], v[8:9]
	v_add_f64 v[10:11], v[12:13], v[14:15]
	;; [unrolled: 1-line block ×4, first 2 shown]
	v_add_f64 v[12:13], v[10:11], -v[12:13]
	v_add_f64 v[12:13], v[14:15], -v[12:13]
	;; [unrolled: 1-line block ×7, first 2 shown]
	v_add_f64 v[14:15], v[12:13], v[6:7]
	v_add_f64 v[10:11], v[10:11], -v[18:19]
	v_add_f64 v[8:9], v[8:9], v[10:11]
	v_add_f64 v[18:19], v[14:15], -v[12:13]
	;; [unrolled: 2-line block ×4, first 2 shown]
	v_add_f64 v[12:13], v[12:13], -v[14:15]
	v_add_f64 v[6:7], v[6:7], v[12:13]
	v_add_f64 v[12:13], v[10:11], -v[16:17]
	v_add_f64 v[8:9], v[8:9], -v[12:13]
	s_movk_i32 s2, 0x204
	v_add_f64 v[6:7], v[6:7], v[8:9]
	v_add_f64 v[6:7], v[10:11], v[6:7]
	v_cmp_class_f64_e64 vcc, v[4:5], s2
	v_cndmask_b32_e32 v6, v6, v4, vcc
	v_cndmask_b32_e32 v7, v7, v5, vcc
	v_mov_b32_e32 v8, 0x7ff80000
	v_cmp_ngt_f64_e32 vcc, 0, v[4:5]
	s_mov_b32 s15, 0
	v_cndmask_b32_e32 v7, v8, v7, vcc
	v_cmp_nge_f64_e32 vcc, 0, v[4:5]
	v_cndmask_b32_e32 v6, 0, v6, vcc
	v_mov_b32_e32 v8, 0xfff00000
	v_cmp_neq_f64_e32 vcc, 0, v[4:5]
	s_lshl_b64 s[0:1], s[14:15], 3
	v_cndmask_b32_e32 v7, v8, v7, vcc
	v_mov_b32_e32 v4, s1
	v_add_co_u32_e32 v2, vcc, s0, v2
	v_add_f64 v[0:1], v[0:1], -v[6:7]
	v_addc_co_u32_e32 v3, vcc, v3, v4, vcc
	global_store_dwordx2 v[2:3], v[0:1], off
.LBB8_10:
	s_endpgm
	.section	.rodata,"a",@progbits
	.p2align	6, 0x0
	.amdhsa_kernel _ZN12_GLOBAL__N_120softmax_warp_forwardIdddLi4ELb1ELb0ELi64EEEvPT0_PKT_iiiPKbib
		.amdhsa_group_segment_fixed_size 0
		.amdhsa_private_segment_fixed_size 0
		.amdhsa_kernarg_size 304
		.amdhsa_user_sgpr_count 6
		.amdhsa_user_sgpr_private_segment_buffer 1
		.amdhsa_user_sgpr_dispatch_ptr 0
		.amdhsa_user_sgpr_queue_ptr 0
		.amdhsa_user_sgpr_kernarg_segment_ptr 1
		.amdhsa_user_sgpr_dispatch_id 0
		.amdhsa_user_sgpr_flat_scratch_init 0
		.amdhsa_user_sgpr_kernarg_preload_length 0
		.amdhsa_user_sgpr_kernarg_preload_offset 0
		.amdhsa_user_sgpr_private_segment_size 0
		.amdhsa_uses_dynamic_stack 0
		.amdhsa_system_sgpr_private_segment_wavefront_offset 0
		.amdhsa_system_sgpr_workgroup_id_x 1
		.amdhsa_system_sgpr_workgroup_id_y 0
		.amdhsa_system_sgpr_workgroup_id_z 0
		.amdhsa_system_sgpr_workgroup_info 0
		.amdhsa_system_vgpr_workitem_id 1
		.amdhsa_next_free_vgpr 36
		.amdhsa_next_free_sgpr 40
		.amdhsa_accum_offset 36
		.amdhsa_reserve_vcc 1
		.amdhsa_reserve_flat_scratch 0
		.amdhsa_float_round_mode_32 0
		.amdhsa_float_round_mode_16_64 0
		.amdhsa_float_denorm_mode_32 3
		.amdhsa_float_denorm_mode_16_64 3
		.amdhsa_dx10_clamp 1
		.amdhsa_ieee_mode 1
		.amdhsa_fp16_overflow 0
		.amdhsa_tg_split 0
		.amdhsa_exception_fp_ieee_invalid_op 0
		.amdhsa_exception_fp_denorm_src 0
		.amdhsa_exception_fp_ieee_div_zero 0
		.amdhsa_exception_fp_ieee_overflow 0
		.amdhsa_exception_fp_ieee_underflow 0
		.amdhsa_exception_fp_ieee_inexact 0
		.amdhsa_exception_int_div_zero 0
	.end_amdhsa_kernel
	.section	.text._ZN12_GLOBAL__N_120softmax_warp_forwardIdddLi4ELb1ELb0ELi64EEEvPT0_PKT_iiiPKbib,"axG",@progbits,_ZN12_GLOBAL__N_120softmax_warp_forwardIdddLi4ELb1ELb0ELi64EEEvPT0_PKT_iiiPKbib,comdat
.Lfunc_end8:
	.size	_ZN12_GLOBAL__N_120softmax_warp_forwardIdddLi4ELb1ELb0ELi64EEEvPT0_PKT_iiiPKbib, .Lfunc_end8-_ZN12_GLOBAL__N_120softmax_warp_forwardIdddLi4ELb1ELb0ELi64EEEvPT0_PKT_iiiPKbib
                                        ; -- End function
	.section	.AMDGPU.csdata,"",@progbits
; Kernel info:
; codeLenInByte = 3200
; NumSgprs: 44
; NumVgprs: 36
; NumAgprs: 0
; TotalNumVgprs: 36
; ScratchSize: 0
; MemoryBound: 0
; FloatMode: 240
; IeeeMode: 1
; LDSByteSize: 0 bytes/workgroup (compile time only)
; SGPRBlocks: 5
; VGPRBlocks: 4
; NumSGPRsForWavesPerEU: 44
; NumVGPRsForWavesPerEU: 36
; AccumOffset: 36
; Occupancy: 8
; WaveLimiterHint : 0
; COMPUTE_PGM_RSRC2:SCRATCH_EN: 0
; COMPUTE_PGM_RSRC2:USER_SGPR: 6
; COMPUTE_PGM_RSRC2:TRAP_HANDLER: 0
; COMPUTE_PGM_RSRC2:TGID_X_EN: 1
; COMPUTE_PGM_RSRC2:TGID_Y_EN: 0
; COMPUTE_PGM_RSRC2:TGID_Z_EN: 0
; COMPUTE_PGM_RSRC2:TIDIG_COMP_CNT: 1
; COMPUTE_PGM_RSRC3_GFX90A:ACCUM_OFFSET: 8
; COMPUTE_PGM_RSRC3_GFX90A:TG_SPLIT: 0
	.section	.text._ZN12_GLOBAL__N_120softmax_warp_forwardIdddLi4ELb1ELb0ELi32EEEvPT0_PKT_iiiPKbib,"axG",@progbits,_ZN12_GLOBAL__N_120softmax_warp_forwardIdddLi4ELb1ELb0ELi32EEEvPT0_PKT_iiiPKbib,comdat
	.globl	_ZN12_GLOBAL__N_120softmax_warp_forwardIdddLi4ELb1ELb0ELi32EEEvPT0_PKT_iiiPKbib ; -- Begin function _ZN12_GLOBAL__N_120softmax_warp_forwardIdddLi4ELb1ELb0ELi32EEEvPT0_PKT_iiiPKbib
	.p2align	8
	.type	_ZN12_GLOBAL__N_120softmax_warp_forwardIdddLi4ELb1ELb0ELi32EEEvPT0_PKT_iiiPKbib,@function
_ZN12_GLOBAL__N_120softmax_warp_forwardIdddLi4ELb1ELb0ELi32EEEvPT0_PKT_iiiPKbib: ; @_ZN12_GLOBAL__N_120softmax_warp_forwardIdddLi4ELb1ELb0ELi32EEEvPT0_PKT_iiiPKbib
; %bb.0:
	s_load_dword s0, s[4:5], 0x3c
	s_load_dwordx8 s[8:15], s[4:5], 0x0
	v_bfe_u32 v1, v0, 10, 10
	v_and_b32_e32 v0, 0x3ff, v0
	s_waitcnt lgkmcnt(0)
	s_lshr_b32 s0, s0, 16
	s_mul_i32 s6, s6, s0
	v_add_lshl_u32 v1, s6, v1, 1
	v_mad_u64_u32 v[2:3], s[0:1], v1, s13, v[0:1]
	v_ashrrev_i32_e32 v3, 31, v2
	v_lshlrev_b64 v[2:3], 3, v[2:3]
	v_sub_u32_e32 v14, s12, v1
	v_mov_b32_e32 v1, s11
	v_add_co_u32_e32 v6, vcc, s10, v2
	v_addc_co_u32_e32 v7, vcc, v1, v3, vcc
	v_cmp_gt_i32_e32 vcc, s14, v0
	v_mov_b32_e32 v0, 0
	v_cmp_lt_i32_e64 s[0:1], 0, v14
	v_mov_b32_e32 v1, 0xfff00000
	s_and_b64 s[4:5], vcc, s[0:1]
	v_pk_mov_b32 v[4:5], v[0:1], v[0:1] op_sel:[0,1]
	s_and_saveexec_b64 s[2:3], s[4:5]
	s_cbranch_execz .LBB9_2
; %bb.1:
	global_load_dwordx2 v[4:5], v[6:7], off
.LBB9_2:
	s_or_b64 exec, exec, s[2:3]
	v_cmp_lt_i32_e64 s[2:3], 1, v14
	s_and_b64 s[2:3], vcc, s[2:3]
	s_and_saveexec_b64 s[4:5], s[2:3]
	s_cbranch_execz .LBB9_4
; %bb.3:
	s_mov_b32 s15, 0
	s_lshl_b64 s[2:3], s[14:15], 3
	v_mov_b32_e32 v1, s3
	v_add_co_u32_e64 v0, s[2:3], s2, v6
	v_addc_co_u32_e64 v1, s[2:3], v7, v1, s[2:3]
	global_load_dwordx2 v[0:1], v[0:1], off
.LBB9_4:
	s_or_b64 exec, exec, s[4:5]
	v_mbcnt_lo_u32_b32 v6, -1, 0
	v_mbcnt_hi_u32_b32 v15, -1, v6
	v_and_b32_e32 v6, 0x70, v15
	v_add_u32_e32 v16, 16, v6
	v_xor_b32_e32 v6, 8, v15
	v_cmp_lt_i32_e64 s[2:3], v6, v16
	v_cndmask_b32_e64 v6, v15, v6, s[2:3]
	v_lshlrev_b32_e32 v18, 2, v6
	s_waitcnt vmcnt(0)
	ds_bpermute_b32 v6, v18, v4
	ds_bpermute_b32 v7, v18, v5
	v_xor_b32_e32 v10, 4, v15
	v_cmp_lt_i32_e64 s[4:5], v10, v16
	v_cndmask_b32_e64 v10, v15, v10, s[4:5]
	ds_bpermute_b32 v8, v18, v0
	s_waitcnt lgkmcnt(1)
	v_cmp_lt_f64_e64 s[2:3], v[4:5], v[6:7]
	ds_bpermute_b32 v9, v18, v1
	v_cndmask_b32_e64 v7, v5, v7, s[2:3]
	v_cndmask_b32_e64 v6, v4, v6, s[2:3]
	v_lshlrev_b32_e32 v19, 2, v10
	ds_bpermute_b32 v10, v19, v6
	ds_bpermute_b32 v11, v19, v7
	s_waitcnt lgkmcnt(2)
	v_cmp_lt_f64_e64 s[2:3], v[0:1], v[8:9]
	v_cndmask_b32_e64 v9, v1, v9, s[2:3]
	v_cndmask_b32_e64 v8, v0, v8, s[2:3]
	ds_bpermute_b32 v12, v19, v8
	s_waitcnt lgkmcnt(1)
	v_cmp_lt_f64_e64 s[2:3], v[6:7], v[10:11]
	v_cndmask_b32_e64 v6, v6, v10, s[2:3]
	v_xor_b32_e32 v10, 2, v15
	v_cmp_lt_i32_e64 s[4:5], v10, v16
	v_cndmask_b32_e64 v10, v15, v10, s[4:5]
	ds_bpermute_b32 v13, v19, v9
	v_cndmask_b32_e64 v7, v7, v11, s[2:3]
	v_lshlrev_b32_e32 v20, 2, v10
	ds_bpermute_b32 v10, v20, v6
	ds_bpermute_b32 v11, v20, v7
	s_waitcnt lgkmcnt(2)
	v_cmp_lt_f64_e64 s[2:3], v[8:9], v[12:13]
	v_cndmask_b32_e64 v9, v9, v13, s[2:3]
	v_cndmask_b32_e64 v8, v8, v12, s[2:3]
	ds_bpermute_b32 v12, v20, v8
	s_waitcnt lgkmcnt(1)
	v_cmp_lt_f64_e64 s[2:3], v[6:7], v[10:11]
	ds_bpermute_b32 v13, v20, v9
	v_cndmask_b32_e64 v6, v6, v10, s[2:3]
	v_xor_b32_e32 v10, 1, v15
	v_cmp_lt_i32_e64 s[4:5], v10, v16
	v_cndmask_b32_e64 v10, v15, v10, s[4:5]
	v_cndmask_b32_e64 v7, v7, v11, s[2:3]
	v_lshlrev_b32_e32 v15, 2, v10
	ds_bpermute_b32 v10, v15, v6
	ds_bpermute_b32 v11, v15, v7
	s_waitcnt lgkmcnt(2)
	v_cmp_lt_f64_e64 s[2:3], v[8:9], v[12:13]
	v_cndmask_b32_e64 v9, v9, v13, s[2:3]
	v_cndmask_b32_e64 v8, v8, v12, s[2:3]
	ds_bpermute_b32 v12, v15, v8
	ds_bpermute_b32 v13, v15, v9
	s_waitcnt lgkmcnt(2)
	v_cmp_lt_f64_e64 s[2:3], v[6:7], v[10:11]
	v_cndmask_b32_e64 v7, v7, v11, s[2:3]
	v_cndmask_b32_e64 v6, v6, v10, s[2:3]
	s_mov_b32 s6, 0x652b82fe
	v_add_f64 v[4:5], v[4:5], -v[6:7]
	s_mov_b32 s7, 0x3ff71547
	s_waitcnt lgkmcnt(0)
	v_cmp_lt_f64_e64 s[2:3], v[8:9], v[12:13]
	v_mul_f64 v[6:7], v[4:5], s[6:7]
	s_mov_b32 s10, 0xfefa39ef
	v_cndmask_b32_e64 v9, v9, v13, s[2:3]
	v_cndmask_b32_e64 v8, v8, v12, s[2:3]
	v_rndne_f64_e32 v[6:7], v[6:7]
	s_mov_b32 s11, 0xbfe62e42
	s_mov_b32 s12, 0x3b39803f
	;; [unrolled: 1-line block ×3, first 2 shown]
	v_fma_f64 v[10:11], s[10:11], v[6:7], v[4:5]
	s_mov_b32 s13, 0xbc7abc9e
	s_mov_b32 s3, 0x3e928af3
	;; [unrolled: 1-line block ×3, first 2 shown]
	v_fmac_f64_e32 v[10:11], s[12:13], v[6:7]
	s_mov_b32 s17, 0x3e5ade15
	v_pk_mov_b32 v[12:13], s[2:3], s[2:3] op_sel:[0,1]
	s_mov_b32 s18, 0x623fde64
	v_fma_f64 v[16:17], s[16:17], v[10:11], v[12:13]
	s_mov_b32 s19, 0x3ec71dee
	s_mov_b32 s20, 0x7c89e6b0
	v_fma_f64 v[16:17], v[10:11], v[16:17], s[18:19]
	s_mov_b32 s21, 0x3efa0199
	;; [unrolled: 3-line block ×8, first 2 shown]
	v_fma_f64 v[16:17], v[10:11], v[16:17], s[34:35]
	v_add_f64 v[0:1], v[0:1], -v[8:9]
	v_fma_f64 v[16:17], v[10:11], v[16:17], 1.0
	v_mul_f64 v[8:9], v[0:1], s[6:7]
	v_fma_f64 v[10:11], v[10:11], v[16:17], 1.0
	v_cvt_i32_f64_e32 v6, v[6:7]
	v_rndne_f64_e32 v[8:9], v[8:9]
	v_ldexp_f64 v[6:7], v[10:11], v6
	v_fma_f64 v[10:11], s[10:11], v[8:9], v[0:1]
	v_fmac_f64_e32 v[10:11], s[12:13], v[8:9]
	v_fmac_f64_e32 v[12:13], s[16:17], v[10:11]
	v_fma_f64 v[12:13], v[10:11], v[12:13], s[18:19]
	v_fma_f64 v[12:13], v[10:11], v[12:13], s[20:21]
	;; [unrolled: 1-line block ×7, first 2 shown]
	s_mov_b32 s36, 0
	s_mov_b32 s38, 0
	v_fma_f64 v[12:13], v[10:11], v[12:13], s[34:35]
	s_mov_b32 s37, 0x40900000
	s_mov_b32 s39, 0xc090cc00
	v_fma_f64 v[12:13], v[10:11], v[12:13], 1.0
	v_add_f64 v[6:7], v[6:7], 0
	v_mov_b32_e32 v16, 0x7ff00000
	v_cmp_nlt_f64_e64 s[2:3], s[36:37], v[4:5]
	v_cmp_ngt_f64_e64 s[4:5], s[38:39], v[4:5]
	v_fma_f64 v[10:11], v[10:11], v[12:13], 1.0
	v_cvt_i32_f64_e32 v8, v[8:9]
	v_cndmask_b32_e64 v7, v16, v7, s[2:3]
	s_and_b64 s[2:3], s[4:5], s[2:3]
	v_ldexp_f64 v[8:9], v[10:11], v8
	v_cndmask_b32_e64 v7, 0, v7, s[4:5]
	v_cndmask_b32_e64 v6, 0, v6, s[2:3]
	v_add_f64 v[8:9], v[8:9], 0
	v_cmp_nlt_f64_e64 s[2:3], s[36:37], v[0:1]
	v_cmp_ngt_f64_e64 s[4:5], s[38:39], v[0:1]
	v_cndmask_b32_e64 v9, v16, v9, s[2:3]
	s_and_b64 s[2:3], s[4:5], s[2:3]
	v_cndmask_b32_e64 v9, 0, v9, s[4:5]
	v_cndmask_b32_e64 v8, 0, v8, s[2:3]
	ds_bpermute_b32 v10, v18, v6
	ds_bpermute_b32 v11, v18, v7
	;; [unrolled: 1-line block ×4, first 2 shown]
	s_waitcnt lgkmcnt(2)
	v_add_f64 v[6:7], v[6:7], v[10:11]
	ds_bpermute_b32 v10, v19, v6
	s_waitcnt lgkmcnt(1)
	v_add_f64 v[8:9], v[8:9], v[12:13]
	ds_bpermute_b32 v11, v19, v7
	ds_bpermute_b32 v12, v19, v8
	;; [unrolled: 1-line block ×3, first 2 shown]
	s_waitcnt lgkmcnt(2)
	v_add_f64 v[6:7], v[6:7], v[10:11]
	ds_bpermute_b32 v10, v20, v6
	s_waitcnt lgkmcnt(1)
	v_add_f64 v[8:9], v[8:9], v[12:13]
	ds_bpermute_b32 v11, v20, v7
	ds_bpermute_b32 v12, v20, v8
	;; [unrolled: 1-line block ×3, first 2 shown]
	s_waitcnt lgkmcnt(2)
	v_add_f64 v[10:11], v[6:7], v[10:11]
	s_waitcnt lgkmcnt(0)
	v_add_f64 v[6:7], v[8:9], v[12:13]
	ds_bpermute_b32 v12, v15, v10
	ds_bpermute_b32 v13, v15, v11
	;; [unrolled: 1-line block ×4, first 2 shown]
	s_and_saveexec_b64 s[2:3], s[0:1]
	s_cbranch_execz .LBB9_10
; %bb.5:
	v_mov_b32_e32 v15, s9
	v_add_co_u32_e64 v2, s[0:1], s8, v2
	v_addc_co_u32_e64 v3, s[0:1], v15, v3, s[0:1]
	s_and_saveexec_b64 s[4:5], vcc
	s_cbranch_execz .LBB9_7
; %bb.6:
	s_waitcnt lgkmcnt(2)
	v_add_f64 v[10:11], v[10:11], v[12:13]
	s_mov_b32 s0, 0x55555555
	v_frexp_mant_f64_e32 v[12:13], v[10:11]
	s_mov_b32 s1, 0x3fe55555
	v_frexp_exp_i32_f64_e32 v15, v[10:11]
	v_cmp_gt_f64_e64 s[0:1], s[0:1], v[12:13]
	v_subbrev_co_u32_e64 v15, s[2:3], 0, v15, s[0:1]
	v_cvt_f64_i32_e32 v[18:19], v15
	v_mov_b32_e32 v15, 0x3ff00000
	v_mov_b32_e32 v16, 0
	v_cndmask_b32_e64 v17, v15, 2.0, s[0:1]
	v_mul_f64 v[12:13], v[12:13], v[16:17]
	v_add_f64 v[16:17], v[12:13], 1.0
	v_rcp_f64_e32 v[24:25], v[16:17]
	v_add_f64 v[26:27], v[12:13], -1.0
	v_add_f64 v[32:33], v[16:17], -1.0
	v_add_f64 v[12:13], v[12:13], -v[32:33]
	v_fma_f64 v[28:29], -v[16:17], v[24:25], 1.0
	v_fmac_f64_e32 v[24:25], v[28:29], v[24:25]
	v_fma_f64 v[28:29], -v[16:17], v[24:25], 1.0
	v_fmac_f64_e32 v[24:25], v[28:29], v[24:25]
	v_mul_f64 v[28:29], v[26:27], v[24:25]
	v_mul_f64 v[30:31], v[16:17], v[28:29]
	v_fma_f64 v[16:17], v[28:29], v[16:17], -v[30:31]
	v_fmac_f64_e32 v[16:17], v[28:29], v[12:13]
	v_add_f64 v[12:13], v[30:31], v[16:17]
	v_add_f64 v[32:33], v[26:27], -v[12:13]
	v_add_f64 v[30:31], v[12:13], -v[30:31]
	;; [unrolled: 1-line block ×5, first 2 shown]
	v_add_f64 v[12:13], v[16:17], v[12:13]
	v_add_f64 v[12:13], v[32:33], v[12:13]
	v_mul_f64 v[12:13], v[24:25], v[12:13]
	v_add_f64 v[16:17], v[28:29], v[12:13]
	s_mov_b32 s0, 0xbf559e2b
	v_mul_f64 v[26:27], v[16:17], v[16:17]
	v_mov_b32_e32 v32, 0x6b47b09a
	v_mov_b32_e32 v33, 0x3fc38538
	s_mov_b32 s1, 0x3fc3ab76
	v_fmac_f64_e32 v[32:33], s[0:1], v[26:27]
	v_mov_b32_e32 v34, 0xd7f4df2e
	v_mov_b32_e32 v35, 0x3fc7474d
	v_fmac_f64_e32 v[34:35], v[26:27], v[32:33]
	v_mov_b32_e32 v32, 0x16291751
	v_mov_b32_e32 v33, 0x3fcc71c0
	;; [unrolled: 3-line block ×5, first 2 shown]
	s_mov_b32 s2, 0xfefa39ef
	v_mul_f64 v[30:31], v[16:17], v[26:27]
	v_fmac_f64_e32 v[34:35], v[26:27], v[32:33]
	s_mov_b32 s3, 0x3fe62e42
	v_ldexp_f64 v[24:25], v[16:17], 1
	v_mul_f64 v[26:27], v[30:31], v[34:35]
	v_mul_f64 v[20:21], v[18:19], s[2:3]
	v_add_f64 v[30:31], v[24:25], v[26:27]
	v_add_f64 v[16:17], v[16:17], -v[28:29]
	v_fma_f64 v[22:23], v[18:19], s[2:3], -v[20:21]
	s_mov_b32 s2, 0x3b39803f
	v_add_f64 v[12:13], v[12:13], -v[16:17]
	v_add_f64 v[16:17], v[30:31], -v[24:25]
	s_mov_b32 s3, 0x3c7abc9e
	v_ldexp_f64 v[12:13], v[12:13], 1
	v_add_f64 v[16:17], v[26:27], -v[16:17]
	v_fmac_f64_e32 v[22:23], s[2:3], v[18:19]
	v_add_f64 v[12:13], v[12:13], v[16:17]
	v_add_f64 v[18:19], v[20:21], v[22:23]
	;; [unrolled: 1-line block ×4, first 2 shown]
	v_add_f64 v[20:21], v[18:19], -v[20:21]
	v_add_f64 v[20:21], v[22:23], -v[20:21]
	;; [unrolled: 1-line block ×7, first 2 shown]
	v_add_f64 v[22:23], v[20:21], v[12:13]
	v_add_f64 v[18:19], v[18:19], -v[26:27]
	v_add_f64 v[16:17], v[16:17], v[18:19]
	v_add_f64 v[26:27], v[22:23], -v[20:21]
	;; [unrolled: 2-line block ×4, first 2 shown]
	v_add_f64 v[20:21], v[20:21], -v[22:23]
	v_add_f64 v[12:13], v[12:13], v[20:21]
	v_add_f64 v[20:21], v[18:19], -v[24:25]
	v_add_f64 v[16:17], v[16:17], -v[20:21]
	s_movk_i32 s6, 0x204
	v_add_f64 v[12:13], v[12:13], v[16:17]
	v_add_f64 v[12:13], v[18:19], v[12:13]
	v_cmp_class_f64_e64 s[0:1], v[10:11], s6
	v_cndmask_b32_e64 v12, v12, v10, s[0:1]
	v_cndmask_b32_e64 v13, v13, v11, s[0:1]
	v_mov_b32_e32 v15, 0x7ff80000
	v_cmp_ngt_f64_e64 s[0:1], 0, v[10:11]
	v_cndmask_b32_e64 v13, v15, v13, s[0:1]
	v_cmp_nge_f64_e64 s[0:1], 0, v[10:11]
	v_cndmask_b32_e64 v12, 0, v12, s[0:1]
	v_mov_b32_e32 v15, 0xfff00000
	v_cmp_neq_f64_e64 s[0:1], 0, v[10:11]
	v_cndmask_b32_e64 v13, v15, v13, s[0:1]
	v_add_f64 v[4:5], v[4:5], -v[12:13]
	global_store_dwordx2 v[2:3], v[4:5], off
.LBB9_7:
	s_or_b64 exec, exec, s[4:5]
	v_cmp_ne_u32_e64 s[0:1], 1, v14
	s_and_b64 exec, exec, s[0:1]
	s_cbranch_execz .LBB9_10
; %bb.8:
	s_and_b64 exec, exec, vcc
	s_cbranch_execz .LBB9_10
; %bb.9:
	s_waitcnt lgkmcnt(0)
	v_add_f64 v[4:5], v[6:7], v[8:9]
	s_mov_b32 s0, 0x55555555
	v_frexp_mant_f64_e32 v[6:7], v[4:5]
	s_mov_b32 s1, 0x3fe55555
	v_frexp_exp_i32_f64_e32 v9, v[4:5]
	v_cmp_gt_f64_e32 vcc, s[0:1], v[6:7]
	v_subbrev_co_u32_e64 v9, s[0:1], 0, v9, vcc
	v_cvt_f64_i32_e32 v[10:11], v9
	v_mov_b32_e32 v9, 0x3ff00000
	v_mov_b32_e32 v8, 0
	v_cndmask_b32_e64 v9, v9, 2.0, vcc
	v_mul_f64 v[6:7], v[6:7], v[8:9]
	v_add_f64 v[8:9], v[6:7], 1.0
	v_rcp_f64_e32 v[16:17], v[8:9]
	v_add_f64 v[18:19], v[6:7], -1.0
	v_add_f64 v[24:25], v[8:9], -1.0
	v_add_f64 v[6:7], v[6:7], -v[24:25]
	v_fma_f64 v[20:21], -v[8:9], v[16:17], 1.0
	v_fmac_f64_e32 v[16:17], v[20:21], v[16:17]
	v_fma_f64 v[20:21], -v[8:9], v[16:17], 1.0
	v_fmac_f64_e32 v[16:17], v[20:21], v[16:17]
	v_mul_f64 v[20:21], v[18:19], v[16:17]
	v_mul_f64 v[22:23], v[8:9], v[20:21]
	v_fma_f64 v[8:9], v[20:21], v[8:9], -v[22:23]
	v_fmac_f64_e32 v[8:9], v[20:21], v[6:7]
	v_add_f64 v[6:7], v[22:23], v[8:9]
	v_add_f64 v[24:25], v[18:19], -v[6:7]
	s_mov_b32 s0, 0xfefa39ef
	v_add_f64 v[22:23], v[6:7], -v[22:23]
	v_add_f64 v[18:19], v[18:19], -v[24:25]
	s_mov_b32 s1, 0x3fe62e42
	v_add_f64 v[8:9], v[22:23], -v[8:9]
	v_add_f64 v[6:7], v[18:19], -v[6:7]
	v_mul_f64 v[12:13], v[10:11], s[0:1]
	v_add_f64 v[6:7], v[8:9], v[6:7]
	v_fma_f64 v[14:15], v[10:11], s[0:1], -v[12:13]
	s_mov_b32 s0, 0x3b39803f
	v_add_f64 v[6:7], v[24:25], v[6:7]
	s_mov_b32 s1, 0x3c7abc9e
	v_mul_f64 v[6:7], v[16:17], v[6:7]
	v_fmac_f64_e32 v[14:15], s[0:1], v[10:11]
	v_add_f64 v[8:9], v[20:21], v[6:7]
	s_mov_b32 s0, 0xbf559e2b
	v_mul_f64 v[18:19], v[8:9], v[8:9]
	v_mov_b32_e32 v24, 0x6b47b09a
	v_mov_b32_e32 v25, 0x3fc38538
	s_mov_b32 s1, 0x3fc3ab76
	v_fmac_f64_e32 v[24:25], s[0:1], v[18:19]
	v_mov_b32_e32 v26, 0xd7f4df2e
	v_mov_b32_e32 v27, 0x3fc7474d
	v_fmac_f64_e32 v[26:27], v[18:19], v[24:25]
	v_mov_b32_e32 v24, 0x16291751
	v_mov_b32_e32 v25, 0x3fcc71c0
	;; [unrolled: 3-line block ×5, first 2 shown]
	v_mul_f64 v[22:23], v[8:9], v[18:19]
	v_fmac_f64_e32 v[26:27], v[18:19], v[24:25]
	v_ldexp_f64 v[16:17], v[8:9], 1
	v_mul_f64 v[18:19], v[22:23], v[26:27]
	v_add_f64 v[22:23], v[16:17], v[18:19]
	v_add_f64 v[8:9], v[8:9], -v[20:21]
	v_add_f64 v[6:7], v[6:7], -v[8:9]
	;; [unrolled: 1-line block ×3, first 2 shown]
	v_ldexp_f64 v[6:7], v[6:7], 1
	v_add_f64 v[8:9], v[18:19], -v[8:9]
	v_add_f64 v[6:7], v[6:7], v[8:9]
	v_add_f64 v[10:11], v[12:13], v[14:15]
	;; [unrolled: 1-line block ×4, first 2 shown]
	v_add_f64 v[12:13], v[10:11], -v[12:13]
	v_add_f64 v[12:13], v[14:15], -v[12:13]
	;; [unrolled: 1-line block ×7, first 2 shown]
	v_add_f64 v[14:15], v[12:13], v[6:7]
	v_add_f64 v[10:11], v[10:11], -v[18:19]
	v_add_f64 v[8:9], v[8:9], v[10:11]
	v_add_f64 v[18:19], v[14:15], -v[12:13]
	;; [unrolled: 2-line block ×4, first 2 shown]
	v_add_f64 v[12:13], v[12:13], -v[14:15]
	v_add_f64 v[6:7], v[6:7], v[12:13]
	v_add_f64 v[12:13], v[10:11], -v[16:17]
	v_add_f64 v[8:9], v[8:9], -v[12:13]
	s_movk_i32 s2, 0x204
	v_add_f64 v[6:7], v[6:7], v[8:9]
	v_add_f64 v[6:7], v[10:11], v[6:7]
	v_cmp_class_f64_e64 vcc, v[4:5], s2
	v_cndmask_b32_e32 v6, v6, v4, vcc
	v_cndmask_b32_e32 v7, v7, v5, vcc
	v_mov_b32_e32 v8, 0x7ff80000
	v_cmp_ngt_f64_e32 vcc, 0, v[4:5]
	s_mov_b32 s15, 0
	v_cndmask_b32_e32 v7, v8, v7, vcc
	v_cmp_nge_f64_e32 vcc, 0, v[4:5]
	v_cndmask_b32_e32 v6, 0, v6, vcc
	v_mov_b32_e32 v8, 0xfff00000
	v_cmp_neq_f64_e32 vcc, 0, v[4:5]
	s_lshl_b64 s[0:1], s[14:15], 3
	v_cndmask_b32_e32 v7, v8, v7, vcc
	v_mov_b32_e32 v4, s1
	v_add_co_u32_e32 v2, vcc, s0, v2
	v_add_f64 v[0:1], v[0:1], -v[6:7]
	v_addc_co_u32_e32 v3, vcc, v3, v4, vcc
	global_store_dwordx2 v[2:3], v[0:1], off
.LBB9_10:
	s_endpgm
	.section	.rodata,"a",@progbits
	.p2align	6, 0x0
	.amdhsa_kernel _ZN12_GLOBAL__N_120softmax_warp_forwardIdddLi4ELb1ELb0ELi32EEEvPT0_PKT_iiiPKbib
		.amdhsa_group_segment_fixed_size 0
		.amdhsa_private_segment_fixed_size 0
		.amdhsa_kernarg_size 304
		.amdhsa_user_sgpr_count 6
		.amdhsa_user_sgpr_private_segment_buffer 1
		.amdhsa_user_sgpr_dispatch_ptr 0
		.amdhsa_user_sgpr_queue_ptr 0
		.amdhsa_user_sgpr_kernarg_segment_ptr 1
		.amdhsa_user_sgpr_dispatch_id 0
		.amdhsa_user_sgpr_flat_scratch_init 0
		.amdhsa_user_sgpr_kernarg_preload_length 0
		.amdhsa_user_sgpr_kernarg_preload_offset 0
		.amdhsa_user_sgpr_private_segment_size 0
		.amdhsa_uses_dynamic_stack 0
		.amdhsa_system_sgpr_private_segment_wavefront_offset 0
		.amdhsa_system_sgpr_workgroup_id_x 1
		.amdhsa_system_sgpr_workgroup_id_y 0
		.amdhsa_system_sgpr_workgroup_id_z 0
		.amdhsa_system_sgpr_workgroup_info 0
		.amdhsa_system_vgpr_workitem_id 1
		.amdhsa_next_free_vgpr 36
		.amdhsa_next_free_sgpr 40
		.amdhsa_accum_offset 36
		.amdhsa_reserve_vcc 1
		.amdhsa_reserve_flat_scratch 0
		.amdhsa_float_round_mode_32 0
		.amdhsa_float_round_mode_16_64 0
		.amdhsa_float_denorm_mode_32 3
		.amdhsa_float_denorm_mode_16_64 3
		.amdhsa_dx10_clamp 1
		.amdhsa_ieee_mode 1
		.amdhsa_fp16_overflow 0
		.amdhsa_tg_split 0
		.amdhsa_exception_fp_ieee_invalid_op 0
		.amdhsa_exception_fp_denorm_src 0
		.amdhsa_exception_fp_ieee_div_zero 0
		.amdhsa_exception_fp_ieee_overflow 0
		.amdhsa_exception_fp_ieee_underflow 0
		.amdhsa_exception_fp_ieee_inexact 0
		.amdhsa_exception_int_div_zero 0
	.end_amdhsa_kernel
	.section	.text._ZN12_GLOBAL__N_120softmax_warp_forwardIdddLi4ELb1ELb0ELi32EEEvPT0_PKT_iiiPKbib,"axG",@progbits,_ZN12_GLOBAL__N_120softmax_warp_forwardIdddLi4ELb1ELb0ELi32EEEvPT0_PKT_iiiPKbib,comdat
.Lfunc_end9:
	.size	_ZN12_GLOBAL__N_120softmax_warp_forwardIdddLi4ELb1ELb0ELi32EEEvPT0_PKT_iiiPKbib, .Lfunc_end9-_ZN12_GLOBAL__N_120softmax_warp_forwardIdddLi4ELb1ELb0ELi32EEEvPT0_PKT_iiiPKbib
                                        ; -- End function
	.section	.AMDGPU.csdata,"",@progbits
; Kernel info:
; codeLenInByte = 3200
; NumSgprs: 44
; NumVgprs: 36
; NumAgprs: 0
; TotalNumVgprs: 36
; ScratchSize: 0
; MemoryBound: 0
; FloatMode: 240
; IeeeMode: 1
; LDSByteSize: 0 bytes/workgroup (compile time only)
; SGPRBlocks: 5
; VGPRBlocks: 4
; NumSGPRsForWavesPerEU: 44
; NumVGPRsForWavesPerEU: 36
; AccumOffset: 36
; Occupancy: 8
; WaveLimiterHint : 0
; COMPUTE_PGM_RSRC2:SCRATCH_EN: 0
; COMPUTE_PGM_RSRC2:USER_SGPR: 6
; COMPUTE_PGM_RSRC2:TRAP_HANDLER: 0
; COMPUTE_PGM_RSRC2:TGID_X_EN: 1
; COMPUTE_PGM_RSRC2:TGID_Y_EN: 0
; COMPUTE_PGM_RSRC2:TGID_Z_EN: 0
; COMPUTE_PGM_RSRC2:TIDIG_COMP_CNT: 1
; COMPUTE_PGM_RSRC3_GFX90A:ACCUM_OFFSET: 8
; COMPUTE_PGM_RSRC3_GFX90A:TG_SPLIT: 0
	.section	.text._ZN12_GLOBAL__N_120softmax_warp_forwardIdddLi5ELb1ELb0ELi64EEEvPT0_PKT_iiiPKbib,"axG",@progbits,_ZN12_GLOBAL__N_120softmax_warp_forwardIdddLi5ELb1ELb0ELi64EEEvPT0_PKT_iiiPKbib,comdat
	.globl	_ZN12_GLOBAL__N_120softmax_warp_forwardIdddLi5ELb1ELb0ELi64EEEvPT0_PKT_iiiPKbib ; -- Begin function _ZN12_GLOBAL__N_120softmax_warp_forwardIdddLi5ELb1ELb0ELi64EEEvPT0_PKT_iiiPKbib
	.p2align	8
	.type	_ZN12_GLOBAL__N_120softmax_warp_forwardIdddLi5ELb1ELb0ELi64EEEvPT0_PKT_iiiPKbib,@function
_ZN12_GLOBAL__N_120softmax_warp_forwardIdddLi5ELb1ELb0ELi64EEEvPT0_PKT_iiiPKbib: ; @_ZN12_GLOBAL__N_120softmax_warp_forwardIdddLi5ELb1ELb0ELi64EEEvPT0_PKT_iiiPKbib
; %bb.0:
	s_load_dword s0, s[4:5], 0x3c
	s_load_dwordx8 s[8:15], s[4:5], 0x0
	v_bfe_u32 v1, v0, 10, 10
	v_and_b32_e32 v0, 0x3ff, v0
	s_waitcnt lgkmcnt(0)
	s_lshr_b32 s0, s0, 16
	s_mul_i32 s6, s6, s0
	v_add_lshl_u32 v1, s6, v1, 1
	v_mad_u64_u32 v[2:3], s[0:1], v1, s13, v[0:1]
	v_ashrrev_i32_e32 v3, 31, v2
	v_lshlrev_b64 v[2:3], 3, v[2:3]
	v_sub_u32_e32 v14, s12, v1
	v_mov_b32_e32 v1, s11
	v_add_co_u32_e32 v6, vcc, s10, v2
	v_addc_co_u32_e32 v7, vcc, v1, v3, vcc
	v_cmp_gt_i32_e32 vcc, s14, v0
	v_mov_b32_e32 v0, 0
	v_cmp_lt_i32_e64 s[0:1], 0, v14
	v_mov_b32_e32 v1, 0xfff00000
	s_and_b64 s[4:5], vcc, s[0:1]
	v_pk_mov_b32 v[4:5], v[0:1], v[0:1] op_sel:[0,1]
	s_and_saveexec_b64 s[2:3], s[4:5]
	s_cbranch_execz .LBB10_2
; %bb.1:
	global_load_dwordx2 v[4:5], v[6:7], off
.LBB10_2:
	s_or_b64 exec, exec, s[2:3]
	v_cmp_lt_i32_e64 s[2:3], 1, v14
	s_and_b64 s[2:3], vcc, s[2:3]
	s_and_saveexec_b64 s[4:5], s[2:3]
	s_cbranch_execz .LBB10_4
; %bb.3:
	s_mov_b32 s15, 0
	s_lshl_b64 s[2:3], s[14:15], 3
	v_mov_b32_e32 v1, s3
	v_add_co_u32_e64 v0, s[2:3], s2, v6
	v_addc_co_u32_e64 v1, s[2:3], v7, v1, s[2:3]
	global_load_dwordx2 v[0:1], v[0:1], off
.LBB10_4:
	s_or_b64 exec, exec, s[4:5]
	v_mbcnt_lo_u32_b32 v6, -1, 0
	v_mbcnt_hi_u32_b32 v7, -1, v6
	v_and_b32_e32 v6, 0x60, v7
	v_add_u32_e32 v15, 32, v6
	v_xor_b32_e32 v6, 16, v7
	v_cmp_lt_i32_e64 s[2:3], v6, v15
	v_cndmask_b32_e64 v6, v7, v6, s[2:3]
	v_lshlrev_b32_e32 v6, 2, v6
	s_waitcnt vmcnt(0)
	ds_bpermute_b32 v8, v6, v4
	ds_bpermute_b32 v9, v6, v5
	v_xor_b32_e32 v12, 8, v7
	v_cmp_lt_i32_e64 s[4:5], v12, v15
	v_cndmask_b32_e64 v12, v7, v12, s[4:5]
	ds_bpermute_b32 v10, v6, v0
	s_waitcnt lgkmcnt(1)
	v_cmp_lt_f64_e64 s[2:3], v[4:5], v[8:9]
	ds_bpermute_b32 v11, v6, v1
	v_cndmask_b32_e64 v9, v5, v9, s[2:3]
	v_cndmask_b32_e64 v8, v4, v8, s[2:3]
	v_lshlrev_b32_e32 v20, 2, v12
	ds_bpermute_b32 v12, v20, v8
	ds_bpermute_b32 v13, v20, v9
	s_waitcnt lgkmcnt(2)
	v_cmp_lt_f64_e64 s[2:3], v[0:1], v[10:11]
	v_cndmask_b32_e64 v11, v1, v11, s[2:3]
	v_cndmask_b32_e64 v10, v0, v10, s[2:3]
	ds_bpermute_b32 v16, v20, v10
	s_waitcnt lgkmcnt(1)
	v_cmp_lt_f64_e64 s[2:3], v[8:9], v[12:13]
	v_cndmask_b32_e64 v8, v8, v12, s[2:3]
	v_xor_b32_e32 v12, 4, v7
	v_cmp_lt_i32_e64 s[4:5], v12, v15
	v_cndmask_b32_e64 v12, v7, v12, s[4:5]
	ds_bpermute_b32 v17, v20, v11
	v_cndmask_b32_e64 v9, v9, v13, s[2:3]
	v_lshlrev_b32_e32 v21, 2, v12
	ds_bpermute_b32 v12, v21, v8
	ds_bpermute_b32 v13, v21, v9
	s_waitcnt lgkmcnt(2)
	v_cmp_lt_f64_e64 s[2:3], v[10:11], v[16:17]
	v_cndmask_b32_e64 v11, v11, v17, s[2:3]
	v_cndmask_b32_e64 v10, v10, v16, s[2:3]
	ds_bpermute_b32 v16, v21, v10
	s_waitcnt lgkmcnt(1)
	v_cmp_lt_f64_e64 s[2:3], v[8:9], v[12:13]
	v_cndmask_b32_e64 v8, v8, v12, s[2:3]
	v_xor_b32_e32 v12, 2, v7
	v_cmp_lt_i32_e64 s[4:5], v12, v15
	v_cndmask_b32_e64 v12, v7, v12, s[4:5]
	ds_bpermute_b32 v17, v21, v11
	v_cndmask_b32_e64 v9, v9, v13, s[2:3]
	v_lshlrev_b32_e32 v22, 2, v12
	ds_bpermute_b32 v12, v22, v8
	ds_bpermute_b32 v13, v22, v9
	s_waitcnt lgkmcnt(2)
	v_cmp_lt_f64_e64 s[2:3], v[10:11], v[16:17]
	v_cndmask_b32_e64 v11, v11, v17, s[2:3]
	v_cndmask_b32_e64 v10, v10, v16, s[2:3]
	ds_bpermute_b32 v16, v22, v10
	s_waitcnt lgkmcnt(1)
	v_cmp_lt_f64_e64 s[2:3], v[8:9], v[12:13]
	ds_bpermute_b32 v17, v22, v11
	v_cndmask_b32_e64 v8, v8, v12, s[2:3]
	v_xor_b32_e32 v12, 1, v7
	v_cmp_lt_i32_e64 s[4:5], v12, v15
	v_cndmask_b32_e64 v7, v7, v12, s[4:5]
	v_cndmask_b32_e64 v9, v9, v13, s[2:3]
	v_lshlrev_b32_e32 v15, 2, v7
	ds_bpermute_b32 v12, v15, v8
	ds_bpermute_b32 v13, v15, v9
	s_waitcnt lgkmcnt(2)
	v_cmp_lt_f64_e64 s[2:3], v[10:11], v[16:17]
	v_cndmask_b32_e64 v11, v11, v17, s[2:3]
	v_cndmask_b32_e64 v10, v10, v16, s[2:3]
	ds_bpermute_b32 v16, v15, v10
	ds_bpermute_b32 v17, v15, v11
	s_waitcnt lgkmcnt(2)
	v_cmp_lt_f64_e64 s[2:3], v[8:9], v[12:13]
	v_cndmask_b32_e64 v9, v9, v13, s[2:3]
	v_cndmask_b32_e64 v8, v8, v12, s[2:3]
	s_mov_b32 s6, 0x652b82fe
	v_add_f64 v[4:5], v[4:5], -v[8:9]
	s_mov_b32 s7, 0x3ff71547
	s_waitcnt lgkmcnt(0)
	v_cmp_lt_f64_e64 s[2:3], v[10:11], v[16:17]
	v_mul_f64 v[8:9], v[4:5], s[6:7]
	s_mov_b32 s10, 0xfefa39ef
	v_cndmask_b32_e64 v11, v11, v17, s[2:3]
	v_cndmask_b32_e64 v10, v10, v16, s[2:3]
	v_rndne_f64_e32 v[8:9], v[8:9]
	s_mov_b32 s11, 0xbfe62e42
	s_mov_b32 s12, 0x3b39803f
	;; [unrolled: 1-line block ×3, first 2 shown]
	v_fma_f64 v[12:13], s[10:11], v[8:9], v[4:5]
	s_mov_b32 s13, 0xbc7abc9e
	s_mov_b32 s3, 0x3e928af3
	;; [unrolled: 1-line block ×3, first 2 shown]
	v_fmac_f64_e32 v[12:13], s[12:13], v[8:9]
	s_mov_b32 s17, 0x3e5ade15
	v_pk_mov_b32 v[16:17], s[2:3], s[2:3] op_sel:[0,1]
	s_mov_b32 s18, 0x623fde64
	v_fma_f64 v[18:19], s[16:17], v[12:13], v[16:17]
	s_mov_b32 s19, 0x3ec71dee
	s_mov_b32 s20, 0x7c89e6b0
	v_fma_f64 v[18:19], v[12:13], v[18:19], s[18:19]
	s_mov_b32 s21, 0x3efa0199
	;; [unrolled: 3-line block ×8, first 2 shown]
	v_fma_f64 v[18:19], v[12:13], v[18:19], s[34:35]
	v_add_f64 v[0:1], v[0:1], -v[10:11]
	v_fma_f64 v[18:19], v[12:13], v[18:19], 1.0
	v_mul_f64 v[10:11], v[0:1], s[6:7]
	v_fma_f64 v[12:13], v[12:13], v[18:19], 1.0
	v_cvt_i32_f64_e32 v7, v[8:9]
	v_rndne_f64_e32 v[10:11], v[10:11]
	v_ldexp_f64 v[8:9], v[12:13], v7
	v_fma_f64 v[12:13], s[10:11], v[10:11], v[0:1]
	v_fmac_f64_e32 v[12:13], s[12:13], v[10:11]
	v_fmac_f64_e32 v[16:17], s[16:17], v[12:13]
	v_fma_f64 v[16:17], v[12:13], v[16:17], s[18:19]
	v_fma_f64 v[16:17], v[12:13], v[16:17], s[20:21]
	;; [unrolled: 1-line block ×7, first 2 shown]
	s_mov_b32 s36, 0
	s_mov_b32 s38, 0
	v_fma_f64 v[16:17], v[12:13], v[16:17], s[34:35]
	s_mov_b32 s37, 0x40900000
	s_mov_b32 s39, 0xc090cc00
	v_fma_f64 v[16:17], v[12:13], v[16:17], 1.0
	v_add_f64 v[8:9], v[8:9], 0
	v_mov_b32_e32 v7, 0x7ff00000
	v_cmp_nlt_f64_e64 s[2:3], s[36:37], v[4:5]
	v_cmp_ngt_f64_e64 s[4:5], s[38:39], v[4:5]
	v_fma_f64 v[12:13], v[12:13], v[16:17], 1.0
	v_cvt_i32_f64_e32 v10, v[10:11]
	v_cndmask_b32_e64 v9, v7, v9, s[2:3]
	s_and_b64 s[2:3], s[4:5], s[2:3]
	v_ldexp_f64 v[10:11], v[12:13], v10
	v_cndmask_b32_e64 v9, 0, v9, s[4:5]
	v_cndmask_b32_e64 v8, 0, v8, s[2:3]
	v_add_f64 v[10:11], v[10:11], 0
	v_cmp_nlt_f64_e64 s[2:3], s[36:37], v[0:1]
	v_cmp_ngt_f64_e64 s[4:5], s[38:39], v[0:1]
	v_cndmask_b32_e64 v7, v7, v11, s[2:3]
	s_and_b64 s[2:3], s[4:5], s[2:3]
	v_cndmask_b32_e64 v11, 0, v7, s[4:5]
	v_cndmask_b32_e64 v10, 0, v10, s[2:3]
	ds_bpermute_b32 v12, v6, v8
	ds_bpermute_b32 v13, v6, v9
	;; [unrolled: 1-line block ×4, first 2 shown]
	s_waitcnt lgkmcnt(2)
	v_add_f64 v[6:7], v[8:9], v[12:13]
	s_waitcnt lgkmcnt(0)
	v_add_f64 v[8:9], v[10:11], v[16:17]
	ds_bpermute_b32 v10, v20, v6
	ds_bpermute_b32 v11, v20, v7
	;; [unrolled: 1-line block ×4, first 2 shown]
	s_waitcnt lgkmcnt(2)
	v_add_f64 v[6:7], v[6:7], v[10:11]
	ds_bpermute_b32 v10, v21, v6
	s_waitcnt lgkmcnt(1)
	v_add_f64 v[8:9], v[8:9], v[12:13]
	ds_bpermute_b32 v11, v21, v7
	ds_bpermute_b32 v12, v21, v8
	;; [unrolled: 1-line block ×3, first 2 shown]
	s_waitcnt lgkmcnt(2)
	v_add_f64 v[6:7], v[6:7], v[10:11]
	ds_bpermute_b32 v10, v22, v6
	s_waitcnt lgkmcnt(1)
	v_add_f64 v[8:9], v[8:9], v[12:13]
	ds_bpermute_b32 v11, v22, v7
	ds_bpermute_b32 v12, v22, v8
	;; [unrolled: 1-line block ×3, first 2 shown]
	s_waitcnt lgkmcnt(2)
	v_add_f64 v[10:11], v[6:7], v[10:11]
	s_waitcnt lgkmcnt(0)
	v_add_f64 v[6:7], v[8:9], v[12:13]
	ds_bpermute_b32 v12, v15, v10
	ds_bpermute_b32 v13, v15, v11
	;; [unrolled: 1-line block ×4, first 2 shown]
	s_and_saveexec_b64 s[2:3], s[0:1]
	s_cbranch_execz .LBB10_10
; %bb.5:
	v_mov_b32_e32 v15, s9
	v_add_co_u32_e64 v2, s[0:1], s8, v2
	v_addc_co_u32_e64 v3, s[0:1], v15, v3, s[0:1]
	s_and_saveexec_b64 s[4:5], vcc
	s_cbranch_execz .LBB10_7
; %bb.6:
	s_waitcnt lgkmcnt(2)
	v_add_f64 v[10:11], v[10:11], v[12:13]
	s_mov_b32 s0, 0x55555555
	v_frexp_mant_f64_e32 v[12:13], v[10:11]
	s_mov_b32 s1, 0x3fe55555
	v_frexp_exp_i32_f64_e32 v15, v[10:11]
	v_cmp_gt_f64_e64 s[0:1], s[0:1], v[12:13]
	v_subbrev_co_u32_e64 v15, s[2:3], 0, v15, s[0:1]
	v_cvt_f64_i32_e32 v[18:19], v15
	v_mov_b32_e32 v15, 0x3ff00000
	v_mov_b32_e32 v16, 0
	v_cndmask_b32_e64 v17, v15, 2.0, s[0:1]
	v_mul_f64 v[12:13], v[12:13], v[16:17]
	v_add_f64 v[16:17], v[12:13], 1.0
	v_rcp_f64_e32 v[24:25], v[16:17]
	v_add_f64 v[26:27], v[12:13], -1.0
	v_add_f64 v[32:33], v[16:17], -1.0
	v_add_f64 v[12:13], v[12:13], -v[32:33]
	v_fma_f64 v[28:29], -v[16:17], v[24:25], 1.0
	v_fmac_f64_e32 v[24:25], v[28:29], v[24:25]
	v_fma_f64 v[28:29], -v[16:17], v[24:25], 1.0
	v_fmac_f64_e32 v[24:25], v[28:29], v[24:25]
	v_mul_f64 v[28:29], v[26:27], v[24:25]
	v_mul_f64 v[30:31], v[16:17], v[28:29]
	v_fma_f64 v[16:17], v[28:29], v[16:17], -v[30:31]
	v_fmac_f64_e32 v[16:17], v[28:29], v[12:13]
	v_add_f64 v[12:13], v[30:31], v[16:17]
	v_add_f64 v[32:33], v[26:27], -v[12:13]
	v_add_f64 v[30:31], v[12:13], -v[30:31]
	;; [unrolled: 1-line block ×5, first 2 shown]
	v_add_f64 v[12:13], v[16:17], v[12:13]
	v_add_f64 v[12:13], v[32:33], v[12:13]
	v_mul_f64 v[12:13], v[24:25], v[12:13]
	v_add_f64 v[16:17], v[28:29], v[12:13]
	s_mov_b32 s0, 0xbf559e2b
	v_mul_f64 v[26:27], v[16:17], v[16:17]
	v_mov_b32_e32 v32, 0x6b47b09a
	v_mov_b32_e32 v33, 0x3fc38538
	s_mov_b32 s1, 0x3fc3ab76
	v_fmac_f64_e32 v[32:33], s[0:1], v[26:27]
	v_mov_b32_e32 v34, 0xd7f4df2e
	v_mov_b32_e32 v35, 0x3fc7474d
	v_fmac_f64_e32 v[34:35], v[26:27], v[32:33]
	v_mov_b32_e32 v32, 0x16291751
	v_mov_b32_e32 v33, 0x3fcc71c0
	;; [unrolled: 3-line block ×5, first 2 shown]
	s_mov_b32 s2, 0xfefa39ef
	v_mul_f64 v[30:31], v[16:17], v[26:27]
	v_fmac_f64_e32 v[34:35], v[26:27], v[32:33]
	s_mov_b32 s3, 0x3fe62e42
	v_ldexp_f64 v[24:25], v[16:17], 1
	v_mul_f64 v[26:27], v[30:31], v[34:35]
	v_mul_f64 v[20:21], v[18:19], s[2:3]
	v_add_f64 v[30:31], v[24:25], v[26:27]
	v_add_f64 v[16:17], v[16:17], -v[28:29]
	v_fma_f64 v[22:23], v[18:19], s[2:3], -v[20:21]
	s_mov_b32 s2, 0x3b39803f
	v_add_f64 v[12:13], v[12:13], -v[16:17]
	v_add_f64 v[16:17], v[30:31], -v[24:25]
	s_mov_b32 s3, 0x3c7abc9e
	v_ldexp_f64 v[12:13], v[12:13], 1
	v_add_f64 v[16:17], v[26:27], -v[16:17]
	v_fmac_f64_e32 v[22:23], s[2:3], v[18:19]
	v_add_f64 v[12:13], v[12:13], v[16:17]
	v_add_f64 v[18:19], v[20:21], v[22:23]
	;; [unrolled: 1-line block ×4, first 2 shown]
	v_add_f64 v[20:21], v[18:19], -v[20:21]
	v_add_f64 v[20:21], v[22:23], -v[20:21]
	;; [unrolled: 1-line block ×7, first 2 shown]
	v_add_f64 v[22:23], v[20:21], v[12:13]
	v_add_f64 v[18:19], v[18:19], -v[26:27]
	v_add_f64 v[16:17], v[16:17], v[18:19]
	v_add_f64 v[26:27], v[22:23], -v[20:21]
	;; [unrolled: 2-line block ×4, first 2 shown]
	v_add_f64 v[20:21], v[20:21], -v[22:23]
	v_add_f64 v[12:13], v[12:13], v[20:21]
	v_add_f64 v[20:21], v[18:19], -v[24:25]
	v_add_f64 v[16:17], v[16:17], -v[20:21]
	s_movk_i32 s6, 0x204
	v_add_f64 v[12:13], v[12:13], v[16:17]
	v_add_f64 v[12:13], v[18:19], v[12:13]
	v_cmp_class_f64_e64 s[0:1], v[10:11], s6
	v_cndmask_b32_e64 v12, v12, v10, s[0:1]
	v_cndmask_b32_e64 v13, v13, v11, s[0:1]
	v_mov_b32_e32 v15, 0x7ff80000
	v_cmp_ngt_f64_e64 s[0:1], 0, v[10:11]
	v_cndmask_b32_e64 v13, v15, v13, s[0:1]
	v_cmp_nge_f64_e64 s[0:1], 0, v[10:11]
	v_cndmask_b32_e64 v12, 0, v12, s[0:1]
	v_mov_b32_e32 v15, 0xfff00000
	v_cmp_neq_f64_e64 s[0:1], 0, v[10:11]
	v_cndmask_b32_e64 v13, v15, v13, s[0:1]
	v_add_f64 v[4:5], v[4:5], -v[12:13]
	global_store_dwordx2 v[2:3], v[4:5], off
.LBB10_7:
	s_or_b64 exec, exec, s[4:5]
	v_cmp_ne_u32_e64 s[0:1], 1, v14
	s_and_b64 exec, exec, s[0:1]
	s_cbranch_execz .LBB10_10
; %bb.8:
	s_and_b64 exec, exec, vcc
	s_cbranch_execz .LBB10_10
; %bb.9:
	s_waitcnt lgkmcnt(0)
	v_add_f64 v[4:5], v[6:7], v[8:9]
	s_mov_b32 s0, 0x55555555
	v_frexp_mant_f64_e32 v[6:7], v[4:5]
	s_mov_b32 s1, 0x3fe55555
	v_frexp_exp_i32_f64_e32 v9, v[4:5]
	v_cmp_gt_f64_e32 vcc, s[0:1], v[6:7]
	v_subbrev_co_u32_e64 v9, s[0:1], 0, v9, vcc
	v_cvt_f64_i32_e32 v[10:11], v9
	v_mov_b32_e32 v9, 0x3ff00000
	v_mov_b32_e32 v8, 0
	v_cndmask_b32_e64 v9, v9, 2.0, vcc
	v_mul_f64 v[6:7], v[6:7], v[8:9]
	v_add_f64 v[8:9], v[6:7], 1.0
	v_rcp_f64_e32 v[16:17], v[8:9]
	v_add_f64 v[18:19], v[6:7], -1.0
	v_add_f64 v[24:25], v[8:9], -1.0
	v_add_f64 v[6:7], v[6:7], -v[24:25]
	v_fma_f64 v[20:21], -v[8:9], v[16:17], 1.0
	v_fmac_f64_e32 v[16:17], v[20:21], v[16:17]
	v_fma_f64 v[20:21], -v[8:9], v[16:17], 1.0
	v_fmac_f64_e32 v[16:17], v[20:21], v[16:17]
	v_mul_f64 v[20:21], v[18:19], v[16:17]
	v_mul_f64 v[22:23], v[8:9], v[20:21]
	v_fma_f64 v[8:9], v[20:21], v[8:9], -v[22:23]
	v_fmac_f64_e32 v[8:9], v[20:21], v[6:7]
	v_add_f64 v[6:7], v[22:23], v[8:9]
	v_add_f64 v[24:25], v[18:19], -v[6:7]
	s_mov_b32 s0, 0xfefa39ef
	v_add_f64 v[22:23], v[6:7], -v[22:23]
	v_add_f64 v[18:19], v[18:19], -v[24:25]
	s_mov_b32 s1, 0x3fe62e42
	v_add_f64 v[8:9], v[22:23], -v[8:9]
	v_add_f64 v[6:7], v[18:19], -v[6:7]
	v_mul_f64 v[12:13], v[10:11], s[0:1]
	v_add_f64 v[6:7], v[8:9], v[6:7]
	v_fma_f64 v[14:15], v[10:11], s[0:1], -v[12:13]
	s_mov_b32 s0, 0x3b39803f
	v_add_f64 v[6:7], v[24:25], v[6:7]
	s_mov_b32 s1, 0x3c7abc9e
	v_mul_f64 v[6:7], v[16:17], v[6:7]
	v_fmac_f64_e32 v[14:15], s[0:1], v[10:11]
	v_add_f64 v[8:9], v[20:21], v[6:7]
	s_mov_b32 s0, 0xbf559e2b
	v_mul_f64 v[18:19], v[8:9], v[8:9]
	v_mov_b32_e32 v24, 0x6b47b09a
	v_mov_b32_e32 v25, 0x3fc38538
	s_mov_b32 s1, 0x3fc3ab76
	v_fmac_f64_e32 v[24:25], s[0:1], v[18:19]
	v_mov_b32_e32 v26, 0xd7f4df2e
	v_mov_b32_e32 v27, 0x3fc7474d
	v_fmac_f64_e32 v[26:27], v[18:19], v[24:25]
	v_mov_b32_e32 v24, 0x16291751
	v_mov_b32_e32 v25, 0x3fcc71c0
	;; [unrolled: 3-line block ×5, first 2 shown]
	v_mul_f64 v[22:23], v[8:9], v[18:19]
	v_fmac_f64_e32 v[26:27], v[18:19], v[24:25]
	v_ldexp_f64 v[16:17], v[8:9], 1
	v_mul_f64 v[18:19], v[22:23], v[26:27]
	v_add_f64 v[22:23], v[16:17], v[18:19]
	v_add_f64 v[8:9], v[8:9], -v[20:21]
	v_add_f64 v[6:7], v[6:7], -v[8:9]
	;; [unrolled: 1-line block ×3, first 2 shown]
	v_ldexp_f64 v[6:7], v[6:7], 1
	v_add_f64 v[8:9], v[18:19], -v[8:9]
	v_add_f64 v[6:7], v[6:7], v[8:9]
	v_add_f64 v[10:11], v[12:13], v[14:15]
	;; [unrolled: 1-line block ×4, first 2 shown]
	v_add_f64 v[12:13], v[10:11], -v[12:13]
	v_add_f64 v[12:13], v[14:15], -v[12:13]
	;; [unrolled: 1-line block ×7, first 2 shown]
	v_add_f64 v[14:15], v[12:13], v[6:7]
	v_add_f64 v[10:11], v[10:11], -v[18:19]
	v_add_f64 v[8:9], v[8:9], v[10:11]
	v_add_f64 v[18:19], v[14:15], -v[12:13]
	;; [unrolled: 2-line block ×4, first 2 shown]
	v_add_f64 v[12:13], v[12:13], -v[14:15]
	v_add_f64 v[6:7], v[6:7], v[12:13]
	v_add_f64 v[12:13], v[10:11], -v[16:17]
	v_add_f64 v[8:9], v[8:9], -v[12:13]
	s_movk_i32 s2, 0x204
	v_add_f64 v[6:7], v[6:7], v[8:9]
	v_add_f64 v[6:7], v[10:11], v[6:7]
	v_cmp_class_f64_e64 vcc, v[4:5], s2
	v_cndmask_b32_e32 v6, v6, v4, vcc
	v_cndmask_b32_e32 v7, v7, v5, vcc
	v_mov_b32_e32 v8, 0x7ff80000
	v_cmp_ngt_f64_e32 vcc, 0, v[4:5]
	s_mov_b32 s15, 0
	v_cndmask_b32_e32 v7, v8, v7, vcc
	v_cmp_nge_f64_e32 vcc, 0, v[4:5]
	v_cndmask_b32_e32 v6, 0, v6, vcc
	v_mov_b32_e32 v8, 0xfff00000
	v_cmp_neq_f64_e32 vcc, 0, v[4:5]
	s_lshl_b64 s[0:1], s[14:15], 3
	v_cndmask_b32_e32 v7, v8, v7, vcc
	v_mov_b32_e32 v4, s1
	v_add_co_u32_e32 v2, vcc, s0, v2
	v_add_f64 v[0:1], v[0:1], -v[6:7]
	v_addc_co_u32_e32 v3, vcc, v3, v4, vcc
	global_store_dwordx2 v[2:3], v[0:1], off
.LBB10_10:
	s_endpgm
	.section	.rodata,"a",@progbits
	.p2align	6, 0x0
	.amdhsa_kernel _ZN12_GLOBAL__N_120softmax_warp_forwardIdddLi5ELb1ELb0ELi64EEEvPT0_PKT_iiiPKbib
		.amdhsa_group_segment_fixed_size 0
		.amdhsa_private_segment_fixed_size 0
		.amdhsa_kernarg_size 304
		.amdhsa_user_sgpr_count 6
		.amdhsa_user_sgpr_private_segment_buffer 1
		.amdhsa_user_sgpr_dispatch_ptr 0
		.amdhsa_user_sgpr_queue_ptr 0
		.amdhsa_user_sgpr_kernarg_segment_ptr 1
		.amdhsa_user_sgpr_dispatch_id 0
		.amdhsa_user_sgpr_flat_scratch_init 0
		.amdhsa_user_sgpr_kernarg_preload_length 0
		.amdhsa_user_sgpr_kernarg_preload_offset 0
		.amdhsa_user_sgpr_private_segment_size 0
		.amdhsa_uses_dynamic_stack 0
		.amdhsa_system_sgpr_private_segment_wavefront_offset 0
		.amdhsa_system_sgpr_workgroup_id_x 1
		.amdhsa_system_sgpr_workgroup_id_y 0
		.amdhsa_system_sgpr_workgroup_id_z 0
		.amdhsa_system_sgpr_workgroup_info 0
		.amdhsa_system_vgpr_workitem_id 1
		.amdhsa_next_free_vgpr 36
		.amdhsa_next_free_sgpr 40
		.amdhsa_accum_offset 36
		.amdhsa_reserve_vcc 1
		.amdhsa_reserve_flat_scratch 0
		.amdhsa_float_round_mode_32 0
		.amdhsa_float_round_mode_16_64 0
		.amdhsa_float_denorm_mode_32 3
		.amdhsa_float_denorm_mode_16_64 3
		.amdhsa_dx10_clamp 1
		.amdhsa_ieee_mode 1
		.amdhsa_fp16_overflow 0
		.amdhsa_tg_split 0
		.amdhsa_exception_fp_ieee_invalid_op 0
		.amdhsa_exception_fp_denorm_src 0
		.amdhsa_exception_fp_ieee_div_zero 0
		.amdhsa_exception_fp_ieee_overflow 0
		.amdhsa_exception_fp_ieee_underflow 0
		.amdhsa_exception_fp_ieee_inexact 0
		.amdhsa_exception_int_div_zero 0
	.end_amdhsa_kernel
	.section	.text._ZN12_GLOBAL__N_120softmax_warp_forwardIdddLi5ELb1ELb0ELi64EEEvPT0_PKT_iiiPKbib,"axG",@progbits,_ZN12_GLOBAL__N_120softmax_warp_forwardIdddLi5ELb1ELb0ELi64EEEvPT0_PKT_iiiPKbib,comdat
.Lfunc_end10:
	.size	_ZN12_GLOBAL__N_120softmax_warp_forwardIdddLi5ELb1ELb0ELi64EEEvPT0_PKT_iiiPKbib, .Lfunc_end10-_ZN12_GLOBAL__N_120softmax_warp_forwardIdddLi5ELb1ELb0ELi64EEEvPT0_PKT_iiiPKbib
                                        ; -- End function
	.section	.AMDGPU.csdata,"",@progbits
; Kernel info:
; codeLenInByte = 3368
; NumSgprs: 44
; NumVgprs: 36
; NumAgprs: 0
; TotalNumVgprs: 36
; ScratchSize: 0
; MemoryBound: 0
; FloatMode: 240
; IeeeMode: 1
; LDSByteSize: 0 bytes/workgroup (compile time only)
; SGPRBlocks: 5
; VGPRBlocks: 4
; NumSGPRsForWavesPerEU: 44
; NumVGPRsForWavesPerEU: 36
; AccumOffset: 36
; Occupancy: 8
; WaveLimiterHint : 0
; COMPUTE_PGM_RSRC2:SCRATCH_EN: 0
; COMPUTE_PGM_RSRC2:USER_SGPR: 6
; COMPUTE_PGM_RSRC2:TRAP_HANDLER: 0
; COMPUTE_PGM_RSRC2:TGID_X_EN: 1
; COMPUTE_PGM_RSRC2:TGID_Y_EN: 0
; COMPUTE_PGM_RSRC2:TGID_Z_EN: 0
; COMPUTE_PGM_RSRC2:TIDIG_COMP_CNT: 1
; COMPUTE_PGM_RSRC3_GFX90A:ACCUM_OFFSET: 8
; COMPUTE_PGM_RSRC3_GFX90A:TG_SPLIT: 0
	.section	.text._ZN12_GLOBAL__N_120softmax_warp_forwardIdddLi5ELb1ELb0ELi32EEEvPT0_PKT_iiiPKbib,"axG",@progbits,_ZN12_GLOBAL__N_120softmax_warp_forwardIdddLi5ELb1ELb0ELi32EEEvPT0_PKT_iiiPKbib,comdat
	.globl	_ZN12_GLOBAL__N_120softmax_warp_forwardIdddLi5ELb1ELb0ELi32EEEvPT0_PKT_iiiPKbib ; -- Begin function _ZN12_GLOBAL__N_120softmax_warp_forwardIdddLi5ELb1ELb0ELi32EEEvPT0_PKT_iiiPKbib
	.p2align	8
	.type	_ZN12_GLOBAL__N_120softmax_warp_forwardIdddLi5ELb1ELb0ELi32EEEvPT0_PKT_iiiPKbib,@function
_ZN12_GLOBAL__N_120softmax_warp_forwardIdddLi5ELb1ELb0ELi32EEEvPT0_PKT_iiiPKbib: ; @_ZN12_GLOBAL__N_120softmax_warp_forwardIdddLi5ELb1ELb0ELi32EEEvPT0_PKT_iiiPKbib
; %bb.0:
	s_load_dword s0, s[4:5], 0x3c
	s_load_dwordx8 s[8:15], s[4:5], 0x0
	v_bfe_u32 v1, v0, 10, 10
	v_and_b32_e32 v0, 0x3ff, v0
	s_waitcnt lgkmcnt(0)
	s_lshr_b32 s0, s0, 16
	s_mul_i32 s6, s6, s0
	v_add_lshl_u32 v1, s6, v1, 1
	v_mad_u64_u32 v[2:3], s[0:1], v1, s13, v[0:1]
	v_ashrrev_i32_e32 v3, 31, v2
	v_lshlrev_b64 v[2:3], 3, v[2:3]
	v_sub_u32_e32 v14, s12, v1
	v_mov_b32_e32 v1, s11
	v_add_co_u32_e32 v6, vcc, s10, v2
	v_addc_co_u32_e32 v7, vcc, v1, v3, vcc
	v_cmp_gt_i32_e32 vcc, s14, v0
	v_mov_b32_e32 v0, 0
	v_cmp_lt_i32_e64 s[0:1], 0, v14
	v_mov_b32_e32 v1, 0xfff00000
	s_and_b64 s[4:5], vcc, s[0:1]
	v_pk_mov_b32 v[4:5], v[0:1], v[0:1] op_sel:[0,1]
	s_and_saveexec_b64 s[2:3], s[4:5]
	s_cbranch_execz .LBB11_2
; %bb.1:
	global_load_dwordx2 v[4:5], v[6:7], off
.LBB11_2:
	s_or_b64 exec, exec, s[2:3]
	v_cmp_lt_i32_e64 s[2:3], 1, v14
	s_and_b64 s[2:3], vcc, s[2:3]
	s_and_saveexec_b64 s[4:5], s[2:3]
	s_cbranch_execz .LBB11_4
; %bb.3:
	s_mov_b32 s15, 0
	s_lshl_b64 s[2:3], s[14:15], 3
	v_mov_b32_e32 v1, s3
	v_add_co_u32_e64 v0, s[2:3], s2, v6
	v_addc_co_u32_e64 v1, s[2:3], v7, v1, s[2:3]
	global_load_dwordx2 v[0:1], v[0:1], off
.LBB11_4:
	s_or_b64 exec, exec, s[4:5]
	v_mbcnt_lo_u32_b32 v6, -1, 0
	v_mbcnt_hi_u32_b32 v7, -1, v6
	v_and_b32_e32 v6, 0x60, v7
	v_add_u32_e32 v15, 32, v6
	v_xor_b32_e32 v6, 16, v7
	v_cmp_lt_i32_e64 s[2:3], v6, v15
	v_cndmask_b32_e64 v6, v7, v6, s[2:3]
	v_lshlrev_b32_e32 v6, 2, v6
	s_waitcnt vmcnt(0)
	ds_bpermute_b32 v8, v6, v4
	ds_bpermute_b32 v9, v6, v5
	v_xor_b32_e32 v12, 8, v7
	v_cmp_lt_i32_e64 s[4:5], v12, v15
	v_cndmask_b32_e64 v12, v7, v12, s[4:5]
	ds_bpermute_b32 v10, v6, v0
	s_waitcnt lgkmcnt(1)
	v_cmp_lt_f64_e64 s[2:3], v[4:5], v[8:9]
	ds_bpermute_b32 v11, v6, v1
	v_cndmask_b32_e64 v9, v5, v9, s[2:3]
	v_cndmask_b32_e64 v8, v4, v8, s[2:3]
	v_lshlrev_b32_e32 v20, 2, v12
	ds_bpermute_b32 v12, v20, v8
	ds_bpermute_b32 v13, v20, v9
	s_waitcnt lgkmcnt(2)
	v_cmp_lt_f64_e64 s[2:3], v[0:1], v[10:11]
	v_cndmask_b32_e64 v11, v1, v11, s[2:3]
	v_cndmask_b32_e64 v10, v0, v10, s[2:3]
	ds_bpermute_b32 v16, v20, v10
	s_waitcnt lgkmcnt(1)
	v_cmp_lt_f64_e64 s[2:3], v[8:9], v[12:13]
	v_cndmask_b32_e64 v8, v8, v12, s[2:3]
	v_xor_b32_e32 v12, 4, v7
	v_cmp_lt_i32_e64 s[4:5], v12, v15
	v_cndmask_b32_e64 v12, v7, v12, s[4:5]
	ds_bpermute_b32 v17, v20, v11
	v_cndmask_b32_e64 v9, v9, v13, s[2:3]
	v_lshlrev_b32_e32 v21, 2, v12
	ds_bpermute_b32 v12, v21, v8
	ds_bpermute_b32 v13, v21, v9
	s_waitcnt lgkmcnt(2)
	v_cmp_lt_f64_e64 s[2:3], v[10:11], v[16:17]
	v_cndmask_b32_e64 v11, v11, v17, s[2:3]
	v_cndmask_b32_e64 v10, v10, v16, s[2:3]
	ds_bpermute_b32 v16, v21, v10
	s_waitcnt lgkmcnt(1)
	v_cmp_lt_f64_e64 s[2:3], v[8:9], v[12:13]
	v_cndmask_b32_e64 v8, v8, v12, s[2:3]
	v_xor_b32_e32 v12, 2, v7
	v_cmp_lt_i32_e64 s[4:5], v12, v15
	v_cndmask_b32_e64 v12, v7, v12, s[4:5]
	ds_bpermute_b32 v17, v21, v11
	v_cndmask_b32_e64 v9, v9, v13, s[2:3]
	v_lshlrev_b32_e32 v22, 2, v12
	ds_bpermute_b32 v12, v22, v8
	ds_bpermute_b32 v13, v22, v9
	s_waitcnt lgkmcnt(2)
	v_cmp_lt_f64_e64 s[2:3], v[10:11], v[16:17]
	v_cndmask_b32_e64 v11, v11, v17, s[2:3]
	v_cndmask_b32_e64 v10, v10, v16, s[2:3]
	ds_bpermute_b32 v16, v22, v10
	s_waitcnt lgkmcnt(1)
	v_cmp_lt_f64_e64 s[2:3], v[8:9], v[12:13]
	ds_bpermute_b32 v17, v22, v11
	v_cndmask_b32_e64 v8, v8, v12, s[2:3]
	v_xor_b32_e32 v12, 1, v7
	v_cmp_lt_i32_e64 s[4:5], v12, v15
	v_cndmask_b32_e64 v7, v7, v12, s[4:5]
	v_cndmask_b32_e64 v9, v9, v13, s[2:3]
	v_lshlrev_b32_e32 v15, 2, v7
	ds_bpermute_b32 v12, v15, v8
	ds_bpermute_b32 v13, v15, v9
	s_waitcnt lgkmcnt(2)
	v_cmp_lt_f64_e64 s[2:3], v[10:11], v[16:17]
	v_cndmask_b32_e64 v11, v11, v17, s[2:3]
	v_cndmask_b32_e64 v10, v10, v16, s[2:3]
	ds_bpermute_b32 v16, v15, v10
	ds_bpermute_b32 v17, v15, v11
	s_waitcnt lgkmcnt(2)
	v_cmp_lt_f64_e64 s[2:3], v[8:9], v[12:13]
	v_cndmask_b32_e64 v9, v9, v13, s[2:3]
	v_cndmask_b32_e64 v8, v8, v12, s[2:3]
	s_mov_b32 s6, 0x652b82fe
	v_add_f64 v[4:5], v[4:5], -v[8:9]
	s_mov_b32 s7, 0x3ff71547
	s_waitcnt lgkmcnt(0)
	v_cmp_lt_f64_e64 s[2:3], v[10:11], v[16:17]
	v_mul_f64 v[8:9], v[4:5], s[6:7]
	s_mov_b32 s10, 0xfefa39ef
	v_cndmask_b32_e64 v11, v11, v17, s[2:3]
	v_cndmask_b32_e64 v10, v10, v16, s[2:3]
	v_rndne_f64_e32 v[8:9], v[8:9]
	s_mov_b32 s11, 0xbfe62e42
	s_mov_b32 s12, 0x3b39803f
	;; [unrolled: 1-line block ×3, first 2 shown]
	v_fma_f64 v[12:13], s[10:11], v[8:9], v[4:5]
	s_mov_b32 s13, 0xbc7abc9e
	s_mov_b32 s3, 0x3e928af3
	;; [unrolled: 1-line block ×3, first 2 shown]
	v_fmac_f64_e32 v[12:13], s[12:13], v[8:9]
	s_mov_b32 s17, 0x3e5ade15
	v_pk_mov_b32 v[16:17], s[2:3], s[2:3] op_sel:[0,1]
	s_mov_b32 s18, 0x623fde64
	v_fma_f64 v[18:19], s[16:17], v[12:13], v[16:17]
	s_mov_b32 s19, 0x3ec71dee
	s_mov_b32 s20, 0x7c89e6b0
	v_fma_f64 v[18:19], v[12:13], v[18:19], s[18:19]
	s_mov_b32 s21, 0x3efa0199
	;; [unrolled: 3-line block ×8, first 2 shown]
	v_fma_f64 v[18:19], v[12:13], v[18:19], s[34:35]
	v_add_f64 v[0:1], v[0:1], -v[10:11]
	v_fma_f64 v[18:19], v[12:13], v[18:19], 1.0
	v_mul_f64 v[10:11], v[0:1], s[6:7]
	v_fma_f64 v[12:13], v[12:13], v[18:19], 1.0
	v_cvt_i32_f64_e32 v7, v[8:9]
	v_rndne_f64_e32 v[10:11], v[10:11]
	v_ldexp_f64 v[8:9], v[12:13], v7
	v_fma_f64 v[12:13], s[10:11], v[10:11], v[0:1]
	v_fmac_f64_e32 v[12:13], s[12:13], v[10:11]
	v_fmac_f64_e32 v[16:17], s[16:17], v[12:13]
	v_fma_f64 v[16:17], v[12:13], v[16:17], s[18:19]
	v_fma_f64 v[16:17], v[12:13], v[16:17], s[20:21]
	;; [unrolled: 1-line block ×7, first 2 shown]
	s_mov_b32 s36, 0
	s_mov_b32 s38, 0
	v_fma_f64 v[16:17], v[12:13], v[16:17], s[34:35]
	s_mov_b32 s37, 0x40900000
	s_mov_b32 s39, 0xc090cc00
	v_fma_f64 v[16:17], v[12:13], v[16:17], 1.0
	v_add_f64 v[8:9], v[8:9], 0
	v_mov_b32_e32 v7, 0x7ff00000
	v_cmp_nlt_f64_e64 s[2:3], s[36:37], v[4:5]
	v_cmp_ngt_f64_e64 s[4:5], s[38:39], v[4:5]
	v_fma_f64 v[12:13], v[12:13], v[16:17], 1.0
	v_cvt_i32_f64_e32 v10, v[10:11]
	v_cndmask_b32_e64 v9, v7, v9, s[2:3]
	s_and_b64 s[2:3], s[4:5], s[2:3]
	v_ldexp_f64 v[10:11], v[12:13], v10
	v_cndmask_b32_e64 v9, 0, v9, s[4:5]
	v_cndmask_b32_e64 v8, 0, v8, s[2:3]
	v_add_f64 v[10:11], v[10:11], 0
	v_cmp_nlt_f64_e64 s[2:3], s[36:37], v[0:1]
	v_cmp_ngt_f64_e64 s[4:5], s[38:39], v[0:1]
	v_cndmask_b32_e64 v7, v7, v11, s[2:3]
	s_and_b64 s[2:3], s[4:5], s[2:3]
	v_cndmask_b32_e64 v11, 0, v7, s[4:5]
	v_cndmask_b32_e64 v10, 0, v10, s[2:3]
	ds_bpermute_b32 v12, v6, v8
	ds_bpermute_b32 v13, v6, v9
	;; [unrolled: 1-line block ×4, first 2 shown]
	s_waitcnt lgkmcnt(2)
	v_add_f64 v[6:7], v[8:9], v[12:13]
	s_waitcnt lgkmcnt(0)
	v_add_f64 v[8:9], v[10:11], v[16:17]
	ds_bpermute_b32 v10, v20, v6
	ds_bpermute_b32 v11, v20, v7
	;; [unrolled: 1-line block ×4, first 2 shown]
	s_waitcnt lgkmcnt(2)
	v_add_f64 v[6:7], v[6:7], v[10:11]
	ds_bpermute_b32 v10, v21, v6
	s_waitcnt lgkmcnt(1)
	v_add_f64 v[8:9], v[8:9], v[12:13]
	ds_bpermute_b32 v11, v21, v7
	ds_bpermute_b32 v12, v21, v8
	;; [unrolled: 1-line block ×3, first 2 shown]
	s_waitcnt lgkmcnt(2)
	v_add_f64 v[6:7], v[6:7], v[10:11]
	ds_bpermute_b32 v10, v22, v6
	s_waitcnt lgkmcnt(1)
	v_add_f64 v[8:9], v[8:9], v[12:13]
	ds_bpermute_b32 v11, v22, v7
	ds_bpermute_b32 v12, v22, v8
	;; [unrolled: 1-line block ×3, first 2 shown]
	s_waitcnt lgkmcnt(2)
	v_add_f64 v[10:11], v[6:7], v[10:11]
	s_waitcnt lgkmcnt(0)
	v_add_f64 v[6:7], v[8:9], v[12:13]
	ds_bpermute_b32 v12, v15, v10
	ds_bpermute_b32 v13, v15, v11
	;; [unrolled: 1-line block ×4, first 2 shown]
	s_and_saveexec_b64 s[2:3], s[0:1]
	s_cbranch_execz .LBB11_10
; %bb.5:
	v_mov_b32_e32 v15, s9
	v_add_co_u32_e64 v2, s[0:1], s8, v2
	v_addc_co_u32_e64 v3, s[0:1], v15, v3, s[0:1]
	s_and_saveexec_b64 s[4:5], vcc
	s_cbranch_execz .LBB11_7
; %bb.6:
	s_waitcnt lgkmcnt(2)
	v_add_f64 v[10:11], v[10:11], v[12:13]
	s_mov_b32 s0, 0x55555555
	v_frexp_mant_f64_e32 v[12:13], v[10:11]
	s_mov_b32 s1, 0x3fe55555
	v_frexp_exp_i32_f64_e32 v15, v[10:11]
	v_cmp_gt_f64_e64 s[0:1], s[0:1], v[12:13]
	v_subbrev_co_u32_e64 v15, s[2:3], 0, v15, s[0:1]
	v_cvt_f64_i32_e32 v[18:19], v15
	v_mov_b32_e32 v15, 0x3ff00000
	v_mov_b32_e32 v16, 0
	v_cndmask_b32_e64 v17, v15, 2.0, s[0:1]
	v_mul_f64 v[12:13], v[12:13], v[16:17]
	v_add_f64 v[16:17], v[12:13], 1.0
	v_rcp_f64_e32 v[24:25], v[16:17]
	v_add_f64 v[26:27], v[12:13], -1.0
	v_add_f64 v[32:33], v[16:17], -1.0
	v_add_f64 v[12:13], v[12:13], -v[32:33]
	v_fma_f64 v[28:29], -v[16:17], v[24:25], 1.0
	v_fmac_f64_e32 v[24:25], v[28:29], v[24:25]
	v_fma_f64 v[28:29], -v[16:17], v[24:25], 1.0
	v_fmac_f64_e32 v[24:25], v[28:29], v[24:25]
	v_mul_f64 v[28:29], v[26:27], v[24:25]
	v_mul_f64 v[30:31], v[16:17], v[28:29]
	v_fma_f64 v[16:17], v[28:29], v[16:17], -v[30:31]
	v_fmac_f64_e32 v[16:17], v[28:29], v[12:13]
	v_add_f64 v[12:13], v[30:31], v[16:17]
	v_add_f64 v[32:33], v[26:27], -v[12:13]
	v_add_f64 v[30:31], v[12:13], -v[30:31]
	;; [unrolled: 1-line block ×5, first 2 shown]
	v_add_f64 v[12:13], v[16:17], v[12:13]
	v_add_f64 v[12:13], v[32:33], v[12:13]
	v_mul_f64 v[12:13], v[24:25], v[12:13]
	v_add_f64 v[16:17], v[28:29], v[12:13]
	s_mov_b32 s0, 0xbf559e2b
	v_mul_f64 v[26:27], v[16:17], v[16:17]
	v_mov_b32_e32 v32, 0x6b47b09a
	v_mov_b32_e32 v33, 0x3fc38538
	s_mov_b32 s1, 0x3fc3ab76
	v_fmac_f64_e32 v[32:33], s[0:1], v[26:27]
	v_mov_b32_e32 v34, 0xd7f4df2e
	v_mov_b32_e32 v35, 0x3fc7474d
	v_fmac_f64_e32 v[34:35], v[26:27], v[32:33]
	v_mov_b32_e32 v32, 0x16291751
	v_mov_b32_e32 v33, 0x3fcc71c0
	;; [unrolled: 3-line block ×5, first 2 shown]
	s_mov_b32 s2, 0xfefa39ef
	v_mul_f64 v[30:31], v[16:17], v[26:27]
	v_fmac_f64_e32 v[34:35], v[26:27], v[32:33]
	s_mov_b32 s3, 0x3fe62e42
	v_ldexp_f64 v[24:25], v[16:17], 1
	v_mul_f64 v[26:27], v[30:31], v[34:35]
	v_mul_f64 v[20:21], v[18:19], s[2:3]
	v_add_f64 v[30:31], v[24:25], v[26:27]
	v_add_f64 v[16:17], v[16:17], -v[28:29]
	v_fma_f64 v[22:23], v[18:19], s[2:3], -v[20:21]
	s_mov_b32 s2, 0x3b39803f
	v_add_f64 v[12:13], v[12:13], -v[16:17]
	v_add_f64 v[16:17], v[30:31], -v[24:25]
	s_mov_b32 s3, 0x3c7abc9e
	v_ldexp_f64 v[12:13], v[12:13], 1
	v_add_f64 v[16:17], v[26:27], -v[16:17]
	v_fmac_f64_e32 v[22:23], s[2:3], v[18:19]
	v_add_f64 v[12:13], v[12:13], v[16:17]
	v_add_f64 v[18:19], v[20:21], v[22:23]
	;; [unrolled: 1-line block ×4, first 2 shown]
	v_add_f64 v[20:21], v[18:19], -v[20:21]
	v_add_f64 v[20:21], v[22:23], -v[20:21]
	;; [unrolled: 1-line block ×7, first 2 shown]
	v_add_f64 v[22:23], v[20:21], v[12:13]
	v_add_f64 v[18:19], v[18:19], -v[26:27]
	v_add_f64 v[16:17], v[16:17], v[18:19]
	v_add_f64 v[26:27], v[22:23], -v[20:21]
	;; [unrolled: 2-line block ×4, first 2 shown]
	v_add_f64 v[20:21], v[20:21], -v[22:23]
	v_add_f64 v[12:13], v[12:13], v[20:21]
	v_add_f64 v[20:21], v[18:19], -v[24:25]
	v_add_f64 v[16:17], v[16:17], -v[20:21]
	s_movk_i32 s6, 0x204
	v_add_f64 v[12:13], v[12:13], v[16:17]
	v_add_f64 v[12:13], v[18:19], v[12:13]
	v_cmp_class_f64_e64 s[0:1], v[10:11], s6
	v_cndmask_b32_e64 v12, v12, v10, s[0:1]
	v_cndmask_b32_e64 v13, v13, v11, s[0:1]
	v_mov_b32_e32 v15, 0x7ff80000
	v_cmp_ngt_f64_e64 s[0:1], 0, v[10:11]
	v_cndmask_b32_e64 v13, v15, v13, s[0:1]
	v_cmp_nge_f64_e64 s[0:1], 0, v[10:11]
	v_cndmask_b32_e64 v12, 0, v12, s[0:1]
	v_mov_b32_e32 v15, 0xfff00000
	v_cmp_neq_f64_e64 s[0:1], 0, v[10:11]
	v_cndmask_b32_e64 v13, v15, v13, s[0:1]
	v_add_f64 v[4:5], v[4:5], -v[12:13]
	global_store_dwordx2 v[2:3], v[4:5], off
.LBB11_7:
	s_or_b64 exec, exec, s[4:5]
	v_cmp_ne_u32_e64 s[0:1], 1, v14
	s_and_b64 exec, exec, s[0:1]
	s_cbranch_execz .LBB11_10
; %bb.8:
	s_and_b64 exec, exec, vcc
	s_cbranch_execz .LBB11_10
; %bb.9:
	s_waitcnt lgkmcnt(0)
	v_add_f64 v[4:5], v[6:7], v[8:9]
	s_mov_b32 s0, 0x55555555
	v_frexp_mant_f64_e32 v[6:7], v[4:5]
	s_mov_b32 s1, 0x3fe55555
	v_frexp_exp_i32_f64_e32 v9, v[4:5]
	v_cmp_gt_f64_e32 vcc, s[0:1], v[6:7]
	v_subbrev_co_u32_e64 v9, s[0:1], 0, v9, vcc
	v_cvt_f64_i32_e32 v[10:11], v9
	v_mov_b32_e32 v9, 0x3ff00000
	v_mov_b32_e32 v8, 0
	v_cndmask_b32_e64 v9, v9, 2.0, vcc
	v_mul_f64 v[6:7], v[6:7], v[8:9]
	v_add_f64 v[8:9], v[6:7], 1.0
	v_rcp_f64_e32 v[16:17], v[8:9]
	v_add_f64 v[18:19], v[6:7], -1.0
	v_add_f64 v[24:25], v[8:9], -1.0
	v_add_f64 v[6:7], v[6:7], -v[24:25]
	v_fma_f64 v[20:21], -v[8:9], v[16:17], 1.0
	v_fmac_f64_e32 v[16:17], v[20:21], v[16:17]
	v_fma_f64 v[20:21], -v[8:9], v[16:17], 1.0
	v_fmac_f64_e32 v[16:17], v[20:21], v[16:17]
	v_mul_f64 v[20:21], v[18:19], v[16:17]
	v_mul_f64 v[22:23], v[8:9], v[20:21]
	v_fma_f64 v[8:9], v[20:21], v[8:9], -v[22:23]
	v_fmac_f64_e32 v[8:9], v[20:21], v[6:7]
	v_add_f64 v[6:7], v[22:23], v[8:9]
	v_add_f64 v[24:25], v[18:19], -v[6:7]
	s_mov_b32 s0, 0xfefa39ef
	v_add_f64 v[22:23], v[6:7], -v[22:23]
	v_add_f64 v[18:19], v[18:19], -v[24:25]
	s_mov_b32 s1, 0x3fe62e42
	v_add_f64 v[8:9], v[22:23], -v[8:9]
	v_add_f64 v[6:7], v[18:19], -v[6:7]
	v_mul_f64 v[12:13], v[10:11], s[0:1]
	v_add_f64 v[6:7], v[8:9], v[6:7]
	v_fma_f64 v[14:15], v[10:11], s[0:1], -v[12:13]
	s_mov_b32 s0, 0x3b39803f
	v_add_f64 v[6:7], v[24:25], v[6:7]
	s_mov_b32 s1, 0x3c7abc9e
	v_mul_f64 v[6:7], v[16:17], v[6:7]
	v_fmac_f64_e32 v[14:15], s[0:1], v[10:11]
	v_add_f64 v[8:9], v[20:21], v[6:7]
	s_mov_b32 s0, 0xbf559e2b
	v_mul_f64 v[18:19], v[8:9], v[8:9]
	v_mov_b32_e32 v24, 0x6b47b09a
	v_mov_b32_e32 v25, 0x3fc38538
	s_mov_b32 s1, 0x3fc3ab76
	v_fmac_f64_e32 v[24:25], s[0:1], v[18:19]
	v_mov_b32_e32 v26, 0xd7f4df2e
	v_mov_b32_e32 v27, 0x3fc7474d
	v_fmac_f64_e32 v[26:27], v[18:19], v[24:25]
	v_mov_b32_e32 v24, 0x16291751
	v_mov_b32_e32 v25, 0x3fcc71c0
	;; [unrolled: 3-line block ×5, first 2 shown]
	v_mul_f64 v[22:23], v[8:9], v[18:19]
	v_fmac_f64_e32 v[26:27], v[18:19], v[24:25]
	v_ldexp_f64 v[16:17], v[8:9], 1
	v_mul_f64 v[18:19], v[22:23], v[26:27]
	v_add_f64 v[22:23], v[16:17], v[18:19]
	v_add_f64 v[8:9], v[8:9], -v[20:21]
	v_add_f64 v[6:7], v[6:7], -v[8:9]
	v_add_f64 v[8:9], v[22:23], -v[16:17]
	v_ldexp_f64 v[6:7], v[6:7], 1
	v_add_f64 v[8:9], v[18:19], -v[8:9]
	v_add_f64 v[6:7], v[6:7], v[8:9]
	v_add_f64 v[10:11], v[12:13], v[14:15]
	;; [unrolled: 1-line block ×4, first 2 shown]
	v_add_f64 v[12:13], v[10:11], -v[12:13]
	v_add_f64 v[12:13], v[14:15], -v[12:13]
	;; [unrolled: 1-line block ×7, first 2 shown]
	v_add_f64 v[14:15], v[12:13], v[6:7]
	v_add_f64 v[10:11], v[10:11], -v[18:19]
	v_add_f64 v[8:9], v[8:9], v[10:11]
	v_add_f64 v[18:19], v[14:15], -v[12:13]
	;; [unrolled: 2-line block ×4, first 2 shown]
	v_add_f64 v[12:13], v[12:13], -v[14:15]
	v_add_f64 v[6:7], v[6:7], v[12:13]
	v_add_f64 v[12:13], v[10:11], -v[16:17]
	v_add_f64 v[8:9], v[8:9], -v[12:13]
	s_movk_i32 s2, 0x204
	v_add_f64 v[6:7], v[6:7], v[8:9]
	v_add_f64 v[6:7], v[10:11], v[6:7]
	v_cmp_class_f64_e64 vcc, v[4:5], s2
	v_cndmask_b32_e32 v6, v6, v4, vcc
	v_cndmask_b32_e32 v7, v7, v5, vcc
	v_mov_b32_e32 v8, 0x7ff80000
	v_cmp_ngt_f64_e32 vcc, 0, v[4:5]
	s_mov_b32 s15, 0
	v_cndmask_b32_e32 v7, v8, v7, vcc
	v_cmp_nge_f64_e32 vcc, 0, v[4:5]
	v_cndmask_b32_e32 v6, 0, v6, vcc
	v_mov_b32_e32 v8, 0xfff00000
	v_cmp_neq_f64_e32 vcc, 0, v[4:5]
	s_lshl_b64 s[0:1], s[14:15], 3
	v_cndmask_b32_e32 v7, v8, v7, vcc
	v_mov_b32_e32 v4, s1
	v_add_co_u32_e32 v2, vcc, s0, v2
	v_add_f64 v[0:1], v[0:1], -v[6:7]
	v_addc_co_u32_e32 v3, vcc, v3, v4, vcc
	global_store_dwordx2 v[2:3], v[0:1], off
.LBB11_10:
	s_endpgm
	.section	.rodata,"a",@progbits
	.p2align	6, 0x0
	.amdhsa_kernel _ZN12_GLOBAL__N_120softmax_warp_forwardIdddLi5ELb1ELb0ELi32EEEvPT0_PKT_iiiPKbib
		.amdhsa_group_segment_fixed_size 0
		.amdhsa_private_segment_fixed_size 0
		.amdhsa_kernarg_size 304
		.amdhsa_user_sgpr_count 6
		.amdhsa_user_sgpr_private_segment_buffer 1
		.amdhsa_user_sgpr_dispatch_ptr 0
		.amdhsa_user_sgpr_queue_ptr 0
		.amdhsa_user_sgpr_kernarg_segment_ptr 1
		.amdhsa_user_sgpr_dispatch_id 0
		.amdhsa_user_sgpr_flat_scratch_init 0
		.amdhsa_user_sgpr_kernarg_preload_length 0
		.amdhsa_user_sgpr_kernarg_preload_offset 0
		.amdhsa_user_sgpr_private_segment_size 0
		.amdhsa_uses_dynamic_stack 0
		.amdhsa_system_sgpr_private_segment_wavefront_offset 0
		.amdhsa_system_sgpr_workgroup_id_x 1
		.amdhsa_system_sgpr_workgroup_id_y 0
		.amdhsa_system_sgpr_workgroup_id_z 0
		.amdhsa_system_sgpr_workgroup_info 0
		.amdhsa_system_vgpr_workitem_id 1
		.amdhsa_next_free_vgpr 36
		.amdhsa_next_free_sgpr 40
		.amdhsa_accum_offset 36
		.amdhsa_reserve_vcc 1
		.amdhsa_reserve_flat_scratch 0
		.amdhsa_float_round_mode_32 0
		.amdhsa_float_round_mode_16_64 0
		.amdhsa_float_denorm_mode_32 3
		.amdhsa_float_denorm_mode_16_64 3
		.amdhsa_dx10_clamp 1
		.amdhsa_ieee_mode 1
		.amdhsa_fp16_overflow 0
		.amdhsa_tg_split 0
		.amdhsa_exception_fp_ieee_invalid_op 0
		.amdhsa_exception_fp_denorm_src 0
		.amdhsa_exception_fp_ieee_div_zero 0
		.amdhsa_exception_fp_ieee_overflow 0
		.amdhsa_exception_fp_ieee_underflow 0
		.amdhsa_exception_fp_ieee_inexact 0
		.amdhsa_exception_int_div_zero 0
	.end_amdhsa_kernel
	.section	.text._ZN12_GLOBAL__N_120softmax_warp_forwardIdddLi5ELb1ELb0ELi32EEEvPT0_PKT_iiiPKbib,"axG",@progbits,_ZN12_GLOBAL__N_120softmax_warp_forwardIdddLi5ELb1ELb0ELi32EEEvPT0_PKT_iiiPKbib,comdat
.Lfunc_end11:
	.size	_ZN12_GLOBAL__N_120softmax_warp_forwardIdddLi5ELb1ELb0ELi32EEEvPT0_PKT_iiiPKbib, .Lfunc_end11-_ZN12_GLOBAL__N_120softmax_warp_forwardIdddLi5ELb1ELb0ELi32EEEvPT0_PKT_iiiPKbib
                                        ; -- End function
	.section	.AMDGPU.csdata,"",@progbits
; Kernel info:
; codeLenInByte = 3368
; NumSgprs: 44
; NumVgprs: 36
; NumAgprs: 0
; TotalNumVgprs: 36
; ScratchSize: 0
; MemoryBound: 0
; FloatMode: 240
; IeeeMode: 1
; LDSByteSize: 0 bytes/workgroup (compile time only)
; SGPRBlocks: 5
; VGPRBlocks: 4
; NumSGPRsForWavesPerEU: 44
; NumVGPRsForWavesPerEU: 36
; AccumOffset: 36
; Occupancy: 8
; WaveLimiterHint : 0
; COMPUTE_PGM_RSRC2:SCRATCH_EN: 0
; COMPUTE_PGM_RSRC2:USER_SGPR: 6
; COMPUTE_PGM_RSRC2:TRAP_HANDLER: 0
; COMPUTE_PGM_RSRC2:TGID_X_EN: 1
; COMPUTE_PGM_RSRC2:TGID_Y_EN: 0
; COMPUTE_PGM_RSRC2:TGID_Z_EN: 0
; COMPUTE_PGM_RSRC2:TIDIG_COMP_CNT: 1
; COMPUTE_PGM_RSRC3_GFX90A:ACCUM_OFFSET: 8
; COMPUTE_PGM_RSRC3_GFX90A:TG_SPLIT: 0
	.section	.text._ZN12_GLOBAL__N_120softmax_warp_forwardIdddLi6ELb1ELb0ELi64EEEvPT0_PKT_iiiPKbib,"axG",@progbits,_ZN12_GLOBAL__N_120softmax_warp_forwardIdddLi6ELb1ELb0ELi64EEEvPT0_PKT_iiiPKbib,comdat
	.globl	_ZN12_GLOBAL__N_120softmax_warp_forwardIdddLi6ELb1ELb0ELi64EEEvPT0_PKT_iiiPKbib ; -- Begin function _ZN12_GLOBAL__N_120softmax_warp_forwardIdddLi6ELb1ELb0ELi64EEEvPT0_PKT_iiiPKbib
	.p2align	8
	.type	_ZN12_GLOBAL__N_120softmax_warp_forwardIdddLi6ELb1ELb0ELi64EEEvPT0_PKT_iiiPKbib,@function
_ZN12_GLOBAL__N_120softmax_warp_forwardIdddLi6ELb1ELb0ELi64EEEvPT0_PKT_iiiPKbib: ; @_ZN12_GLOBAL__N_120softmax_warp_forwardIdddLi6ELb1ELb0ELi64EEEvPT0_PKT_iiiPKbib
; %bb.0:
	s_load_dword s0, s[4:5], 0x3c
	s_load_dwordx8 s[8:15], s[4:5], 0x0
	v_bfe_u32 v1, v0, 10, 10
	v_and_b32_e32 v0, 0x3ff, v0
	s_waitcnt lgkmcnt(0)
	s_lshr_b32 s0, s0, 16
	s_mul_i32 s6, s6, s0
	v_add_lshl_u32 v1, s6, v1, 1
	v_mad_u64_u32 v[2:3], s[0:1], v1, s13, v[0:1]
	v_ashrrev_i32_e32 v3, 31, v2
	v_lshlrev_b64 v[2:3], 3, v[2:3]
	v_sub_u32_e32 v14, s12, v1
	v_mov_b32_e32 v1, s11
	v_add_co_u32_e32 v6, vcc, s10, v2
	v_addc_co_u32_e32 v7, vcc, v1, v3, vcc
	v_cmp_gt_i32_e32 vcc, s14, v0
	v_mov_b32_e32 v0, 0
	v_cmp_lt_i32_e64 s[0:1], 0, v14
	v_mov_b32_e32 v1, 0xfff00000
	s_and_b64 s[4:5], vcc, s[0:1]
	v_pk_mov_b32 v[4:5], v[0:1], v[0:1] op_sel:[0,1]
	s_and_saveexec_b64 s[2:3], s[4:5]
	s_cbranch_execz .LBB12_2
; %bb.1:
	global_load_dwordx2 v[4:5], v[6:7], off
.LBB12_2:
	s_or_b64 exec, exec, s[2:3]
	v_cmp_lt_i32_e64 s[2:3], 1, v14
	s_and_b64 s[2:3], vcc, s[2:3]
	s_and_saveexec_b64 s[4:5], s[2:3]
	s_cbranch_execz .LBB12_4
; %bb.3:
	s_mov_b32 s15, 0
	s_lshl_b64 s[2:3], s[14:15], 3
	v_mov_b32_e32 v1, s3
	v_add_co_u32_e64 v0, s[2:3], s2, v6
	v_addc_co_u32_e64 v1, s[2:3], v7, v1, s[2:3]
	global_load_dwordx2 v[0:1], v[0:1], off
.LBB12_4:
	s_or_b64 exec, exec, s[4:5]
	v_mbcnt_lo_u32_b32 v6, -1, 0
	v_mbcnt_hi_u32_b32 v15, -1, v6
	v_and_b32_e32 v6, 64, v15
	v_add_u32_e32 v20, 64, v6
	v_xor_b32_e32 v6, 32, v15
	v_cmp_lt_i32_e64 s[2:3], v6, v20
	v_cndmask_b32_e64 v6, v15, v6, s[2:3]
	v_lshlrev_b32_e32 v6, 2, v6
	s_waitcnt vmcnt(0)
	ds_bpermute_b32 v8, v6, v4
	ds_bpermute_b32 v9, v6, v5
	v_xor_b32_e32 v7, 16, v15
	v_cmp_lt_i32_e64 s[4:5], v7, v20
	v_cndmask_b32_e64 v7, v15, v7, s[4:5]
	ds_bpermute_b32 v10, v6, v0
	s_waitcnt lgkmcnt(1)
	v_cmp_lt_f64_e64 s[2:3], v[4:5], v[8:9]
	ds_bpermute_b32 v11, v6, v1
	v_cndmask_b32_e64 v9, v5, v9, s[2:3]
	v_cndmask_b32_e64 v8, v4, v8, s[2:3]
	v_lshlrev_b32_e32 v7, 2, v7
	ds_bpermute_b32 v12, v7, v8
	ds_bpermute_b32 v13, v7, v9
	s_waitcnt lgkmcnt(2)
	v_cmp_lt_f64_e64 s[2:3], v[0:1], v[10:11]
	v_cndmask_b32_e64 v11, v1, v11, s[2:3]
	v_cndmask_b32_e64 v10, v0, v10, s[2:3]
	ds_bpermute_b32 v16, v7, v10
	s_waitcnt lgkmcnt(1)
	v_cmp_lt_f64_e64 s[2:3], v[8:9], v[12:13]
	ds_bpermute_b32 v17, v7, v11
	v_cndmask_b32_e64 v12, v8, v12, s[2:3]
	v_xor_b32_e32 v8, 8, v15
	v_cmp_lt_i32_e64 s[4:5], v8, v20
	v_cndmask_b32_e64 v8, v15, v8, s[4:5]
	v_cndmask_b32_e64 v13, v9, v13, s[2:3]
	v_lshlrev_b32_e32 v8, 2, v8
	ds_bpermute_b32 v18, v8, v12
	ds_bpermute_b32 v19, v8, v13
	s_waitcnt lgkmcnt(2)
	v_cmp_lt_f64_e64 s[2:3], v[10:11], v[16:17]
	v_cndmask_b32_e64 v11, v11, v17, s[2:3]
	v_cndmask_b32_e64 v10, v10, v16, s[2:3]
	ds_bpermute_b32 v16, v8, v10
	ds_bpermute_b32 v17, v8, v11
	v_xor_b32_e32 v9, 4, v15
	v_cmp_lt_i32_e64 s[4:5], v9, v20
	s_waitcnt lgkmcnt(2)
	v_cmp_lt_f64_e64 s[2:3], v[12:13], v[18:19]
	v_cndmask_b32_e64 v9, v15, v9, s[4:5]
	v_cndmask_b32_e64 v13, v13, v19, s[2:3]
	v_cndmask_b32_e64 v12, v12, v18, s[2:3]
	v_lshlrev_b32_e32 v22, 2, v9
	ds_bpermute_b32 v18, v22, v12
	ds_bpermute_b32 v19, v22, v13
	s_waitcnt lgkmcnt(2)
	v_cmp_lt_f64_e64 s[2:3], v[10:11], v[16:17]
	v_cndmask_b32_e64 v11, v11, v17, s[2:3]
	v_cndmask_b32_e64 v10, v10, v16, s[2:3]
	ds_bpermute_b32 v16, v22, v10
	ds_bpermute_b32 v17, v22, v11
	v_xor_b32_e32 v9, 2, v15
	v_cmp_lt_i32_e64 s[4:5], v9, v20
	s_waitcnt lgkmcnt(2)
	v_cmp_lt_f64_e64 s[2:3], v[12:13], v[18:19]
	v_cndmask_b32_e64 v9, v15, v9, s[4:5]
	;; [unrolled: 16-line block ×3, first 2 shown]
	v_cndmask_b32_e64 v13, v13, v19, s[2:3]
	v_cndmask_b32_e64 v12, v12, v18, s[2:3]
	v_lshlrev_b32_e32 v15, 2, v9
	ds_bpermute_b32 v18, v15, v12
	ds_bpermute_b32 v19, v15, v13
	s_waitcnt lgkmcnt(2)
	v_cmp_lt_f64_e64 s[2:3], v[10:11], v[16:17]
	v_cndmask_b32_e64 v11, v11, v17, s[2:3]
	v_cndmask_b32_e64 v10, v10, v16, s[2:3]
	ds_bpermute_b32 v16, v15, v10
	ds_bpermute_b32 v17, v15, v11
	s_waitcnt lgkmcnt(2)
	v_cmp_lt_f64_e64 s[2:3], v[12:13], v[18:19]
	v_cndmask_b32_e64 v13, v13, v19, s[2:3]
	v_cndmask_b32_e64 v12, v12, v18, s[2:3]
	s_mov_b32 s6, 0x652b82fe
	v_add_f64 v[4:5], v[4:5], -v[12:13]
	s_mov_b32 s7, 0x3ff71547
	s_waitcnt lgkmcnt(0)
	v_cmp_lt_f64_e64 s[2:3], v[10:11], v[16:17]
	v_mul_f64 v[12:13], v[4:5], s[6:7]
	s_mov_b32 s10, 0xfefa39ef
	v_cndmask_b32_e64 v11, v11, v17, s[2:3]
	v_cndmask_b32_e64 v10, v10, v16, s[2:3]
	v_rndne_f64_e32 v[12:13], v[12:13]
	s_mov_b32 s11, 0xbfe62e42
	s_mov_b32 s12, 0x3b39803f
	;; [unrolled: 1-line block ×3, first 2 shown]
	v_fma_f64 v[16:17], s[10:11], v[12:13], v[4:5]
	s_mov_b32 s13, 0xbc7abc9e
	s_mov_b32 s3, 0x3e928af3
	;; [unrolled: 1-line block ×3, first 2 shown]
	v_fmac_f64_e32 v[16:17], s[12:13], v[12:13]
	s_mov_b32 s17, 0x3e5ade15
	v_pk_mov_b32 v[18:19], s[2:3], s[2:3] op_sel:[0,1]
	s_mov_b32 s18, 0x623fde64
	v_fma_f64 v[20:21], s[16:17], v[16:17], v[18:19]
	s_mov_b32 s19, 0x3ec71dee
	s_mov_b32 s20, 0x7c89e6b0
	v_fma_f64 v[20:21], v[16:17], v[20:21], s[18:19]
	s_mov_b32 s21, 0x3efa0199
	;; [unrolled: 3-line block ×8, first 2 shown]
	v_fma_f64 v[20:21], v[16:17], v[20:21], s[34:35]
	v_add_f64 v[0:1], v[0:1], -v[10:11]
	v_fma_f64 v[20:21], v[16:17], v[20:21], 1.0
	v_mul_f64 v[10:11], v[0:1], s[6:7]
	v_fma_f64 v[16:17], v[16:17], v[20:21], 1.0
	v_cvt_i32_f64_e32 v9, v[12:13]
	v_rndne_f64_e32 v[10:11], v[10:11]
	v_ldexp_f64 v[12:13], v[16:17], v9
	v_fma_f64 v[16:17], s[10:11], v[10:11], v[0:1]
	v_fmac_f64_e32 v[16:17], s[12:13], v[10:11]
	v_fmac_f64_e32 v[18:19], s[16:17], v[16:17]
	v_fma_f64 v[18:19], v[16:17], v[18:19], s[18:19]
	v_fma_f64 v[18:19], v[16:17], v[18:19], s[20:21]
	;; [unrolled: 1-line block ×7, first 2 shown]
	s_mov_b32 s36, 0
	s_mov_b32 s38, 0
	v_fma_f64 v[18:19], v[16:17], v[18:19], s[34:35]
	s_mov_b32 s37, 0x40900000
	s_mov_b32 s39, 0xc090cc00
	v_fma_f64 v[18:19], v[16:17], v[18:19], 1.0
	v_add_f64 v[12:13], v[12:13], 0
	v_mov_b32_e32 v9, 0x7ff00000
	v_cmp_nlt_f64_e64 s[2:3], s[36:37], v[4:5]
	v_cmp_ngt_f64_e64 s[4:5], s[38:39], v[4:5]
	v_fma_f64 v[16:17], v[16:17], v[18:19], 1.0
	v_cvt_i32_f64_e32 v10, v[10:11]
	v_cndmask_b32_e64 v13, v9, v13, s[2:3]
	s_and_b64 s[2:3], s[4:5], s[2:3]
	v_ldexp_f64 v[10:11], v[16:17], v10
	v_cndmask_b32_e64 v13, 0, v13, s[4:5]
	v_cndmask_b32_e64 v12, 0, v12, s[2:3]
	v_add_f64 v[10:11], v[10:11], 0
	v_cmp_nlt_f64_e64 s[2:3], s[36:37], v[0:1]
	v_cmp_ngt_f64_e64 s[4:5], s[38:39], v[0:1]
	v_cndmask_b32_e64 v9, v9, v11, s[2:3]
	s_and_b64 s[2:3], s[4:5], s[2:3]
	v_cndmask_b32_e64 v11, 0, v9, s[4:5]
	v_cndmask_b32_e64 v10, 0, v10, s[2:3]
	ds_bpermute_b32 v16, v6, v12
	ds_bpermute_b32 v17, v6, v13
	;; [unrolled: 1-line block ×4, first 2 shown]
	s_waitcnt lgkmcnt(2)
	v_add_f64 v[12:13], v[12:13], v[16:17]
	ds_bpermute_b32 v16, v7, v12
	s_waitcnt lgkmcnt(1)
	v_add_f64 v[10:11], v[10:11], v[18:19]
	ds_bpermute_b32 v17, v7, v13
	ds_bpermute_b32 v6, v7, v10
	;; [unrolled: 1-line block ×3, first 2 shown]
	s_waitcnt lgkmcnt(2)
	v_add_f64 v[12:13], v[12:13], v[16:17]
	s_waitcnt lgkmcnt(0)
	v_add_f64 v[6:7], v[10:11], v[6:7]
	ds_bpermute_b32 v10, v8, v12
	ds_bpermute_b32 v11, v8, v13
	;; [unrolled: 1-line block ×4, first 2 shown]
	s_waitcnt lgkmcnt(2)
	v_add_f64 v[8:9], v[12:13], v[10:11]
	ds_bpermute_b32 v10, v22, v8
	s_waitcnt lgkmcnt(1)
	v_add_f64 v[6:7], v[6:7], v[16:17]
	ds_bpermute_b32 v11, v22, v9
	ds_bpermute_b32 v12, v22, v6
	;; [unrolled: 1-line block ×3, first 2 shown]
	s_waitcnt lgkmcnt(2)
	v_add_f64 v[8:9], v[8:9], v[10:11]
	ds_bpermute_b32 v10, v23, v8
	s_waitcnt lgkmcnt(1)
	v_add_f64 v[6:7], v[6:7], v[12:13]
	ds_bpermute_b32 v11, v23, v9
	ds_bpermute_b32 v12, v23, v6
	;; [unrolled: 1-line block ×3, first 2 shown]
	s_waitcnt lgkmcnt(2)
	v_add_f64 v[10:11], v[8:9], v[10:11]
	s_waitcnt lgkmcnt(0)
	v_add_f64 v[6:7], v[6:7], v[12:13]
	ds_bpermute_b32 v12, v15, v10
	ds_bpermute_b32 v13, v15, v11
	;; [unrolled: 1-line block ×4, first 2 shown]
	s_and_saveexec_b64 s[2:3], s[0:1]
	s_cbranch_execz .LBB12_10
; %bb.5:
	v_mov_b32_e32 v15, s9
	v_add_co_u32_e64 v2, s[0:1], s8, v2
	v_addc_co_u32_e64 v3, s[0:1], v15, v3, s[0:1]
	s_and_saveexec_b64 s[4:5], vcc
	s_cbranch_execz .LBB12_7
; %bb.6:
	s_waitcnt lgkmcnt(2)
	v_add_f64 v[10:11], v[10:11], v[12:13]
	s_mov_b32 s0, 0x55555555
	v_frexp_mant_f64_e32 v[12:13], v[10:11]
	s_mov_b32 s1, 0x3fe55555
	v_frexp_exp_i32_f64_e32 v15, v[10:11]
	v_cmp_gt_f64_e64 s[0:1], s[0:1], v[12:13]
	v_subbrev_co_u32_e64 v15, s[2:3], 0, v15, s[0:1]
	v_cvt_f64_i32_e32 v[18:19], v15
	v_mov_b32_e32 v15, 0x3ff00000
	v_mov_b32_e32 v16, 0
	v_cndmask_b32_e64 v17, v15, 2.0, s[0:1]
	v_mul_f64 v[12:13], v[12:13], v[16:17]
	v_add_f64 v[16:17], v[12:13], 1.0
	v_rcp_f64_e32 v[24:25], v[16:17]
	v_add_f64 v[26:27], v[12:13], -1.0
	v_add_f64 v[32:33], v[16:17], -1.0
	v_add_f64 v[12:13], v[12:13], -v[32:33]
	v_fma_f64 v[28:29], -v[16:17], v[24:25], 1.0
	v_fmac_f64_e32 v[24:25], v[28:29], v[24:25]
	v_fma_f64 v[28:29], -v[16:17], v[24:25], 1.0
	v_fmac_f64_e32 v[24:25], v[28:29], v[24:25]
	v_mul_f64 v[28:29], v[26:27], v[24:25]
	v_mul_f64 v[30:31], v[16:17], v[28:29]
	v_fma_f64 v[16:17], v[28:29], v[16:17], -v[30:31]
	v_fmac_f64_e32 v[16:17], v[28:29], v[12:13]
	v_add_f64 v[12:13], v[30:31], v[16:17]
	v_add_f64 v[32:33], v[26:27], -v[12:13]
	v_add_f64 v[30:31], v[12:13], -v[30:31]
	;; [unrolled: 1-line block ×5, first 2 shown]
	v_add_f64 v[12:13], v[16:17], v[12:13]
	v_add_f64 v[12:13], v[32:33], v[12:13]
	v_mul_f64 v[12:13], v[24:25], v[12:13]
	v_add_f64 v[16:17], v[28:29], v[12:13]
	s_mov_b32 s0, 0xbf559e2b
	v_mul_f64 v[26:27], v[16:17], v[16:17]
	v_mov_b32_e32 v32, 0x6b47b09a
	v_mov_b32_e32 v33, 0x3fc38538
	s_mov_b32 s1, 0x3fc3ab76
	v_fmac_f64_e32 v[32:33], s[0:1], v[26:27]
	v_mov_b32_e32 v34, 0xd7f4df2e
	v_mov_b32_e32 v35, 0x3fc7474d
	v_fmac_f64_e32 v[34:35], v[26:27], v[32:33]
	v_mov_b32_e32 v32, 0x16291751
	v_mov_b32_e32 v33, 0x3fcc71c0
	;; [unrolled: 3-line block ×5, first 2 shown]
	s_mov_b32 s2, 0xfefa39ef
	v_mul_f64 v[30:31], v[16:17], v[26:27]
	v_fmac_f64_e32 v[34:35], v[26:27], v[32:33]
	s_mov_b32 s3, 0x3fe62e42
	v_ldexp_f64 v[24:25], v[16:17], 1
	v_mul_f64 v[26:27], v[30:31], v[34:35]
	v_mul_f64 v[20:21], v[18:19], s[2:3]
	v_add_f64 v[30:31], v[24:25], v[26:27]
	v_add_f64 v[16:17], v[16:17], -v[28:29]
	v_fma_f64 v[22:23], v[18:19], s[2:3], -v[20:21]
	s_mov_b32 s2, 0x3b39803f
	v_add_f64 v[12:13], v[12:13], -v[16:17]
	v_add_f64 v[16:17], v[30:31], -v[24:25]
	s_mov_b32 s3, 0x3c7abc9e
	v_ldexp_f64 v[12:13], v[12:13], 1
	v_add_f64 v[16:17], v[26:27], -v[16:17]
	v_fmac_f64_e32 v[22:23], s[2:3], v[18:19]
	v_add_f64 v[12:13], v[12:13], v[16:17]
	v_add_f64 v[18:19], v[20:21], v[22:23]
	;; [unrolled: 1-line block ×4, first 2 shown]
	v_add_f64 v[20:21], v[18:19], -v[20:21]
	v_add_f64 v[20:21], v[22:23], -v[20:21]
	;; [unrolled: 1-line block ×7, first 2 shown]
	v_add_f64 v[22:23], v[20:21], v[12:13]
	v_add_f64 v[18:19], v[18:19], -v[26:27]
	v_add_f64 v[16:17], v[16:17], v[18:19]
	v_add_f64 v[26:27], v[22:23], -v[20:21]
	;; [unrolled: 2-line block ×4, first 2 shown]
	v_add_f64 v[20:21], v[20:21], -v[22:23]
	v_add_f64 v[12:13], v[12:13], v[20:21]
	v_add_f64 v[20:21], v[18:19], -v[24:25]
	v_add_f64 v[16:17], v[16:17], -v[20:21]
	s_movk_i32 s6, 0x204
	v_add_f64 v[12:13], v[12:13], v[16:17]
	v_add_f64 v[12:13], v[18:19], v[12:13]
	v_cmp_class_f64_e64 s[0:1], v[10:11], s6
	v_cndmask_b32_e64 v12, v12, v10, s[0:1]
	v_cndmask_b32_e64 v13, v13, v11, s[0:1]
	v_mov_b32_e32 v15, 0x7ff80000
	v_cmp_ngt_f64_e64 s[0:1], 0, v[10:11]
	v_cndmask_b32_e64 v13, v15, v13, s[0:1]
	v_cmp_nge_f64_e64 s[0:1], 0, v[10:11]
	v_cndmask_b32_e64 v12, 0, v12, s[0:1]
	v_mov_b32_e32 v15, 0xfff00000
	v_cmp_neq_f64_e64 s[0:1], 0, v[10:11]
	v_cndmask_b32_e64 v13, v15, v13, s[0:1]
	v_add_f64 v[4:5], v[4:5], -v[12:13]
	global_store_dwordx2 v[2:3], v[4:5], off
.LBB12_7:
	s_or_b64 exec, exec, s[4:5]
	v_cmp_ne_u32_e64 s[0:1], 1, v14
	s_and_b64 exec, exec, s[0:1]
	s_cbranch_execz .LBB12_10
; %bb.8:
	s_and_b64 exec, exec, vcc
	s_cbranch_execz .LBB12_10
; %bb.9:
	s_waitcnt lgkmcnt(0)
	v_add_f64 v[4:5], v[6:7], v[8:9]
	s_mov_b32 s0, 0x55555555
	v_frexp_mant_f64_e32 v[6:7], v[4:5]
	s_mov_b32 s1, 0x3fe55555
	v_frexp_exp_i32_f64_e32 v9, v[4:5]
	v_cmp_gt_f64_e32 vcc, s[0:1], v[6:7]
	v_subbrev_co_u32_e64 v9, s[0:1], 0, v9, vcc
	v_cvt_f64_i32_e32 v[10:11], v9
	v_mov_b32_e32 v9, 0x3ff00000
	v_mov_b32_e32 v8, 0
	v_cndmask_b32_e64 v9, v9, 2.0, vcc
	v_mul_f64 v[6:7], v[6:7], v[8:9]
	v_add_f64 v[8:9], v[6:7], 1.0
	v_rcp_f64_e32 v[16:17], v[8:9]
	v_add_f64 v[18:19], v[6:7], -1.0
	v_add_f64 v[24:25], v[8:9], -1.0
	v_add_f64 v[6:7], v[6:7], -v[24:25]
	v_fma_f64 v[20:21], -v[8:9], v[16:17], 1.0
	v_fmac_f64_e32 v[16:17], v[20:21], v[16:17]
	v_fma_f64 v[20:21], -v[8:9], v[16:17], 1.0
	v_fmac_f64_e32 v[16:17], v[20:21], v[16:17]
	v_mul_f64 v[20:21], v[18:19], v[16:17]
	v_mul_f64 v[22:23], v[8:9], v[20:21]
	v_fma_f64 v[8:9], v[20:21], v[8:9], -v[22:23]
	v_fmac_f64_e32 v[8:9], v[20:21], v[6:7]
	v_add_f64 v[6:7], v[22:23], v[8:9]
	v_add_f64 v[24:25], v[18:19], -v[6:7]
	s_mov_b32 s0, 0xfefa39ef
	v_add_f64 v[22:23], v[6:7], -v[22:23]
	v_add_f64 v[18:19], v[18:19], -v[24:25]
	s_mov_b32 s1, 0x3fe62e42
	v_add_f64 v[8:9], v[22:23], -v[8:9]
	v_add_f64 v[6:7], v[18:19], -v[6:7]
	v_mul_f64 v[12:13], v[10:11], s[0:1]
	v_add_f64 v[6:7], v[8:9], v[6:7]
	v_fma_f64 v[14:15], v[10:11], s[0:1], -v[12:13]
	s_mov_b32 s0, 0x3b39803f
	v_add_f64 v[6:7], v[24:25], v[6:7]
	s_mov_b32 s1, 0x3c7abc9e
	v_mul_f64 v[6:7], v[16:17], v[6:7]
	v_fmac_f64_e32 v[14:15], s[0:1], v[10:11]
	v_add_f64 v[8:9], v[20:21], v[6:7]
	s_mov_b32 s0, 0xbf559e2b
	v_mul_f64 v[18:19], v[8:9], v[8:9]
	v_mov_b32_e32 v24, 0x6b47b09a
	v_mov_b32_e32 v25, 0x3fc38538
	s_mov_b32 s1, 0x3fc3ab76
	v_fmac_f64_e32 v[24:25], s[0:1], v[18:19]
	v_mov_b32_e32 v26, 0xd7f4df2e
	v_mov_b32_e32 v27, 0x3fc7474d
	v_fmac_f64_e32 v[26:27], v[18:19], v[24:25]
	v_mov_b32_e32 v24, 0x16291751
	v_mov_b32_e32 v25, 0x3fcc71c0
	;; [unrolled: 3-line block ×5, first 2 shown]
	v_mul_f64 v[22:23], v[8:9], v[18:19]
	v_fmac_f64_e32 v[26:27], v[18:19], v[24:25]
	v_ldexp_f64 v[16:17], v[8:9], 1
	v_mul_f64 v[18:19], v[22:23], v[26:27]
	v_add_f64 v[22:23], v[16:17], v[18:19]
	v_add_f64 v[8:9], v[8:9], -v[20:21]
	v_add_f64 v[6:7], v[6:7], -v[8:9]
	;; [unrolled: 1-line block ×3, first 2 shown]
	v_ldexp_f64 v[6:7], v[6:7], 1
	v_add_f64 v[8:9], v[18:19], -v[8:9]
	v_add_f64 v[6:7], v[6:7], v[8:9]
	v_add_f64 v[10:11], v[12:13], v[14:15]
	;; [unrolled: 1-line block ×4, first 2 shown]
	v_add_f64 v[12:13], v[10:11], -v[12:13]
	v_add_f64 v[12:13], v[14:15], -v[12:13]
	v_add_f64 v[14:15], v[8:9], -v[22:23]
	v_add_f64 v[18:19], v[16:17], -v[10:11]
	v_add_f64 v[6:7], v[6:7], -v[14:15]
	v_add_f64 v[8:9], v[8:9], -v[18:19]
	v_add_f64 v[18:19], v[16:17], -v[18:19]
	v_add_f64 v[14:15], v[12:13], v[6:7]
	v_add_f64 v[10:11], v[10:11], -v[18:19]
	v_add_f64 v[8:9], v[8:9], v[10:11]
	v_add_f64 v[18:19], v[14:15], -v[12:13]
	v_add_f64 v[8:9], v[14:15], v[8:9]
	v_add_f64 v[14:15], v[14:15], -v[18:19]
	v_add_f64 v[10:11], v[16:17], v[8:9]
	v_add_f64 v[6:7], v[6:7], -v[18:19]
	v_add_f64 v[12:13], v[12:13], -v[14:15]
	v_add_f64 v[6:7], v[6:7], v[12:13]
	v_add_f64 v[12:13], v[10:11], -v[16:17]
	v_add_f64 v[8:9], v[8:9], -v[12:13]
	s_movk_i32 s2, 0x204
	v_add_f64 v[6:7], v[6:7], v[8:9]
	v_add_f64 v[6:7], v[10:11], v[6:7]
	v_cmp_class_f64_e64 vcc, v[4:5], s2
	v_cndmask_b32_e32 v6, v6, v4, vcc
	v_cndmask_b32_e32 v7, v7, v5, vcc
	v_mov_b32_e32 v8, 0x7ff80000
	v_cmp_ngt_f64_e32 vcc, 0, v[4:5]
	s_mov_b32 s15, 0
	v_cndmask_b32_e32 v7, v8, v7, vcc
	v_cmp_nge_f64_e32 vcc, 0, v[4:5]
	v_cndmask_b32_e32 v6, 0, v6, vcc
	v_mov_b32_e32 v8, 0xfff00000
	v_cmp_neq_f64_e32 vcc, 0, v[4:5]
	s_lshl_b64 s[0:1], s[14:15], 3
	v_cndmask_b32_e32 v7, v8, v7, vcc
	v_mov_b32_e32 v4, s1
	v_add_co_u32_e32 v2, vcc, s0, v2
	v_add_f64 v[0:1], v[0:1], -v[6:7]
	v_addc_co_u32_e32 v3, vcc, v3, v4, vcc
	global_store_dwordx2 v[2:3], v[0:1], off
.LBB12_10:
	s_endpgm
	.section	.rodata,"a",@progbits
	.p2align	6, 0x0
	.amdhsa_kernel _ZN12_GLOBAL__N_120softmax_warp_forwardIdddLi6ELb1ELb0ELi64EEEvPT0_PKT_iiiPKbib
		.amdhsa_group_segment_fixed_size 0
		.amdhsa_private_segment_fixed_size 0
		.amdhsa_kernarg_size 304
		.amdhsa_user_sgpr_count 6
		.amdhsa_user_sgpr_private_segment_buffer 1
		.amdhsa_user_sgpr_dispatch_ptr 0
		.amdhsa_user_sgpr_queue_ptr 0
		.amdhsa_user_sgpr_kernarg_segment_ptr 1
		.amdhsa_user_sgpr_dispatch_id 0
		.amdhsa_user_sgpr_flat_scratch_init 0
		.amdhsa_user_sgpr_kernarg_preload_length 0
		.amdhsa_user_sgpr_kernarg_preload_offset 0
		.amdhsa_user_sgpr_private_segment_size 0
		.amdhsa_uses_dynamic_stack 0
		.amdhsa_system_sgpr_private_segment_wavefront_offset 0
		.amdhsa_system_sgpr_workgroup_id_x 1
		.amdhsa_system_sgpr_workgroup_id_y 0
		.amdhsa_system_sgpr_workgroup_id_z 0
		.amdhsa_system_sgpr_workgroup_info 0
		.amdhsa_system_vgpr_workitem_id 1
		.amdhsa_next_free_vgpr 36
		.amdhsa_next_free_sgpr 40
		.amdhsa_accum_offset 36
		.amdhsa_reserve_vcc 1
		.amdhsa_reserve_flat_scratch 0
		.amdhsa_float_round_mode_32 0
		.amdhsa_float_round_mode_16_64 0
		.amdhsa_float_denorm_mode_32 3
		.amdhsa_float_denorm_mode_16_64 3
		.amdhsa_dx10_clamp 1
		.amdhsa_ieee_mode 1
		.amdhsa_fp16_overflow 0
		.amdhsa_tg_split 0
		.amdhsa_exception_fp_ieee_invalid_op 0
		.amdhsa_exception_fp_denorm_src 0
		.amdhsa_exception_fp_ieee_div_zero 0
		.amdhsa_exception_fp_ieee_overflow 0
		.amdhsa_exception_fp_ieee_underflow 0
		.amdhsa_exception_fp_ieee_inexact 0
		.amdhsa_exception_int_div_zero 0
	.end_amdhsa_kernel
	.section	.text._ZN12_GLOBAL__N_120softmax_warp_forwardIdddLi6ELb1ELb0ELi64EEEvPT0_PKT_iiiPKbib,"axG",@progbits,_ZN12_GLOBAL__N_120softmax_warp_forwardIdddLi6ELb1ELb0ELi64EEEvPT0_PKT_iiiPKbib,comdat
.Lfunc_end12:
	.size	_ZN12_GLOBAL__N_120softmax_warp_forwardIdddLi6ELb1ELb0ELi64EEEvPT0_PKT_iiiPKbib, .Lfunc_end12-_ZN12_GLOBAL__N_120softmax_warp_forwardIdddLi6ELb1ELb0ELi64EEEvPT0_PKT_iiiPKbib
                                        ; -- End function
	.section	.AMDGPU.csdata,"",@progbits
; Kernel info:
; codeLenInByte = 3532
; NumSgprs: 44
; NumVgprs: 36
; NumAgprs: 0
; TotalNumVgprs: 36
; ScratchSize: 0
; MemoryBound: 0
; FloatMode: 240
; IeeeMode: 1
; LDSByteSize: 0 bytes/workgroup (compile time only)
; SGPRBlocks: 5
; VGPRBlocks: 4
; NumSGPRsForWavesPerEU: 44
; NumVGPRsForWavesPerEU: 36
; AccumOffset: 36
; Occupancy: 8
; WaveLimiterHint : 0
; COMPUTE_PGM_RSRC2:SCRATCH_EN: 0
; COMPUTE_PGM_RSRC2:USER_SGPR: 6
; COMPUTE_PGM_RSRC2:TRAP_HANDLER: 0
; COMPUTE_PGM_RSRC2:TGID_X_EN: 1
; COMPUTE_PGM_RSRC2:TGID_Y_EN: 0
; COMPUTE_PGM_RSRC2:TGID_Z_EN: 0
; COMPUTE_PGM_RSRC2:TIDIG_COMP_CNT: 1
; COMPUTE_PGM_RSRC3_GFX90A:ACCUM_OFFSET: 8
; COMPUTE_PGM_RSRC3_GFX90A:TG_SPLIT: 0
	.section	.text._ZN12_GLOBAL__N_120softmax_warp_forwardIdddLi6ELb1ELb0ELi32EEEvPT0_PKT_iiiPKbib,"axG",@progbits,_ZN12_GLOBAL__N_120softmax_warp_forwardIdddLi6ELb1ELb0ELi32EEEvPT0_PKT_iiiPKbib,comdat
	.globl	_ZN12_GLOBAL__N_120softmax_warp_forwardIdddLi6ELb1ELb0ELi32EEEvPT0_PKT_iiiPKbib ; -- Begin function _ZN12_GLOBAL__N_120softmax_warp_forwardIdddLi6ELb1ELb0ELi32EEEvPT0_PKT_iiiPKbib
	.p2align	8
	.type	_ZN12_GLOBAL__N_120softmax_warp_forwardIdddLi6ELb1ELb0ELi32EEEvPT0_PKT_iiiPKbib,@function
_ZN12_GLOBAL__N_120softmax_warp_forwardIdddLi6ELb1ELb0ELi32EEEvPT0_PKT_iiiPKbib: ; @_ZN12_GLOBAL__N_120softmax_warp_forwardIdddLi6ELb1ELb0ELi32EEEvPT0_PKT_iiiPKbib
; %bb.0:
	s_load_dword s0, s[4:5], 0x3c
	s_load_dwordx8 s[8:15], s[4:5], 0x0
	v_bfe_u32 v1, v0, 10, 10
	v_and_b32_e32 v4, 0x3ff, v0
	s_waitcnt lgkmcnt(0)
	s_lshr_b32 s0, s0, 16
	s_mul_i32 s6, s6, s0
	v_add_lshl_u32 v1, s6, v1, 1
	v_sub_u32_e32 v18, s12, v1
	v_mad_u64_u32 v[0:1], s[0:1], v1, s13, v[4:5]
	v_ashrrev_i32_e32 v1, 31, v0
	v_lshlrev_b64 v[0:1], 3, v[0:1]
	v_mov_b32_e32 v2, s11
	v_add_co_u32_e32 v8, vcc, s10, v0
	v_addc_co_u32_e32 v9, vcc, v2, v1, vcc
	v_mov_b32_e32 v2, 0
	v_cmp_lt_i32_e64 s[2:3], 0, v18
	v_cmp_gt_i32_e64 s[0:1], s14, v4
	v_mov_b32_e32 v3, 0xfff00000
	s_and_b64 s[6:7], s[2:3], s[0:1]
	v_pk_mov_b32 v[6:7], v[2:3], v[2:3] op_sel:[0,1]
	s_and_saveexec_b64 s[4:5], s[6:7]
	s_cbranch_execz .LBB13_2
; %bb.1:
	global_load_dwordx2 v[6:7], v[8:9], off
.LBB13_2:
	s_or_b64 exec, exec, s[4:5]
	v_add_u32_e32 v4, 32, v4
	v_cmp_gt_i32_e32 vcc, s14, v4
	s_and_b64 s[6:7], s[2:3], vcc
	s_and_saveexec_b64 s[4:5], s[6:7]
	s_cbranch_execz .LBB13_4
; %bb.3:
	global_load_dwordx2 v[2:3], v[8:9], off offset:256
.LBB13_4:
	s_or_b64 exec, exec, s[4:5]
	v_mov_b32_e32 v4, 0
	v_cmp_lt_i32_e64 s[4:5], 1, v18
	v_mov_b32_e32 v5, 0xfff00000
	s_and_b64 s[6:7], s[4:5], s[0:1]
	v_pk_mov_b32 v[10:11], v[4:5], v[4:5] op_sel:[0,1]
	s_and_saveexec_b64 s[10:11], s[6:7]
	s_cbranch_execz .LBB13_6
; %bb.5:
	s_mov_b32 s15, 0
	s_lshl_b64 s[6:7], s[14:15], 3
	v_mov_b32_e32 v11, s7
	v_add_co_u32_e64 v10, s[6:7], s6, v8
	v_addc_co_u32_e64 v11, s[6:7], v9, v11, s[6:7]
	global_load_dwordx2 v[10:11], v[10:11], off
.LBB13_6:
	s_or_b64 exec, exec, s[10:11]
	s_and_b64 s[4:5], s[4:5], vcc
	s_and_saveexec_b64 s[6:7], s[4:5]
	s_cbranch_execz .LBB13_8
; %bb.7:
	s_mov_b32 s15, 0
	s_lshl_b64 s[4:5], s[14:15], 3
	v_mov_b32_e32 v5, s5
	v_add_co_u32_e64 v4, s[4:5], s4, v8
	v_addc_co_u32_e64 v5, s[4:5], v9, v5, s[4:5]
	global_load_dwordx2 v[4:5], v[4:5], off offset:256
.LBB13_8:
	s_or_b64 exec, exec, s[6:7]
	v_mbcnt_lo_u32_b32 v12, -1, 0
	v_mbcnt_hi_u32_b32 v24, -1, v12
	v_and_b32_e32 v12, 0x60, v24
	v_add_u32_e32 v25, 32, v12
	v_xor_b32_e32 v12, 16, v24
	v_cmp_lt_i32_e64 s[6:7], v12, v25
	s_waitcnt vmcnt(0)
	v_cmp_gt_f64_e64 s[4:5], v[6:7], v[2:3]
	v_cndmask_b32_e64 v12, v24, v12, s[6:7]
	v_cndmask_b32_e64 v9, v3, v7, s[4:5]
	;; [unrolled: 1-line block ×3, first 2 shown]
	v_lshlrev_b32_e32 v16, 2, v12
	ds_bpermute_b32 v14, v16, v8
	ds_bpermute_b32 v15, v16, v9
	v_cmp_gt_f64_e64 s[4:5], v[10:11], v[4:5]
	v_cndmask_b32_e64 v13, v5, v11, s[4:5]
	v_cndmask_b32_e64 v12, v4, v10, s[4:5]
	ds_bpermute_b32 v20, v16, v12
	s_waitcnt lgkmcnt(1)
	v_cmp_lt_f64_e64 s[4:5], v[8:9], v[14:15]
	v_cndmask_b32_e64 v8, v8, v14, s[4:5]
	v_xor_b32_e32 v14, 8, v24
	v_cmp_lt_i32_e64 s[6:7], v14, v25
	v_cndmask_b32_e64 v14, v24, v14, s[6:7]
	ds_bpermute_b32 v21, v16, v13
	v_cndmask_b32_e64 v9, v9, v15, s[4:5]
	v_lshlrev_b32_e32 v17, 2, v14
	ds_bpermute_b32 v14, v17, v8
	ds_bpermute_b32 v15, v17, v9
	s_waitcnt lgkmcnt(2)
	v_cmp_lt_f64_e64 s[4:5], v[12:13], v[20:21]
	v_cndmask_b32_e64 v13, v13, v21, s[4:5]
	v_cndmask_b32_e64 v12, v12, v20, s[4:5]
	ds_bpermute_b32 v20, v17, v12
	s_waitcnt lgkmcnt(1)
	v_cmp_lt_f64_e64 s[4:5], v[8:9], v[14:15]
	v_cndmask_b32_e64 v8, v8, v14, s[4:5]
	v_xor_b32_e32 v14, 4, v24
	v_cmp_lt_i32_e64 s[6:7], v14, v25
	v_cndmask_b32_e64 v14, v24, v14, s[6:7]
	ds_bpermute_b32 v21, v17, v13
	v_cndmask_b32_e64 v9, v9, v15, s[4:5]
	v_lshlrev_b32_e32 v19, 2, v14
	ds_bpermute_b32 v14, v19, v8
	ds_bpermute_b32 v15, v19, v9
	s_waitcnt lgkmcnt(2)
	v_cmp_lt_f64_e64 s[4:5], v[12:13], v[20:21]
	;; [unrolled: 16-line block ×3, first 2 shown]
	v_cndmask_b32_e64 v13, v13, v23, s[4:5]
	v_cndmask_b32_e64 v12, v12, v22, s[4:5]
	ds_bpermute_b32 v22, v20, v12
	s_waitcnt lgkmcnt(1)
	v_cmp_lt_f64_e64 s[4:5], v[8:9], v[14:15]
	ds_bpermute_b32 v23, v20, v13
	v_cndmask_b32_e64 v8, v8, v14, s[4:5]
	v_xor_b32_e32 v14, 1, v24
	v_cmp_lt_i32_e64 s[6:7], v14, v25
	v_cndmask_b32_e64 v14, v24, v14, s[6:7]
	v_cndmask_b32_e64 v9, v9, v15, s[4:5]
	v_lshlrev_b32_e32 v21, 2, v14
	ds_bpermute_b32 v14, v21, v8
	ds_bpermute_b32 v15, v21, v9
	s_waitcnt lgkmcnt(2)
	v_cmp_lt_f64_e64 s[4:5], v[12:13], v[22:23]
	v_cndmask_b32_e64 v13, v13, v23, s[4:5]
	v_cndmask_b32_e64 v12, v12, v22, s[4:5]
	ds_bpermute_b32 v22, v21, v12
	ds_bpermute_b32 v23, v21, v13
	s_waitcnt lgkmcnt(2)
	v_cmp_lt_f64_e64 s[4:5], v[8:9], v[14:15]
	v_cndmask_b32_e64 v9, v9, v15, s[4:5]
	v_cndmask_b32_e64 v8, v8, v14, s[4:5]
	s_mov_b32 s10, 0x652b82fe
	v_add_f64 v[6:7], v[6:7], -v[8:9]
	s_mov_b32 s11, 0x3ff71547
	s_waitcnt lgkmcnt(0)
	v_cmp_lt_f64_e64 s[4:5], v[12:13], v[22:23]
	v_mul_f64 v[14:15], v[6:7], s[10:11]
	s_mov_b32 s12, 0xfefa39ef
	v_cndmask_b32_e64 v13, v13, v23, s[4:5]
	v_cndmask_b32_e64 v12, v12, v22, s[4:5]
	v_rndne_f64_e32 v[22:23], v[14:15]
	s_mov_b32 s13, 0xbfe62e42
	s_mov_b32 s16, 0x3b39803f
	;; [unrolled: 1-line block ×3, first 2 shown]
	v_fma_f64 v[24:25], s[12:13], v[22:23], v[6:7]
	s_mov_b32 s17, 0xbc7abc9e
	s_mov_b32 s5, 0x3e928af3
	;; [unrolled: 1-line block ×3, first 2 shown]
	v_fmac_f64_e32 v[24:25], s[16:17], v[22:23]
	s_mov_b32 s19, 0x3e5ade15
	v_pk_mov_b32 v[14:15], s[4:5], s[4:5] op_sel:[0,1]
	s_mov_b32 s20, 0x623fde64
	v_fma_f64 v[26:27], s[18:19], v[24:25], v[14:15]
	s_mov_b32 s21, 0x3ec71dee
	s_mov_b32 s22, 0x7c89e6b0
	v_fma_f64 v[26:27], v[24:25], v[26:27], s[20:21]
	s_mov_b32 s23, 0x3efa0199
	;; [unrolled: 3-line block ×8, first 2 shown]
	v_fma_f64 v[26:27], v[24:25], v[26:27], s[36:37]
	v_add_f64 v[8:9], v[2:3], -v[8:9]
	v_fma_f64 v[26:27], v[24:25], v[26:27], 1.0
	v_mul_f64 v[2:3], v[8:9], s[10:11]
	v_fma_f64 v[24:25], v[24:25], v[26:27], 1.0
	v_cvt_i32_f64_e32 v22, v[22:23]
	v_rndne_f64_e32 v[2:3], v[2:3]
	v_ldexp_f64 v[22:23], v[24:25], v22
	v_fma_f64 v[24:25], s[12:13], v[2:3], v[8:9]
	v_fmac_f64_e32 v[24:25], s[16:17], v[2:3]
	v_fma_f64 v[26:27], s[18:19], v[24:25], v[14:15]
	v_fma_f64 v[26:27], v[24:25], v[26:27], s[20:21]
	;; [unrolled: 1-line block ×7, first 2 shown]
	s_mov_b32 s38, 0
	s_mov_b32 s40, 0
	v_fma_f64 v[26:27], v[24:25], v[26:27], s[34:35]
	s_mov_b32 s39, 0x40900000
	s_mov_b32 s41, 0xc090cc00
	v_fma_f64 v[26:27], v[24:25], v[26:27], s[36:37]
	v_add_f64 v[22:23], v[22:23], 0
	v_mov_b32_e32 v28, 0x7ff00000
	v_cmp_nlt_f64_e64 s[4:5], s[38:39], v[6:7]
	v_cmp_ngt_f64_e64 s[6:7], s[40:41], v[6:7]
	v_fma_f64 v[26:27], v[24:25], v[26:27], 1.0
	v_cndmask_b32_e64 v23, v28, v23, s[4:5]
	s_and_b64 s[4:5], s[6:7], s[4:5]
	v_fma_f64 v[24:25], v[24:25], v[26:27], 1.0
	v_cvt_i32_f64_e32 v2, v[2:3]
	v_cndmask_b32_e64 v23, 0, v23, s[6:7]
	v_cndmask_b32_e64 v22, 0, v22, s[4:5]
	v_ldexp_f64 v[2:3], v[24:25], v2
	v_cmp_nlt_f64_e64 s[4:5], s[38:39], v[8:9]
	v_cmp_ngt_f64_e64 s[6:7], s[40:41], v[8:9]
	v_cndmask_b32_e64 v3, v28, v3, s[4:5]
	s_and_b64 s[4:5], s[6:7], s[4:5]
	v_cndmask_b32_e64 v3, 0, v3, s[6:7]
	v_cndmask_b32_e64 v2, 0, v2, s[4:5]
	v_add_f64 v[22:23], v[22:23], v[2:3]
	v_add_f64 v[2:3], v[10:11], -v[12:13]
	v_mul_f64 v[10:11], v[2:3], s[10:11]
	v_rndne_f64_e32 v[10:11], v[10:11]
	v_fma_f64 v[24:25], s[12:13], v[10:11], v[2:3]
	v_fmac_f64_e32 v[24:25], s[16:17], v[10:11]
	v_fma_f64 v[26:27], s[18:19], v[24:25], v[14:15]
	v_fma_f64 v[26:27], v[24:25], v[26:27], s[20:21]
	;; [unrolled: 1-line block ×9, first 2 shown]
	v_add_f64 v[4:5], v[4:5], -v[12:13]
	v_fma_f64 v[26:27], v[24:25], v[26:27], 1.0
	v_mul_f64 v[12:13], v[4:5], s[10:11]
	v_fma_f64 v[24:25], v[24:25], v[26:27], 1.0
	v_cvt_i32_f64_e32 v10, v[10:11]
	v_rndne_f64_e32 v[12:13], v[12:13]
	v_ldexp_f64 v[10:11], v[24:25], v10
	v_fma_f64 v[24:25], s[12:13], v[12:13], v[4:5]
	v_fmac_f64_e32 v[24:25], s[16:17], v[12:13]
	v_fmac_f64_e32 v[14:15], s[18:19], v[24:25]
	v_fma_f64 v[14:15], v[24:25], v[14:15], s[20:21]
	v_fma_f64 v[14:15], v[24:25], v[14:15], s[22:23]
	;; [unrolled: 1-line block ×8, first 2 shown]
	v_add_f64 v[10:11], v[10:11], 0
	v_cmp_nlt_f64_e64 s[4:5], s[38:39], v[2:3]
	v_cmp_ngt_f64_e64 s[6:7], s[40:41], v[2:3]
	v_fma_f64 v[14:15], v[24:25], v[14:15], 1.0
	v_cndmask_b32_e64 v11, v28, v11, s[4:5]
	s_and_b64 s[4:5], s[6:7], s[4:5]
	v_fma_f64 v[14:15], v[24:25], v[14:15], 1.0
	v_cvt_i32_f64_e32 v12, v[12:13]
	v_cndmask_b32_e64 v11, 0, v11, s[6:7]
	v_cndmask_b32_e64 v10, 0, v10, s[4:5]
	v_ldexp_f64 v[12:13], v[14:15], v12
	v_cmp_nlt_f64_e64 s[4:5], s[38:39], v[4:5]
	v_cmp_ngt_f64_e64 s[6:7], s[40:41], v[4:5]
	v_cndmask_b32_e64 v13, v28, v13, s[4:5]
	s_and_b64 s[4:5], s[6:7], s[4:5]
	v_cndmask_b32_e64 v13, 0, v13, s[6:7]
	v_cndmask_b32_e64 v12, 0, v12, s[4:5]
	v_add_f64 v[10:11], v[10:11], v[12:13]
	ds_bpermute_b32 v12, v16, v22
	ds_bpermute_b32 v13, v16, v23
	;; [unrolled: 1-line block ×4, first 2 shown]
	s_waitcnt lgkmcnt(2)
	v_add_f64 v[12:13], v[22:23], v[12:13]
	s_waitcnt lgkmcnt(0)
	v_add_f64 v[10:11], v[10:11], v[14:15]
	ds_bpermute_b32 v14, v17, v12
	ds_bpermute_b32 v15, v17, v13
	ds_bpermute_b32 v16, v17, v10
	ds_bpermute_b32 v17, v17, v11
	s_waitcnt lgkmcnt(2)
	v_add_f64 v[12:13], v[12:13], v[14:15]
	ds_bpermute_b32 v14, v19, v12
	s_waitcnt lgkmcnt(1)
	v_add_f64 v[10:11], v[10:11], v[16:17]
	ds_bpermute_b32 v15, v19, v13
	ds_bpermute_b32 v16, v19, v10
	;; [unrolled: 1-line block ×3, first 2 shown]
	s_waitcnt lgkmcnt(2)
	v_add_f64 v[12:13], v[12:13], v[14:15]
	ds_bpermute_b32 v14, v20, v12
	s_waitcnt lgkmcnt(1)
	v_add_f64 v[10:11], v[10:11], v[16:17]
	ds_bpermute_b32 v15, v20, v13
	ds_bpermute_b32 v16, v20, v10
	;; [unrolled: 1-line block ×3, first 2 shown]
	s_waitcnt lgkmcnt(2)
	v_add_f64 v[14:15], v[12:13], v[14:15]
	s_waitcnt lgkmcnt(0)
	v_add_f64 v[10:11], v[10:11], v[16:17]
	ds_bpermute_b32 v16, v21, v14
	ds_bpermute_b32 v17, v21, v15
	;; [unrolled: 1-line block ×4, first 2 shown]
	s_and_saveexec_b64 s[4:5], s[2:3]
	s_cbranch_execz .LBB13_16
; %bb.9:
	v_mov_b32_e32 v19, s9
	v_add_co_u32_e64 v0, s[2:3], s8, v0
	v_addc_co_u32_e64 v1, s[2:3], v19, v1, s[2:3]
	s_and_saveexec_b64 s[4:5], s[0:1]
	s_cbranch_execz .LBB13_12
; %bb.10:
	s_waitcnt lgkmcnt(2)
	v_add_f64 v[14:15], v[14:15], v[16:17]
	s_mov_b32 s2, 0x55555555
	v_frexp_mant_f64_e32 v[16:17], v[14:15]
	s_mov_b32 s3, 0x3fe55555
	v_mov_b32_e32 v20, 0x3ff00000
	v_cmp_gt_f64_e64 s[2:3], s[2:3], v[16:17]
	v_cndmask_b32_e64 v21, v20, 2.0, s[2:3]
	v_mov_b32_e32 v20, 0
	v_mul_f64 v[16:17], v[16:17], v[20:21]
	v_add_f64 v[20:21], v[16:17], 1.0
	v_rcp_f64_e32 v[22:23], v[20:21]
	v_add_f64 v[26:27], v[20:21], -1.0
	v_add_f64 v[24:25], v[16:17], -1.0
	v_add_f64 v[16:17], v[16:17], -v[26:27]
	v_fma_f64 v[26:27], -v[20:21], v[22:23], 1.0
	v_fmac_f64_e32 v[22:23], v[26:27], v[22:23]
	v_fma_f64 v[26:27], -v[20:21], v[22:23], 1.0
	v_fmac_f64_e32 v[22:23], v[26:27], v[22:23]
	v_mul_f64 v[26:27], v[24:25], v[22:23]
	v_mul_f64 v[28:29], v[20:21], v[26:27]
	v_fma_f64 v[20:21], v[26:27], v[20:21], -v[28:29]
	v_fmac_f64_e32 v[20:21], v[26:27], v[16:17]
	v_add_f64 v[16:17], v[28:29], v[20:21]
	v_add_f64 v[30:31], v[24:25], -v[16:17]
	v_add_f64 v[28:29], v[16:17], -v[28:29]
	;; [unrolled: 1-line block ×5, first 2 shown]
	v_add_f64 v[16:17], v[20:21], v[16:17]
	v_add_f64 v[16:17], v[30:31], v[16:17]
	v_frexp_exp_i32_f64_e32 v19, v[14:15]
	v_mul_f64 v[16:17], v[22:23], v[16:17]
	v_subbrev_co_u32_e64 v19, s[2:3], 0, v19, s[2:3]
	v_add_f64 v[20:21], v[26:27], v[16:17]
	v_add_f64 v[22:23], v[20:21], -v[26:27]
	s_mov_b32 s2, 0xbf559e2b
	v_add_f64 v[16:17], v[16:17], -v[22:23]
	v_mul_f64 v[22:23], v[20:21], v[20:21]
	v_mov_b32_e32 v24, 0x6b47b09a
	v_mov_b32_e32 v25, 0x3fc38538
	s_mov_b32 s3, 0x3fc3ab76
	v_fmac_f64_e32 v[24:25], s[2:3], v[22:23]
	v_mov_b32_e32 v26, 0xd7f4df2e
	v_mov_b32_e32 v27, 0x3fc7474d
	v_fmac_f64_e32 v[26:27], v[22:23], v[24:25]
	v_mov_b32_e32 v24, 0x16291751
	v_mov_b32_e32 v25, 0x3fcc71c0
	;; [unrolled: 3-line block ×5, first 2 shown]
	v_fmac_f64_e32 v[26:27], v[22:23], v[24:25]
	v_ldexp_f64 v[24:25], v[20:21], 1
	v_mul_f64 v[20:21], v[20:21], v[22:23]
	v_mul_f64 v[20:21], v[20:21], v[26:27]
	v_add_f64 v[22:23], v[24:25], v[20:21]
	v_add_f64 v[24:25], v[22:23], -v[24:25]
	v_ldexp_f64 v[16:17], v[16:17], 1
	v_add_f64 v[20:21], v[20:21], -v[24:25]
	v_add_f64 v[16:17], v[16:17], v[20:21]
	v_add_f64 v[20:21], v[22:23], v[16:17]
	v_add_f64 v[22:23], v[20:21], -v[22:23]
	s_mov_b32 s2, 0xfefa39ef
	v_add_f64 v[16:17], v[16:17], -v[22:23]
	v_cvt_f64_i32_e32 v[22:23], v19
	s_mov_b32 s3, 0x3fe62e42
	v_mul_f64 v[24:25], v[22:23], s[2:3]
	v_fma_f64 v[26:27], v[22:23], s[2:3], -v[24:25]
	s_mov_b32 s2, 0x3b39803f
	s_mov_b32 s3, 0x3c7abc9e
	v_fmac_f64_e32 v[26:27], s[2:3], v[22:23]
	v_add_f64 v[22:23], v[24:25], v[26:27]
	v_add_f64 v[24:25], v[22:23], -v[24:25]
	v_add_f64 v[24:25], v[26:27], -v[24:25]
	v_add_f64 v[26:27], v[22:23], v[20:21]
	v_add_f64 v[28:29], v[26:27], -v[22:23]
	v_add_f64 v[30:31], v[26:27], -v[28:29]
	;; [unrolled: 1-line block ×4, first 2 shown]
	v_add_f64 v[20:21], v[20:21], v[22:23]
	v_add_f64 v[22:23], v[24:25], v[16:17]
	v_add_f64 v[28:29], v[22:23], -v[24:25]
	v_add_f64 v[30:31], v[22:23], -v[28:29]
	v_add_f64 v[20:21], v[22:23], v[20:21]
	v_add_f64 v[24:25], v[24:25], -v[30:31]
	v_add_f64 v[16:17], v[16:17], -v[28:29]
	v_add_f64 v[22:23], v[26:27], v[20:21]
	v_add_f64 v[16:17], v[16:17], v[24:25]
	v_add_f64 v[24:25], v[22:23], -v[26:27]
	v_add_f64 v[20:21], v[20:21], -v[24:25]
	v_add_f64 v[16:17], v[16:17], v[20:21]
	s_movk_i32 s2, 0x204
	v_add_f64 v[16:17], v[22:23], v[16:17]
	v_cmp_class_f64_e64 s[2:3], v[14:15], s2
	v_cndmask_b32_e64 v16, v16, v14, s[2:3]
	v_cndmask_b32_e64 v17, v17, v15, s[2:3]
	v_mov_b32_e32 v19, 0x7ff80000
	v_cmp_ngt_f64_e64 s[2:3], 0, v[14:15]
	v_cndmask_b32_e64 v17, v19, v17, s[2:3]
	v_cmp_nge_f64_e64 s[2:3], 0, v[14:15]
	v_cndmask_b32_e64 v16, 0, v16, s[2:3]
	v_mov_b32_e32 v19, 0xfff00000
	v_cmp_neq_f64_e64 s[2:3], 0, v[14:15]
	v_cndmask_b32_e64 v17, v19, v17, s[2:3]
	v_add_f64 v[6:7], v[6:7], -v[16:17]
	global_store_dwordx2 v[0:1], v[6:7], off
	s_and_b64 exec, exec, vcc
	s_cbranch_execz .LBB13_12
; %bb.11:
	v_add_f64 v[6:7], v[8:9], -v[16:17]
	global_store_dwordx2 v[0:1], v[6:7], off offset:256
.LBB13_12:
	s_or_b64 exec, exec, s[4:5]
	v_cmp_ne_u32_e64 s[2:3], 1, v18
	s_and_b64 exec, exec, s[2:3]
	s_cbranch_execz .LBB13_16
; %bb.13:
	s_and_b64 exec, exec, s[0:1]
	s_cbranch_execz .LBB13_16
; %bb.14:
	s_waitcnt lgkmcnt(0)
	v_add_f64 v[6:7], v[10:11], v[12:13]
	s_mov_b32 s0, 0x55555555
	v_frexp_mant_f64_e32 v[8:9], v[6:7]
	s_mov_b32 s1, 0x3fe55555
	v_mov_b32_e32 v10, 0x3ff00000
	v_cmp_gt_f64_e64 s[0:1], s[0:1], v[8:9]
	v_cndmask_b32_e64 v11, v10, 2.0, s[0:1]
	v_mov_b32_e32 v10, 0
	v_mul_f64 v[8:9], v[8:9], v[10:11]
	v_frexp_exp_i32_f64_e32 v12, v[6:7]
	v_add_f64 v[10:11], v[8:9], 1.0
	v_subbrev_co_u32_e64 v22, s[0:1], 0, v12, s[0:1]
	v_rcp_f64_e32 v[12:13], v[10:11]
	v_add_f64 v[16:17], v[10:11], -1.0
	v_add_f64 v[14:15], v[8:9], -1.0
	v_add_f64 v[8:9], v[8:9], -v[16:17]
	v_fma_f64 v[16:17], -v[10:11], v[12:13], 1.0
	v_fmac_f64_e32 v[12:13], v[16:17], v[12:13]
	v_fma_f64 v[16:17], -v[10:11], v[12:13], 1.0
	v_fmac_f64_e32 v[12:13], v[16:17], v[12:13]
	v_mul_f64 v[16:17], v[14:15], v[12:13]
	v_mul_f64 v[18:19], v[10:11], v[16:17]
	v_fma_f64 v[10:11], v[16:17], v[10:11], -v[18:19]
	v_fmac_f64_e32 v[10:11], v[16:17], v[8:9]
	v_add_f64 v[8:9], v[18:19], v[10:11]
	v_add_f64 v[20:21], v[14:15], -v[8:9]
	v_add_f64 v[18:19], v[8:9], -v[18:19]
	;; [unrolled: 1-line block ×5, first 2 shown]
	v_add_f64 v[8:9], v[10:11], v[8:9]
	v_add_f64 v[8:9], v[20:21], v[8:9]
	v_mul_f64 v[8:9], v[12:13], v[8:9]
	v_add_f64 v[10:11], v[16:17], v[8:9]
	v_add_f64 v[12:13], v[10:11], -v[16:17]
	s_mov_b32 s0, 0xbf559e2b
	v_add_f64 v[8:9], v[8:9], -v[12:13]
	v_mul_f64 v[12:13], v[10:11], v[10:11]
	v_mov_b32_e32 v14, 0x6b47b09a
	v_mov_b32_e32 v15, 0x3fc38538
	s_mov_b32 s1, 0x3fc3ab76
	v_fmac_f64_e32 v[14:15], s[0:1], v[12:13]
	v_mov_b32_e32 v16, 0xd7f4df2e
	v_mov_b32_e32 v17, 0x3fc7474d
	v_fmac_f64_e32 v[16:17], v[12:13], v[14:15]
	v_mov_b32_e32 v14, 0x16291751
	v_mov_b32_e32 v15, 0x3fcc71c0
	;; [unrolled: 3-line block ×5, first 2 shown]
	v_fmac_f64_e32 v[16:17], v[12:13], v[14:15]
	v_ldexp_f64 v[14:15], v[10:11], 1
	v_mul_f64 v[10:11], v[10:11], v[12:13]
	v_mul_f64 v[10:11], v[10:11], v[16:17]
	v_add_f64 v[12:13], v[14:15], v[10:11]
	v_add_f64 v[14:15], v[12:13], -v[14:15]
	v_ldexp_f64 v[8:9], v[8:9], 1
	v_add_f64 v[10:11], v[10:11], -v[14:15]
	v_add_f64 v[8:9], v[8:9], v[10:11]
	v_add_f64 v[10:11], v[12:13], v[8:9]
	v_add_f64 v[12:13], v[10:11], -v[12:13]
	s_mov_b32 s0, 0xfefa39ef
	v_add_f64 v[8:9], v[8:9], -v[12:13]
	v_cvt_f64_i32_e32 v[12:13], v22
	s_mov_b32 s1, 0x3fe62e42
	v_mul_f64 v[14:15], v[12:13], s[0:1]
	v_fma_f64 v[16:17], v[12:13], s[0:1], -v[14:15]
	s_mov_b32 s0, 0x3b39803f
	s_mov_b32 s1, 0x3c7abc9e
	v_fmac_f64_e32 v[16:17], s[0:1], v[12:13]
	v_add_f64 v[12:13], v[14:15], v[16:17]
	v_add_f64 v[14:15], v[12:13], -v[14:15]
	v_add_f64 v[14:15], v[16:17], -v[14:15]
	v_add_f64 v[16:17], v[12:13], v[10:11]
	v_add_f64 v[18:19], v[16:17], -v[12:13]
	v_add_f64 v[20:21], v[16:17], -v[18:19]
	;; [unrolled: 1-line block ×4, first 2 shown]
	v_add_f64 v[10:11], v[10:11], v[12:13]
	v_add_f64 v[12:13], v[14:15], v[8:9]
	v_add_f64 v[18:19], v[12:13], -v[14:15]
	v_add_f64 v[20:21], v[12:13], -v[18:19]
	v_add_f64 v[10:11], v[12:13], v[10:11]
	v_add_f64 v[14:15], v[14:15], -v[20:21]
	v_add_f64 v[8:9], v[8:9], -v[18:19]
	v_add_f64 v[12:13], v[16:17], v[10:11]
	v_add_f64 v[8:9], v[8:9], v[14:15]
	v_add_f64 v[14:15], v[12:13], -v[16:17]
	v_add_f64 v[10:11], v[10:11], -v[14:15]
	v_add_f64 v[8:9], v[8:9], v[10:11]
	s_movk_i32 s0, 0x204
	v_add_f64 v[8:9], v[12:13], v[8:9]
	v_cmp_class_f64_e64 s[0:1], v[6:7], s0
	v_cndmask_b32_e64 v8, v8, v6, s[0:1]
	v_cndmask_b32_e64 v9, v9, v7, s[0:1]
	v_mov_b32_e32 v10, 0x7ff80000
	v_cmp_ngt_f64_e64 s[0:1], 0, v[6:7]
	v_cndmask_b32_e64 v9, v10, v9, s[0:1]
	v_cmp_nge_f64_e64 s[0:1], 0, v[6:7]
	s_mov_b32 s15, 0
	v_cndmask_b32_e64 v8, 0, v8, s[0:1]
	v_mov_b32_e32 v10, 0xfff00000
	v_cmp_neq_f64_e64 s[0:1], 0, v[6:7]
	v_cndmask_b32_e64 v9, v10, v9, s[0:1]
	s_lshl_b64 s[0:1], s[14:15], 3
	v_mov_b32_e32 v7, s1
	v_add_co_u32_e64 v6, s[0:1], s0, v0
	v_add_f64 v[2:3], v[2:3], -v[8:9]
	v_addc_co_u32_e64 v7, s[0:1], v1, v7, s[0:1]
	global_store_dwordx2 v[6:7], v[2:3], off
	s_and_b64 exec, exec, vcc
	s_cbranch_execz .LBB13_16
; %bb.15:
	s_ashr_i32 s15, s14, 31
	s_lshl_b64 s[0:1], s[14:15], 3
	v_add_f64 v[2:3], v[4:5], -v[8:9]
	v_mov_b32_e32 v4, s1
	v_add_co_u32_e32 v0, vcc, s0, v0
	v_addc_co_u32_e32 v1, vcc, v1, v4, vcc
	global_store_dwordx2 v[0:1], v[2:3], off offset:256
.LBB13_16:
	s_endpgm
	.section	.rodata,"a",@progbits
	.p2align	6, 0x0
	.amdhsa_kernel _ZN12_GLOBAL__N_120softmax_warp_forwardIdddLi6ELb1ELb0ELi32EEEvPT0_PKT_iiiPKbib
		.amdhsa_group_segment_fixed_size 0
		.amdhsa_private_segment_fixed_size 0
		.amdhsa_kernarg_size 304
		.amdhsa_user_sgpr_count 6
		.amdhsa_user_sgpr_private_segment_buffer 1
		.amdhsa_user_sgpr_dispatch_ptr 0
		.amdhsa_user_sgpr_queue_ptr 0
		.amdhsa_user_sgpr_kernarg_segment_ptr 1
		.amdhsa_user_sgpr_dispatch_id 0
		.amdhsa_user_sgpr_flat_scratch_init 0
		.amdhsa_user_sgpr_kernarg_preload_length 0
		.amdhsa_user_sgpr_kernarg_preload_offset 0
		.amdhsa_user_sgpr_private_segment_size 0
		.amdhsa_uses_dynamic_stack 0
		.amdhsa_system_sgpr_private_segment_wavefront_offset 0
		.amdhsa_system_sgpr_workgroup_id_x 1
		.amdhsa_system_sgpr_workgroup_id_y 0
		.amdhsa_system_sgpr_workgroup_id_z 0
		.amdhsa_system_sgpr_workgroup_info 0
		.amdhsa_system_vgpr_workitem_id 1
		.amdhsa_next_free_vgpr 32
		.amdhsa_next_free_sgpr 42
		.amdhsa_accum_offset 32
		.amdhsa_reserve_vcc 1
		.amdhsa_reserve_flat_scratch 0
		.amdhsa_float_round_mode_32 0
		.amdhsa_float_round_mode_16_64 0
		.amdhsa_float_denorm_mode_32 3
		.amdhsa_float_denorm_mode_16_64 3
		.amdhsa_dx10_clamp 1
		.amdhsa_ieee_mode 1
		.amdhsa_fp16_overflow 0
		.amdhsa_tg_split 0
		.amdhsa_exception_fp_ieee_invalid_op 0
		.amdhsa_exception_fp_denorm_src 0
		.amdhsa_exception_fp_ieee_div_zero 0
		.amdhsa_exception_fp_ieee_overflow 0
		.amdhsa_exception_fp_ieee_underflow 0
		.amdhsa_exception_fp_ieee_inexact 0
		.amdhsa_exception_int_div_zero 0
	.end_amdhsa_kernel
	.section	.text._ZN12_GLOBAL__N_120softmax_warp_forwardIdddLi6ELb1ELb0ELi32EEEvPT0_PKT_iiiPKbib,"axG",@progbits,_ZN12_GLOBAL__N_120softmax_warp_forwardIdddLi6ELb1ELb0ELi32EEEvPT0_PKT_iiiPKbib,comdat
.Lfunc_end13:
	.size	_ZN12_GLOBAL__N_120softmax_warp_forwardIdddLi6ELb1ELb0ELi32EEEvPT0_PKT_iiiPKbib, .Lfunc_end13-_ZN12_GLOBAL__N_120softmax_warp_forwardIdddLi6ELb1ELb0ELi32EEEvPT0_PKT_iiiPKbib
                                        ; -- End function
	.section	.AMDGPU.csdata,"",@progbits
; Kernel info:
; codeLenInByte = 4004
; NumSgprs: 46
; NumVgprs: 32
; NumAgprs: 0
; TotalNumVgprs: 32
; ScratchSize: 0
; MemoryBound: 0
; FloatMode: 240
; IeeeMode: 1
; LDSByteSize: 0 bytes/workgroup (compile time only)
; SGPRBlocks: 5
; VGPRBlocks: 3
; NumSGPRsForWavesPerEU: 46
; NumVGPRsForWavesPerEU: 32
; AccumOffset: 32
; Occupancy: 8
; WaveLimiterHint : 0
; COMPUTE_PGM_RSRC2:SCRATCH_EN: 0
; COMPUTE_PGM_RSRC2:USER_SGPR: 6
; COMPUTE_PGM_RSRC2:TRAP_HANDLER: 0
; COMPUTE_PGM_RSRC2:TGID_X_EN: 1
; COMPUTE_PGM_RSRC2:TGID_Y_EN: 0
; COMPUTE_PGM_RSRC2:TGID_Z_EN: 0
; COMPUTE_PGM_RSRC2:TIDIG_COMP_CNT: 1
; COMPUTE_PGM_RSRC3_GFX90A:ACCUM_OFFSET: 7
; COMPUTE_PGM_RSRC3_GFX90A:TG_SPLIT: 0
	.section	.text._ZN12_GLOBAL__N_120softmax_warp_forwardIdddLi7ELb1ELb0ELi64EEEvPT0_PKT_iiiPKbib,"axG",@progbits,_ZN12_GLOBAL__N_120softmax_warp_forwardIdddLi7ELb1ELb0ELi64EEEvPT0_PKT_iiiPKbib,comdat
	.globl	_ZN12_GLOBAL__N_120softmax_warp_forwardIdddLi7ELb1ELb0ELi64EEEvPT0_PKT_iiiPKbib ; -- Begin function _ZN12_GLOBAL__N_120softmax_warp_forwardIdddLi7ELb1ELb0ELi64EEEvPT0_PKT_iiiPKbib
	.p2align	8
	.type	_ZN12_GLOBAL__N_120softmax_warp_forwardIdddLi7ELb1ELb0ELi64EEEvPT0_PKT_iiiPKbib,@function
_ZN12_GLOBAL__N_120softmax_warp_forwardIdddLi7ELb1ELb0ELi64EEEvPT0_PKT_iiiPKbib: ; @_ZN12_GLOBAL__N_120softmax_warp_forwardIdddLi7ELb1ELb0ELi64EEEvPT0_PKT_iiiPKbib
; %bb.0:
	s_load_dword s0, s[4:5], 0x3c
	s_load_dwordx8 s[8:15], s[4:5], 0x0
	v_bfe_u32 v1, v0, 10, 10
	v_and_b32_e32 v4, 0x3ff, v0
	s_waitcnt lgkmcnt(0)
	s_lshr_b32 s0, s0, 16
	s_mul_i32 s6, s6, s0
	v_add_lshl_u32 v1, s6, v1, 1
	v_sub_u32_e32 v18, s12, v1
	v_mad_u64_u32 v[0:1], s[0:1], v1, s13, v[4:5]
	v_ashrrev_i32_e32 v1, 31, v0
	v_lshlrev_b64 v[0:1], 3, v[0:1]
	v_mov_b32_e32 v2, s11
	v_add_co_u32_e32 v10, vcc, s10, v0
	v_addc_co_u32_e32 v11, vcc, v2, v1, vcc
	v_mov_b32_e32 v2, 0
	v_cmp_lt_i32_e64 s[2:3], 0, v18
	v_cmp_gt_i32_e64 s[0:1], s14, v4
	v_mov_b32_e32 v3, 0xfff00000
	s_and_b64 s[6:7], s[2:3], s[0:1]
	v_pk_mov_b32 v[6:7], v[2:3], v[2:3] op_sel:[0,1]
	s_and_saveexec_b64 s[4:5], s[6:7]
	s_cbranch_execz .LBB14_2
; %bb.1:
	global_load_dwordx2 v[6:7], v[10:11], off
.LBB14_2:
	s_or_b64 exec, exec, s[4:5]
	v_add_u32_e32 v4, 64, v4
	v_cmp_gt_i32_e32 vcc, s14, v4
	s_and_b64 s[6:7], s[2:3], vcc
	s_and_saveexec_b64 s[4:5], s[6:7]
	s_cbranch_execz .LBB14_4
; %bb.3:
	global_load_dwordx2 v[2:3], v[10:11], off offset:512
.LBB14_4:
	s_or_b64 exec, exec, s[4:5]
	v_mov_b32_e32 v4, 0
	v_cmp_lt_i32_e64 s[4:5], 1, v18
	v_mov_b32_e32 v5, 0xfff00000
	s_and_b64 s[6:7], s[4:5], s[0:1]
	v_pk_mov_b32 v[8:9], v[4:5], v[4:5] op_sel:[0,1]
	s_and_saveexec_b64 s[10:11], s[6:7]
	s_cbranch_execz .LBB14_6
; %bb.5:
	s_mov_b32 s15, 0
	s_lshl_b64 s[6:7], s[14:15], 3
	v_mov_b32_e32 v9, s7
	v_add_co_u32_e64 v8, s[6:7], s6, v10
	v_addc_co_u32_e64 v9, s[6:7], v11, v9, s[6:7]
	global_load_dwordx2 v[8:9], v[8:9], off
.LBB14_6:
	s_or_b64 exec, exec, s[10:11]
	s_and_b64 s[4:5], s[4:5], vcc
	s_and_saveexec_b64 s[6:7], s[4:5]
	s_cbranch_execz .LBB14_8
; %bb.7:
	s_mov_b32 s15, 0
	s_lshl_b64 s[4:5], s[14:15], 3
	v_mov_b32_e32 v5, s5
	v_add_co_u32_e64 v4, s[4:5], s4, v10
	v_addc_co_u32_e64 v5, s[4:5], v11, v5, s[4:5]
	global_load_dwordx2 v[4:5], v[4:5], off offset:512
.LBB14_8:
	s_or_b64 exec, exec, s[6:7]
	v_mbcnt_lo_u32_b32 v12, -1, 0
	v_mbcnt_hi_u32_b32 v26, -1, v12
	v_and_b32_e32 v12, 64, v26
	v_add_u32_e32 v27, 64, v12
	v_xor_b32_e32 v12, 32, v26
	v_cmp_lt_i32_e64 s[6:7], v12, v27
	s_waitcnt vmcnt(0)
	v_cmp_gt_f64_e64 s[4:5], v[6:7], v[2:3]
	v_cndmask_b32_e64 v12, v26, v12, s[6:7]
	v_cndmask_b32_e64 v11, v3, v7, s[4:5]
	;; [unrolled: 1-line block ×3, first 2 shown]
	v_lshlrev_b32_e32 v16, 2, v12
	ds_bpermute_b32 v14, v16, v10
	ds_bpermute_b32 v15, v16, v11
	v_cmp_gt_f64_e64 s[4:5], v[8:9], v[4:5]
	v_cndmask_b32_e64 v13, v5, v9, s[4:5]
	v_cndmask_b32_e64 v12, v4, v8, s[4:5]
	ds_bpermute_b32 v20, v16, v12
	s_waitcnt lgkmcnt(1)
	v_cmp_lt_f64_e64 s[4:5], v[10:11], v[14:15]
	v_cndmask_b32_e64 v10, v10, v14, s[4:5]
	v_xor_b32_e32 v14, 16, v26
	v_cmp_lt_i32_e64 s[6:7], v14, v27
	v_cndmask_b32_e64 v14, v26, v14, s[6:7]
	ds_bpermute_b32 v21, v16, v13
	v_cndmask_b32_e64 v11, v11, v15, s[4:5]
	v_lshlrev_b32_e32 v17, 2, v14
	ds_bpermute_b32 v14, v17, v10
	ds_bpermute_b32 v15, v17, v11
	s_waitcnt lgkmcnt(2)
	v_cmp_lt_f64_e64 s[4:5], v[12:13], v[20:21]
	v_cndmask_b32_e64 v13, v13, v21, s[4:5]
	v_cndmask_b32_e64 v12, v12, v20, s[4:5]
	ds_bpermute_b32 v20, v17, v12
	s_waitcnt lgkmcnt(1)
	v_cmp_lt_f64_e64 s[4:5], v[10:11], v[14:15]
	v_cndmask_b32_e64 v10, v10, v14, s[4:5]
	v_xor_b32_e32 v14, 8, v26
	v_cmp_lt_i32_e64 s[6:7], v14, v27
	v_cndmask_b32_e64 v14, v26, v14, s[6:7]
	ds_bpermute_b32 v21, v17, v13
	v_cndmask_b32_e64 v11, v11, v15, s[4:5]
	v_lshlrev_b32_e32 v19, 2, v14
	ds_bpermute_b32 v14, v19, v10
	ds_bpermute_b32 v15, v19, v11
	s_waitcnt lgkmcnt(2)
	v_cmp_lt_f64_e64 s[4:5], v[12:13], v[20:21]
	;; [unrolled: 16-line block ×4, first 2 shown]
	v_cndmask_b32_e64 v13, v13, v23, s[4:5]
	v_cndmask_b32_e64 v12, v12, v22, s[4:5]
	ds_bpermute_b32 v24, v21, v12
	s_waitcnt lgkmcnt(1)
	v_cmp_lt_f64_e64 s[4:5], v[10:11], v[14:15]
	ds_bpermute_b32 v25, v21, v13
	v_cndmask_b32_e64 v10, v10, v14, s[4:5]
	v_xor_b32_e32 v14, 1, v26
	v_cmp_lt_i32_e64 s[6:7], v14, v27
	v_cndmask_b32_e64 v14, v26, v14, s[6:7]
	v_cndmask_b32_e64 v11, v11, v15, s[4:5]
	v_lshlrev_b32_e32 v22, 2, v14
	ds_bpermute_b32 v14, v22, v10
	ds_bpermute_b32 v15, v22, v11
	s_waitcnt lgkmcnt(2)
	v_cmp_lt_f64_e64 s[4:5], v[12:13], v[24:25]
	v_cndmask_b32_e64 v13, v13, v25, s[4:5]
	v_cndmask_b32_e64 v12, v12, v24, s[4:5]
	ds_bpermute_b32 v24, v22, v12
	ds_bpermute_b32 v25, v22, v13
	s_waitcnt lgkmcnt(2)
	v_cmp_lt_f64_e64 s[4:5], v[10:11], v[14:15]
	v_cndmask_b32_e64 v11, v11, v15, s[4:5]
	v_cndmask_b32_e64 v10, v10, v14, s[4:5]
	s_mov_b32 s10, 0x652b82fe
	v_add_f64 v[6:7], v[6:7], -v[10:11]
	s_mov_b32 s11, 0x3ff71547
	s_waitcnt lgkmcnt(0)
	v_cmp_lt_f64_e64 s[4:5], v[12:13], v[24:25]
	v_mul_f64 v[14:15], v[6:7], s[10:11]
	s_mov_b32 s12, 0xfefa39ef
	v_cndmask_b32_e64 v13, v13, v25, s[4:5]
	v_cndmask_b32_e64 v12, v12, v24, s[4:5]
	v_rndne_f64_e32 v[24:25], v[14:15]
	s_mov_b32 s13, 0xbfe62e42
	s_mov_b32 s16, 0x3b39803f
	;; [unrolled: 1-line block ×3, first 2 shown]
	v_fma_f64 v[26:27], s[12:13], v[24:25], v[6:7]
	s_mov_b32 s17, 0xbc7abc9e
	s_mov_b32 s5, 0x3e928af3
	;; [unrolled: 1-line block ×3, first 2 shown]
	v_fmac_f64_e32 v[26:27], s[16:17], v[24:25]
	s_mov_b32 s19, 0x3e5ade15
	v_pk_mov_b32 v[14:15], s[4:5], s[4:5] op_sel:[0,1]
	s_mov_b32 s20, 0x623fde64
	v_fma_f64 v[28:29], s[18:19], v[26:27], v[14:15]
	s_mov_b32 s21, 0x3ec71dee
	s_mov_b32 s22, 0x7c89e6b0
	v_fma_f64 v[28:29], v[26:27], v[28:29], s[20:21]
	s_mov_b32 s23, 0x3efa0199
	;; [unrolled: 3-line block ×8, first 2 shown]
	v_fma_f64 v[28:29], v[26:27], v[28:29], s[36:37]
	v_add_f64 v[10:11], v[2:3], -v[10:11]
	v_fma_f64 v[28:29], v[26:27], v[28:29], 1.0
	v_mul_f64 v[2:3], v[10:11], s[10:11]
	v_fma_f64 v[26:27], v[26:27], v[28:29], 1.0
	v_cvt_i32_f64_e32 v23, v[24:25]
	v_rndne_f64_e32 v[2:3], v[2:3]
	v_ldexp_f64 v[24:25], v[26:27], v23
	v_fma_f64 v[26:27], s[12:13], v[2:3], v[10:11]
	v_fmac_f64_e32 v[26:27], s[16:17], v[2:3]
	v_fma_f64 v[28:29], s[18:19], v[26:27], v[14:15]
	v_fma_f64 v[28:29], v[26:27], v[28:29], s[20:21]
	;; [unrolled: 1-line block ×7, first 2 shown]
	s_mov_b32 s38, 0
	s_mov_b32 s40, 0
	v_fma_f64 v[28:29], v[26:27], v[28:29], s[34:35]
	s_mov_b32 s39, 0x40900000
	s_mov_b32 s41, 0xc090cc00
	v_fma_f64 v[28:29], v[26:27], v[28:29], s[36:37]
	v_add_f64 v[24:25], v[24:25], 0
	v_mov_b32_e32 v23, 0x7ff00000
	v_cmp_nlt_f64_e64 s[4:5], s[38:39], v[6:7]
	v_cmp_ngt_f64_e64 s[6:7], s[40:41], v[6:7]
	v_fma_f64 v[28:29], v[26:27], v[28:29], 1.0
	v_cndmask_b32_e64 v25, v23, v25, s[4:5]
	s_and_b64 s[4:5], s[6:7], s[4:5]
	v_fma_f64 v[26:27], v[26:27], v[28:29], 1.0
	v_cvt_i32_f64_e32 v2, v[2:3]
	v_cndmask_b32_e64 v25, 0, v25, s[6:7]
	v_cndmask_b32_e64 v24, 0, v24, s[4:5]
	v_ldexp_f64 v[2:3], v[26:27], v2
	v_cmp_nlt_f64_e64 s[4:5], s[38:39], v[10:11]
	v_cmp_ngt_f64_e64 s[6:7], s[40:41], v[10:11]
	v_cndmask_b32_e64 v3, v23, v3, s[4:5]
	s_and_b64 s[4:5], s[6:7], s[4:5]
	v_cndmask_b32_e64 v3, 0, v3, s[6:7]
	v_cndmask_b32_e64 v2, 0, v2, s[4:5]
	v_add_f64 v[24:25], v[24:25], v[2:3]
	v_add_f64 v[2:3], v[8:9], -v[12:13]
	v_mul_f64 v[8:9], v[2:3], s[10:11]
	v_rndne_f64_e32 v[8:9], v[8:9]
	v_fma_f64 v[26:27], s[12:13], v[8:9], v[2:3]
	v_fmac_f64_e32 v[26:27], s[16:17], v[8:9]
	v_fma_f64 v[28:29], s[18:19], v[26:27], v[14:15]
	v_fma_f64 v[28:29], v[26:27], v[28:29], s[20:21]
	;; [unrolled: 1-line block ×9, first 2 shown]
	v_add_f64 v[4:5], v[4:5], -v[12:13]
	v_fma_f64 v[28:29], v[26:27], v[28:29], 1.0
	v_mul_f64 v[12:13], v[4:5], s[10:11]
	v_fma_f64 v[26:27], v[26:27], v[28:29], 1.0
	v_cvt_i32_f64_e32 v8, v[8:9]
	v_rndne_f64_e32 v[12:13], v[12:13]
	v_ldexp_f64 v[8:9], v[26:27], v8
	v_fma_f64 v[26:27], s[12:13], v[12:13], v[4:5]
	v_fmac_f64_e32 v[26:27], s[16:17], v[12:13]
	v_fmac_f64_e32 v[14:15], s[18:19], v[26:27]
	v_fma_f64 v[14:15], v[26:27], v[14:15], s[20:21]
	v_fma_f64 v[14:15], v[26:27], v[14:15], s[22:23]
	v_fma_f64 v[14:15], v[26:27], v[14:15], s[24:25]
	v_fma_f64 v[14:15], v[26:27], v[14:15], s[26:27]
	v_fma_f64 v[14:15], v[26:27], v[14:15], s[28:29]
	v_fma_f64 v[14:15], v[26:27], v[14:15], s[30:31]
	v_fma_f64 v[14:15], v[26:27], v[14:15], s[34:35]
	v_fma_f64 v[14:15], v[26:27], v[14:15], s[36:37]
	v_add_f64 v[8:9], v[8:9], 0
	v_cmp_nlt_f64_e64 s[4:5], s[38:39], v[2:3]
	v_cmp_ngt_f64_e64 s[6:7], s[40:41], v[2:3]
	v_fma_f64 v[14:15], v[26:27], v[14:15], 1.0
	v_cndmask_b32_e64 v9, v23, v9, s[4:5]
	s_and_b64 s[4:5], s[6:7], s[4:5]
	v_fma_f64 v[14:15], v[26:27], v[14:15], 1.0
	v_cvt_i32_f64_e32 v12, v[12:13]
	v_cndmask_b32_e64 v9, 0, v9, s[6:7]
	v_cndmask_b32_e64 v8, 0, v8, s[4:5]
	v_ldexp_f64 v[12:13], v[14:15], v12
	v_cmp_nlt_f64_e64 s[4:5], s[38:39], v[4:5]
	v_cmp_ngt_f64_e64 s[6:7], s[40:41], v[4:5]
	v_cndmask_b32_e64 v13, v23, v13, s[4:5]
	s_and_b64 s[4:5], s[6:7], s[4:5]
	v_cndmask_b32_e64 v13, 0, v13, s[6:7]
	v_cndmask_b32_e64 v12, 0, v12, s[4:5]
	v_add_f64 v[8:9], v[8:9], v[12:13]
	ds_bpermute_b32 v12, v16, v24
	ds_bpermute_b32 v13, v16, v25
	;; [unrolled: 1-line block ×4, first 2 shown]
	s_waitcnt lgkmcnt(2)
	v_add_f64 v[12:13], v[24:25], v[12:13]
	s_waitcnt lgkmcnt(0)
	v_add_f64 v[8:9], v[8:9], v[14:15]
	ds_bpermute_b32 v14, v17, v12
	ds_bpermute_b32 v15, v17, v13
	;; [unrolled: 1-line block ×4, first 2 shown]
	s_waitcnt lgkmcnt(2)
	v_add_f64 v[12:13], v[12:13], v[14:15]
	ds_bpermute_b32 v14, v19, v12
	s_waitcnt lgkmcnt(1)
	v_add_f64 v[8:9], v[8:9], v[16:17]
	ds_bpermute_b32 v15, v19, v13
	ds_bpermute_b32 v16, v19, v8
	ds_bpermute_b32 v17, v19, v9
	s_waitcnt lgkmcnt(2)
	v_add_f64 v[12:13], v[12:13], v[14:15]
	ds_bpermute_b32 v14, v20, v12
	s_waitcnt lgkmcnt(1)
	v_add_f64 v[8:9], v[8:9], v[16:17]
	ds_bpermute_b32 v15, v20, v13
	ds_bpermute_b32 v16, v20, v8
	ds_bpermute_b32 v17, v20, v9
	;; [unrolled: 8-line block ×3, first 2 shown]
	s_waitcnt lgkmcnt(2)
	v_add_f64 v[14:15], v[12:13], v[14:15]
	s_waitcnt lgkmcnt(0)
	v_add_f64 v[8:9], v[8:9], v[16:17]
	ds_bpermute_b32 v16, v22, v14
	ds_bpermute_b32 v17, v22, v15
	;; [unrolled: 1-line block ×4, first 2 shown]
	s_and_saveexec_b64 s[4:5], s[2:3]
	s_cbranch_execz .LBB14_16
; %bb.9:
	v_mov_b32_e32 v19, s9
	v_add_co_u32_e64 v0, s[2:3], s8, v0
	v_addc_co_u32_e64 v1, s[2:3], v19, v1, s[2:3]
	s_and_saveexec_b64 s[4:5], s[0:1]
	s_cbranch_execz .LBB14_12
; %bb.10:
	s_waitcnt lgkmcnt(2)
	v_add_f64 v[14:15], v[14:15], v[16:17]
	s_mov_b32 s2, 0x55555555
	v_frexp_mant_f64_e32 v[16:17], v[14:15]
	s_mov_b32 s3, 0x3fe55555
	v_mov_b32_e32 v20, 0x3ff00000
	v_cmp_gt_f64_e64 s[2:3], s[2:3], v[16:17]
	v_cndmask_b32_e64 v21, v20, 2.0, s[2:3]
	v_mov_b32_e32 v20, 0
	v_mul_f64 v[16:17], v[16:17], v[20:21]
	v_add_f64 v[20:21], v[16:17], 1.0
	v_rcp_f64_e32 v[22:23], v[20:21]
	v_add_f64 v[26:27], v[20:21], -1.0
	v_add_f64 v[24:25], v[16:17], -1.0
	v_add_f64 v[16:17], v[16:17], -v[26:27]
	v_fma_f64 v[26:27], -v[20:21], v[22:23], 1.0
	v_fmac_f64_e32 v[22:23], v[26:27], v[22:23]
	v_fma_f64 v[26:27], -v[20:21], v[22:23], 1.0
	v_fmac_f64_e32 v[22:23], v[26:27], v[22:23]
	v_mul_f64 v[26:27], v[24:25], v[22:23]
	v_mul_f64 v[28:29], v[20:21], v[26:27]
	v_fma_f64 v[20:21], v[26:27], v[20:21], -v[28:29]
	v_fmac_f64_e32 v[20:21], v[26:27], v[16:17]
	v_add_f64 v[16:17], v[28:29], v[20:21]
	v_add_f64 v[30:31], v[24:25], -v[16:17]
	v_add_f64 v[28:29], v[16:17], -v[28:29]
	;; [unrolled: 1-line block ×5, first 2 shown]
	v_add_f64 v[16:17], v[20:21], v[16:17]
	v_add_f64 v[16:17], v[30:31], v[16:17]
	v_frexp_exp_i32_f64_e32 v19, v[14:15]
	v_mul_f64 v[16:17], v[22:23], v[16:17]
	v_subbrev_co_u32_e64 v19, s[2:3], 0, v19, s[2:3]
	v_add_f64 v[20:21], v[26:27], v[16:17]
	v_add_f64 v[22:23], v[20:21], -v[26:27]
	s_mov_b32 s2, 0xbf559e2b
	v_add_f64 v[16:17], v[16:17], -v[22:23]
	v_mul_f64 v[22:23], v[20:21], v[20:21]
	v_mov_b32_e32 v24, 0x6b47b09a
	v_mov_b32_e32 v25, 0x3fc38538
	s_mov_b32 s3, 0x3fc3ab76
	v_fmac_f64_e32 v[24:25], s[2:3], v[22:23]
	v_mov_b32_e32 v26, 0xd7f4df2e
	v_mov_b32_e32 v27, 0x3fc7474d
	v_fmac_f64_e32 v[26:27], v[22:23], v[24:25]
	v_mov_b32_e32 v24, 0x16291751
	v_mov_b32_e32 v25, 0x3fcc71c0
	v_fmac_f64_e32 v[24:25], v[22:23], v[26:27]
	v_mov_b32_e32 v26, 0x9b27acf1
	v_mov_b32_e32 v27, 0x3fd24924
	v_fmac_f64_e32 v[26:27], v[22:23], v[24:25]
	v_mov_b32_e32 v24, 0x998ef7b6
	v_mov_b32_e32 v25, 0x3fd99999
	v_fmac_f64_e32 v[24:25], v[22:23], v[26:27]
	v_mov_b32_e32 v26, 0x55555780
	v_mov_b32_e32 v27, 0x3fe55555
	v_fmac_f64_e32 v[26:27], v[22:23], v[24:25]
	v_ldexp_f64 v[24:25], v[20:21], 1
	v_mul_f64 v[20:21], v[20:21], v[22:23]
	v_mul_f64 v[20:21], v[20:21], v[26:27]
	v_add_f64 v[22:23], v[24:25], v[20:21]
	v_add_f64 v[24:25], v[22:23], -v[24:25]
	v_ldexp_f64 v[16:17], v[16:17], 1
	v_add_f64 v[20:21], v[20:21], -v[24:25]
	v_add_f64 v[16:17], v[16:17], v[20:21]
	v_add_f64 v[20:21], v[22:23], v[16:17]
	v_add_f64 v[22:23], v[20:21], -v[22:23]
	s_mov_b32 s2, 0xfefa39ef
	v_add_f64 v[16:17], v[16:17], -v[22:23]
	v_cvt_f64_i32_e32 v[22:23], v19
	s_mov_b32 s3, 0x3fe62e42
	v_mul_f64 v[24:25], v[22:23], s[2:3]
	v_fma_f64 v[26:27], v[22:23], s[2:3], -v[24:25]
	s_mov_b32 s2, 0x3b39803f
	s_mov_b32 s3, 0x3c7abc9e
	v_fmac_f64_e32 v[26:27], s[2:3], v[22:23]
	v_add_f64 v[22:23], v[24:25], v[26:27]
	v_add_f64 v[24:25], v[22:23], -v[24:25]
	v_add_f64 v[24:25], v[26:27], -v[24:25]
	v_add_f64 v[26:27], v[22:23], v[20:21]
	v_add_f64 v[28:29], v[26:27], -v[22:23]
	v_add_f64 v[30:31], v[26:27], -v[28:29]
	v_add_f64 v[22:23], v[22:23], -v[30:31]
	v_add_f64 v[20:21], v[20:21], -v[28:29]
	v_add_f64 v[20:21], v[20:21], v[22:23]
	v_add_f64 v[22:23], v[24:25], v[16:17]
	v_add_f64 v[28:29], v[22:23], -v[24:25]
	v_add_f64 v[30:31], v[22:23], -v[28:29]
	v_add_f64 v[20:21], v[22:23], v[20:21]
	v_add_f64 v[24:25], v[24:25], -v[30:31]
	v_add_f64 v[16:17], v[16:17], -v[28:29]
	v_add_f64 v[22:23], v[26:27], v[20:21]
	v_add_f64 v[16:17], v[16:17], v[24:25]
	v_add_f64 v[24:25], v[22:23], -v[26:27]
	v_add_f64 v[20:21], v[20:21], -v[24:25]
	v_add_f64 v[16:17], v[16:17], v[20:21]
	s_movk_i32 s2, 0x204
	v_add_f64 v[16:17], v[22:23], v[16:17]
	v_cmp_class_f64_e64 s[2:3], v[14:15], s2
	v_cndmask_b32_e64 v16, v16, v14, s[2:3]
	v_cndmask_b32_e64 v17, v17, v15, s[2:3]
	v_mov_b32_e32 v19, 0x7ff80000
	v_cmp_ngt_f64_e64 s[2:3], 0, v[14:15]
	v_cndmask_b32_e64 v17, v19, v17, s[2:3]
	v_cmp_nge_f64_e64 s[2:3], 0, v[14:15]
	v_cndmask_b32_e64 v16, 0, v16, s[2:3]
	v_mov_b32_e32 v19, 0xfff00000
	v_cmp_neq_f64_e64 s[2:3], 0, v[14:15]
	v_cndmask_b32_e64 v17, v19, v17, s[2:3]
	v_add_f64 v[6:7], v[6:7], -v[16:17]
	global_store_dwordx2 v[0:1], v[6:7], off
	s_and_b64 exec, exec, vcc
	s_cbranch_execz .LBB14_12
; %bb.11:
	v_add_f64 v[6:7], v[10:11], -v[16:17]
	global_store_dwordx2 v[0:1], v[6:7], off offset:512
.LBB14_12:
	s_or_b64 exec, exec, s[4:5]
	v_cmp_ne_u32_e64 s[2:3], 1, v18
	s_and_b64 exec, exec, s[2:3]
	s_cbranch_execz .LBB14_16
; %bb.13:
	s_and_b64 exec, exec, s[0:1]
	s_cbranch_execz .LBB14_16
; %bb.14:
	s_waitcnt lgkmcnt(0)
	v_add_f64 v[6:7], v[8:9], v[12:13]
	s_mov_b32 s0, 0x55555555
	v_frexp_mant_f64_e32 v[8:9], v[6:7]
	s_mov_b32 s1, 0x3fe55555
	v_mov_b32_e32 v10, 0x3ff00000
	v_cmp_gt_f64_e64 s[0:1], s[0:1], v[8:9]
	v_cndmask_b32_e64 v11, v10, 2.0, s[0:1]
	v_mov_b32_e32 v10, 0
	v_mul_f64 v[8:9], v[8:9], v[10:11]
	v_frexp_exp_i32_f64_e32 v12, v[6:7]
	v_add_f64 v[10:11], v[8:9], 1.0
	v_subbrev_co_u32_e64 v22, s[0:1], 0, v12, s[0:1]
	v_rcp_f64_e32 v[12:13], v[10:11]
	v_add_f64 v[16:17], v[10:11], -1.0
	v_add_f64 v[14:15], v[8:9], -1.0
	v_add_f64 v[8:9], v[8:9], -v[16:17]
	v_fma_f64 v[16:17], -v[10:11], v[12:13], 1.0
	v_fmac_f64_e32 v[12:13], v[16:17], v[12:13]
	v_fma_f64 v[16:17], -v[10:11], v[12:13], 1.0
	v_fmac_f64_e32 v[12:13], v[16:17], v[12:13]
	v_mul_f64 v[16:17], v[14:15], v[12:13]
	v_mul_f64 v[18:19], v[10:11], v[16:17]
	v_fma_f64 v[10:11], v[16:17], v[10:11], -v[18:19]
	v_fmac_f64_e32 v[10:11], v[16:17], v[8:9]
	v_add_f64 v[8:9], v[18:19], v[10:11]
	v_add_f64 v[20:21], v[14:15], -v[8:9]
	v_add_f64 v[18:19], v[8:9], -v[18:19]
	;; [unrolled: 1-line block ×5, first 2 shown]
	v_add_f64 v[8:9], v[10:11], v[8:9]
	v_add_f64 v[8:9], v[20:21], v[8:9]
	v_mul_f64 v[8:9], v[12:13], v[8:9]
	v_add_f64 v[10:11], v[16:17], v[8:9]
	v_add_f64 v[12:13], v[10:11], -v[16:17]
	s_mov_b32 s0, 0xbf559e2b
	v_add_f64 v[8:9], v[8:9], -v[12:13]
	v_mul_f64 v[12:13], v[10:11], v[10:11]
	v_mov_b32_e32 v14, 0x6b47b09a
	v_mov_b32_e32 v15, 0x3fc38538
	s_mov_b32 s1, 0x3fc3ab76
	v_fmac_f64_e32 v[14:15], s[0:1], v[12:13]
	v_mov_b32_e32 v16, 0xd7f4df2e
	v_mov_b32_e32 v17, 0x3fc7474d
	v_fmac_f64_e32 v[16:17], v[12:13], v[14:15]
	v_mov_b32_e32 v14, 0x16291751
	v_mov_b32_e32 v15, 0x3fcc71c0
	;; [unrolled: 3-line block ×5, first 2 shown]
	v_fmac_f64_e32 v[16:17], v[12:13], v[14:15]
	v_ldexp_f64 v[14:15], v[10:11], 1
	v_mul_f64 v[10:11], v[10:11], v[12:13]
	v_mul_f64 v[10:11], v[10:11], v[16:17]
	v_add_f64 v[12:13], v[14:15], v[10:11]
	v_add_f64 v[14:15], v[12:13], -v[14:15]
	v_ldexp_f64 v[8:9], v[8:9], 1
	v_add_f64 v[10:11], v[10:11], -v[14:15]
	v_add_f64 v[8:9], v[8:9], v[10:11]
	v_add_f64 v[10:11], v[12:13], v[8:9]
	v_add_f64 v[12:13], v[10:11], -v[12:13]
	s_mov_b32 s0, 0xfefa39ef
	v_add_f64 v[8:9], v[8:9], -v[12:13]
	v_cvt_f64_i32_e32 v[12:13], v22
	s_mov_b32 s1, 0x3fe62e42
	v_mul_f64 v[14:15], v[12:13], s[0:1]
	v_fma_f64 v[16:17], v[12:13], s[0:1], -v[14:15]
	s_mov_b32 s0, 0x3b39803f
	s_mov_b32 s1, 0x3c7abc9e
	v_fmac_f64_e32 v[16:17], s[0:1], v[12:13]
	v_add_f64 v[12:13], v[14:15], v[16:17]
	v_add_f64 v[14:15], v[12:13], -v[14:15]
	v_add_f64 v[14:15], v[16:17], -v[14:15]
	v_add_f64 v[16:17], v[12:13], v[10:11]
	v_add_f64 v[18:19], v[16:17], -v[12:13]
	v_add_f64 v[20:21], v[16:17], -v[18:19]
	;; [unrolled: 1-line block ×4, first 2 shown]
	v_add_f64 v[10:11], v[10:11], v[12:13]
	v_add_f64 v[12:13], v[14:15], v[8:9]
	v_add_f64 v[18:19], v[12:13], -v[14:15]
	v_add_f64 v[20:21], v[12:13], -v[18:19]
	v_add_f64 v[10:11], v[12:13], v[10:11]
	v_add_f64 v[14:15], v[14:15], -v[20:21]
	v_add_f64 v[8:9], v[8:9], -v[18:19]
	v_add_f64 v[12:13], v[16:17], v[10:11]
	v_add_f64 v[8:9], v[8:9], v[14:15]
	v_add_f64 v[14:15], v[12:13], -v[16:17]
	v_add_f64 v[10:11], v[10:11], -v[14:15]
	v_add_f64 v[8:9], v[8:9], v[10:11]
	s_movk_i32 s0, 0x204
	v_add_f64 v[8:9], v[12:13], v[8:9]
	v_cmp_class_f64_e64 s[0:1], v[6:7], s0
	v_cndmask_b32_e64 v8, v8, v6, s[0:1]
	v_cndmask_b32_e64 v9, v9, v7, s[0:1]
	v_mov_b32_e32 v10, 0x7ff80000
	v_cmp_ngt_f64_e64 s[0:1], 0, v[6:7]
	v_cndmask_b32_e64 v9, v10, v9, s[0:1]
	v_cmp_nge_f64_e64 s[0:1], 0, v[6:7]
	s_mov_b32 s15, 0
	v_cndmask_b32_e64 v8, 0, v8, s[0:1]
	v_mov_b32_e32 v10, 0xfff00000
	v_cmp_neq_f64_e64 s[0:1], 0, v[6:7]
	v_cndmask_b32_e64 v9, v10, v9, s[0:1]
	s_lshl_b64 s[0:1], s[14:15], 3
	v_mov_b32_e32 v7, s1
	v_add_co_u32_e64 v6, s[0:1], s0, v0
	v_add_f64 v[2:3], v[2:3], -v[8:9]
	v_addc_co_u32_e64 v7, s[0:1], v1, v7, s[0:1]
	global_store_dwordx2 v[6:7], v[2:3], off
	s_and_b64 exec, exec, vcc
	s_cbranch_execz .LBB14_16
; %bb.15:
	s_ashr_i32 s15, s14, 31
	s_lshl_b64 s[0:1], s[14:15], 3
	v_add_f64 v[2:3], v[4:5], -v[8:9]
	v_mov_b32_e32 v4, s1
	v_add_co_u32_e32 v0, vcc, s0, v0
	v_addc_co_u32_e32 v1, vcc, v1, v4, vcc
	global_store_dwordx2 v[0:1], v[2:3], off offset:512
.LBB14_16:
	s_endpgm
	.section	.rodata,"a",@progbits
	.p2align	6, 0x0
	.amdhsa_kernel _ZN12_GLOBAL__N_120softmax_warp_forwardIdddLi7ELb1ELb0ELi64EEEvPT0_PKT_iiiPKbib
		.amdhsa_group_segment_fixed_size 0
		.amdhsa_private_segment_fixed_size 0
		.amdhsa_kernarg_size 304
		.amdhsa_user_sgpr_count 6
		.amdhsa_user_sgpr_private_segment_buffer 1
		.amdhsa_user_sgpr_dispatch_ptr 0
		.amdhsa_user_sgpr_queue_ptr 0
		.amdhsa_user_sgpr_kernarg_segment_ptr 1
		.amdhsa_user_sgpr_dispatch_id 0
		.amdhsa_user_sgpr_flat_scratch_init 0
		.amdhsa_user_sgpr_kernarg_preload_length 0
		.amdhsa_user_sgpr_kernarg_preload_offset 0
		.amdhsa_user_sgpr_private_segment_size 0
		.amdhsa_uses_dynamic_stack 0
		.amdhsa_system_sgpr_private_segment_wavefront_offset 0
		.amdhsa_system_sgpr_workgroup_id_x 1
		.amdhsa_system_sgpr_workgroup_id_y 0
		.amdhsa_system_sgpr_workgroup_id_z 0
		.amdhsa_system_sgpr_workgroup_info 0
		.amdhsa_system_vgpr_workitem_id 1
		.amdhsa_next_free_vgpr 32
		.amdhsa_next_free_sgpr 42
		.amdhsa_accum_offset 32
		.amdhsa_reserve_vcc 1
		.amdhsa_reserve_flat_scratch 0
		.amdhsa_float_round_mode_32 0
		.amdhsa_float_round_mode_16_64 0
		.amdhsa_float_denorm_mode_32 3
		.amdhsa_float_denorm_mode_16_64 3
		.amdhsa_dx10_clamp 1
		.amdhsa_ieee_mode 1
		.amdhsa_fp16_overflow 0
		.amdhsa_tg_split 0
		.amdhsa_exception_fp_ieee_invalid_op 0
		.amdhsa_exception_fp_denorm_src 0
		.amdhsa_exception_fp_ieee_div_zero 0
		.amdhsa_exception_fp_ieee_overflow 0
		.amdhsa_exception_fp_ieee_underflow 0
		.amdhsa_exception_fp_ieee_inexact 0
		.amdhsa_exception_int_div_zero 0
	.end_amdhsa_kernel
	.section	.text._ZN12_GLOBAL__N_120softmax_warp_forwardIdddLi7ELb1ELb0ELi64EEEvPT0_PKT_iiiPKbib,"axG",@progbits,_ZN12_GLOBAL__N_120softmax_warp_forwardIdddLi7ELb1ELb0ELi64EEEvPT0_PKT_iiiPKbib,comdat
.Lfunc_end14:
	.size	_ZN12_GLOBAL__N_120softmax_warp_forwardIdddLi7ELb1ELb0ELi64EEEvPT0_PKT_iiiPKbib, .Lfunc_end14-_ZN12_GLOBAL__N_120softmax_warp_forwardIdddLi7ELb1ELb0ELi64EEEvPT0_PKT_iiiPKbib
                                        ; -- End function
	.section	.AMDGPU.csdata,"",@progbits
; Kernel info:
; codeLenInByte = 4168
; NumSgprs: 46
; NumVgprs: 32
; NumAgprs: 0
; TotalNumVgprs: 32
; ScratchSize: 0
; MemoryBound: 0
; FloatMode: 240
; IeeeMode: 1
; LDSByteSize: 0 bytes/workgroup (compile time only)
; SGPRBlocks: 5
; VGPRBlocks: 3
; NumSGPRsForWavesPerEU: 46
; NumVGPRsForWavesPerEU: 32
; AccumOffset: 32
; Occupancy: 8
; WaveLimiterHint : 0
; COMPUTE_PGM_RSRC2:SCRATCH_EN: 0
; COMPUTE_PGM_RSRC2:USER_SGPR: 6
; COMPUTE_PGM_RSRC2:TRAP_HANDLER: 0
; COMPUTE_PGM_RSRC2:TGID_X_EN: 1
; COMPUTE_PGM_RSRC2:TGID_Y_EN: 0
; COMPUTE_PGM_RSRC2:TGID_Z_EN: 0
; COMPUTE_PGM_RSRC2:TIDIG_COMP_CNT: 1
; COMPUTE_PGM_RSRC3_GFX90A:ACCUM_OFFSET: 7
; COMPUTE_PGM_RSRC3_GFX90A:TG_SPLIT: 0
	.section	.text._ZN12_GLOBAL__N_120softmax_warp_forwardIdddLi7ELb1ELb0ELi32EEEvPT0_PKT_iiiPKbib,"axG",@progbits,_ZN12_GLOBAL__N_120softmax_warp_forwardIdddLi7ELb1ELb0ELi32EEEvPT0_PKT_iiiPKbib,comdat
	.globl	_ZN12_GLOBAL__N_120softmax_warp_forwardIdddLi7ELb1ELb0ELi32EEEvPT0_PKT_iiiPKbib ; -- Begin function _ZN12_GLOBAL__N_120softmax_warp_forwardIdddLi7ELb1ELb0ELi32EEEvPT0_PKT_iiiPKbib
	.p2align	8
	.type	_ZN12_GLOBAL__N_120softmax_warp_forwardIdddLi7ELb1ELb0ELi32EEEvPT0_PKT_iiiPKbib,@function
_ZN12_GLOBAL__N_120softmax_warp_forwardIdddLi7ELb1ELb0ELi32EEEvPT0_PKT_iiiPKbib: ; @_ZN12_GLOBAL__N_120softmax_warp_forwardIdddLi7ELb1ELb0ELi32EEEvPT0_PKT_iiiPKbib
; %bb.0:
	s_load_dword s0, s[4:5], 0x3c
	s_load_dwordx8 s[12:19], s[4:5], 0x0
	v_bfe_u32 v1, v0, 10, 10
	v_and_b32_e32 v6, 0x3ff, v0
	v_mov_b32_e32 v12, 0
	s_waitcnt lgkmcnt(0)
	s_lshr_b32 s0, s0, 16
	s_mul_i32 s6, s6, s0
	v_add_lshl_u32 v1, s6, v1, 1
	v_sub_u32_e32 v26, s16, v1
	v_mad_u64_u32 v[0:1], s[0:1], v1, s17, v[6:7]
	v_ashrrev_i32_e32 v1, 31, v0
	v_lshlrev_b64 v[0:1], 3, v[0:1]
	v_mov_b32_e32 v2, s15
	v_add_co_u32_e32 v18, vcc, s14, v0
	v_cmp_lt_i32_e64 s[6:7], 0, v26
	v_cmp_gt_i32_e64 s[4:5], s18, v6
	v_mov_b32_e32 v13, 0xfff00000
	v_addc_co_u32_e32 v19, vcc, v2, v1, vcc
	s_and_b64 s[2:3], s[6:7], s[4:5]
	v_pk_mov_b32 v[4:5], v[12:13], v[12:13] op_sel:[0,1]
	s_and_saveexec_b64 s[0:1], s[2:3]
	s_cbranch_execz .LBB15_2
; %bb.1:
	global_load_dwordx2 v[4:5], v[18:19], off
.LBB15_2:
	s_or_b64 exec, exec, s[0:1]
	v_add_u32_e32 v2, 32, v6
	v_cmp_gt_i32_e32 vcc, s18, v2
	s_and_b64 s[2:3], s[6:7], vcc
	s_and_saveexec_b64 s[0:1], s[2:3]
	s_cbranch_execz .LBB15_4
; %bb.3:
	global_load_dwordx2 v[12:13], v[18:19], off offset:256
.LBB15_4:
	s_or_b64 exec, exec, s[0:1]
	v_add_u32_e32 v2, 64, v6
	v_cmp_gt_i32_e64 s[0:1], s18, v2
	v_mov_b32_e32 v2, 0
	v_mov_b32_e32 v3, 0xfff00000
	s_and_b64 s[8:9], s[6:7], s[0:1]
	v_pk_mov_b32 v[16:17], v[2:3], v[2:3] op_sel:[0,1]
	s_and_saveexec_b64 s[2:3], s[8:9]
	s_cbranch_execz .LBB15_6
; %bb.5:
	global_load_dwordx2 v[16:17], v[18:19], off offset:512
.LBB15_6:
	s_or_b64 exec, exec, s[2:3]
	v_add_u32_e32 v6, 0x60, v6
	v_cmp_gt_i32_e64 s[2:3], s18, v6
	s_and_b64 s[10:11], s[6:7], s[2:3]
	s_and_saveexec_b64 s[8:9], s[10:11]
	s_cbranch_execz .LBB15_8
; %bb.7:
	global_load_dwordx2 v[2:3], v[18:19], off offset:768
.LBB15_8:
	s_or_b64 exec, exec, s[8:9]
	v_mov_b32_e32 v6, 0
	v_cmp_lt_i32_e64 s[8:9], 1, v26
	v_mov_b32_e32 v7, 0xfff00000
	s_and_b64 s[10:11], s[8:9], s[4:5]
	v_pk_mov_b32 v[14:15], v[6:7], v[6:7] op_sel:[0,1]
	s_and_saveexec_b64 s[14:15], s[10:11]
	s_cbranch_execz .LBB15_10
; %bb.9:
	s_mov_b32 s19, 0
	s_lshl_b64 s[10:11], s[18:19], 3
	v_mov_b32_e32 v9, s11
	v_add_co_u32_e64 v8, s[10:11], s10, v18
	v_addc_co_u32_e64 v9, s[10:11], v19, v9, s[10:11]
	global_load_dwordx2 v[14:15], v[8:9], off
.LBB15_10:
	s_or_b64 exec, exec, s[14:15]
	s_and_b64 s[10:11], s[8:9], vcc
	s_and_saveexec_b64 s[14:15], s[10:11]
	s_cbranch_execz .LBB15_12
; %bb.11:
	s_mov_b32 s19, 0
	s_lshl_b64 s[10:11], s[18:19], 3
	v_mov_b32_e32 v7, s11
	v_add_co_u32_e64 v6, s[10:11], s10, v18
	v_addc_co_u32_e64 v7, s[10:11], v19, v7, s[10:11]
	global_load_dwordx2 v[6:7], v[6:7], off offset:256
.LBB15_12:
	s_or_b64 exec, exec, s[14:15]
	v_mov_b32_e32 v10, 0
	v_mov_b32_e32 v11, 0xfff00000
	s_and_b64 s[10:11], s[8:9], s[0:1]
	v_pk_mov_b32 v[8:9], v[10:11], v[10:11] op_sel:[0,1]
	s_and_saveexec_b64 s[14:15], s[10:11]
	s_cbranch_execz .LBB15_14
; %bb.13:
	s_mov_b32 s19, 0
	s_lshl_b64 s[10:11], s[18:19], 3
	v_mov_b32_e32 v9, s11
	v_add_co_u32_e64 v8, s[10:11], s10, v18
	v_addc_co_u32_e64 v9, s[10:11], v19, v9, s[10:11]
	global_load_dwordx2 v[8:9], v[8:9], off offset:512
.LBB15_14:
	s_or_b64 exec, exec, s[14:15]
	s_and_b64 s[8:9], s[8:9], s[2:3]
	s_and_saveexec_b64 s[10:11], s[8:9]
	s_cbranch_execz .LBB15_16
; %bb.15:
	s_mov_b32 s19, 0
	s_lshl_b64 s[8:9], s[18:19], 3
	v_mov_b32_e32 v11, s9
	v_add_co_u32_e64 v10, s[8:9], s8, v18
	v_addc_co_u32_e64 v11, s[8:9], v19, v11, s[8:9]
	global_load_dwordx2 v[10:11], v[10:11], off offset:768
.LBB15_16:
	s_or_b64 exec, exec, s[10:11]
	v_mbcnt_lo_u32_b32 v22, -1, 0
	s_waitcnt vmcnt(0)
	v_cmp_gt_f64_e64 s[8:9], v[4:5], v[12:13]
	v_mbcnt_hi_u32_b32 v31, -1, v22
	v_cndmask_b32_e64 v19, v13, v5, s[8:9]
	v_cndmask_b32_e64 v18, v12, v4, s[8:9]
	v_and_b32_e32 v22, 0x60, v31
	v_cmp_gt_f64_e64 s[8:9], v[18:19], v[16:17]
	v_add_u32_e32 v32, 32, v22
	v_xor_b32_e32 v22, 16, v31
	v_cndmask_b32_e64 v19, v17, v19, s[8:9]
	v_cndmask_b32_e64 v18, v16, v18, s[8:9]
	v_cmp_lt_i32_e64 s[10:11], v22, v32
	v_cmp_gt_f64_e64 s[8:9], v[18:19], v[2:3]
	v_cndmask_b32_e64 v22, v31, v22, s[10:11]
	v_cndmask_b32_e64 v19, v3, v19, s[8:9]
	;; [unrolled: 1-line block ×3, first 2 shown]
	v_lshlrev_b32_e32 v27, 2, v22
	v_cmp_gt_f64_e64 s[8:9], v[14:15], v[6:7]
	ds_bpermute_b32 v22, v27, v18
	ds_bpermute_b32 v23, v27, v19
	v_cndmask_b32_e64 v21, v7, v15, s[8:9]
	v_cndmask_b32_e64 v20, v6, v14, s[8:9]
	v_cmp_gt_f64_e64 s[8:9], v[20:21], v[8:9]
	v_cndmask_b32_e64 v21, v9, v21, s[8:9]
	v_cndmask_b32_e64 v20, v8, v20, s[8:9]
	v_cmp_gt_f64_e64 s[8:9], v[20:21], v[10:11]
	v_cndmask_b32_e64 v21, v11, v21, s[8:9]
	v_cndmask_b32_e64 v20, v10, v20, s[8:9]
	s_waitcnt lgkmcnt(0)
	v_cmp_lt_f64_e64 s[8:9], v[18:19], v[22:23]
	v_cndmask_b32_e64 v18, v18, v22, s[8:9]
	v_xor_b32_e32 v22, 8, v31
	v_cmp_lt_i32_e64 s[10:11], v22, v32
	v_cndmask_b32_e64 v22, v31, v22, s[10:11]
	ds_bpermute_b32 v24, v27, v20
	ds_bpermute_b32 v25, v27, v21
	v_cndmask_b32_e64 v19, v19, v23, s[8:9]
	v_lshlrev_b32_e32 v28, 2, v22
	ds_bpermute_b32 v22, v28, v18
	ds_bpermute_b32 v23, v28, v19
	s_waitcnt lgkmcnt(2)
	v_cmp_lt_f64_e64 s[8:9], v[20:21], v[24:25]
	v_cndmask_b32_e64 v21, v21, v25, s[8:9]
	v_cndmask_b32_e64 v20, v20, v24, s[8:9]
	ds_bpermute_b32 v24, v28, v20
	s_waitcnt lgkmcnt(1)
	v_cmp_lt_f64_e64 s[8:9], v[18:19], v[22:23]
	v_cndmask_b32_e64 v18, v18, v22, s[8:9]
	v_xor_b32_e32 v22, 4, v31
	v_cmp_lt_i32_e64 s[10:11], v22, v32
	v_cndmask_b32_e64 v22, v31, v22, s[10:11]
	ds_bpermute_b32 v25, v28, v21
	v_cndmask_b32_e64 v19, v19, v23, s[8:9]
	v_lshlrev_b32_e32 v29, 2, v22
	ds_bpermute_b32 v22, v29, v18
	ds_bpermute_b32 v23, v29, v19
	s_waitcnt lgkmcnt(2)
	v_cmp_lt_f64_e64 s[8:9], v[20:21], v[24:25]
	v_cndmask_b32_e64 v21, v21, v25, s[8:9]
	v_cndmask_b32_e64 v20, v20, v24, s[8:9]
	ds_bpermute_b32 v24, v29, v20
	s_waitcnt lgkmcnt(1)
	v_cmp_lt_f64_e64 s[8:9], v[18:19], v[22:23]
	v_cndmask_b32_e64 v18, v18, v22, s[8:9]
	v_xor_b32_e32 v22, 2, v31
	v_cmp_lt_i32_e64 s[10:11], v22, v32
	v_cndmask_b32_e64 v22, v31, v22, s[10:11]
	ds_bpermute_b32 v25, v29, v21
	v_cndmask_b32_e64 v19, v19, v23, s[8:9]
	v_lshlrev_b32_e32 v30, 2, v22
	ds_bpermute_b32 v22, v30, v18
	ds_bpermute_b32 v23, v30, v19
	s_waitcnt lgkmcnt(2)
	v_cmp_lt_f64_e64 s[8:9], v[20:21], v[24:25]
	v_cndmask_b32_e64 v21, v21, v25, s[8:9]
	v_cndmask_b32_e64 v20, v20, v24, s[8:9]
	ds_bpermute_b32 v24, v30, v20
	s_waitcnt lgkmcnt(1)
	v_cmp_lt_f64_e64 s[8:9], v[18:19], v[22:23]
	ds_bpermute_b32 v25, v30, v21
	v_cndmask_b32_e64 v18, v18, v22, s[8:9]
	v_xor_b32_e32 v22, 1, v31
	v_cmp_lt_i32_e64 s[10:11], v22, v32
	v_cndmask_b32_e64 v22, v31, v22, s[10:11]
	v_cndmask_b32_e64 v19, v19, v23, s[8:9]
	v_lshlrev_b32_e32 v31, 2, v22
	ds_bpermute_b32 v22, v31, v18
	ds_bpermute_b32 v23, v31, v19
	s_waitcnt lgkmcnt(2)
	v_cmp_lt_f64_e64 s[8:9], v[20:21], v[24:25]
	v_cndmask_b32_e64 v21, v21, v25, s[8:9]
	v_cndmask_b32_e64 v20, v20, v24, s[8:9]
	ds_bpermute_b32 v24, v31, v20
	ds_bpermute_b32 v25, v31, v21
	s_waitcnt lgkmcnt(2)
	v_cmp_lt_f64_e64 s[8:9], v[18:19], v[22:23]
	v_cndmask_b32_e64 v19, v19, v23, s[8:9]
	v_cndmask_b32_e64 v18, v18, v22, s[8:9]
	s_mov_b32 s14, 0x652b82fe
	v_add_f64 v[4:5], v[4:5], -v[18:19]
	s_mov_b32 s15, 0x3ff71547
	s_waitcnt lgkmcnt(0)
	v_cmp_lt_f64_e64 s[8:9], v[20:21], v[24:25]
	v_mul_f64 v[22:23], v[4:5], s[14:15]
	s_mov_b32 s16, 0xfefa39ef
	v_cndmask_b32_e64 v21, v21, v25, s[8:9]
	v_cndmask_b32_e64 v20, v20, v24, s[8:9]
	v_rndne_f64_e32 v[24:25], v[22:23]
	s_mov_b32 s17, 0xbfe62e42
	s_mov_b32 s20, 0x3b39803f
	;; [unrolled: 1-line block ×3, first 2 shown]
	v_fma_f64 v[32:33], s[16:17], v[24:25], v[4:5]
	s_mov_b32 s21, 0xbc7abc9e
	s_mov_b32 s9, 0x3e928af3
	s_mov_b32 s22, 0x6a5dcb37
	v_fmac_f64_e32 v[32:33], s[20:21], v[24:25]
	s_mov_b32 s23, 0x3e5ade15
	v_pk_mov_b32 v[22:23], s[8:9], s[8:9] op_sel:[0,1]
	s_mov_b32 s24, 0x623fde64
	v_fma_f64 v[34:35], s[22:23], v[32:33], v[22:23]
	s_mov_b32 s25, 0x3ec71dee
	s_mov_b32 s26, 0x7c89e6b0
	v_fma_f64 v[34:35], v[32:33], v[34:35], s[24:25]
	s_mov_b32 s27, 0x3efa0199
	;; [unrolled: 3-line block ×8, first 2 shown]
	v_fma_f64 v[34:35], v[32:33], v[34:35], s[40:41]
	v_fma_f64 v[34:35], v[32:33], v[34:35], 1.0
	v_fma_f64 v[32:33], v[32:33], v[34:35], 1.0
	v_cvt_i32_f64_e32 v24, v[24:25]
	v_add_f64 v[12:13], v[12:13], -v[18:19]
	v_ldexp_f64 v[24:25], v[32:33], v24
	v_mul_f64 v[32:33], v[12:13], s[14:15]
	v_rndne_f64_e32 v[32:33], v[32:33]
	v_fma_f64 v[34:35], s[16:17], v[32:33], v[12:13]
	v_fmac_f64_e32 v[34:35], s[20:21], v[32:33]
	v_fma_f64 v[36:37], s[22:23], v[34:35], v[22:23]
	v_fma_f64 v[36:37], v[34:35], v[36:37], s[24:25]
	;; [unrolled: 1-line block ×7, first 2 shown]
	s_mov_b32 s42, 0
	s_mov_b32 s44, 0
	v_fma_f64 v[36:37], v[34:35], v[36:37], s[38:39]
	s_mov_b32 s43, 0x40900000
	s_mov_b32 s45, 0xc090cc00
	v_fma_f64 v[36:37], v[34:35], v[36:37], s[40:41]
	v_add_f64 v[24:25], v[24:25], 0
	v_mov_b32_e32 v38, 0x7ff00000
	v_cmp_nlt_f64_e64 s[8:9], s[42:43], v[4:5]
	v_cmp_ngt_f64_e64 s[10:11], s[44:45], v[4:5]
	v_fma_f64 v[36:37], v[34:35], v[36:37], 1.0
	v_cndmask_b32_e64 v25, v38, v25, s[8:9]
	s_and_b64 s[8:9], s[10:11], s[8:9]
	v_fma_f64 v[34:35], v[34:35], v[36:37], 1.0
	v_cvt_i32_f64_e32 v32, v[32:33]
	v_cndmask_b32_e64 v25, 0, v25, s[10:11]
	v_cndmask_b32_e64 v24, 0, v24, s[8:9]
	v_ldexp_f64 v[32:33], v[34:35], v32
	v_cmp_nlt_f64_e64 s[8:9], s[42:43], v[12:13]
	v_cmp_ngt_f64_e64 s[10:11], s[44:45], v[12:13]
	v_cndmask_b32_e64 v33, v38, v33, s[8:9]
	s_and_b64 s[8:9], s[10:11], s[8:9]
	v_cndmask_b32_e64 v33, 0, v33, s[10:11]
	v_cndmask_b32_e64 v32, 0, v32, s[8:9]
	v_add_f64 v[16:17], v[16:17], -v[18:19]
	v_add_f64 v[24:25], v[24:25], v[32:33]
	v_mul_f64 v[32:33], v[16:17], s[14:15]
	v_rndne_f64_e32 v[32:33], v[32:33]
	v_fma_f64 v[34:35], s[16:17], v[32:33], v[16:17]
	v_fmac_f64_e32 v[34:35], s[20:21], v[32:33]
	v_fma_f64 v[36:37], s[22:23], v[34:35], v[22:23]
	v_fma_f64 v[36:37], v[34:35], v[36:37], s[24:25]
	;; [unrolled: 1-line block ×9, first 2 shown]
	v_fma_f64 v[36:37], v[34:35], v[36:37], 1.0
	v_fma_f64 v[34:35], v[34:35], v[36:37], 1.0
	v_cvt_i32_f64_e32 v32, v[32:33]
	v_ldexp_f64 v[32:33], v[34:35], v32
	v_cmp_nlt_f64_e64 s[8:9], s[42:43], v[16:17]
	v_cmp_ngt_f64_e64 s[10:11], s[44:45], v[16:17]
	v_add_f64 v[18:19], v[2:3], -v[18:19]
	v_cndmask_b32_e64 v33, v38, v33, s[8:9]
	s_and_b64 s[8:9], s[10:11], s[8:9]
	v_mul_f64 v[2:3], v[18:19], s[14:15]
	v_cndmask_b32_e64 v33, 0, v33, s[10:11]
	v_cndmask_b32_e64 v32, 0, v32, s[8:9]
	v_rndne_f64_e32 v[2:3], v[2:3]
	v_add_f64 v[24:25], v[24:25], v[32:33]
	v_fma_f64 v[32:33], s[16:17], v[2:3], v[18:19]
	v_fmac_f64_e32 v[32:33], s[20:21], v[2:3]
	v_fma_f64 v[34:35], s[22:23], v[32:33], v[22:23]
	v_fma_f64 v[34:35], v[32:33], v[34:35], s[24:25]
	v_fma_f64 v[34:35], v[32:33], v[34:35], s[26:27]
	v_fma_f64 v[34:35], v[32:33], v[34:35], s[28:29]
	v_fma_f64 v[34:35], v[32:33], v[34:35], s[30:31]
	v_fma_f64 v[34:35], v[32:33], v[34:35], s[34:35]
	v_fma_f64 v[34:35], v[32:33], v[34:35], s[36:37]
	v_fma_f64 v[34:35], v[32:33], v[34:35], s[38:39]
	v_fma_f64 v[34:35], v[32:33], v[34:35], s[40:41]
	v_fma_f64 v[34:35], v[32:33], v[34:35], 1.0
	v_fma_f64 v[32:33], v[32:33], v[34:35], 1.0
	v_cvt_i32_f64_e32 v2, v[2:3]
	v_ldexp_f64 v[2:3], v[32:33], v2
	v_cmp_nlt_f64_e64 s[8:9], s[42:43], v[18:19]
	v_cmp_ngt_f64_e64 s[10:11], s[44:45], v[18:19]
	v_cndmask_b32_e64 v3, v38, v3, s[8:9]
	s_and_b64 s[8:9], s[10:11], s[8:9]
	v_cndmask_b32_e64 v3, 0, v3, s[10:11]
	v_cndmask_b32_e64 v2, 0, v2, s[8:9]
	v_add_f64 v[24:25], v[24:25], v[2:3]
	v_add_f64 v[2:3], v[14:15], -v[20:21]
	v_mul_f64 v[14:15], v[2:3], s[14:15]
	v_rndne_f64_e32 v[14:15], v[14:15]
	v_fma_f64 v[32:33], s[16:17], v[14:15], v[2:3]
	v_fmac_f64_e32 v[32:33], s[20:21], v[14:15]
	v_fma_f64 v[34:35], s[22:23], v[32:33], v[22:23]
	v_fma_f64 v[34:35], v[32:33], v[34:35], s[24:25]
	;; [unrolled: 1-line block ×9, first 2 shown]
	v_fma_f64 v[34:35], v[32:33], v[34:35], 1.0
	v_fma_f64 v[32:33], v[32:33], v[34:35], 1.0
	v_cvt_i32_f64_e32 v14, v[14:15]
	v_add_f64 v[6:7], v[6:7], -v[20:21]
	v_ldexp_f64 v[14:15], v[32:33], v14
	v_mul_f64 v[32:33], v[6:7], s[14:15]
	v_rndne_f64_e32 v[32:33], v[32:33]
	v_fma_f64 v[34:35], s[16:17], v[32:33], v[6:7]
	v_fmac_f64_e32 v[34:35], s[20:21], v[32:33]
	v_fma_f64 v[36:37], s[22:23], v[34:35], v[22:23]
	v_fma_f64 v[36:37], v[34:35], v[36:37], s[24:25]
	;; [unrolled: 1-line block ×9, first 2 shown]
	v_add_f64 v[14:15], v[14:15], 0
	v_cmp_nlt_f64_e64 s[8:9], s[42:43], v[2:3]
	v_cmp_ngt_f64_e64 s[10:11], s[44:45], v[2:3]
	v_fma_f64 v[36:37], v[34:35], v[36:37], 1.0
	v_cndmask_b32_e64 v15, v38, v15, s[8:9]
	s_and_b64 s[8:9], s[10:11], s[8:9]
	v_fma_f64 v[34:35], v[34:35], v[36:37], 1.0
	v_cvt_i32_f64_e32 v32, v[32:33]
	v_cndmask_b32_e64 v15, 0, v15, s[10:11]
	v_cndmask_b32_e64 v14, 0, v14, s[8:9]
	v_ldexp_f64 v[32:33], v[34:35], v32
	v_cmp_nlt_f64_e64 s[8:9], s[42:43], v[6:7]
	v_cmp_ngt_f64_e64 s[10:11], s[44:45], v[6:7]
	v_cndmask_b32_e64 v33, v38, v33, s[8:9]
	s_and_b64 s[8:9], s[10:11], s[8:9]
	v_cndmask_b32_e64 v33, 0, v33, s[10:11]
	v_cndmask_b32_e64 v32, 0, v32, s[8:9]
	v_add_f64 v[8:9], v[8:9], -v[20:21]
	v_add_f64 v[14:15], v[14:15], v[32:33]
	v_mul_f64 v[32:33], v[8:9], s[14:15]
	v_rndne_f64_e32 v[32:33], v[32:33]
	v_fma_f64 v[34:35], s[16:17], v[32:33], v[8:9]
	v_fmac_f64_e32 v[34:35], s[20:21], v[32:33]
	v_fma_f64 v[36:37], s[22:23], v[34:35], v[22:23]
	v_fma_f64 v[36:37], v[34:35], v[36:37], s[24:25]
	;; [unrolled: 1-line block ×9, first 2 shown]
	v_fma_f64 v[36:37], v[34:35], v[36:37], 1.0
	v_fma_f64 v[34:35], v[34:35], v[36:37], 1.0
	v_cvt_i32_f64_e32 v32, v[32:33]
	v_ldexp_f64 v[32:33], v[34:35], v32
	v_cmp_nlt_f64_e64 s[8:9], s[42:43], v[8:9]
	v_cmp_ngt_f64_e64 s[10:11], s[44:45], v[8:9]
	v_add_f64 v[10:11], v[10:11], -v[20:21]
	v_cndmask_b32_e64 v33, v38, v33, s[8:9]
	s_and_b64 s[8:9], s[10:11], s[8:9]
	v_mul_f64 v[20:21], v[10:11], s[14:15]
	v_cndmask_b32_e64 v33, 0, v33, s[10:11]
	v_cndmask_b32_e64 v32, 0, v32, s[8:9]
	v_rndne_f64_e32 v[20:21], v[20:21]
	v_add_f64 v[14:15], v[14:15], v[32:33]
	v_fma_f64 v[32:33], s[16:17], v[20:21], v[10:11]
	v_fmac_f64_e32 v[32:33], s[20:21], v[20:21]
	v_fmac_f64_e32 v[22:23], s[22:23], v[32:33]
	v_fma_f64 v[22:23], v[32:33], v[22:23], s[24:25]
	v_fma_f64 v[22:23], v[32:33], v[22:23], s[26:27]
	;; [unrolled: 1-line block ×8, first 2 shown]
	v_fma_f64 v[22:23], v[32:33], v[22:23], 1.0
	v_fma_f64 v[22:23], v[32:33], v[22:23], 1.0
	v_cvt_i32_f64_e32 v20, v[20:21]
	v_ldexp_f64 v[20:21], v[22:23], v20
	v_cmp_nlt_f64_e64 s[8:9], s[42:43], v[10:11]
	v_cmp_ngt_f64_e64 s[10:11], s[44:45], v[10:11]
	v_cndmask_b32_e64 v21, v38, v21, s[8:9]
	s_and_b64 s[8:9], s[10:11], s[8:9]
	v_cndmask_b32_e64 v21, 0, v21, s[10:11]
	v_cndmask_b32_e64 v20, 0, v20, s[8:9]
	v_add_f64 v[14:15], v[14:15], v[20:21]
	ds_bpermute_b32 v20, v27, v24
	ds_bpermute_b32 v21, v27, v25
	;; [unrolled: 1-line block ×4, first 2 shown]
	s_waitcnt lgkmcnt(2)
	v_add_f64 v[20:21], v[24:25], v[20:21]
	s_waitcnt lgkmcnt(0)
	v_add_f64 v[14:15], v[14:15], v[22:23]
	ds_bpermute_b32 v22, v28, v20
	ds_bpermute_b32 v23, v28, v21
	;; [unrolled: 1-line block ×4, first 2 shown]
	s_waitcnt lgkmcnt(2)
	v_add_f64 v[20:21], v[20:21], v[22:23]
	ds_bpermute_b32 v22, v29, v20
	s_waitcnt lgkmcnt(1)
	v_add_f64 v[14:15], v[14:15], v[24:25]
	ds_bpermute_b32 v23, v29, v21
	ds_bpermute_b32 v24, v29, v14
	;; [unrolled: 1-line block ×3, first 2 shown]
	s_waitcnt lgkmcnt(2)
	v_add_f64 v[20:21], v[20:21], v[22:23]
	ds_bpermute_b32 v22, v30, v20
	s_waitcnt lgkmcnt(1)
	v_add_f64 v[14:15], v[14:15], v[24:25]
	ds_bpermute_b32 v23, v30, v21
	ds_bpermute_b32 v24, v30, v14
	;; [unrolled: 1-line block ×3, first 2 shown]
	s_waitcnt lgkmcnt(2)
	v_add_f64 v[22:23], v[20:21], v[22:23]
	s_waitcnt lgkmcnt(0)
	v_add_f64 v[14:15], v[14:15], v[24:25]
	ds_bpermute_b32 v24, v31, v22
	ds_bpermute_b32 v25, v31, v23
	;; [unrolled: 1-line block ×4, first 2 shown]
	s_and_saveexec_b64 s[8:9], s[6:7]
	s_cbranch_execz .LBB15_28
; %bb.17:
	v_mov_b32_e32 v27, s13
	v_add_co_u32_e64 v0, s[6:7], s12, v0
	v_addc_co_u32_e64 v1, s[6:7], v27, v1, s[6:7]
	s_and_saveexec_b64 s[8:9], s[4:5]
	s_cbranch_execz .LBB15_22
; %bb.18:
	s_waitcnt lgkmcnt(2)
	v_add_f64 v[22:23], v[22:23], v[24:25]
	s_mov_b32 s6, 0x55555555
	v_frexp_mant_f64_e32 v[24:25], v[22:23]
	s_mov_b32 s7, 0x3fe55555
	v_mov_b32_e32 v28, 0x3ff00000
	v_cmp_gt_f64_e64 s[6:7], s[6:7], v[24:25]
	v_cndmask_b32_e64 v29, v28, 2.0, s[6:7]
	v_mov_b32_e32 v28, 0
	v_mul_f64 v[24:25], v[24:25], v[28:29]
	v_add_f64 v[28:29], v[24:25], 1.0
	v_rcp_f64_e32 v[30:31], v[28:29]
	v_add_f64 v[34:35], v[28:29], -1.0
	v_add_f64 v[32:33], v[24:25], -1.0
	v_add_f64 v[24:25], v[24:25], -v[34:35]
	v_fma_f64 v[34:35], -v[28:29], v[30:31], 1.0
	v_fmac_f64_e32 v[30:31], v[34:35], v[30:31]
	v_fma_f64 v[34:35], -v[28:29], v[30:31], 1.0
	v_fmac_f64_e32 v[30:31], v[34:35], v[30:31]
	v_mul_f64 v[34:35], v[32:33], v[30:31]
	v_mul_f64 v[36:37], v[28:29], v[34:35]
	v_fma_f64 v[28:29], v[34:35], v[28:29], -v[36:37]
	v_fmac_f64_e32 v[28:29], v[34:35], v[24:25]
	v_add_f64 v[24:25], v[36:37], v[28:29]
	v_add_f64 v[38:39], v[32:33], -v[24:25]
	v_add_f64 v[36:37], v[24:25], -v[36:37]
	;; [unrolled: 1-line block ×5, first 2 shown]
	v_add_f64 v[24:25], v[28:29], v[24:25]
	v_add_f64 v[24:25], v[38:39], v[24:25]
	v_frexp_exp_i32_f64_e32 v27, v[22:23]
	v_mul_f64 v[24:25], v[30:31], v[24:25]
	v_subbrev_co_u32_e64 v27, s[6:7], 0, v27, s[6:7]
	v_add_f64 v[28:29], v[34:35], v[24:25]
	v_add_f64 v[30:31], v[28:29], -v[34:35]
	s_mov_b32 s6, 0xbf559e2b
	v_add_f64 v[24:25], v[24:25], -v[30:31]
	v_mul_f64 v[30:31], v[28:29], v[28:29]
	v_mov_b32_e32 v32, 0x6b47b09a
	v_mov_b32_e32 v33, 0x3fc38538
	s_mov_b32 s7, 0x3fc3ab76
	v_fmac_f64_e32 v[32:33], s[6:7], v[30:31]
	v_mov_b32_e32 v34, 0xd7f4df2e
	v_mov_b32_e32 v35, 0x3fc7474d
	v_fmac_f64_e32 v[34:35], v[30:31], v[32:33]
	v_mov_b32_e32 v32, 0x16291751
	v_mov_b32_e32 v33, 0x3fcc71c0
	;; [unrolled: 3-line block ×5, first 2 shown]
	v_fmac_f64_e32 v[34:35], v[30:31], v[32:33]
	v_ldexp_f64 v[32:33], v[28:29], 1
	v_mul_f64 v[28:29], v[28:29], v[30:31]
	v_mul_f64 v[28:29], v[28:29], v[34:35]
	v_add_f64 v[30:31], v[32:33], v[28:29]
	v_add_f64 v[32:33], v[30:31], -v[32:33]
	v_ldexp_f64 v[24:25], v[24:25], 1
	v_add_f64 v[28:29], v[28:29], -v[32:33]
	v_add_f64 v[24:25], v[24:25], v[28:29]
	v_add_f64 v[28:29], v[30:31], v[24:25]
	v_add_f64 v[30:31], v[28:29], -v[30:31]
	s_mov_b32 s6, 0xfefa39ef
	v_add_f64 v[24:25], v[24:25], -v[30:31]
	v_cvt_f64_i32_e32 v[30:31], v27
	s_mov_b32 s7, 0x3fe62e42
	v_mul_f64 v[32:33], v[30:31], s[6:7]
	v_fma_f64 v[34:35], v[30:31], s[6:7], -v[32:33]
	s_mov_b32 s6, 0x3b39803f
	s_mov_b32 s7, 0x3c7abc9e
	v_fmac_f64_e32 v[34:35], s[6:7], v[30:31]
	v_add_f64 v[30:31], v[32:33], v[34:35]
	v_add_f64 v[32:33], v[30:31], -v[32:33]
	v_add_f64 v[32:33], v[34:35], -v[32:33]
	v_add_f64 v[34:35], v[30:31], v[28:29]
	v_add_f64 v[36:37], v[34:35], -v[30:31]
	v_add_f64 v[38:39], v[34:35], -v[36:37]
	;; [unrolled: 1-line block ×4, first 2 shown]
	v_add_f64 v[28:29], v[28:29], v[30:31]
	v_add_f64 v[30:31], v[32:33], v[24:25]
	v_add_f64 v[36:37], v[30:31], -v[32:33]
	v_add_f64 v[38:39], v[30:31], -v[36:37]
	v_add_f64 v[28:29], v[30:31], v[28:29]
	v_add_f64 v[32:33], v[32:33], -v[38:39]
	v_add_f64 v[24:25], v[24:25], -v[36:37]
	v_add_f64 v[30:31], v[34:35], v[28:29]
	v_add_f64 v[24:25], v[24:25], v[32:33]
	v_add_f64 v[32:33], v[30:31], -v[34:35]
	v_add_f64 v[28:29], v[28:29], -v[32:33]
	v_add_f64 v[24:25], v[24:25], v[28:29]
	s_movk_i32 s6, 0x204
	v_add_f64 v[24:25], v[30:31], v[24:25]
	v_cmp_class_f64_e64 s[6:7], v[22:23], s6
	v_cndmask_b32_e64 v24, v24, v22, s[6:7]
	v_cndmask_b32_e64 v25, v25, v23, s[6:7]
	v_mov_b32_e32 v27, 0x7ff80000
	v_cmp_ngt_f64_e64 s[6:7], 0, v[22:23]
	v_cndmask_b32_e64 v25, v27, v25, s[6:7]
	v_cmp_nge_f64_e64 s[6:7], 0, v[22:23]
	v_cndmask_b32_e64 v24, 0, v24, s[6:7]
	v_mov_b32_e32 v27, 0xfff00000
	v_cmp_neq_f64_e64 s[6:7], 0, v[22:23]
	v_cndmask_b32_e64 v25, v27, v25, s[6:7]
	v_add_f64 v[4:5], v[4:5], -v[24:25]
	global_store_dwordx2 v[0:1], v[4:5], off
	s_and_b64 exec, exec, vcc
	s_cbranch_execz .LBB15_22
; %bb.19:
	v_add_f64 v[4:5], v[12:13], -v[24:25]
	global_store_dwordx2 v[0:1], v[4:5], off offset:256
	s_and_b64 exec, exec, s[0:1]
	s_cbranch_execz .LBB15_22
; %bb.20:
	v_add_f64 v[4:5], v[16:17], -v[24:25]
	global_store_dwordx2 v[0:1], v[4:5], off offset:512
	s_and_b64 exec, exec, s[2:3]
	s_cbranch_execz .LBB15_22
; %bb.21:
	v_add_f64 v[4:5], v[18:19], -v[24:25]
	global_store_dwordx2 v[0:1], v[4:5], off offset:768
.LBB15_22:
	s_or_b64 exec, exec, s[8:9]
	v_cmp_ne_u32_e64 s[6:7], 1, v26
	s_and_b64 exec, exec, s[6:7]
	s_cbranch_execz .LBB15_28
; %bb.23:
	s_and_b64 exec, exec, s[4:5]
	s_cbranch_execz .LBB15_28
; %bb.24:
	s_waitcnt lgkmcnt(0)
	v_add_f64 v[4:5], v[14:15], v[20:21]
	s_mov_b32 s4, 0x55555555
	v_frexp_mant_f64_e32 v[12:13], v[4:5]
	s_mov_b32 s5, 0x3fe55555
	v_mov_b32_e32 v14, 0x3ff00000
	v_cmp_gt_f64_e64 s[4:5], s[4:5], v[12:13]
	v_cndmask_b32_e64 v15, v14, 2.0, s[4:5]
	v_mov_b32_e32 v14, 0
	v_mul_f64 v[12:13], v[12:13], v[14:15]
	v_frexp_exp_i32_f64_e32 v16, v[4:5]
	v_add_f64 v[14:15], v[12:13], 1.0
	v_subbrev_co_u32_e64 v26, s[4:5], 0, v16, s[4:5]
	v_rcp_f64_e32 v[16:17], v[14:15]
	v_add_f64 v[20:21], v[14:15], -1.0
	v_add_f64 v[18:19], v[12:13], -1.0
	v_add_f64 v[12:13], v[12:13], -v[20:21]
	v_fma_f64 v[20:21], -v[14:15], v[16:17], 1.0
	v_fmac_f64_e32 v[16:17], v[20:21], v[16:17]
	v_fma_f64 v[20:21], -v[14:15], v[16:17], 1.0
	v_fmac_f64_e32 v[16:17], v[20:21], v[16:17]
	v_mul_f64 v[20:21], v[18:19], v[16:17]
	v_mul_f64 v[22:23], v[14:15], v[20:21]
	v_fma_f64 v[14:15], v[20:21], v[14:15], -v[22:23]
	v_fmac_f64_e32 v[14:15], v[20:21], v[12:13]
	v_add_f64 v[12:13], v[22:23], v[14:15]
	v_add_f64 v[24:25], v[18:19], -v[12:13]
	v_add_f64 v[22:23], v[12:13], -v[22:23]
	;; [unrolled: 1-line block ×5, first 2 shown]
	v_add_f64 v[12:13], v[14:15], v[12:13]
	v_add_f64 v[12:13], v[24:25], v[12:13]
	v_mul_f64 v[12:13], v[16:17], v[12:13]
	v_add_f64 v[14:15], v[20:21], v[12:13]
	v_add_f64 v[16:17], v[14:15], -v[20:21]
	s_mov_b32 s4, 0xbf559e2b
	v_add_f64 v[12:13], v[12:13], -v[16:17]
	v_mul_f64 v[16:17], v[14:15], v[14:15]
	v_mov_b32_e32 v18, 0x6b47b09a
	v_mov_b32_e32 v19, 0x3fc38538
	s_mov_b32 s5, 0x3fc3ab76
	v_fmac_f64_e32 v[18:19], s[4:5], v[16:17]
	v_mov_b32_e32 v20, 0xd7f4df2e
	v_mov_b32_e32 v21, 0x3fc7474d
	v_fmac_f64_e32 v[20:21], v[16:17], v[18:19]
	v_mov_b32_e32 v18, 0x16291751
	v_mov_b32_e32 v19, 0x3fcc71c0
	;; [unrolled: 3-line block ×5, first 2 shown]
	v_fmac_f64_e32 v[20:21], v[16:17], v[18:19]
	v_ldexp_f64 v[18:19], v[14:15], 1
	v_mul_f64 v[14:15], v[14:15], v[16:17]
	v_mul_f64 v[14:15], v[14:15], v[20:21]
	v_add_f64 v[16:17], v[18:19], v[14:15]
	v_add_f64 v[18:19], v[16:17], -v[18:19]
	v_ldexp_f64 v[12:13], v[12:13], 1
	v_add_f64 v[14:15], v[14:15], -v[18:19]
	v_add_f64 v[12:13], v[12:13], v[14:15]
	v_add_f64 v[14:15], v[16:17], v[12:13]
	v_add_f64 v[16:17], v[14:15], -v[16:17]
	s_mov_b32 s4, 0xfefa39ef
	v_add_f64 v[12:13], v[12:13], -v[16:17]
	v_cvt_f64_i32_e32 v[16:17], v26
	s_mov_b32 s5, 0x3fe62e42
	v_mul_f64 v[18:19], v[16:17], s[4:5]
	v_fma_f64 v[20:21], v[16:17], s[4:5], -v[18:19]
	s_mov_b32 s4, 0x3b39803f
	s_mov_b32 s5, 0x3c7abc9e
	v_fmac_f64_e32 v[20:21], s[4:5], v[16:17]
	v_add_f64 v[16:17], v[18:19], v[20:21]
	v_add_f64 v[18:19], v[16:17], -v[18:19]
	v_add_f64 v[18:19], v[20:21], -v[18:19]
	v_add_f64 v[20:21], v[16:17], v[14:15]
	v_add_f64 v[22:23], v[20:21], -v[16:17]
	v_add_f64 v[24:25], v[20:21], -v[22:23]
	;; [unrolled: 1-line block ×4, first 2 shown]
	v_add_f64 v[14:15], v[14:15], v[16:17]
	v_add_f64 v[16:17], v[18:19], v[12:13]
	v_add_f64 v[22:23], v[16:17], -v[18:19]
	v_add_f64 v[24:25], v[16:17], -v[22:23]
	v_add_f64 v[14:15], v[16:17], v[14:15]
	v_add_f64 v[18:19], v[18:19], -v[24:25]
	v_add_f64 v[12:13], v[12:13], -v[22:23]
	v_add_f64 v[16:17], v[20:21], v[14:15]
	v_add_f64 v[12:13], v[12:13], v[18:19]
	v_add_f64 v[18:19], v[16:17], -v[20:21]
	v_add_f64 v[14:15], v[14:15], -v[18:19]
	v_add_f64 v[12:13], v[12:13], v[14:15]
	s_movk_i32 s4, 0x204
	v_add_f64 v[12:13], v[16:17], v[12:13]
	v_cmp_class_f64_e64 s[4:5], v[4:5], s4
	v_cndmask_b32_e64 v12, v12, v4, s[4:5]
	v_cndmask_b32_e64 v13, v13, v5, s[4:5]
	v_mov_b32_e32 v14, 0x7ff80000
	v_cmp_ngt_f64_e64 s[4:5], 0, v[4:5]
	v_cndmask_b32_e64 v13, v14, v13, s[4:5]
	v_cmp_nge_f64_e64 s[4:5], 0, v[4:5]
	v_cndmask_b32_e64 v12, 0, v12, s[4:5]
	v_mov_b32_e32 v14, 0xfff00000
	v_cmp_neq_f64_e64 s[4:5], 0, v[4:5]
	s_ashr_i32 s19, s18, 31
	v_cndmask_b32_e64 v13, v14, v13, s[4:5]
	s_lshl_b64 s[4:5], s[18:19], 3
	v_mov_b32_e32 v4, s5
	v_add_co_u32_e64 v0, s[4:5], s4, v0
	v_add_f64 v[2:3], v[2:3], -v[12:13]
	v_addc_co_u32_e64 v1, s[4:5], v1, v4, s[4:5]
	global_store_dwordx2 v[0:1], v[2:3], off
	s_and_b64 exec, exec, vcc
	s_cbranch_execz .LBB15_28
; %bb.25:
	v_add_f64 v[2:3], v[6:7], -v[12:13]
	global_store_dwordx2 v[0:1], v[2:3], off offset:256
	s_and_b64 exec, exec, s[0:1]
	s_cbranch_execz .LBB15_28
; %bb.26:
	v_add_f64 v[2:3], v[8:9], -v[12:13]
	global_store_dwordx2 v[0:1], v[2:3], off offset:512
	s_and_b64 exec, exec, s[2:3]
	s_cbranch_execz .LBB15_28
; %bb.27:
	v_add_f64 v[2:3], v[10:11], -v[12:13]
	global_store_dwordx2 v[0:1], v[2:3], off offset:768
.LBB15_28:
	s_endpgm
	.section	.rodata,"a",@progbits
	.p2align	6, 0x0
	.amdhsa_kernel _ZN12_GLOBAL__N_120softmax_warp_forwardIdddLi7ELb1ELb0ELi32EEEvPT0_PKT_iiiPKbib
		.amdhsa_group_segment_fixed_size 0
		.amdhsa_private_segment_fixed_size 0
		.amdhsa_kernarg_size 304
		.amdhsa_user_sgpr_count 6
		.amdhsa_user_sgpr_private_segment_buffer 1
		.amdhsa_user_sgpr_dispatch_ptr 0
		.amdhsa_user_sgpr_queue_ptr 0
		.amdhsa_user_sgpr_kernarg_segment_ptr 1
		.amdhsa_user_sgpr_dispatch_id 0
		.amdhsa_user_sgpr_flat_scratch_init 0
		.amdhsa_user_sgpr_kernarg_preload_length 0
		.amdhsa_user_sgpr_kernarg_preload_offset 0
		.amdhsa_user_sgpr_private_segment_size 0
		.amdhsa_uses_dynamic_stack 0
		.amdhsa_system_sgpr_private_segment_wavefront_offset 0
		.amdhsa_system_sgpr_workgroup_id_x 1
		.amdhsa_system_sgpr_workgroup_id_y 0
		.amdhsa_system_sgpr_workgroup_id_z 0
		.amdhsa_system_sgpr_workgroup_info 0
		.amdhsa_system_vgpr_workitem_id 1
		.amdhsa_next_free_vgpr 40
		.amdhsa_next_free_sgpr 46
		.amdhsa_accum_offset 40
		.amdhsa_reserve_vcc 1
		.amdhsa_reserve_flat_scratch 0
		.amdhsa_float_round_mode_32 0
		.amdhsa_float_round_mode_16_64 0
		.amdhsa_float_denorm_mode_32 3
		.amdhsa_float_denorm_mode_16_64 3
		.amdhsa_dx10_clamp 1
		.amdhsa_ieee_mode 1
		.amdhsa_fp16_overflow 0
		.amdhsa_tg_split 0
		.amdhsa_exception_fp_ieee_invalid_op 0
		.amdhsa_exception_fp_denorm_src 0
		.amdhsa_exception_fp_ieee_div_zero 0
		.amdhsa_exception_fp_ieee_overflow 0
		.amdhsa_exception_fp_ieee_underflow 0
		.amdhsa_exception_fp_ieee_inexact 0
		.amdhsa_exception_int_div_zero 0
	.end_amdhsa_kernel
	.section	.text._ZN12_GLOBAL__N_120softmax_warp_forwardIdddLi7ELb1ELb0ELi32EEEvPT0_PKT_iiiPKbib,"axG",@progbits,_ZN12_GLOBAL__N_120softmax_warp_forwardIdddLi7ELb1ELb0ELi32EEEvPT0_PKT_iiiPKbib,comdat
.Lfunc_end15:
	.size	_ZN12_GLOBAL__N_120softmax_warp_forwardIdddLi7ELb1ELb0ELi32EEEvPT0_PKT_iiiPKbib, .Lfunc_end15-_ZN12_GLOBAL__N_120softmax_warp_forwardIdddLi7ELb1ELb0ELi32EEEvPT0_PKT_iiiPKbib
                                        ; -- End function
	.section	.AMDGPU.csdata,"",@progbits
; Kernel info:
; codeLenInByte = 5132
; NumSgprs: 50
; NumVgprs: 40
; NumAgprs: 0
; TotalNumVgprs: 40
; ScratchSize: 0
; MemoryBound: 0
; FloatMode: 240
; IeeeMode: 1
; LDSByteSize: 0 bytes/workgroup (compile time only)
; SGPRBlocks: 6
; VGPRBlocks: 4
; NumSGPRsForWavesPerEU: 50
; NumVGPRsForWavesPerEU: 40
; AccumOffset: 40
; Occupancy: 8
; WaveLimiterHint : 0
; COMPUTE_PGM_RSRC2:SCRATCH_EN: 0
; COMPUTE_PGM_RSRC2:USER_SGPR: 6
; COMPUTE_PGM_RSRC2:TRAP_HANDLER: 0
; COMPUTE_PGM_RSRC2:TGID_X_EN: 1
; COMPUTE_PGM_RSRC2:TGID_Y_EN: 0
; COMPUTE_PGM_RSRC2:TGID_Z_EN: 0
; COMPUTE_PGM_RSRC2:TIDIG_COMP_CNT: 1
; COMPUTE_PGM_RSRC3_GFX90A:ACCUM_OFFSET: 9
; COMPUTE_PGM_RSRC3_GFX90A:TG_SPLIT: 0
	.section	.text._ZN12_GLOBAL__N_120softmax_warp_forwardIdddLi8ELb1ELb0ELi64EEEvPT0_PKT_iiiPKbib,"axG",@progbits,_ZN12_GLOBAL__N_120softmax_warp_forwardIdddLi8ELb1ELb0ELi64EEEvPT0_PKT_iiiPKbib,comdat
	.globl	_ZN12_GLOBAL__N_120softmax_warp_forwardIdddLi8ELb1ELb0ELi64EEEvPT0_PKT_iiiPKbib ; -- Begin function _ZN12_GLOBAL__N_120softmax_warp_forwardIdddLi8ELb1ELb0ELi64EEEvPT0_PKT_iiiPKbib
	.p2align	8
	.type	_ZN12_GLOBAL__N_120softmax_warp_forwardIdddLi8ELb1ELb0ELi64EEEvPT0_PKT_iiiPKbib,@function
_ZN12_GLOBAL__N_120softmax_warp_forwardIdddLi8ELb1ELb0ELi64EEEvPT0_PKT_iiiPKbib: ; @_ZN12_GLOBAL__N_120softmax_warp_forwardIdddLi8ELb1ELb0ELi64EEEvPT0_PKT_iiiPKbib
; %bb.0:
	s_load_dword s0, s[4:5], 0x3c
	s_load_dwordx8 s[12:19], s[4:5], 0x0
	v_bfe_u32 v1, v0, 10, 10
	v_and_b32_e32 v12, 0x3ff, v0
	v_mov_b32_e32 v4, 0
	s_waitcnt lgkmcnt(0)
	s_lshr_b32 s0, s0, 16
	s_mul_i32 s6, s6, s0
	v_add_u32_e32 v1, s6, v1
	v_sub_u32_e32 v14, s16, v1
	v_mad_u64_u32 v[0:1], s[0:1], v1, s17, v[12:13]
	v_ashrrev_i32_e32 v1, 31, v0
	v_lshlrev_b64 v[0:1], 3, v[0:1]
	v_mov_b32_e32 v2, s15
	v_add_co_u32_e32 v10, vcc, s14, v0
	v_cmp_lt_i32_e64 s[6:7], 0, v14
	v_cmp_gt_i32_e64 s[4:5], s18, v12
	v_mov_b32_e32 v5, 0xfff00000
	v_addc_co_u32_e32 v11, vcc, v2, v1, vcc
	s_and_b64 s[2:3], s[6:7], s[4:5]
	v_pk_mov_b32 v[2:3], v[4:5], v[4:5] op_sel:[0,1]
	s_and_saveexec_b64 s[0:1], s[2:3]
	s_cbranch_execz .LBB16_2
; %bb.1:
	global_load_dwordx2 v[2:3], v[10:11], off
.LBB16_2:
	s_or_b64 exec, exec, s[0:1]
	v_add_u32_e32 v6, 64, v12
	v_cmp_gt_i32_e32 vcc, s18, v6
	s_and_b64 s[2:3], s[6:7], vcc
	s_and_saveexec_b64 s[0:1], s[2:3]
	s_cbranch_execz .LBB16_4
; %bb.3:
	global_load_dwordx2 v[4:5], v[10:11], off offset:512
.LBB16_4:
	s_or_b64 exec, exec, s[0:1]
	v_add_u32_e32 v6, 0x80, v12
	v_cmp_gt_i32_e64 s[0:1], s18, v6
	v_mov_b32_e32 v6, 0
	v_mov_b32_e32 v7, 0xfff00000
	s_and_b64 s[8:9], s[6:7], s[0:1]
	v_pk_mov_b32 v[8:9], v[6:7], v[6:7] op_sel:[0,1]
	s_and_saveexec_b64 s[2:3], s[8:9]
	s_cbranch_execz .LBB16_6
; %bb.5:
	global_load_dwordx2 v[8:9], v[10:11], off offset:1024
.LBB16_6:
	s_or_b64 exec, exec, s[2:3]
	v_add_u32_e32 v12, 0xc0, v12
	v_cmp_gt_i32_e64 s[2:3], s18, v12
	s_and_b64 s[8:9], s[6:7], s[2:3]
	s_and_saveexec_b64 s[6:7], s[8:9]
	s_cbranch_execz .LBB16_8
; %bb.7:
	global_load_dwordx2 v[6:7], v[10:11], off offset:1536
.LBB16_8:
	s_or_b64 exec, exec, s[6:7]
	s_waitcnt vmcnt(0)
	v_cmp_gt_f64_e64 s[6:7], v[2:3], v[4:5]
	v_cndmask_b32_e64 v11, v5, v3, s[6:7]
	v_cndmask_b32_e64 v10, v4, v2, s[6:7]
	v_mbcnt_lo_u32_b32 v12, -1, 0
	v_cmp_gt_f64_e64 s[6:7], v[10:11], v[8:9]
	v_mbcnt_hi_u32_b32 v17, -1, v12
	v_cndmask_b32_e64 v11, v9, v11, s[6:7]
	v_cndmask_b32_e64 v10, v8, v10, s[6:7]
	v_and_b32_e32 v12, 64, v17
	v_cmp_gt_f64_e64 s[6:7], v[10:11], v[6:7]
	v_add_u32_e32 v18, 64, v12
	v_xor_b32_e32 v12, 32, v17
	v_cndmask_b32_e64 v11, v7, v11, s[6:7]
	v_cndmask_b32_e64 v10, v6, v10, s[6:7]
	v_cmp_lt_i32_e64 s[6:7], v12, v18
	v_cndmask_b32_e64 v12, v17, v12, s[6:7]
	v_lshlrev_b32_e32 v15, 2, v12
	ds_bpermute_b32 v12, v15, v10
	ds_bpermute_b32 v13, v15, v11
	s_mov_b32 s10, 0x652b82fe
	s_mov_b32 s11, 0x3ff71547
	s_mov_b32 s14, 0xfefa39ef
	s_mov_b32 s15, 0xbfe62e42
	s_waitcnt lgkmcnt(0)
	v_cmp_lt_f64_e64 s[6:7], v[10:11], v[12:13]
	v_cndmask_b32_e64 v10, v10, v12, s[6:7]
	v_xor_b32_e32 v12, 16, v17
	v_cndmask_b32_e64 v11, v11, v13, s[6:7]
	v_cmp_lt_i32_e64 s[6:7], v12, v18
	v_cndmask_b32_e64 v12, v17, v12, s[6:7]
	v_lshlrev_b32_e32 v16, 2, v12
	ds_bpermute_b32 v12, v16, v10
	ds_bpermute_b32 v13, v16, v11
	s_mov_b32 s16, 0x3b39803f
	s_mov_b32 s17, 0xbc7abc9e
	s_mov_b32 s18, 0x6a5dcb37
	s_mov_b32 s19, 0x3e5ade15
	s_waitcnt lgkmcnt(0)
	v_cmp_lt_f64_e64 s[6:7], v[10:11], v[12:13]
	v_cndmask_b32_e64 v10, v10, v12, s[6:7]
	v_xor_b32_e32 v12, 8, v17
	;; [unrolled: 14-line block ×5, first 2 shown]
	v_cndmask_b32_e64 v11, v11, v13, s[6:7]
	v_cmp_lt_i32_e64 s[6:7], v12, v18
	v_cndmask_b32_e64 v12, v17, v12, s[6:7]
	v_lshlrev_b32_e32 v17, 2, v12
	ds_bpermute_b32 v12, v17, v10
	ds_bpermute_b32 v13, v17, v11
	s_mov_b32 s34, 0x55555511
	s_mov_b32 s35, 0x3fc55555
	;; [unrolled: 1-line block ×4, first 2 shown]
	s_waitcnt lgkmcnt(0)
	v_cmp_lt_f64_e64 s[6:7], v[10:11], v[12:13]
	v_cndmask_b32_e64 v11, v11, v13, s[6:7]
	v_cndmask_b32_e64 v10, v10, v12, s[6:7]
	v_add_f64 v[2:3], v[2:3], -v[10:11]
	v_mul_f64 v[12:13], v[2:3], s[10:11]
	v_rndne_f64_e32 v[18:19], v[12:13]
	s_mov_b32 s6, 0xfca7ab0c
	v_fma_f64 v[20:21], s[14:15], v[18:19], v[2:3]
	s_mov_b32 s7, 0x3e928af3
	v_fmac_f64_e32 v[20:21], s[16:17], v[18:19]
	v_pk_mov_b32 v[12:13], s[6:7], s[6:7] op_sel:[0,1]
	v_fma_f64 v[22:23], s[18:19], v[20:21], v[12:13]
	v_fma_f64 v[22:23], v[20:21], v[22:23], s[20:21]
	;; [unrolled: 1-line block ×9, first 2 shown]
	v_fma_f64 v[22:23], v[20:21], v[22:23], 1.0
	v_fma_f64 v[20:21], v[20:21], v[22:23], 1.0
	v_cvt_i32_f64_e32 v18, v[18:19]
	v_add_f64 v[4:5], v[4:5], -v[10:11]
	v_ldexp_f64 v[18:19], v[20:21], v18
	v_mul_f64 v[20:21], v[4:5], s[10:11]
	v_rndne_f64_e32 v[20:21], v[20:21]
	v_fma_f64 v[22:23], s[14:15], v[20:21], v[4:5]
	v_fmac_f64_e32 v[22:23], s[16:17], v[20:21]
	v_fma_f64 v[24:25], s[18:19], v[22:23], v[12:13]
	v_fma_f64 v[24:25], v[22:23], v[24:25], s[20:21]
	;; [unrolled: 1-line block ×7, first 2 shown]
	s_mov_b32 s38, 0
	s_mov_b32 s40, 0
	v_fma_f64 v[24:25], v[22:23], v[24:25], s[34:35]
	s_mov_b32 s39, 0x40900000
	s_mov_b32 s41, 0xc090cc00
	v_fma_f64 v[24:25], v[22:23], v[24:25], s[36:37]
	v_add_f64 v[18:19], v[18:19], 0
	v_mov_b32_e32 v29, 0x7ff00000
	v_cmp_nlt_f64_e64 s[6:7], s[38:39], v[2:3]
	v_cmp_ngt_f64_e64 s[8:9], s[40:41], v[2:3]
	v_fma_f64 v[24:25], v[22:23], v[24:25], 1.0
	v_cndmask_b32_e64 v19, v29, v19, s[6:7]
	s_and_b64 s[6:7], s[8:9], s[6:7]
	v_fma_f64 v[22:23], v[22:23], v[24:25], 1.0
	v_cvt_i32_f64_e32 v20, v[20:21]
	v_cndmask_b32_e64 v19, 0, v19, s[8:9]
	v_cndmask_b32_e64 v18, 0, v18, s[6:7]
	v_ldexp_f64 v[20:21], v[22:23], v20
	v_cmp_nlt_f64_e64 s[6:7], s[38:39], v[4:5]
	v_cmp_ngt_f64_e64 s[8:9], s[40:41], v[4:5]
	v_cndmask_b32_e64 v21, v29, v21, s[6:7]
	s_and_b64 s[6:7], s[8:9], s[6:7]
	v_cndmask_b32_e64 v21, 0, v21, s[8:9]
	v_cndmask_b32_e64 v20, 0, v20, s[6:7]
	v_add_f64 v[8:9], v[8:9], -v[10:11]
	v_add_f64 v[18:19], v[18:19], v[20:21]
	v_mul_f64 v[20:21], v[8:9], s[10:11]
	v_rndne_f64_e32 v[20:21], v[20:21]
	v_fma_f64 v[22:23], s[14:15], v[20:21], v[8:9]
	v_fmac_f64_e32 v[22:23], s[16:17], v[20:21]
	v_fma_f64 v[24:25], s[18:19], v[22:23], v[12:13]
	v_fma_f64 v[24:25], v[22:23], v[24:25], s[20:21]
	v_fma_f64 v[24:25], v[22:23], v[24:25], s[22:23]
	v_fma_f64 v[24:25], v[22:23], v[24:25], s[24:25]
	v_fma_f64 v[24:25], v[22:23], v[24:25], s[26:27]
	v_fma_f64 v[24:25], v[22:23], v[24:25], s[28:29]
	v_fma_f64 v[24:25], v[22:23], v[24:25], s[30:31]
	v_fma_f64 v[24:25], v[22:23], v[24:25], s[34:35]
	v_fma_f64 v[24:25], v[22:23], v[24:25], s[36:37]
	v_fma_f64 v[24:25], v[22:23], v[24:25], 1.0
	v_fma_f64 v[22:23], v[22:23], v[24:25], 1.0
	v_cvt_i32_f64_e32 v20, v[20:21]
	v_ldexp_f64 v[20:21], v[22:23], v20
	v_cmp_nlt_f64_e64 s[6:7], s[38:39], v[8:9]
	v_cmp_ngt_f64_e64 s[8:9], s[40:41], v[8:9]
	v_add_f64 v[6:7], v[6:7], -v[10:11]
	v_cndmask_b32_e64 v21, v29, v21, s[6:7]
	s_and_b64 s[6:7], s[8:9], s[6:7]
	v_mul_f64 v[10:11], v[6:7], s[10:11]
	v_cndmask_b32_e64 v21, 0, v21, s[8:9]
	v_cndmask_b32_e64 v20, 0, v20, s[6:7]
	v_rndne_f64_e32 v[10:11], v[10:11]
	v_add_f64 v[18:19], v[18:19], v[20:21]
	v_fma_f64 v[20:21], s[14:15], v[10:11], v[6:7]
	v_fmac_f64_e32 v[20:21], s[16:17], v[10:11]
	v_fmac_f64_e32 v[12:13], s[18:19], v[20:21]
	v_fma_f64 v[12:13], v[20:21], v[12:13], s[20:21]
	v_fma_f64 v[12:13], v[20:21], v[12:13], s[22:23]
	;; [unrolled: 1-line block ×8, first 2 shown]
	v_fma_f64 v[12:13], v[20:21], v[12:13], 1.0
	v_fma_f64 v[12:13], v[20:21], v[12:13], 1.0
	v_cvt_i32_f64_e32 v10, v[10:11]
	v_ldexp_f64 v[10:11], v[12:13], v10
	v_cmp_nlt_f64_e64 s[6:7], s[38:39], v[6:7]
	v_cmp_ngt_f64_e64 s[8:9], s[40:41], v[6:7]
	v_cndmask_b32_e64 v11, v29, v11, s[6:7]
	s_and_b64 s[6:7], s[8:9], s[6:7]
	v_cndmask_b32_e64 v11, 0, v11, s[8:9]
	v_cndmask_b32_e64 v10, 0, v10, s[6:7]
	v_add_f64 v[10:11], v[18:19], v[10:11]
	ds_bpermute_b32 v12, v15, v10
	ds_bpermute_b32 v13, v15, v11
	v_cmp_lt_i32_e64 s[6:7], 0, v14
	s_waitcnt lgkmcnt(0)
	v_add_f64 v[10:11], v[10:11], v[12:13]
	ds_bpermute_b32 v12, v16, v10
	ds_bpermute_b32 v13, v16, v11
	s_waitcnt lgkmcnt(0)
	v_add_f64 v[10:11], v[10:11], v[12:13]
	ds_bpermute_b32 v12, v26, v10
	ds_bpermute_b32 v13, v26, v11
	;; [unrolled: 4-line block ×5, first 2 shown]
	s_and_saveexec_b64 s[8:9], s[6:7]
	s_cbranch_execz .LBB16_14
; %bb.9:
	s_and_b64 exec, exec, s[4:5]
	s_cbranch_execz .LBB16_14
; %bb.10:
	s_waitcnt lgkmcnt(0)
	v_add_f64 v[10:11], v[10:11], v[12:13]
	s_mov_b32 s4, 0x55555555
	v_frexp_mant_f64_e32 v[12:13], v[10:11]
	s_mov_b32 s5, 0x3fe55555
	v_mov_b32_e32 v14, 0x3ff00000
	v_cmp_gt_f64_e64 s[4:5], s[4:5], v[12:13]
	v_cndmask_b32_e64 v15, v14, 2.0, s[4:5]
	v_mov_b32_e32 v14, 0
	v_mul_f64 v[12:13], v[12:13], v[14:15]
	v_frexp_exp_i32_f64_e32 v16, v[10:11]
	v_add_f64 v[14:15], v[12:13], 1.0
	v_subbrev_co_u32_e64 v26, s[4:5], 0, v16, s[4:5]
	v_rcp_f64_e32 v[16:17], v[14:15]
	v_add_f64 v[20:21], v[14:15], -1.0
	v_add_f64 v[18:19], v[12:13], -1.0
	v_add_f64 v[12:13], v[12:13], -v[20:21]
	v_fma_f64 v[20:21], -v[14:15], v[16:17], 1.0
	v_fmac_f64_e32 v[16:17], v[20:21], v[16:17]
	v_fma_f64 v[20:21], -v[14:15], v[16:17], 1.0
	v_fmac_f64_e32 v[16:17], v[20:21], v[16:17]
	v_mul_f64 v[20:21], v[18:19], v[16:17]
	v_mul_f64 v[22:23], v[14:15], v[20:21]
	v_fma_f64 v[14:15], v[20:21], v[14:15], -v[22:23]
	v_fmac_f64_e32 v[14:15], v[20:21], v[12:13]
	v_add_f64 v[12:13], v[22:23], v[14:15]
	v_add_f64 v[24:25], v[18:19], -v[12:13]
	v_add_f64 v[22:23], v[12:13], -v[22:23]
	;; [unrolled: 1-line block ×5, first 2 shown]
	v_add_f64 v[12:13], v[14:15], v[12:13]
	v_add_f64 v[12:13], v[24:25], v[12:13]
	v_mul_f64 v[12:13], v[16:17], v[12:13]
	v_add_f64 v[14:15], v[20:21], v[12:13]
	v_add_f64 v[16:17], v[14:15], -v[20:21]
	s_mov_b32 s4, 0xbf559e2b
	v_add_f64 v[12:13], v[12:13], -v[16:17]
	v_mul_f64 v[16:17], v[14:15], v[14:15]
	v_mov_b32_e32 v18, 0x6b47b09a
	v_mov_b32_e32 v19, 0x3fc38538
	s_mov_b32 s5, 0x3fc3ab76
	v_fmac_f64_e32 v[18:19], s[4:5], v[16:17]
	v_mov_b32_e32 v20, 0xd7f4df2e
	v_mov_b32_e32 v21, 0x3fc7474d
	v_fmac_f64_e32 v[20:21], v[16:17], v[18:19]
	v_mov_b32_e32 v18, 0x16291751
	v_mov_b32_e32 v19, 0x3fcc71c0
	;; [unrolled: 3-line block ×5, first 2 shown]
	v_fmac_f64_e32 v[20:21], v[16:17], v[18:19]
	v_ldexp_f64 v[18:19], v[14:15], 1
	v_mul_f64 v[14:15], v[14:15], v[16:17]
	v_mul_f64 v[14:15], v[14:15], v[20:21]
	v_add_f64 v[16:17], v[18:19], v[14:15]
	v_add_f64 v[18:19], v[16:17], -v[18:19]
	v_ldexp_f64 v[12:13], v[12:13], 1
	v_add_f64 v[14:15], v[14:15], -v[18:19]
	v_add_f64 v[12:13], v[12:13], v[14:15]
	v_add_f64 v[14:15], v[16:17], v[12:13]
	v_add_f64 v[16:17], v[14:15], -v[16:17]
	s_mov_b32 s4, 0xfefa39ef
	v_add_f64 v[12:13], v[12:13], -v[16:17]
	v_cvt_f64_i32_e32 v[16:17], v26
	s_mov_b32 s5, 0x3fe62e42
	v_mul_f64 v[18:19], v[16:17], s[4:5]
	v_fma_f64 v[20:21], v[16:17], s[4:5], -v[18:19]
	s_mov_b32 s4, 0x3b39803f
	s_mov_b32 s5, 0x3c7abc9e
	v_fmac_f64_e32 v[20:21], s[4:5], v[16:17]
	v_add_f64 v[16:17], v[18:19], v[20:21]
	v_add_f64 v[18:19], v[16:17], -v[18:19]
	v_add_f64 v[18:19], v[20:21], -v[18:19]
	v_add_f64 v[20:21], v[16:17], v[14:15]
	v_add_f64 v[22:23], v[20:21], -v[16:17]
	v_add_f64 v[24:25], v[20:21], -v[22:23]
	;; [unrolled: 1-line block ×4, first 2 shown]
	v_add_f64 v[14:15], v[14:15], v[16:17]
	v_add_f64 v[16:17], v[18:19], v[12:13]
	v_add_f64 v[22:23], v[16:17], -v[18:19]
	v_add_f64 v[24:25], v[16:17], -v[22:23]
	v_add_f64 v[14:15], v[16:17], v[14:15]
	v_add_f64 v[18:19], v[18:19], -v[24:25]
	v_add_f64 v[12:13], v[12:13], -v[22:23]
	v_add_f64 v[16:17], v[20:21], v[14:15]
	v_add_f64 v[12:13], v[12:13], v[18:19]
	v_add_f64 v[18:19], v[16:17], -v[20:21]
	v_add_f64 v[14:15], v[14:15], -v[18:19]
	v_add_f64 v[12:13], v[12:13], v[14:15]
	s_movk_i32 s4, 0x204
	v_add_f64 v[12:13], v[16:17], v[12:13]
	v_cmp_class_f64_e64 s[4:5], v[10:11], s4
	v_cndmask_b32_e64 v12, v12, v10, s[4:5]
	v_cndmask_b32_e64 v13, v13, v11, s[4:5]
	v_mov_b32_e32 v14, 0x7ff80000
	v_cmp_ngt_f64_e64 s[4:5], 0, v[10:11]
	v_cndmask_b32_e64 v13, v14, v13, s[4:5]
	v_cmp_nge_f64_e64 s[4:5], 0, v[10:11]
	v_cndmask_b32_e64 v12, 0, v12, s[4:5]
	v_mov_b32_e32 v14, 0xfff00000
	v_cmp_neq_f64_e64 s[4:5], 0, v[10:11]
	v_cndmask_b32_e64 v13, v14, v13, s[4:5]
	v_mov_b32_e32 v10, s13
	v_add_co_u32_e64 v0, s[4:5], s12, v0
	v_addc_co_u32_e64 v1, s[4:5], v10, v1, s[4:5]
	v_add_f64 v[2:3], v[2:3], -v[12:13]
	global_store_dwordx2 v[0:1], v[2:3], off
	s_and_b64 exec, exec, vcc
	s_cbranch_execz .LBB16_14
; %bb.11:
	v_add_f64 v[2:3], v[4:5], -v[12:13]
	global_store_dwordx2 v[0:1], v[2:3], off offset:512
	s_and_b64 exec, exec, s[0:1]
	s_cbranch_execz .LBB16_14
; %bb.12:
	v_add_f64 v[2:3], v[8:9], -v[12:13]
	global_store_dwordx2 v[0:1], v[2:3], off offset:1024
	s_and_b64 exec, exec, s[2:3]
	s_cbranch_execz .LBB16_14
; %bb.13:
	v_add_f64 v[2:3], v[6:7], -v[12:13]
	global_store_dwordx2 v[0:1], v[2:3], off offset:1536
.LBB16_14:
	s_endpgm
	.section	.rodata,"a",@progbits
	.p2align	6, 0x0
	.amdhsa_kernel _ZN12_GLOBAL__N_120softmax_warp_forwardIdddLi8ELb1ELb0ELi64EEEvPT0_PKT_iiiPKbib
		.amdhsa_group_segment_fixed_size 0
		.amdhsa_private_segment_fixed_size 0
		.amdhsa_kernarg_size 304
		.amdhsa_user_sgpr_count 6
		.amdhsa_user_sgpr_private_segment_buffer 1
		.amdhsa_user_sgpr_dispatch_ptr 0
		.amdhsa_user_sgpr_queue_ptr 0
		.amdhsa_user_sgpr_kernarg_segment_ptr 1
		.amdhsa_user_sgpr_dispatch_id 0
		.amdhsa_user_sgpr_flat_scratch_init 0
		.amdhsa_user_sgpr_kernarg_preload_length 0
		.amdhsa_user_sgpr_kernarg_preload_offset 0
		.amdhsa_user_sgpr_private_segment_size 0
		.amdhsa_uses_dynamic_stack 0
		.amdhsa_system_sgpr_private_segment_wavefront_offset 0
		.amdhsa_system_sgpr_workgroup_id_x 1
		.amdhsa_system_sgpr_workgroup_id_y 0
		.amdhsa_system_sgpr_workgroup_id_z 0
		.amdhsa_system_sgpr_workgroup_info 0
		.amdhsa_system_vgpr_workitem_id 1
		.amdhsa_next_free_vgpr 30
		.amdhsa_next_free_sgpr 42
		.amdhsa_accum_offset 32
		.amdhsa_reserve_vcc 1
		.amdhsa_reserve_flat_scratch 0
		.amdhsa_float_round_mode_32 0
		.amdhsa_float_round_mode_16_64 0
		.amdhsa_float_denorm_mode_32 3
		.amdhsa_float_denorm_mode_16_64 3
		.amdhsa_dx10_clamp 1
		.amdhsa_ieee_mode 1
		.amdhsa_fp16_overflow 0
		.amdhsa_tg_split 0
		.amdhsa_exception_fp_ieee_invalid_op 0
		.amdhsa_exception_fp_denorm_src 0
		.amdhsa_exception_fp_ieee_div_zero 0
		.amdhsa_exception_fp_ieee_overflow 0
		.amdhsa_exception_fp_ieee_underflow 0
		.amdhsa_exception_fp_ieee_inexact 0
		.amdhsa_exception_int_div_zero 0
	.end_amdhsa_kernel
	.section	.text._ZN12_GLOBAL__N_120softmax_warp_forwardIdddLi8ELb1ELb0ELi64EEEvPT0_PKT_iiiPKbib,"axG",@progbits,_ZN12_GLOBAL__N_120softmax_warp_forwardIdddLi8ELb1ELb0ELi64EEEvPT0_PKT_iiiPKbib,comdat
.Lfunc_end16:
	.size	_ZN12_GLOBAL__N_120softmax_warp_forwardIdddLi8ELb1ELb0ELi64EEEvPT0_PKT_iiiPKbib, .Lfunc_end16-_ZN12_GLOBAL__N_120softmax_warp_forwardIdddLi8ELb1ELb0ELi64EEEvPT0_PKT_iiiPKbib
                                        ; -- End function
	.section	.AMDGPU.csdata,"",@progbits
; Kernel info:
; codeLenInByte = 2864
; NumSgprs: 46
; NumVgprs: 30
; NumAgprs: 0
; TotalNumVgprs: 30
; ScratchSize: 0
; MemoryBound: 0
; FloatMode: 240
; IeeeMode: 1
; LDSByteSize: 0 bytes/workgroup (compile time only)
; SGPRBlocks: 5
; VGPRBlocks: 3
; NumSGPRsForWavesPerEU: 46
; NumVGPRsForWavesPerEU: 30
; AccumOffset: 32
; Occupancy: 8
; WaveLimiterHint : 0
; COMPUTE_PGM_RSRC2:SCRATCH_EN: 0
; COMPUTE_PGM_RSRC2:USER_SGPR: 6
; COMPUTE_PGM_RSRC2:TRAP_HANDLER: 0
; COMPUTE_PGM_RSRC2:TGID_X_EN: 1
; COMPUTE_PGM_RSRC2:TGID_Y_EN: 0
; COMPUTE_PGM_RSRC2:TGID_Z_EN: 0
; COMPUTE_PGM_RSRC2:TIDIG_COMP_CNT: 1
; COMPUTE_PGM_RSRC3_GFX90A:ACCUM_OFFSET: 7
; COMPUTE_PGM_RSRC3_GFX90A:TG_SPLIT: 0
	.section	.text._ZN12_GLOBAL__N_120softmax_warp_forwardIdddLi8ELb1ELb0ELi32EEEvPT0_PKT_iiiPKbib,"axG",@progbits,_ZN12_GLOBAL__N_120softmax_warp_forwardIdddLi8ELb1ELb0ELi32EEEvPT0_PKT_iiiPKbib,comdat
	.globl	_ZN12_GLOBAL__N_120softmax_warp_forwardIdddLi8ELb1ELb0ELi32EEEvPT0_PKT_iiiPKbib ; -- Begin function _ZN12_GLOBAL__N_120softmax_warp_forwardIdddLi8ELb1ELb0ELi32EEEvPT0_PKT_iiiPKbib
	.p2align	8
	.type	_ZN12_GLOBAL__N_120softmax_warp_forwardIdddLi8ELb1ELb0ELi32EEEvPT0_PKT_iiiPKbib,@function
_ZN12_GLOBAL__N_120softmax_warp_forwardIdddLi8ELb1ELb0ELi32EEEvPT0_PKT_iiiPKbib: ; @_ZN12_GLOBAL__N_120softmax_warp_forwardIdddLi8ELb1ELb0ELi32EEEvPT0_PKT_iiiPKbib
; %bb.0:
	s_load_dword s0, s[4:5], 0x3c
	s_load_dwordx8 s[20:27], s[4:5], 0x0
	v_bfe_u32 v1, v0, 10, 10
	v_and_b32_e32 v20, 0x3ff, v0
	v_mov_b32_e32 v4, 0
	s_waitcnt lgkmcnt(0)
	s_lshr_b32 s0, s0, 16
	s_mul_i32 s6, s6, s0
	v_add_u32_e32 v1, s6, v1
	v_sub_u32_e32 v22, s24, v1
	v_mad_u64_u32 v[0:1], s[0:1], v1, s25, v[20:21]
	v_ashrrev_i32_e32 v1, 31, v0
	v_lshlrev_b64 v[0:1], 3, v[0:1]
	v_mov_b32_e32 v2, s23
	v_add_co_u32_e32 v18, vcc, s22, v0
	v_cmp_lt_i32_e64 s[14:15], 0, v22
	v_cmp_gt_i32_e64 s[12:13], s26, v20
	v_mov_b32_e32 v5, 0xfff00000
	v_addc_co_u32_e32 v19, vcc, v2, v1, vcc
	s_and_b64 s[2:3], s[14:15], s[12:13]
	v_pk_mov_b32 v[2:3], v[4:5], v[4:5] op_sel:[0,1]
	s_and_saveexec_b64 s[0:1], s[2:3]
	s_cbranch_execz .LBB17_2
; %bb.1:
	global_load_dwordx2 v[2:3], v[18:19], off
.LBB17_2:
	s_or_b64 exec, exec, s[0:1]
	v_add_u32_e32 v6, 32, v20
	v_cmp_gt_i32_e32 vcc, s26, v6
	s_and_b64 s[2:3], s[14:15], vcc
	s_and_saveexec_b64 s[0:1], s[2:3]
	s_cbranch_execz .LBB17_4
; %bb.3:
	global_load_dwordx2 v[4:5], v[18:19], off offset:256
.LBB17_4:
	s_or_b64 exec, exec, s[0:1]
	v_add_u32_e32 v6, 64, v20
	v_mov_b32_e32 v14, 0
	v_cmp_gt_i32_e64 s[0:1], s26, v6
	v_mov_b32_e32 v15, 0xfff00000
	s_and_b64 s[4:5], s[14:15], s[0:1]
	v_pk_mov_b32 v[8:9], v[14:15], v[14:15] op_sel:[0,1]
	s_and_saveexec_b64 s[2:3], s[4:5]
	s_cbranch_execz .LBB17_6
; %bb.5:
	global_load_dwordx2 v[8:9], v[18:19], off offset:512
.LBB17_6:
	s_or_b64 exec, exec, s[2:3]
	v_add_u32_e32 v6, 0x60, v20
	v_cmp_gt_i32_e64 s[2:3], s26, v6
	s_and_b64 s[6:7], s[14:15], s[2:3]
	s_and_saveexec_b64 s[4:5], s[6:7]
	s_cbranch_execz .LBB17_8
; %bb.7:
	global_load_dwordx2 v[14:15], v[18:19], off offset:768
.LBB17_8:
	s_or_b64 exec, exec, s[4:5]
	v_add_u32_e32 v6, 0x80, v20
	v_mov_b32_e32 v10, 0
	v_cmp_gt_i32_e64 s[4:5], s26, v6
	v_mov_b32_e32 v11, 0xfff00000
	s_and_b64 s[8:9], s[14:15], s[4:5]
	v_pk_mov_b32 v[16:17], v[10:11], v[10:11] op_sel:[0,1]
	s_and_saveexec_b64 s[6:7], s[8:9]
	s_cbranch_execz .LBB17_10
; %bb.9:
	global_load_dwordx2 v[16:17], v[18:19], off offset:1024
.LBB17_10:
	s_or_b64 exec, exec, s[6:7]
	v_add_u32_e32 v6, 0xa0, v20
	v_cmp_gt_i32_e64 s[6:7], s26, v6
	s_and_b64 s[10:11], s[14:15], s[6:7]
	s_and_saveexec_b64 s[8:9], s[10:11]
	s_cbranch_execz .LBB17_12
; %bb.11:
	global_load_dwordx2 v[10:11], v[18:19], off offset:1280
.LBB17_12:
	s_or_b64 exec, exec, s[8:9]
	v_add_u32_e32 v6, 0xc0, v20
	v_cmp_gt_i32_e64 s[8:9], s26, v6
	v_mov_b32_e32 v6, 0
	v_mov_b32_e32 v7, 0xfff00000
	s_and_b64 s[16:17], s[14:15], s[8:9]
	v_pk_mov_b32 v[12:13], v[6:7], v[6:7] op_sel:[0,1]
	s_and_saveexec_b64 s[10:11], s[16:17]
	s_cbranch_execz .LBB17_14
; %bb.13:
	global_load_dwordx2 v[12:13], v[18:19], off offset:1536
.LBB17_14:
	s_or_b64 exec, exec, s[10:11]
	v_add_u32_e32 v20, 0xe0, v20
	v_cmp_gt_i32_e64 s[10:11], s26, v20
	s_and_b64 s[16:17], s[14:15], s[10:11]
	s_and_saveexec_b64 s[14:15], s[16:17]
	s_cbranch_execz .LBB17_16
; %bb.15:
	global_load_dwordx2 v[6:7], v[18:19], off offset:1792
.LBB17_16:
	s_or_b64 exec, exec, s[14:15]
	s_waitcnt vmcnt(0)
	v_cmp_gt_f64_e64 s[14:15], v[2:3], v[4:5]
	v_cndmask_b32_e64 v19, v5, v3, s[14:15]
	v_cndmask_b32_e64 v18, v4, v2, s[14:15]
	v_cmp_gt_f64_e64 s[14:15], v[18:19], v[8:9]
	v_cndmask_b32_e64 v19, v9, v19, s[14:15]
	v_cndmask_b32_e64 v18, v8, v18, s[14:15]
	;; [unrolled: 3-line block ×5, first 2 shown]
	v_mbcnt_lo_u32_b32 v20, -1, 0
	v_cmp_gt_f64_e64 s[14:15], v[18:19], v[12:13]
	v_mbcnt_hi_u32_b32 v27, -1, v20
	v_cndmask_b32_e64 v19, v13, v19, s[14:15]
	v_cndmask_b32_e64 v18, v12, v18, s[14:15]
	v_and_b32_e32 v20, 0x60, v27
	v_cmp_gt_f64_e64 s[14:15], v[18:19], v[6:7]
	v_add_u32_e32 v28, 32, v20
	v_xor_b32_e32 v20, 16, v27
	v_cndmask_b32_e64 v19, v7, v19, s[14:15]
	v_cndmask_b32_e64 v18, v6, v18, s[14:15]
	v_cmp_lt_i32_e64 s[14:15], v20, v28
	v_cndmask_b32_e64 v20, v27, v20, s[14:15]
	v_lshlrev_b32_e32 v23, 2, v20
	ds_bpermute_b32 v20, v23, v18
	ds_bpermute_b32 v21, v23, v19
	s_mov_b32 s18, 0x652b82fe
	s_mov_b32 s19, 0x3ff71547
	s_mov_b32 s22, 0xfefa39ef
	s_mov_b32 s23, 0xbfe62e42
	s_waitcnt lgkmcnt(0)
	v_cmp_lt_f64_e64 s[14:15], v[18:19], v[20:21]
	v_cndmask_b32_e64 v18, v18, v20, s[14:15]
	v_xor_b32_e32 v20, 8, v27
	v_cndmask_b32_e64 v19, v19, v21, s[14:15]
	v_cmp_lt_i32_e64 s[14:15], v20, v28
	v_cndmask_b32_e64 v20, v27, v20, s[14:15]
	v_lshlrev_b32_e32 v24, 2, v20
	ds_bpermute_b32 v20, v24, v18
	ds_bpermute_b32 v21, v24, v19
	s_mov_b32 s24, 0x3b39803f
	s_mov_b32 s25, 0xbc7abc9e
	s_mov_b32 s26, 0x6a5dcb37
	s_mov_b32 s27, 0x3e5ade15
	s_waitcnt lgkmcnt(0)
	v_cmp_lt_f64_e64 s[14:15], v[18:19], v[20:21]
	v_cndmask_b32_e64 v18, v18, v20, s[14:15]
	v_xor_b32_e32 v20, 4, v27
	v_cndmask_b32_e64 v19, v19, v21, s[14:15]
	v_cmp_lt_i32_e64 s[14:15], v20, v28
	v_cndmask_b32_e64 v20, v27, v20, s[14:15]
	v_lshlrev_b32_e32 v25, 2, v20
	ds_bpermute_b32 v20, v25, v18
	ds_bpermute_b32 v21, v25, v19
	s_mov_b32 s28, 0x623fde64
	s_mov_b32 s29, 0x3ec71dee
	s_mov_b32 s30, 0x7c89e6b0
	s_mov_b32 s31, 0x3efa0199
	s_waitcnt lgkmcnt(0)
	v_cmp_lt_f64_e64 s[14:15], v[18:19], v[20:21]
	v_cndmask_b32_e64 v18, v18, v20, s[14:15]
	v_xor_b32_e32 v20, 2, v27
	v_cndmask_b32_e64 v19, v19, v21, s[14:15]
	v_cmp_lt_i32_e64 s[14:15], v20, v28
	v_cndmask_b32_e64 v20, v27, v20, s[14:15]
	v_lshlrev_b32_e32 v26, 2, v20
	ds_bpermute_b32 v20, v26, v18
	ds_bpermute_b32 v21, v26, v19
	s_mov_b32 s34, 0x14761f6e
	s_mov_b32 s35, 0x3f2a01a0
	s_mov_b32 s36, 0x1852b7b0
	s_mov_b32 s37, 0x3f56c16c
	s_waitcnt lgkmcnt(0)
	v_cmp_lt_f64_e64 s[14:15], v[18:19], v[20:21]
	v_cndmask_b32_e64 v18, v18, v20, s[14:15]
	v_xor_b32_e32 v20, 1, v27
	v_cndmask_b32_e64 v19, v19, v21, s[14:15]
	v_cmp_lt_i32_e64 s[14:15], v20, v28
	v_cndmask_b32_e64 v20, v27, v20, s[14:15]
	v_lshlrev_b32_e32 v27, 2, v20
	ds_bpermute_b32 v20, v27, v18
	ds_bpermute_b32 v21, v27, v19
	s_mov_b32 s38, 0x11122322
	s_mov_b32 s39, 0x3f811111
	;; [unrolled: 1-line block ×4, first 2 shown]
	s_waitcnt lgkmcnt(0)
	v_cmp_lt_f64_e64 s[14:15], v[18:19], v[20:21]
	v_cndmask_b32_e64 v19, v19, v21, s[14:15]
	v_cndmask_b32_e64 v18, v18, v20, s[14:15]
	v_add_f64 v[2:3], v[2:3], -v[18:19]
	v_mul_f64 v[20:21], v[2:3], s[18:19]
	v_rndne_f64_e32 v[28:29], v[20:21]
	s_mov_b32 s14, 0xfca7ab0c
	v_fma_f64 v[30:31], s[22:23], v[28:29], v[2:3]
	s_mov_b32 s15, 0x3e928af3
	v_fmac_f64_e32 v[30:31], s[24:25], v[28:29]
	v_pk_mov_b32 v[20:21], s[14:15], s[14:15] op_sel:[0,1]
	v_fma_f64 v[32:33], s[26:27], v[30:31], v[20:21]
	v_fma_f64 v[32:33], v[30:31], v[32:33], s[28:29]
	;; [unrolled: 1-line block ×6, first 2 shown]
	s_mov_b32 s42, 0x55555511
	v_fma_f64 v[32:33], v[30:31], v[32:33], s[40:41]
	s_mov_b32 s43, 0x3fc55555
	s_mov_b32 s44, 11
	v_fma_f64 v[32:33], v[30:31], v[32:33], s[42:43]
	s_mov_b32 s45, 0x3fe00000
	v_fma_f64 v[32:33], v[30:31], v[32:33], s[44:45]
	v_fma_f64 v[32:33], v[30:31], v[32:33], 1.0
	v_fma_f64 v[30:31], v[30:31], v[32:33], 1.0
	v_cvt_i32_f64_e32 v28, v[28:29]
	v_add_f64 v[4:5], v[4:5], -v[18:19]
	v_ldexp_f64 v[28:29], v[30:31], v28
	v_mul_f64 v[30:31], v[4:5], s[18:19]
	v_rndne_f64_e32 v[30:31], v[30:31]
	v_fma_f64 v[32:33], s[22:23], v[30:31], v[4:5]
	v_fmac_f64_e32 v[32:33], s[24:25], v[30:31]
	v_fma_f64 v[34:35], s[26:27], v[32:33], v[20:21]
	v_fma_f64 v[34:35], v[32:33], v[34:35], s[28:29]
	;; [unrolled: 1-line block ×7, first 2 shown]
	s_mov_b32 s46, 0
	s_mov_b32 s48, 0
	v_fma_f64 v[34:35], v[32:33], v[34:35], s[42:43]
	s_mov_b32 s47, 0x40900000
	s_mov_b32 s49, 0xc090cc00
	v_fma_f64 v[34:35], v[32:33], v[34:35], s[44:45]
	v_add_f64 v[28:29], v[28:29], 0
	v_mov_b32_e32 v36, 0x7ff00000
	v_cmp_nlt_f64_e64 s[14:15], s[46:47], v[2:3]
	v_cmp_ngt_f64_e64 s[16:17], s[48:49], v[2:3]
	v_fma_f64 v[34:35], v[32:33], v[34:35], 1.0
	v_cndmask_b32_e64 v29, v36, v29, s[14:15]
	s_and_b64 s[14:15], s[16:17], s[14:15]
	v_fma_f64 v[32:33], v[32:33], v[34:35], 1.0
	v_cvt_i32_f64_e32 v30, v[30:31]
	v_cndmask_b32_e64 v29, 0, v29, s[16:17]
	v_cndmask_b32_e64 v28, 0, v28, s[14:15]
	v_ldexp_f64 v[30:31], v[32:33], v30
	v_cmp_nlt_f64_e64 s[14:15], s[46:47], v[4:5]
	v_cmp_ngt_f64_e64 s[16:17], s[48:49], v[4:5]
	v_cndmask_b32_e64 v31, v36, v31, s[14:15]
	s_and_b64 s[14:15], s[16:17], s[14:15]
	v_cndmask_b32_e64 v31, 0, v31, s[16:17]
	v_cndmask_b32_e64 v30, 0, v30, s[14:15]
	v_add_f64 v[8:9], v[8:9], -v[18:19]
	v_add_f64 v[28:29], v[28:29], v[30:31]
	v_mul_f64 v[30:31], v[8:9], s[18:19]
	v_rndne_f64_e32 v[30:31], v[30:31]
	v_fma_f64 v[32:33], s[22:23], v[30:31], v[8:9]
	v_fmac_f64_e32 v[32:33], s[24:25], v[30:31]
	v_fma_f64 v[34:35], s[26:27], v[32:33], v[20:21]
	v_fma_f64 v[34:35], v[32:33], v[34:35], s[28:29]
	v_fma_f64 v[34:35], v[32:33], v[34:35], s[30:31]
	v_fma_f64 v[34:35], v[32:33], v[34:35], s[34:35]
	v_fma_f64 v[34:35], v[32:33], v[34:35], s[36:37]
	v_fma_f64 v[34:35], v[32:33], v[34:35], s[38:39]
	v_fma_f64 v[34:35], v[32:33], v[34:35], s[40:41]
	v_fma_f64 v[34:35], v[32:33], v[34:35], s[42:43]
	v_fma_f64 v[34:35], v[32:33], v[34:35], s[44:45]
	v_fma_f64 v[34:35], v[32:33], v[34:35], 1.0
	v_fma_f64 v[32:33], v[32:33], v[34:35], 1.0
	v_cvt_i32_f64_e32 v30, v[30:31]
	v_ldexp_f64 v[30:31], v[32:33], v30
	v_cmp_nlt_f64_e64 s[14:15], s[46:47], v[8:9]
	v_cmp_ngt_f64_e64 s[16:17], s[48:49], v[8:9]
	v_cndmask_b32_e64 v31, v36, v31, s[14:15]
	s_and_b64 s[14:15], s[16:17], s[14:15]
	v_cndmask_b32_e64 v31, 0, v31, s[16:17]
	v_cndmask_b32_e64 v30, 0, v30, s[14:15]
	v_add_f64 v[14:15], v[14:15], -v[18:19]
	v_add_f64 v[28:29], v[28:29], v[30:31]
	v_mul_f64 v[30:31], v[14:15], s[18:19]
	v_rndne_f64_e32 v[30:31], v[30:31]
	v_fma_f64 v[32:33], s[22:23], v[30:31], v[14:15]
	v_fmac_f64_e32 v[32:33], s[24:25], v[30:31]
	v_fma_f64 v[34:35], s[26:27], v[32:33], v[20:21]
	v_fma_f64 v[34:35], v[32:33], v[34:35], s[28:29]
	v_fma_f64 v[34:35], v[32:33], v[34:35], s[30:31]
	v_fma_f64 v[34:35], v[32:33], v[34:35], s[34:35]
	v_fma_f64 v[34:35], v[32:33], v[34:35], s[36:37]
	v_fma_f64 v[34:35], v[32:33], v[34:35], s[38:39]
	v_fma_f64 v[34:35], v[32:33], v[34:35], s[40:41]
	v_fma_f64 v[34:35], v[32:33], v[34:35], s[42:43]
	v_fma_f64 v[34:35], v[32:33], v[34:35], s[44:45]
	v_fma_f64 v[34:35], v[32:33], v[34:35], 1.0
	v_fma_f64 v[32:33], v[32:33], v[34:35], 1.0
	v_cvt_i32_f64_e32 v30, v[30:31]
	;; [unrolled: 25-line block ×5, first 2 shown]
	v_ldexp_f64 v[30:31], v[32:33], v30
	v_cmp_nlt_f64_e64 s[14:15], s[46:47], v[12:13]
	v_cmp_ngt_f64_e64 s[16:17], s[48:49], v[12:13]
	v_add_f64 v[6:7], v[6:7], -v[18:19]
	v_cndmask_b32_e64 v31, v36, v31, s[14:15]
	s_and_b64 s[14:15], s[16:17], s[14:15]
	v_mul_f64 v[18:19], v[6:7], s[18:19]
	v_cndmask_b32_e64 v31, 0, v31, s[16:17]
	v_cndmask_b32_e64 v30, 0, v30, s[14:15]
	v_rndne_f64_e32 v[18:19], v[18:19]
	v_add_f64 v[28:29], v[28:29], v[30:31]
	v_fma_f64 v[30:31], s[22:23], v[18:19], v[6:7]
	v_fmac_f64_e32 v[30:31], s[24:25], v[18:19]
	v_fmac_f64_e32 v[20:21], s[26:27], v[30:31]
	v_fma_f64 v[20:21], v[30:31], v[20:21], s[28:29]
	v_fma_f64 v[20:21], v[30:31], v[20:21], s[30:31]
	;; [unrolled: 1-line block ×8, first 2 shown]
	v_fma_f64 v[20:21], v[30:31], v[20:21], 1.0
	v_fma_f64 v[20:21], v[30:31], v[20:21], 1.0
	v_cvt_i32_f64_e32 v18, v[18:19]
	v_ldexp_f64 v[18:19], v[20:21], v18
	v_cmp_nlt_f64_e64 s[14:15], s[46:47], v[6:7]
	v_cmp_ngt_f64_e64 s[16:17], s[48:49], v[6:7]
	v_cndmask_b32_e64 v19, v36, v19, s[14:15]
	s_and_b64 s[14:15], s[16:17], s[14:15]
	v_cndmask_b32_e64 v19, 0, v19, s[16:17]
	v_cndmask_b32_e64 v18, 0, v18, s[14:15]
	v_add_f64 v[18:19], v[28:29], v[18:19]
	ds_bpermute_b32 v20, v23, v18
	ds_bpermute_b32 v21, v23, v19
	v_cmp_lt_i32_e64 s[14:15], 0, v22
	s_waitcnt lgkmcnt(0)
	v_add_f64 v[18:19], v[18:19], v[20:21]
	ds_bpermute_b32 v20, v24, v18
	ds_bpermute_b32 v21, v24, v19
	s_waitcnt lgkmcnt(0)
	v_add_f64 v[18:19], v[18:19], v[20:21]
	ds_bpermute_b32 v20, v25, v18
	ds_bpermute_b32 v21, v25, v19
	s_waitcnt lgkmcnt(0)
	v_add_f64 v[18:19], v[18:19], v[20:21]
	ds_bpermute_b32 v20, v26, v18
	ds_bpermute_b32 v21, v26, v19
	s_waitcnt lgkmcnt(0)
	v_add_f64 v[18:19], v[18:19], v[20:21]
	ds_bpermute_b32 v20, v27, v18
	ds_bpermute_b32 v21, v27, v19
	s_and_saveexec_b64 s[16:17], s[14:15]
	s_cbranch_execz .LBB17_26
; %bb.17:
	s_and_b64 exec, exec, s[12:13]
	s_cbranch_execz .LBB17_26
; %bb.18:
	s_waitcnt lgkmcnt(0)
	v_add_f64 v[18:19], v[18:19], v[20:21]
	s_mov_b32 s12, 0x55555555
	v_frexp_mant_f64_e32 v[20:21], v[18:19]
	s_mov_b32 s13, 0x3fe55555
	v_mov_b32_e32 v22, 0x3ff00000
	v_cmp_gt_f64_e64 s[12:13], s[12:13], v[20:21]
	v_cndmask_b32_e64 v23, v22, 2.0, s[12:13]
	v_mov_b32_e32 v22, 0
	v_mul_f64 v[20:21], v[20:21], v[22:23]
	v_frexp_exp_i32_f64_e32 v24, v[18:19]
	v_add_f64 v[22:23], v[20:21], 1.0
	v_subbrev_co_u32_e64 v34, s[12:13], 0, v24, s[12:13]
	v_rcp_f64_e32 v[24:25], v[22:23]
	v_add_f64 v[28:29], v[22:23], -1.0
	v_add_f64 v[26:27], v[20:21], -1.0
	v_add_f64 v[20:21], v[20:21], -v[28:29]
	v_fma_f64 v[28:29], -v[22:23], v[24:25], 1.0
	v_fmac_f64_e32 v[24:25], v[28:29], v[24:25]
	v_fma_f64 v[28:29], -v[22:23], v[24:25], 1.0
	v_fmac_f64_e32 v[24:25], v[28:29], v[24:25]
	v_mul_f64 v[28:29], v[26:27], v[24:25]
	v_mul_f64 v[30:31], v[22:23], v[28:29]
	v_fma_f64 v[22:23], v[28:29], v[22:23], -v[30:31]
	v_fmac_f64_e32 v[22:23], v[28:29], v[20:21]
	v_add_f64 v[20:21], v[30:31], v[22:23]
	v_add_f64 v[32:33], v[26:27], -v[20:21]
	v_add_f64 v[30:31], v[20:21], -v[30:31]
	;; [unrolled: 1-line block ×5, first 2 shown]
	v_add_f64 v[20:21], v[22:23], v[20:21]
	v_add_f64 v[20:21], v[32:33], v[20:21]
	v_mul_f64 v[20:21], v[24:25], v[20:21]
	v_add_f64 v[22:23], v[28:29], v[20:21]
	v_add_f64 v[24:25], v[22:23], -v[28:29]
	s_mov_b32 s12, 0xbf559e2b
	v_add_f64 v[20:21], v[20:21], -v[24:25]
	v_mul_f64 v[24:25], v[22:23], v[22:23]
	v_mov_b32_e32 v26, 0x6b47b09a
	v_mov_b32_e32 v27, 0x3fc38538
	s_mov_b32 s13, 0x3fc3ab76
	v_fmac_f64_e32 v[26:27], s[12:13], v[24:25]
	v_mov_b32_e32 v28, 0xd7f4df2e
	v_mov_b32_e32 v29, 0x3fc7474d
	v_fmac_f64_e32 v[28:29], v[24:25], v[26:27]
	v_mov_b32_e32 v26, 0x16291751
	v_mov_b32_e32 v27, 0x3fcc71c0
	v_fmac_f64_e32 v[26:27], v[24:25], v[28:29]
	v_mov_b32_e32 v28, 0x9b27acf1
	v_mov_b32_e32 v29, 0x3fd24924
	v_fmac_f64_e32 v[28:29], v[24:25], v[26:27]
	v_mov_b32_e32 v26, 0x998ef7b6
	v_mov_b32_e32 v27, 0x3fd99999
	v_fmac_f64_e32 v[26:27], v[24:25], v[28:29]
	v_mov_b32_e32 v28, 0x55555780
	v_mov_b32_e32 v29, 0x3fe55555
	v_fmac_f64_e32 v[28:29], v[24:25], v[26:27]
	v_ldexp_f64 v[26:27], v[22:23], 1
	v_mul_f64 v[22:23], v[22:23], v[24:25]
	v_mul_f64 v[22:23], v[22:23], v[28:29]
	v_add_f64 v[24:25], v[26:27], v[22:23]
	v_add_f64 v[26:27], v[24:25], -v[26:27]
	v_ldexp_f64 v[20:21], v[20:21], 1
	v_add_f64 v[22:23], v[22:23], -v[26:27]
	v_add_f64 v[20:21], v[20:21], v[22:23]
	v_add_f64 v[22:23], v[24:25], v[20:21]
	v_add_f64 v[24:25], v[22:23], -v[24:25]
	s_mov_b32 s12, 0xfefa39ef
	v_add_f64 v[20:21], v[20:21], -v[24:25]
	v_cvt_f64_i32_e32 v[24:25], v34
	s_mov_b32 s13, 0x3fe62e42
	v_mul_f64 v[26:27], v[24:25], s[12:13]
	v_fma_f64 v[28:29], v[24:25], s[12:13], -v[26:27]
	s_mov_b32 s12, 0x3b39803f
	s_mov_b32 s13, 0x3c7abc9e
	v_fmac_f64_e32 v[28:29], s[12:13], v[24:25]
	v_add_f64 v[24:25], v[26:27], v[28:29]
	v_add_f64 v[26:27], v[24:25], -v[26:27]
	v_add_f64 v[26:27], v[28:29], -v[26:27]
	v_add_f64 v[28:29], v[24:25], v[22:23]
	v_add_f64 v[30:31], v[28:29], -v[24:25]
	v_add_f64 v[32:33], v[28:29], -v[30:31]
	;; [unrolled: 1-line block ×4, first 2 shown]
	v_add_f64 v[22:23], v[22:23], v[24:25]
	v_add_f64 v[24:25], v[26:27], v[20:21]
	v_add_f64 v[30:31], v[24:25], -v[26:27]
	v_add_f64 v[32:33], v[24:25], -v[30:31]
	v_add_f64 v[22:23], v[24:25], v[22:23]
	v_add_f64 v[26:27], v[26:27], -v[32:33]
	v_add_f64 v[20:21], v[20:21], -v[30:31]
	v_add_f64 v[24:25], v[28:29], v[22:23]
	v_add_f64 v[20:21], v[20:21], v[26:27]
	v_add_f64 v[26:27], v[24:25], -v[28:29]
	v_add_f64 v[22:23], v[22:23], -v[26:27]
	v_add_f64 v[20:21], v[20:21], v[22:23]
	s_movk_i32 s12, 0x204
	v_add_f64 v[20:21], v[24:25], v[20:21]
	v_cmp_class_f64_e64 s[12:13], v[18:19], s12
	v_cndmask_b32_e64 v20, v20, v18, s[12:13]
	v_cndmask_b32_e64 v21, v21, v19, s[12:13]
	v_mov_b32_e32 v22, 0x7ff80000
	v_cmp_ngt_f64_e64 s[12:13], 0, v[18:19]
	v_cndmask_b32_e64 v21, v22, v21, s[12:13]
	v_cmp_nge_f64_e64 s[12:13], 0, v[18:19]
	v_cndmask_b32_e64 v20, 0, v20, s[12:13]
	v_mov_b32_e32 v22, 0xfff00000
	v_cmp_neq_f64_e64 s[12:13], 0, v[18:19]
	v_cndmask_b32_e64 v21, v22, v21, s[12:13]
	v_mov_b32_e32 v18, s21
	v_add_co_u32_e64 v0, s[12:13], s20, v0
	v_addc_co_u32_e64 v1, s[12:13], v18, v1, s[12:13]
	v_add_f64 v[2:3], v[2:3], -v[20:21]
	global_store_dwordx2 v[0:1], v[2:3], off
	s_and_b64 exec, exec, vcc
	s_cbranch_execz .LBB17_26
; %bb.19:
	v_add_f64 v[2:3], v[4:5], -v[20:21]
	global_store_dwordx2 v[0:1], v[2:3], off offset:256
	s_and_b64 exec, exec, s[0:1]
	s_cbranch_execz .LBB17_26
; %bb.20:
	v_add_f64 v[2:3], v[8:9], -v[20:21]
	global_store_dwordx2 v[0:1], v[2:3], off offset:512
	s_and_b64 exec, exec, s[2:3]
	;; [unrolled: 5-line block ×6, first 2 shown]
	s_cbranch_execz .LBB17_26
; %bb.25:
	v_add_f64 v[2:3], v[6:7], -v[20:21]
	global_store_dwordx2 v[0:1], v[2:3], off offset:1792
.LBB17_26:
	s_endpgm
	.section	.rodata,"a",@progbits
	.p2align	6, 0x0
	.amdhsa_kernel _ZN12_GLOBAL__N_120softmax_warp_forwardIdddLi8ELb1ELb0ELi32EEEvPT0_PKT_iiiPKbib
		.amdhsa_group_segment_fixed_size 0
		.amdhsa_private_segment_fixed_size 0
		.amdhsa_kernarg_size 304
		.amdhsa_user_sgpr_count 6
		.amdhsa_user_sgpr_private_segment_buffer 1
		.amdhsa_user_sgpr_dispatch_ptr 0
		.amdhsa_user_sgpr_queue_ptr 0
		.amdhsa_user_sgpr_kernarg_segment_ptr 1
		.amdhsa_user_sgpr_dispatch_id 0
		.amdhsa_user_sgpr_flat_scratch_init 0
		.amdhsa_user_sgpr_kernarg_preload_length 0
		.amdhsa_user_sgpr_kernarg_preload_offset 0
		.amdhsa_user_sgpr_private_segment_size 0
		.amdhsa_uses_dynamic_stack 0
		.amdhsa_system_sgpr_private_segment_wavefront_offset 0
		.amdhsa_system_sgpr_workgroup_id_x 1
		.amdhsa_system_sgpr_workgroup_id_y 0
		.amdhsa_system_sgpr_workgroup_id_z 0
		.amdhsa_system_sgpr_workgroup_info 0
		.amdhsa_system_vgpr_workitem_id 1
		.amdhsa_next_free_vgpr 37
		.amdhsa_next_free_sgpr 50
		.amdhsa_accum_offset 40
		.amdhsa_reserve_vcc 1
		.amdhsa_reserve_flat_scratch 0
		.amdhsa_float_round_mode_32 0
		.amdhsa_float_round_mode_16_64 0
		.amdhsa_float_denorm_mode_32 3
		.amdhsa_float_denorm_mode_16_64 3
		.amdhsa_dx10_clamp 1
		.amdhsa_ieee_mode 1
		.amdhsa_fp16_overflow 0
		.amdhsa_tg_split 0
		.amdhsa_exception_fp_ieee_invalid_op 0
		.amdhsa_exception_fp_denorm_src 0
		.amdhsa_exception_fp_ieee_div_zero 0
		.amdhsa_exception_fp_ieee_overflow 0
		.amdhsa_exception_fp_ieee_underflow 0
		.amdhsa_exception_fp_ieee_inexact 0
		.amdhsa_exception_int_div_zero 0
	.end_amdhsa_kernel
	.section	.text._ZN12_GLOBAL__N_120softmax_warp_forwardIdddLi8ELb1ELb0ELi32EEEvPT0_PKT_iiiPKbib,"axG",@progbits,_ZN12_GLOBAL__N_120softmax_warp_forwardIdddLi8ELb1ELb0ELi32EEEvPT0_PKT_iiiPKbib,comdat
.Lfunc_end17:
	.size	_ZN12_GLOBAL__N_120softmax_warp_forwardIdddLi8ELb1ELb0ELi32EEEvPT0_PKT_iiiPKbib, .Lfunc_end17-_ZN12_GLOBAL__N_120softmax_warp_forwardIdddLi8ELb1ELb0ELi32EEEvPT0_PKT_iiiPKbib
                                        ; -- End function
	.section	.AMDGPU.csdata,"",@progbits
; Kernel info:
; codeLenInByte = 3896
; NumSgprs: 54
; NumVgprs: 37
; NumAgprs: 0
; TotalNumVgprs: 37
; ScratchSize: 0
; MemoryBound: 0
; FloatMode: 240
; IeeeMode: 1
; LDSByteSize: 0 bytes/workgroup (compile time only)
; SGPRBlocks: 6
; VGPRBlocks: 4
; NumSGPRsForWavesPerEU: 54
; NumVGPRsForWavesPerEU: 37
; AccumOffset: 40
; Occupancy: 8
; WaveLimiterHint : 0
; COMPUTE_PGM_RSRC2:SCRATCH_EN: 0
; COMPUTE_PGM_RSRC2:USER_SGPR: 6
; COMPUTE_PGM_RSRC2:TRAP_HANDLER: 0
; COMPUTE_PGM_RSRC2:TGID_X_EN: 1
; COMPUTE_PGM_RSRC2:TGID_Y_EN: 0
; COMPUTE_PGM_RSRC2:TGID_Z_EN: 0
; COMPUTE_PGM_RSRC2:TIDIG_COMP_CNT: 1
; COMPUTE_PGM_RSRC3_GFX90A:ACCUM_OFFSET: 9
; COMPUTE_PGM_RSRC3_GFX90A:TG_SPLIT: 0
	.section	.text._ZN12_GLOBAL__N_120softmax_warp_forwardIdddLi9ELb1ELb0ELi64EEEvPT0_PKT_iiiPKbib,"axG",@progbits,_ZN12_GLOBAL__N_120softmax_warp_forwardIdddLi9ELb1ELb0ELi64EEEvPT0_PKT_iiiPKbib,comdat
	.globl	_ZN12_GLOBAL__N_120softmax_warp_forwardIdddLi9ELb1ELb0ELi64EEEvPT0_PKT_iiiPKbib ; -- Begin function _ZN12_GLOBAL__N_120softmax_warp_forwardIdddLi9ELb1ELb0ELi64EEEvPT0_PKT_iiiPKbib
	.p2align	8
	.type	_ZN12_GLOBAL__N_120softmax_warp_forwardIdddLi9ELb1ELb0ELi64EEEvPT0_PKT_iiiPKbib,@function
_ZN12_GLOBAL__N_120softmax_warp_forwardIdddLi9ELb1ELb0ELi64EEEvPT0_PKT_iiiPKbib: ; @_ZN12_GLOBAL__N_120softmax_warp_forwardIdddLi9ELb1ELb0ELi64EEEvPT0_PKT_iiiPKbib
; %bb.0:
	s_load_dword s0, s[4:5], 0x3c
	s_load_dwordx8 s[20:27], s[4:5], 0x0
	v_bfe_u32 v1, v0, 10, 10
	v_and_b32_e32 v20, 0x3ff, v0
	v_mov_b32_e32 v6, 0
	s_waitcnt lgkmcnt(0)
	s_lshr_b32 s0, s0, 16
	s_mul_i32 s6, s6, s0
	v_add_u32_e32 v1, s6, v1
	v_sub_u32_e32 v22, s24, v1
	v_mad_u64_u32 v[0:1], s[0:1], v1, s25, v[20:21]
	v_ashrrev_i32_e32 v1, 31, v0
	v_lshlrev_b64 v[0:1], 3, v[0:1]
	v_mov_b32_e32 v2, s23
	v_add_co_u32_e32 v18, vcc, s22, v0
	v_cmp_lt_i32_e64 s[14:15], 0, v22
	v_cmp_gt_i32_e64 s[12:13], s26, v20
	v_mov_b32_e32 v7, 0xfff00000
	v_addc_co_u32_e32 v19, vcc, v2, v1, vcc
	s_and_b64 s[2:3], s[14:15], s[12:13]
	v_pk_mov_b32 v[2:3], v[6:7], v[6:7] op_sel:[0,1]
	s_and_saveexec_b64 s[0:1], s[2:3]
	s_cbranch_execz .LBB18_2
; %bb.1:
	global_load_dwordx2 v[2:3], v[18:19], off
.LBB18_2:
	s_or_b64 exec, exec, s[0:1]
	v_add_u32_e32 v4, 64, v20
	v_cmp_gt_i32_e32 vcc, s26, v4
	s_and_b64 s[2:3], s[14:15], vcc
	s_and_saveexec_b64 s[0:1], s[2:3]
	s_cbranch_execz .LBB18_4
; %bb.3:
	global_load_dwordx2 v[6:7], v[18:19], off offset:512
.LBB18_4:
	s_or_b64 exec, exec, s[0:1]
	v_add_u32_e32 v4, 0x80, v20
	v_mov_b32_e32 v14, 0
	v_cmp_gt_i32_e64 s[0:1], s26, v4
	v_mov_b32_e32 v15, 0xfff00000
	s_and_b64 s[4:5], s[14:15], s[0:1]
	v_pk_mov_b32 v[8:9], v[14:15], v[14:15] op_sel:[0,1]
	s_and_saveexec_b64 s[2:3], s[4:5]
	s_cbranch_execz .LBB18_6
; %bb.5:
	global_load_dwordx2 v[8:9], v[18:19], off offset:1024
.LBB18_6:
	s_or_b64 exec, exec, s[2:3]
	v_add_u32_e32 v4, 0xc0, v20
	v_cmp_gt_i32_e64 s[2:3], s26, v4
	s_and_b64 s[6:7], s[14:15], s[2:3]
	s_and_saveexec_b64 s[4:5], s[6:7]
	s_cbranch_execz .LBB18_8
; %bb.7:
	global_load_dwordx2 v[14:15], v[18:19], off offset:1536
.LBB18_8:
	s_or_b64 exec, exec, s[4:5]
	v_add_u32_e32 v4, 0x100, v20
	v_mov_b32_e32 v10, 0
	v_cmp_gt_i32_e64 s[4:5], s26, v4
	v_mov_b32_e32 v11, 0xfff00000
	s_and_b64 s[8:9], s[14:15], s[4:5]
	v_pk_mov_b32 v[16:17], v[10:11], v[10:11] op_sel:[0,1]
	s_and_saveexec_b64 s[6:7], s[8:9]
	s_cbranch_execz .LBB18_10
; %bb.9:
	global_load_dwordx2 v[16:17], v[18:19], off offset:2048
.LBB18_10:
	s_or_b64 exec, exec, s[6:7]
	v_add_u32_e32 v4, 0x140, v20
	v_cmp_gt_i32_e64 s[6:7], s26, v4
	s_and_b64 s[10:11], s[14:15], s[6:7]
	s_and_saveexec_b64 s[8:9], s[10:11]
	s_cbranch_execz .LBB18_12
; %bb.11:
	global_load_dwordx2 v[10:11], v[18:19], off offset:2560
.LBB18_12:
	s_or_b64 exec, exec, s[8:9]
	v_add_u32_e32 v4, 0x180, v20
	v_cmp_gt_i32_e64 s[8:9], s26, v4
	v_mov_b32_e32 v4, 0
	v_mov_b32_e32 v5, 0xfff00000
	s_and_b64 s[16:17], s[14:15], s[8:9]
	v_pk_mov_b32 v[12:13], v[4:5], v[4:5] op_sel:[0,1]
	s_and_saveexec_b64 s[10:11], s[16:17]
	s_cbranch_execz .LBB18_14
; %bb.13:
	global_load_dwordx2 v[12:13], v[18:19], off offset:3072
.LBB18_14:
	s_or_b64 exec, exec, s[10:11]
	v_add_u32_e32 v20, 0x1c0, v20
	v_cmp_gt_i32_e64 s[10:11], s26, v20
	s_and_b64 s[16:17], s[14:15], s[10:11]
	s_and_saveexec_b64 s[14:15], s[16:17]
	s_cbranch_execz .LBB18_16
; %bb.15:
	global_load_dwordx2 v[4:5], v[18:19], off offset:3584
.LBB18_16:
	s_or_b64 exec, exec, s[14:15]
	s_waitcnt vmcnt(0)
	v_cmp_gt_f64_e64 s[14:15], v[2:3], v[6:7]
	v_cndmask_b32_e64 v19, v7, v3, s[14:15]
	v_cndmask_b32_e64 v18, v6, v2, s[14:15]
	v_cmp_gt_f64_e64 s[14:15], v[18:19], v[8:9]
	v_cndmask_b32_e64 v19, v9, v19, s[14:15]
	v_cndmask_b32_e64 v18, v8, v18, s[14:15]
	;; [unrolled: 3-line block ×5, first 2 shown]
	v_mbcnt_lo_u32_b32 v20, -1, 0
	v_cmp_gt_f64_e64 s[14:15], v[18:19], v[12:13]
	v_mbcnt_hi_u32_b32 v28, -1, v20
	v_cndmask_b32_e64 v19, v13, v19, s[14:15]
	v_cndmask_b32_e64 v18, v12, v18, s[14:15]
	v_and_b32_e32 v20, 64, v28
	v_cmp_gt_f64_e64 s[14:15], v[18:19], v[4:5]
	v_add_u32_e32 v29, 64, v20
	v_xor_b32_e32 v20, 32, v28
	v_cndmask_b32_e64 v19, v5, v19, s[14:15]
	v_cndmask_b32_e64 v18, v4, v18, s[14:15]
	v_cmp_lt_i32_e64 s[14:15], v20, v29
	v_cndmask_b32_e64 v20, v28, v20, s[14:15]
	v_lshlrev_b32_e32 v23, 2, v20
	ds_bpermute_b32 v20, v23, v18
	ds_bpermute_b32 v21, v23, v19
	s_mov_b32 s18, 0x652b82fe
	s_mov_b32 s19, 0x3ff71547
	s_mov_b32 s22, 0xfefa39ef
	s_mov_b32 s23, 0xbfe62e42
	s_waitcnt lgkmcnt(0)
	v_cmp_lt_f64_e64 s[14:15], v[18:19], v[20:21]
	v_cndmask_b32_e64 v18, v18, v20, s[14:15]
	v_xor_b32_e32 v20, 16, v28
	v_cndmask_b32_e64 v19, v19, v21, s[14:15]
	v_cmp_lt_i32_e64 s[14:15], v20, v29
	v_cndmask_b32_e64 v20, v28, v20, s[14:15]
	v_lshlrev_b32_e32 v24, 2, v20
	ds_bpermute_b32 v20, v24, v18
	ds_bpermute_b32 v21, v24, v19
	s_mov_b32 s24, 0x3b39803f
	s_mov_b32 s25, 0xbc7abc9e
	s_mov_b32 s26, 0x6a5dcb37
	s_mov_b32 s27, 0x3e5ade15
	s_waitcnt lgkmcnt(0)
	v_cmp_lt_f64_e64 s[14:15], v[18:19], v[20:21]
	v_cndmask_b32_e64 v18, v18, v20, s[14:15]
	v_xor_b32_e32 v20, 8, v28
	;; [unrolled: 14-line block ×5, first 2 shown]
	v_cndmask_b32_e64 v19, v19, v21, s[14:15]
	v_cmp_lt_i32_e64 s[14:15], v20, v29
	v_cndmask_b32_e64 v20, v28, v20, s[14:15]
	v_lshlrev_b32_e32 v28, 2, v20
	ds_bpermute_b32 v20, v28, v18
	ds_bpermute_b32 v21, v28, v19
	s_mov_b32 s42, 0x55555511
	s_mov_b32 s43, 0x3fc55555
	;; [unrolled: 1-line block ×4, first 2 shown]
	s_waitcnt lgkmcnt(0)
	v_cmp_lt_f64_e64 s[14:15], v[18:19], v[20:21]
	v_cndmask_b32_e64 v19, v19, v21, s[14:15]
	v_cndmask_b32_e64 v18, v18, v20, s[14:15]
	v_add_f64 v[2:3], v[2:3], -v[18:19]
	v_mul_f64 v[20:21], v[2:3], s[18:19]
	v_rndne_f64_e32 v[30:31], v[20:21]
	s_mov_b32 s14, 0xfca7ab0c
	v_fma_f64 v[32:33], s[22:23], v[30:31], v[2:3]
	s_mov_b32 s15, 0x3e928af3
	v_fmac_f64_e32 v[32:33], s[24:25], v[30:31]
	v_pk_mov_b32 v[20:21], s[14:15], s[14:15] op_sel:[0,1]
	v_fma_f64 v[34:35], s[26:27], v[32:33], v[20:21]
	v_fma_f64 v[34:35], v[32:33], v[34:35], s[28:29]
	;; [unrolled: 1-line block ×9, first 2 shown]
	v_fma_f64 v[34:35], v[32:33], v[34:35], 1.0
	v_fma_f64 v[32:33], v[32:33], v[34:35], 1.0
	v_cvt_i32_f64_e32 v29, v[30:31]
	v_add_f64 v[6:7], v[6:7], -v[18:19]
	v_ldexp_f64 v[30:31], v[32:33], v29
	v_mul_f64 v[32:33], v[6:7], s[18:19]
	v_rndne_f64_e32 v[32:33], v[32:33]
	v_fma_f64 v[34:35], s[22:23], v[32:33], v[6:7]
	v_fmac_f64_e32 v[34:35], s[24:25], v[32:33]
	v_fma_f64 v[36:37], s[26:27], v[34:35], v[20:21]
	v_fma_f64 v[36:37], v[34:35], v[36:37], s[28:29]
	;; [unrolled: 1-line block ×7, first 2 shown]
	s_mov_b32 s46, 0
	s_mov_b32 s48, 0
	v_fma_f64 v[36:37], v[34:35], v[36:37], s[42:43]
	s_mov_b32 s47, 0x40900000
	s_mov_b32 s49, 0xc090cc00
	v_fma_f64 v[36:37], v[34:35], v[36:37], s[44:45]
	v_add_f64 v[30:31], v[30:31], 0
	v_mov_b32_e32 v29, 0x7ff00000
	v_cmp_nlt_f64_e64 s[14:15], s[46:47], v[2:3]
	v_cmp_ngt_f64_e64 s[16:17], s[48:49], v[2:3]
	v_fma_f64 v[36:37], v[34:35], v[36:37], 1.0
	v_cndmask_b32_e64 v31, v29, v31, s[14:15]
	s_and_b64 s[14:15], s[16:17], s[14:15]
	v_fma_f64 v[34:35], v[34:35], v[36:37], 1.0
	v_cvt_i32_f64_e32 v32, v[32:33]
	v_cndmask_b32_e64 v31, 0, v31, s[16:17]
	v_cndmask_b32_e64 v30, 0, v30, s[14:15]
	v_ldexp_f64 v[32:33], v[34:35], v32
	v_cmp_nlt_f64_e64 s[14:15], s[46:47], v[6:7]
	v_cmp_ngt_f64_e64 s[16:17], s[48:49], v[6:7]
	v_cndmask_b32_e64 v33, v29, v33, s[14:15]
	s_and_b64 s[14:15], s[16:17], s[14:15]
	v_cndmask_b32_e64 v33, 0, v33, s[16:17]
	v_cndmask_b32_e64 v32, 0, v32, s[14:15]
	v_add_f64 v[8:9], v[8:9], -v[18:19]
	v_add_f64 v[30:31], v[30:31], v[32:33]
	v_mul_f64 v[32:33], v[8:9], s[18:19]
	v_rndne_f64_e32 v[32:33], v[32:33]
	v_fma_f64 v[34:35], s[22:23], v[32:33], v[8:9]
	v_fmac_f64_e32 v[34:35], s[24:25], v[32:33]
	v_fma_f64 v[36:37], s[26:27], v[34:35], v[20:21]
	v_fma_f64 v[36:37], v[34:35], v[36:37], s[28:29]
	v_fma_f64 v[36:37], v[34:35], v[36:37], s[30:31]
	v_fma_f64 v[36:37], v[34:35], v[36:37], s[34:35]
	v_fma_f64 v[36:37], v[34:35], v[36:37], s[36:37]
	v_fma_f64 v[36:37], v[34:35], v[36:37], s[38:39]
	v_fma_f64 v[36:37], v[34:35], v[36:37], s[40:41]
	v_fma_f64 v[36:37], v[34:35], v[36:37], s[42:43]
	v_fma_f64 v[36:37], v[34:35], v[36:37], s[44:45]
	v_fma_f64 v[36:37], v[34:35], v[36:37], 1.0
	v_fma_f64 v[34:35], v[34:35], v[36:37], 1.0
	v_cvt_i32_f64_e32 v32, v[32:33]
	v_ldexp_f64 v[32:33], v[34:35], v32
	v_cmp_nlt_f64_e64 s[14:15], s[46:47], v[8:9]
	v_cmp_ngt_f64_e64 s[16:17], s[48:49], v[8:9]
	v_cndmask_b32_e64 v33, v29, v33, s[14:15]
	s_and_b64 s[14:15], s[16:17], s[14:15]
	v_cndmask_b32_e64 v33, 0, v33, s[16:17]
	v_cndmask_b32_e64 v32, 0, v32, s[14:15]
	v_add_f64 v[14:15], v[14:15], -v[18:19]
	v_add_f64 v[30:31], v[30:31], v[32:33]
	v_mul_f64 v[32:33], v[14:15], s[18:19]
	v_rndne_f64_e32 v[32:33], v[32:33]
	v_fma_f64 v[34:35], s[22:23], v[32:33], v[14:15]
	v_fmac_f64_e32 v[34:35], s[24:25], v[32:33]
	v_fma_f64 v[36:37], s[26:27], v[34:35], v[20:21]
	v_fma_f64 v[36:37], v[34:35], v[36:37], s[28:29]
	v_fma_f64 v[36:37], v[34:35], v[36:37], s[30:31]
	v_fma_f64 v[36:37], v[34:35], v[36:37], s[34:35]
	v_fma_f64 v[36:37], v[34:35], v[36:37], s[36:37]
	v_fma_f64 v[36:37], v[34:35], v[36:37], s[38:39]
	v_fma_f64 v[36:37], v[34:35], v[36:37], s[40:41]
	v_fma_f64 v[36:37], v[34:35], v[36:37], s[42:43]
	v_fma_f64 v[36:37], v[34:35], v[36:37], s[44:45]
	v_fma_f64 v[36:37], v[34:35], v[36:37], 1.0
	v_fma_f64 v[34:35], v[34:35], v[36:37], 1.0
	v_cvt_i32_f64_e32 v32, v[32:33]
	v_ldexp_f64 v[32:33], v[34:35], v32
	v_cmp_nlt_f64_e64 s[14:15], s[46:47], v[14:15]
	v_cmp_ngt_f64_e64 s[16:17], s[48:49], v[14:15]
	v_cndmask_b32_e64 v33, v29, v33, s[14:15]
	s_and_b64 s[14:15], s[16:17], s[14:15]
	v_cndmask_b32_e64 v33, 0, v33, s[16:17]
	v_cndmask_b32_e64 v32, 0, v32, s[14:15]
	v_add_f64 v[16:17], v[16:17], -v[18:19]
	v_add_f64 v[30:31], v[30:31], v[32:33]
	v_mul_f64 v[32:33], v[16:17], s[18:19]
	v_rndne_f64_e32 v[32:33], v[32:33]
	v_fma_f64 v[34:35], s[22:23], v[32:33], v[16:17]
	v_fmac_f64_e32 v[34:35], s[24:25], v[32:33]
	v_fma_f64 v[36:37], s[26:27], v[34:35], v[20:21]
	v_fma_f64 v[36:37], v[34:35], v[36:37], s[28:29]
	v_fma_f64 v[36:37], v[34:35], v[36:37], s[30:31]
	v_fma_f64 v[36:37], v[34:35], v[36:37], s[34:35]
	v_fma_f64 v[36:37], v[34:35], v[36:37], s[36:37]
	v_fma_f64 v[36:37], v[34:35], v[36:37], s[38:39]
	v_fma_f64 v[36:37], v[34:35], v[36:37], s[40:41]
	v_fma_f64 v[36:37], v[34:35], v[36:37], s[42:43]
	v_fma_f64 v[36:37], v[34:35], v[36:37], s[44:45]
	v_fma_f64 v[36:37], v[34:35], v[36:37], 1.0
	v_fma_f64 v[34:35], v[34:35], v[36:37], 1.0
	v_cvt_i32_f64_e32 v32, v[32:33]
	v_ldexp_f64 v[32:33], v[34:35], v32
	v_cmp_nlt_f64_e64 s[14:15], s[46:47], v[16:17]
	v_cmp_ngt_f64_e64 s[16:17], s[48:49], v[16:17]
	v_cndmask_b32_e64 v33, v29, v33, s[14:15]
	s_and_b64 s[14:15], s[16:17], s[14:15]
	v_cndmask_b32_e64 v33, 0, v33, s[16:17]
	v_cndmask_b32_e64 v32, 0, v32, s[14:15]
	v_add_f64 v[10:11], v[10:11], -v[18:19]
	v_add_f64 v[30:31], v[30:31], v[32:33]
	v_mul_f64 v[32:33], v[10:11], s[18:19]
	v_rndne_f64_e32 v[32:33], v[32:33]
	v_fma_f64 v[34:35], s[22:23], v[32:33], v[10:11]
	v_fmac_f64_e32 v[34:35], s[24:25], v[32:33]
	v_fma_f64 v[36:37], s[26:27], v[34:35], v[20:21]
	v_fma_f64 v[36:37], v[34:35], v[36:37], s[28:29]
	v_fma_f64 v[36:37], v[34:35], v[36:37], s[30:31]
	v_fma_f64 v[36:37], v[34:35], v[36:37], s[34:35]
	v_fma_f64 v[36:37], v[34:35], v[36:37], s[36:37]
	v_fma_f64 v[36:37], v[34:35], v[36:37], s[38:39]
	v_fma_f64 v[36:37], v[34:35], v[36:37], s[40:41]
	v_fma_f64 v[36:37], v[34:35], v[36:37], s[42:43]
	v_fma_f64 v[36:37], v[34:35], v[36:37], s[44:45]
	v_fma_f64 v[36:37], v[34:35], v[36:37], 1.0
	v_fma_f64 v[34:35], v[34:35], v[36:37], 1.0
	v_cvt_i32_f64_e32 v32, v[32:33]
	v_ldexp_f64 v[32:33], v[34:35], v32
	v_cmp_nlt_f64_e64 s[14:15], s[46:47], v[10:11]
	v_cmp_ngt_f64_e64 s[16:17], s[48:49], v[10:11]
	v_cndmask_b32_e64 v33, v29, v33, s[14:15]
	s_and_b64 s[14:15], s[16:17], s[14:15]
	v_cndmask_b32_e64 v33, 0, v33, s[16:17]
	v_cndmask_b32_e64 v32, 0, v32, s[14:15]
	v_add_f64 v[12:13], v[12:13], -v[18:19]
	v_add_f64 v[30:31], v[30:31], v[32:33]
	v_mul_f64 v[32:33], v[12:13], s[18:19]
	v_rndne_f64_e32 v[32:33], v[32:33]
	v_fma_f64 v[34:35], s[22:23], v[32:33], v[12:13]
	v_fmac_f64_e32 v[34:35], s[24:25], v[32:33]
	v_fma_f64 v[36:37], s[26:27], v[34:35], v[20:21]
	v_fma_f64 v[36:37], v[34:35], v[36:37], s[28:29]
	v_fma_f64 v[36:37], v[34:35], v[36:37], s[30:31]
	v_fma_f64 v[36:37], v[34:35], v[36:37], s[34:35]
	v_fma_f64 v[36:37], v[34:35], v[36:37], s[36:37]
	v_fma_f64 v[36:37], v[34:35], v[36:37], s[38:39]
	v_fma_f64 v[36:37], v[34:35], v[36:37], s[40:41]
	v_fma_f64 v[36:37], v[34:35], v[36:37], s[42:43]
	v_fma_f64 v[36:37], v[34:35], v[36:37], s[44:45]
	v_fma_f64 v[36:37], v[34:35], v[36:37], 1.0
	v_fma_f64 v[34:35], v[34:35], v[36:37], 1.0
	v_cvt_i32_f64_e32 v32, v[32:33]
	v_ldexp_f64 v[32:33], v[34:35], v32
	v_cmp_nlt_f64_e64 s[14:15], s[46:47], v[12:13]
	v_cmp_ngt_f64_e64 s[16:17], s[48:49], v[12:13]
	v_add_f64 v[4:5], v[4:5], -v[18:19]
	v_cndmask_b32_e64 v33, v29, v33, s[14:15]
	s_and_b64 s[14:15], s[16:17], s[14:15]
	v_mul_f64 v[18:19], v[4:5], s[18:19]
	v_cndmask_b32_e64 v33, 0, v33, s[16:17]
	v_cndmask_b32_e64 v32, 0, v32, s[14:15]
	v_rndne_f64_e32 v[18:19], v[18:19]
	v_add_f64 v[30:31], v[30:31], v[32:33]
	v_fma_f64 v[32:33], s[22:23], v[18:19], v[4:5]
	v_fmac_f64_e32 v[32:33], s[24:25], v[18:19]
	v_fmac_f64_e32 v[20:21], s[26:27], v[32:33]
	v_fma_f64 v[20:21], v[32:33], v[20:21], s[28:29]
	v_fma_f64 v[20:21], v[32:33], v[20:21], s[30:31]
	;; [unrolled: 1-line block ×8, first 2 shown]
	v_fma_f64 v[20:21], v[32:33], v[20:21], 1.0
	v_fma_f64 v[20:21], v[32:33], v[20:21], 1.0
	v_cvt_i32_f64_e32 v18, v[18:19]
	v_ldexp_f64 v[18:19], v[20:21], v18
	v_cmp_nlt_f64_e64 s[14:15], s[46:47], v[4:5]
	v_cmp_ngt_f64_e64 s[16:17], s[48:49], v[4:5]
	v_cndmask_b32_e64 v19, v29, v19, s[14:15]
	s_and_b64 s[14:15], s[16:17], s[14:15]
	v_cndmask_b32_e64 v19, 0, v19, s[16:17]
	v_cndmask_b32_e64 v18, 0, v18, s[14:15]
	v_add_f64 v[18:19], v[30:31], v[18:19]
	ds_bpermute_b32 v20, v23, v18
	ds_bpermute_b32 v21, v23, v19
	v_cmp_lt_i32_e64 s[14:15], 0, v22
	s_waitcnt lgkmcnt(0)
	v_add_f64 v[18:19], v[18:19], v[20:21]
	ds_bpermute_b32 v20, v24, v18
	ds_bpermute_b32 v21, v24, v19
	s_waitcnt lgkmcnt(0)
	v_add_f64 v[18:19], v[18:19], v[20:21]
	ds_bpermute_b32 v20, v25, v18
	ds_bpermute_b32 v21, v25, v19
	;; [unrolled: 4-line block ×5, first 2 shown]
	s_and_saveexec_b64 s[16:17], s[14:15]
	s_cbranch_execz .LBB18_26
; %bb.17:
	s_and_b64 exec, exec, s[12:13]
	s_cbranch_execz .LBB18_26
; %bb.18:
	s_waitcnt lgkmcnt(0)
	v_add_f64 v[18:19], v[18:19], v[20:21]
	s_mov_b32 s12, 0x55555555
	v_frexp_mant_f64_e32 v[20:21], v[18:19]
	s_mov_b32 s13, 0x3fe55555
	v_mov_b32_e32 v22, 0x3ff00000
	v_cmp_gt_f64_e64 s[12:13], s[12:13], v[20:21]
	v_cndmask_b32_e64 v23, v22, 2.0, s[12:13]
	v_mov_b32_e32 v22, 0
	v_mul_f64 v[20:21], v[20:21], v[22:23]
	v_frexp_exp_i32_f64_e32 v24, v[18:19]
	v_add_f64 v[22:23], v[20:21], 1.0
	v_subbrev_co_u32_e64 v34, s[12:13], 0, v24, s[12:13]
	v_rcp_f64_e32 v[24:25], v[22:23]
	v_add_f64 v[28:29], v[22:23], -1.0
	v_add_f64 v[26:27], v[20:21], -1.0
	v_add_f64 v[20:21], v[20:21], -v[28:29]
	v_fma_f64 v[28:29], -v[22:23], v[24:25], 1.0
	v_fmac_f64_e32 v[24:25], v[28:29], v[24:25]
	v_fma_f64 v[28:29], -v[22:23], v[24:25], 1.0
	v_fmac_f64_e32 v[24:25], v[28:29], v[24:25]
	v_mul_f64 v[28:29], v[26:27], v[24:25]
	v_mul_f64 v[30:31], v[22:23], v[28:29]
	v_fma_f64 v[22:23], v[28:29], v[22:23], -v[30:31]
	v_fmac_f64_e32 v[22:23], v[28:29], v[20:21]
	v_add_f64 v[20:21], v[30:31], v[22:23]
	v_add_f64 v[32:33], v[26:27], -v[20:21]
	v_add_f64 v[30:31], v[20:21], -v[30:31]
	;; [unrolled: 1-line block ×5, first 2 shown]
	v_add_f64 v[20:21], v[22:23], v[20:21]
	v_add_f64 v[20:21], v[32:33], v[20:21]
	v_mul_f64 v[20:21], v[24:25], v[20:21]
	v_add_f64 v[22:23], v[28:29], v[20:21]
	v_add_f64 v[24:25], v[22:23], -v[28:29]
	s_mov_b32 s12, 0xbf559e2b
	v_add_f64 v[20:21], v[20:21], -v[24:25]
	v_mul_f64 v[24:25], v[22:23], v[22:23]
	v_mov_b32_e32 v26, 0x6b47b09a
	v_mov_b32_e32 v27, 0x3fc38538
	s_mov_b32 s13, 0x3fc3ab76
	v_fmac_f64_e32 v[26:27], s[12:13], v[24:25]
	v_mov_b32_e32 v28, 0xd7f4df2e
	v_mov_b32_e32 v29, 0x3fc7474d
	v_fmac_f64_e32 v[28:29], v[24:25], v[26:27]
	v_mov_b32_e32 v26, 0x16291751
	v_mov_b32_e32 v27, 0x3fcc71c0
	;; [unrolled: 3-line block ×5, first 2 shown]
	v_fmac_f64_e32 v[28:29], v[24:25], v[26:27]
	v_ldexp_f64 v[26:27], v[22:23], 1
	v_mul_f64 v[22:23], v[22:23], v[24:25]
	v_mul_f64 v[22:23], v[22:23], v[28:29]
	v_add_f64 v[24:25], v[26:27], v[22:23]
	v_add_f64 v[26:27], v[24:25], -v[26:27]
	v_ldexp_f64 v[20:21], v[20:21], 1
	v_add_f64 v[22:23], v[22:23], -v[26:27]
	v_add_f64 v[20:21], v[20:21], v[22:23]
	v_add_f64 v[22:23], v[24:25], v[20:21]
	v_add_f64 v[24:25], v[22:23], -v[24:25]
	s_mov_b32 s12, 0xfefa39ef
	v_add_f64 v[20:21], v[20:21], -v[24:25]
	v_cvt_f64_i32_e32 v[24:25], v34
	s_mov_b32 s13, 0x3fe62e42
	v_mul_f64 v[26:27], v[24:25], s[12:13]
	v_fma_f64 v[28:29], v[24:25], s[12:13], -v[26:27]
	s_mov_b32 s12, 0x3b39803f
	s_mov_b32 s13, 0x3c7abc9e
	v_fmac_f64_e32 v[28:29], s[12:13], v[24:25]
	v_add_f64 v[24:25], v[26:27], v[28:29]
	v_add_f64 v[26:27], v[24:25], -v[26:27]
	v_add_f64 v[26:27], v[28:29], -v[26:27]
	v_add_f64 v[28:29], v[24:25], v[22:23]
	v_add_f64 v[30:31], v[28:29], -v[24:25]
	v_add_f64 v[32:33], v[28:29], -v[30:31]
	;; [unrolled: 1-line block ×4, first 2 shown]
	v_add_f64 v[22:23], v[22:23], v[24:25]
	v_add_f64 v[24:25], v[26:27], v[20:21]
	v_add_f64 v[30:31], v[24:25], -v[26:27]
	v_add_f64 v[32:33], v[24:25], -v[30:31]
	v_add_f64 v[22:23], v[24:25], v[22:23]
	v_add_f64 v[26:27], v[26:27], -v[32:33]
	v_add_f64 v[20:21], v[20:21], -v[30:31]
	v_add_f64 v[24:25], v[28:29], v[22:23]
	v_add_f64 v[20:21], v[20:21], v[26:27]
	v_add_f64 v[26:27], v[24:25], -v[28:29]
	v_add_f64 v[22:23], v[22:23], -v[26:27]
	v_add_f64 v[20:21], v[20:21], v[22:23]
	s_movk_i32 s12, 0x204
	v_add_f64 v[20:21], v[24:25], v[20:21]
	v_cmp_class_f64_e64 s[12:13], v[18:19], s12
	v_cndmask_b32_e64 v20, v20, v18, s[12:13]
	v_cndmask_b32_e64 v21, v21, v19, s[12:13]
	v_mov_b32_e32 v22, 0x7ff80000
	v_cmp_ngt_f64_e64 s[12:13], 0, v[18:19]
	v_cndmask_b32_e64 v21, v22, v21, s[12:13]
	v_cmp_nge_f64_e64 s[12:13], 0, v[18:19]
	v_cndmask_b32_e64 v20, 0, v20, s[12:13]
	v_mov_b32_e32 v22, 0xfff00000
	v_cmp_neq_f64_e64 s[12:13], 0, v[18:19]
	v_cndmask_b32_e64 v21, v22, v21, s[12:13]
	v_mov_b32_e32 v18, s21
	v_add_co_u32_e64 v0, s[12:13], s20, v0
	v_addc_co_u32_e64 v1, s[12:13], v18, v1, s[12:13]
	v_add_f64 v[2:3], v[2:3], -v[20:21]
	global_store_dwordx2 v[0:1], v[2:3], off
	s_and_b64 exec, exec, vcc
	s_cbranch_execz .LBB18_26
; %bb.19:
	v_add_f64 v[2:3], v[6:7], -v[20:21]
	global_store_dwordx2 v[0:1], v[2:3], off offset:512
	s_and_b64 exec, exec, s[0:1]
	s_cbranch_execz .LBB18_26
; %bb.20:
	v_add_f64 v[2:3], v[8:9], -v[20:21]
	global_store_dwordx2 v[0:1], v[2:3], off offset:1024
	s_and_b64 exec, exec, s[2:3]
	;; [unrolled: 5-line block ×6, first 2 shown]
	s_cbranch_execz .LBB18_26
; %bb.25:
	v_add_f64 v[2:3], v[4:5], -v[20:21]
	global_store_dwordx2 v[0:1], v[2:3], off offset:3584
.LBB18_26:
	s_endpgm
	.section	.rodata,"a",@progbits
	.p2align	6, 0x0
	.amdhsa_kernel _ZN12_GLOBAL__N_120softmax_warp_forwardIdddLi9ELb1ELb0ELi64EEEvPT0_PKT_iiiPKbib
		.amdhsa_group_segment_fixed_size 0
		.amdhsa_private_segment_fixed_size 0
		.amdhsa_kernarg_size 304
		.amdhsa_user_sgpr_count 6
		.amdhsa_user_sgpr_private_segment_buffer 1
		.amdhsa_user_sgpr_dispatch_ptr 0
		.amdhsa_user_sgpr_queue_ptr 0
		.amdhsa_user_sgpr_kernarg_segment_ptr 1
		.amdhsa_user_sgpr_dispatch_id 0
		.amdhsa_user_sgpr_flat_scratch_init 0
		.amdhsa_user_sgpr_kernarg_preload_length 0
		.amdhsa_user_sgpr_kernarg_preload_offset 0
		.amdhsa_user_sgpr_private_segment_size 0
		.amdhsa_uses_dynamic_stack 0
		.amdhsa_system_sgpr_private_segment_wavefront_offset 0
		.amdhsa_system_sgpr_workgroup_id_x 1
		.amdhsa_system_sgpr_workgroup_id_y 0
		.amdhsa_system_sgpr_workgroup_id_z 0
		.amdhsa_system_sgpr_workgroup_info 0
		.amdhsa_system_vgpr_workitem_id 1
		.amdhsa_next_free_vgpr 38
		.amdhsa_next_free_sgpr 50
		.amdhsa_accum_offset 40
		.amdhsa_reserve_vcc 1
		.amdhsa_reserve_flat_scratch 0
		.amdhsa_float_round_mode_32 0
		.amdhsa_float_round_mode_16_64 0
		.amdhsa_float_denorm_mode_32 3
		.amdhsa_float_denorm_mode_16_64 3
		.amdhsa_dx10_clamp 1
		.amdhsa_ieee_mode 1
		.amdhsa_fp16_overflow 0
		.amdhsa_tg_split 0
		.amdhsa_exception_fp_ieee_invalid_op 0
		.amdhsa_exception_fp_denorm_src 0
		.amdhsa_exception_fp_ieee_div_zero 0
		.amdhsa_exception_fp_ieee_overflow 0
		.amdhsa_exception_fp_ieee_underflow 0
		.amdhsa_exception_fp_ieee_inexact 0
		.amdhsa_exception_int_div_zero 0
	.end_amdhsa_kernel
	.section	.text._ZN12_GLOBAL__N_120softmax_warp_forwardIdddLi9ELb1ELb0ELi64EEEvPT0_PKT_iiiPKbib,"axG",@progbits,_ZN12_GLOBAL__N_120softmax_warp_forwardIdddLi9ELb1ELb0ELi64EEEvPT0_PKT_iiiPKbib,comdat
.Lfunc_end18:
	.size	_ZN12_GLOBAL__N_120softmax_warp_forwardIdddLi9ELb1ELb0ELi64EEEvPT0_PKT_iiiPKbib, .Lfunc_end18-_ZN12_GLOBAL__N_120softmax_warp_forwardIdddLi9ELb1ELb0ELi64EEEvPT0_PKT_iiiPKbib
                                        ; -- End function
	.section	.AMDGPU.csdata,"",@progbits
; Kernel info:
; codeLenInByte = 3992
; NumSgprs: 54
; NumVgprs: 38
; NumAgprs: 0
; TotalNumVgprs: 38
; ScratchSize: 0
; MemoryBound: 0
; FloatMode: 240
; IeeeMode: 1
; LDSByteSize: 0 bytes/workgroup (compile time only)
; SGPRBlocks: 6
; VGPRBlocks: 4
; NumSGPRsForWavesPerEU: 54
; NumVGPRsForWavesPerEU: 38
; AccumOffset: 40
; Occupancy: 8
; WaveLimiterHint : 0
; COMPUTE_PGM_RSRC2:SCRATCH_EN: 0
; COMPUTE_PGM_RSRC2:USER_SGPR: 6
; COMPUTE_PGM_RSRC2:TRAP_HANDLER: 0
; COMPUTE_PGM_RSRC2:TGID_X_EN: 1
; COMPUTE_PGM_RSRC2:TGID_Y_EN: 0
; COMPUTE_PGM_RSRC2:TGID_Z_EN: 0
; COMPUTE_PGM_RSRC2:TIDIG_COMP_CNT: 1
; COMPUTE_PGM_RSRC3_GFX90A:ACCUM_OFFSET: 9
; COMPUTE_PGM_RSRC3_GFX90A:TG_SPLIT: 0
	.section	.text._ZN12_GLOBAL__N_120softmax_warp_forwardIdddLi9ELb1ELb0ELi32EEEvPT0_PKT_iiiPKbib,"axG",@progbits,_ZN12_GLOBAL__N_120softmax_warp_forwardIdddLi9ELb1ELb0ELi32EEEvPT0_PKT_iiiPKbib,comdat
	.globl	_ZN12_GLOBAL__N_120softmax_warp_forwardIdddLi9ELb1ELb0ELi32EEEvPT0_PKT_iiiPKbib ; -- Begin function _ZN12_GLOBAL__N_120softmax_warp_forwardIdddLi9ELb1ELb0ELi32EEEvPT0_PKT_iiiPKbib
	.p2align	8
	.type	_ZN12_GLOBAL__N_120softmax_warp_forwardIdddLi9ELb1ELb0ELi32EEEvPT0_PKT_iiiPKbib,@function
_ZN12_GLOBAL__N_120softmax_warp_forwardIdddLi9ELb1ELb0ELi32EEEvPT0_PKT_iiiPKbib: ; @_ZN12_GLOBAL__N_120softmax_warp_forwardIdddLi9ELb1ELb0ELi32EEEvPT0_PKT_iiiPKbib
; %bb.0:
	s_load_dword s0, s[4:5], 0x3c
	s_load_dwordx8 s[36:43], s[4:5], 0x0
	v_bfe_u32 v1, v0, 10, 10
	v_and_b32_e32 v36, 0x3ff, v0
	v_mov_b32_e32 v10, 0
	s_waitcnt lgkmcnt(0)
	s_lshr_b32 s0, s0, 16
	s_mul_i32 s6, s6, s0
	v_add_u32_e32 v1, s6, v1
	v_sub_u32_e32 v38, s40, v1
	v_mad_u64_u32 v[0:1], s[0:1], v1, s41, v[36:37]
	v_ashrrev_i32_e32 v1, 31, v0
	v_lshlrev_b64 v[0:1], 3, v[0:1]
	v_mov_b32_e32 v2, s39
	v_add_co_u32_e32 v34, vcc, s38, v0
	v_cmp_lt_i32_e64 s[30:31], 0, v38
	v_cmp_gt_i32_e64 s[28:29], s42, v36
	v_mov_b32_e32 v11, 0xfff00000
	v_addc_co_u32_e32 v35, vcc, v2, v1, vcc
	s_and_b64 s[2:3], s[30:31], s[28:29]
	v_pk_mov_b32 v[2:3], v[10:11], v[10:11] op_sel:[0,1]
	s_and_saveexec_b64 s[0:1], s[2:3]
	s_cbranch_execz .LBB19_2
; %bb.1:
	global_load_dwordx2 v[2:3], v[34:35], off
.LBB19_2:
	s_or_b64 exec, exec, s[0:1]
	v_add_u32_e32 v4, 32, v36
	v_cmp_gt_i32_e32 vcc, s42, v4
	s_and_b64 s[2:3], s[30:31], vcc
	s_and_saveexec_b64 s[0:1], s[2:3]
	s_cbranch_execz .LBB19_4
; %bb.3:
	global_load_dwordx2 v[10:11], v[34:35], off offset:256
.LBB19_4:
	s_or_b64 exec, exec, s[0:1]
	v_add_u32_e32 v4, 64, v36
	v_mov_b32_e32 v18, 0
	v_cmp_gt_i32_e64 s[0:1], s42, v4
	v_mov_b32_e32 v19, 0xfff00000
	s_and_b64 s[4:5], s[30:31], s[0:1]
	v_pk_mov_b32 v[12:13], v[18:19], v[18:19] op_sel:[0,1]
	s_and_saveexec_b64 s[2:3], s[4:5]
	s_cbranch_execz .LBB19_6
; %bb.5:
	global_load_dwordx2 v[12:13], v[34:35], off offset:512
.LBB19_6:
	s_or_b64 exec, exec, s[2:3]
	v_add_u32_e32 v4, 0x60, v36
	v_cmp_gt_i32_e64 s[2:3], s42, v4
	s_and_b64 s[6:7], s[30:31], s[2:3]
	s_and_saveexec_b64 s[4:5], s[6:7]
	s_cbranch_execz .LBB19_8
; %bb.7:
	global_load_dwordx2 v[18:19], v[34:35], off offset:768
.LBB19_8:
	s_or_b64 exec, exec, s[4:5]
	v_add_u32_e32 v4, 0x80, v36
	v_mov_b32_e32 v30, 0
	v_cmp_gt_i32_e64 s[4:5], s42, v4
	v_mov_b32_e32 v31, 0xfff00000
	s_and_b64 s[8:9], s[30:31], s[4:5]
	v_pk_mov_b32 v[24:25], v[30:31], v[30:31] op_sel:[0,1]
	s_and_saveexec_b64 s[6:7], s[8:9]
	s_cbranch_execz .LBB19_10
; %bb.9:
	global_load_dwordx2 v[24:25], v[34:35], off offset:1024
.LBB19_10:
	s_or_b64 exec, exec, s[6:7]
	v_add_u32_e32 v4, 0xa0, v36
	v_cmp_gt_i32_e64 s[6:7], s42, v4
	s_and_b64 s[10:11], s[30:31], s[6:7]
	;; [unrolled: 21-line block ×6, first 2 shown]
	s_and_saveexec_b64 s[24:25], s[26:27]
	s_cbranch_execz .LBB19_28
; %bb.27:
	global_load_dwordx2 v[6:7], v[34:35], off offset:3328
.LBB19_28:
	s_or_b64 exec, exec, s[24:25]
	v_add_u32_e32 v4, 0x1c0, v36
	v_cmp_gt_i32_e64 s[24:25], s42, v4
	v_mov_b32_e32 v4, 0
	v_mov_b32_e32 v5, 0xfff00000
	s_and_b64 s[34:35], s[30:31], s[24:25]
	v_pk_mov_b32 v[8:9], v[4:5], v[4:5] op_sel:[0,1]
	s_and_saveexec_b64 s[26:27], s[34:35]
	s_cbranch_execz .LBB19_30
; %bb.29:
	global_load_dwordx2 v[8:9], v[34:35], off offset:3584
.LBB19_30:
	s_or_b64 exec, exec, s[26:27]
	v_add_u32_e32 v36, 0x1e0, v36
	v_cmp_gt_i32_e64 s[26:27], s42, v36
	s_and_b64 s[34:35], s[30:31], s[26:27]
	s_and_saveexec_b64 s[30:31], s[34:35]
	s_cbranch_execz .LBB19_32
; %bb.31:
	global_load_dwordx2 v[4:5], v[34:35], off offset:3840
.LBB19_32:
	s_or_b64 exec, exec, s[30:31]
	s_waitcnt vmcnt(0)
	v_cmp_gt_f64_e64 s[30:31], v[2:3], v[10:11]
	v_cndmask_b32_e64 v35, v11, v3, s[30:31]
	v_cndmask_b32_e64 v34, v10, v2, s[30:31]
	v_cmp_gt_f64_e64 s[30:31], v[34:35], v[12:13]
	v_cndmask_b32_e64 v35, v13, v35, s[30:31]
	v_cndmask_b32_e64 v34, v12, v34, s[30:31]
	;; [unrolled: 3-line block ×13, first 2 shown]
	v_mbcnt_lo_u32_b32 v36, -1, 0
	v_cmp_gt_f64_e64 s[30:31], v[34:35], v[8:9]
	v_mbcnt_hi_u32_b32 v43, -1, v36
	v_cndmask_b32_e64 v35, v9, v35, s[30:31]
	v_cndmask_b32_e64 v34, v8, v34, s[30:31]
	v_and_b32_e32 v36, 0x60, v43
	v_cmp_gt_f64_e64 s[30:31], v[34:35], v[4:5]
	v_add_u32_e32 v44, 32, v36
	v_xor_b32_e32 v36, 16, v43
	v_cndmask_b32_e64 v35, v5, v35, s[30:31]
	v_cndmask_b32_e64 v34, v4, v34, s[30:31]
	v_cmp_lt_i32_e64 s[30:31], v36, v44
	v_cndmask_b32_e64 v36, v43, v36, s[30:31]
	v_lshlrev_b32_e32 v39, 2, v36
	ds_bpermute_b32 v36, v39, v34
	ds_bpermute_b32 v37, v39, v35
	s_mov_b32 s38, 0x652b82fe
	s_mov_b32 s39, 0x3ff71547
	s_mov_b32 s40, 0xfefa39ef
	s_mov_b32 s41, 0xbfe62e42
	s_waitcnt lgkmcnt(0)
	v_cmp_lt_f64_e64 s[30:31], v[34:35], v[36:37]
	v_cndmask_b32_e64 v34, v34, v36, s[30:31]
	v_xor_b32_e32 v36, 8, v43
	v_cndmask_b32_e64 v35, v35, v37, s[30:31]
	v_cmp_lt_i32_e64 s[30:31], v36, v44
	v_cndmask_b32_e64 v36, v43, v36, s[30:31]
	v_lshlrev_b32_e32 v40, 2, v36
	ds_bpermute_b32 v36, v40, v34
	ds_bpermute_b32 v37, v40, v35
	s_mov_b32 s42, 0x3b39803f
	s_mov_b32 s43, 0xbc7abc9e
	s_mov_b32 s44, 0x6a5dcb37
	s_mov_b32 s45, 0x3e5ade15
	s_waitcnt lgkmcnt(0)
	v_cmp_lt_f64_e64 s[30:31], v[34:35], v[36:37]
	v_cndmask_b32_e64 v34, v34, v36, s[30:31]
	v_xor_b32_e32 v36, 4, v43
	;; [unrolled: 14-line block ×4, first 2 shown]
	v_cndmask_b32_e64 v35, v35, v37, s[30:31]
	v_cmp_lt_i32_e64 s[30:31], v36, v44
	v_cndmask_b32_e64 v36, v43, v36, s[30:31]
	v_lshlrev_b32_e32 v43, 2, v36
	ds_bpermute_b32 v36, v43, v34
	ds_bpermute_b32 v37, v43, v35
	s_mov_b32 s54, 0x11122322
	s_mov_b32 s55, 0x3f811111
	;; [unrolled: 1-line block ×4, first 2 shown]
	s_waitcnt lgkmcnt(0)
	v_cmp_lt_f64_e64 s[30:31], v[34:35], v[36:37]
	v_cndmask_b32_e64 v35, v35, v37, s[30:31]
	v_cndmask_b32_e64 v34, v34, v36, s[30:31]
	v_add_f64 v[2:3], v[2:3], -v[34:35]
	v_mul_f64 v[36:37], v[2:3], s[38:39]
	v_rndne_f64_e32 v[44:45], v[36:37]
	s_mov_b32 s30, 0xfca7ab0c
	v_fma_f64 v[46:47], s[40:41], v[44:45], v[2:3]
	s_mov_b32 s31, 0x3e928af3
	v_fmac_f64_e32 v[46:47], s[42:43], v[44:45]
	v_pk_mov_b32 v[36:37], s[30:31], s[30:31] op_sel:[0,1]
	v_fma_f64 v[48:49], s[44:45], v[46:47], v[36:37]
	v_fma_f64 v[48:49], v[46:47], v[48:49], s[46:47]
	;; [unrolled: 1-line block ×6, first 2 shown]
	s_mov_b32 s58, 0x55555511
	v_fma_f64 v[48:49], v[46:47], v[48:49], s[56:57]
	s_mov_b32 s59, 0x3fc55555
	s_mov_b32 s60, 11
	v_fma_f64 v[48:49], v[46:47], v[48:49], s[58:59]
	s_mov_b32 s61, 0x3fe00000
	v_fma_f64 v[48:49], v[46:47], v[48:49], s[60:61]
	v_fma_f64 v[48:49], v[46:47], v[48:49], 1.0
	v_add_f64 v[10:11], v[10:11], -v[34:35]
	v_fma_f64 v[46:47], v[46:47], v[48:49], 1.0
	v_mul_f64 v[48:49], v[10:11], s[38:39]
	v_rndne_f64_e32 v[48:49], v[48:49]
	v_fma_f64 v[50:51], s[40:41], v[48:49], v[10:11]
	v_fmac_f64_e32 v[50:51], s[42:43], v[48:49]
	v_fma_f64 v[52:53], s[44:45], v[50:51], v[36:37]
	v_fma_f64 v[52:53], v[50:51], v[52:53], s[46:47]
	;; [unrolled: 1-line block ×6, first 2 shown]
	v_cvt_i32_f64_e32 v44, v[44:45]
	s_mov_b32 s62, 0
	v_fma_f64 v[52:53], v[50:51], v[52:53], s[56:57]
	v_ldexp_f64 v[44:45], v[46:47], v44
	s_mov_b32 s63, 0x40900000
	s_mov_b32 s64, 0
	v_fma_f64 v[52:53], v[50:51], v[52:53], s[58:59]
	v_add_f64 v[46:47], v[44:45], 0
	v_mov_b32_e32 v44, 0x7ff00000
	v_cmp_nlt_f64_e64 s[30:31], s[62:63], v[2:3]
	s_mov_b32 s65, 0xc090cc00
	v_fma_f64 v[52:53], v[50:51], v[52:53], s[60:61]
	v_cndmask_b32_e64 v45, v44, v47, s[30:31]
	v_cmp_ngt_f64_e64 s[34:35], s[64:65], v[2:3]
	v_fma_f64 v[52:53], v[50:51], v[52:53], 1.0
	v_cndmask_b32_e64 v47, 0, v45, s[34:35]
	s_and_b64 s[30:31], s[34:35], s[30:31]
	v_fma_f64 v[50:51], v[50:51], v[52:53], 1.0
	v_cvt_i32_f64_e32 v45, v[48:49]
	v_cndmask_b32_e64 v46, 0, v46, s[30:31]
	v_ldexp_f64 v[48:49], v[50:51], v45
	v_cmp_nlt_f64_e64 s[30:31], s[62:63], v[10:11]
	v_cmp_ngt_f64_e64 s[34:35], s[64:65], v[10:11]
	v_cndmask_b32_e64 v45, v44, v49, s[30:31]
	s_and_b64 s[30:31], s[34:35], s[30:31]
	v_cndmask_b32_e64 v49, 0, v45, s[34:35]
	v_cndmask_b32_e64 v48, 0, v48, s[30:31]
	v_add_f64 v[12:13], v[12:13], -v[34:35]
	v_add_f64 v[46:47], v[46:47], v[48:49]
	v_mul_f64 v[48:49], v[12:13], s[38:39]
	v_rndne_f64_e32 v[48:49], v[48:49]
	v_fma_f64 v[50:51], s[40:41], v[48:49], v[12:13]
	v_fmac_f64_e32 v[50:51], s[42:43], v[48:49]
	v_fma_f64 v[52:53], s[44:45], v[50:51], v[36:37]
	v_fma_f64 v[52:53], v[50:51], v[52:53], s[46:47]
	v_fma_f64 v[52:53], v[50:51], v[52:53], s[48:49]
	v_fma_f64 v[52:53], v[50:51], v[52:53], s[50:51]
	v_fma_f64 v[52:53], v[50:51], v[52:53], s[52:53]
	v_fma_f64 v[52:53], v[50:51], v[52:53], s[54:55]
	v_fma_f64 v[52:53], v[50:51], v[52:53], s[56:57]
	v_fma_f64 v[52:53], v[50:51], v[52:53], s[58:59]
	v_fma_f64 v[52:53], v[50:51], v[52:53], s[60:61]
	v_fma_f64 v[52:53], v[50:51], v[52:53], 1.0
	v_fma_f64 v[50:51], v[50:51], v[52:53], 1.0
	v_cvt_i32_f64_e32 v45, v[48:49]
	v_ldexp_f64 v[48:49], v[50:51], v45
	v_cmp_nlt_f64_e64 s[30:31], s[62:63], v[12:13]
	v_cmp_ngt_f64_e64 s[34:35], s[64:65], v[12:13]
	v_cndmask_b32_e64 v45, v44, v49, s[30:31]
	s_and_b64 s[30:31], s[34:35], s[30:31]
	v_cndmask_b32_e64 v49, 0, v45, s[34:35]
	v_cndmask_b32_e64 v48, 0, v48, s[30:31]
	v_add_f64 v[18:19], v[18:19], -v[34:35]
	v_add_f64 v[46:47], v[46:47], v[48:49]
	v_mul_f64 v[48:49], v[18:19], s[38:39]
	v_rndne_f64_e32 v[48:49], v[48:49]
	v_fma_f64 v[50:51], s[40:41], v[48:49], v[18:19]
	v_fmac_f64_e32 v[50:51], s[42:43], v[48:49]
	v_fma_f64 v[52:53], s[44:45], v[50:51], v[36:37]
	v_fma_f64 v[52:53], v[50:51], v[52:53], s[46:47]
	v_fma_f64 v[52:53], v[50:51], v[52:53], s[48:49]
	v_fma_f64 v[52:53], v[50:51], v[52:53], s[50:51]
	v_fma_f64 v[52:53], v[50:51], v[52:53], s[52:53]
	v_fma_f64 v[52:53], v[50:51], v[52:53], s[54:55]
	v_fma_f64 v[52:53], v[50:51], v[52:53], s[56:57]
	v_fma_f64 v[52:53], v[50:51], v[52:53], s[58:59]
	v_fma_f64 v[52:53], v[50:51], v[52:53], s[60:61]
	v_fma_f64 v[52:53], v[50:51], v[52:53], 1.0
	v_fma_f64 v[50:51], v[50:51], v[52:53], 1.0
	v_cvt_i32_f64_e32 v45, v[48:49]
	;; [unrolled: 25-line block ×13, first 2 shown]
	v_ldexp_f64 v[48:49], v[50:51], v45
	v_cmp_nlt_f64_e64 s[30:31], s[62:63], v[8:9]
	v_cmp_ngt_f64_e64 s[34:35], s[64:65], v[8:9]
	v_add_f64 v[4:5], v[4:5], -v[34:35]
	v_cndmask_b32_e64 v45, v44, v49, s[30:31]
	s_and_b64 s[30:31], s[34:35], s[30:31]
	v_mul_f64 v[34:35], v[4:5], s[38:39]
	v_cndmask_b32_e64 v49, 0, v45, s[34:35]
	v_cndmask_b32_e64 v48, 0, v48, s[30:31]
	v_rndne_f64_e32 v[34:35], v[34:35]
	v_add_f64 v[46:47], v[46:47], v[48:49]
	v_fma_f64 v[48:49], s[40:41], v[34:35], v[4:5]
	v_fmac_f64_e32 v[48:49], s[42:43], v[34:35]
	v_fmac_f64_e32 v[36:37], s[44:45], v[48:49]
	v_fma_f64 v[36:37], v[48:49], v[36:37], s[46:47]
	v_fma_f64 v[36:37], v[48:49], v[36:37], s[48:49]
	;; [unrolled: 1-line block ×8, first 2 shown]
	v_fma_f64 v[36:37], v[48:49], v[36:37], 1.0
	v_fma_f64 v[36:37], v[48:49], v[36:37], 1.0
	v_cvt_i32_f64_e32 v34, v[34:35]
	v_ldexp_f64 v[34:35], v[36:37], v34
	v_cmp_nlt_f64_e64 s[30:31], s[62:63], v[4:5]
	v_cmp_ngt_f64_e64 s[34:35], s[64:65], v[4:5]
	v_cndmask_b32_e64 v35, v44, v35, s[30:31]
	s_and_b64 s[30:31], s[34:35], s[30:31]
	v_cndmask_b32_e64 v35, 0, v35, s[34:35]
	v_cndmask_b32_e64 v34, 0, v34, s[30:31]
	v_add_f64 v[34:35], v[46:47], v[34:35]
	ds_bpermute_b32 v36, v39, v34
	ds_bpermute_b32 v37, v39, v35
	v_cmp_lt_i32_e64 s[30:31], 0, v38
	s_waitcnt lgkmcnt(0)
	v_add_f64 v[34:35], v[34:35], v[36:37]
	ds_bpermute_b32 v36, v40, v34
	ds_bpermute_b32 v37, v40, v35
	s_waitcnt lgkmcnt(0)
	v_add_f64 v[34:35], v[34:35], v[36:37]
	ds_bpermute_b32 v36, v41, v34
	ds_bpermute_b32 v37, v41, v35
	;; [unrolled: 4-line block ×4, first 2 shown]
	s_and_saveexec_b64 s[34:35], s[30:31]
	s_cbranch_execz .LBB19_50
; %bb.33:
	s_and_b64 exec, exec, s[28:29]
	s_cbranch_execz .LBB19_50
; %bb.34:
	s_waitcnt lgkmcnt(0)
	v_add_f64 v[34:35], v[34:35], v[36:37]
	s_mov_b32 s28, 0x55555555
	v_frexp_mant_f64_e32 v[36:37], v[34:35]
	s_mov_b32 s29, 0x3fe55555
	v_mov_b32_e32 v38, 0x3ff00000
	v_cmp_gt_f64_e64 s[28:29], s[28:29], v[36:37]
	v_cndmask_b32_e64 v39, v38, 2.0, s[28:29]
	v_mov_b32_e32 v38, 0
	v_mul_f64 v[36:37], v[36:37], v[38:39]
	v_frexp_exp_i32_f64_e32 v40, v[34:35]
	v_add_f64 v[38:39], v[36:37], 1.0
	v_subbrev_co_u32_e64 v50, s[28:29], 0, v40, s[28:29]
	v_rcp_f64_e32 v[40:41], v[38:39]
	v_add_f64 v[44:45], v[38:39], -1.0
	v_add_f64 v[42:43], v[36:37], -1.0
	v_add_f64 v[36:37], v[36:37], -v[44:45]
	v_fma_f64 v[44:45], -v[38:39], v[40:41], 1.0
	v_fmac_f64_e32 v[40:41], v[44:45], v[40:41]
	v_fma_f64 v[44:45], -v[38:39], v[40:41], 1.0
	v_fmac_f64_e32 v[40:41], v[44:45], v[40:41]
	v_mul_f64 v[44:45], v[42:43], v[40:41]
	v_mul_f64 v[46:47], v[38:39], v[44:45]
	v_fma_f64 v[38:39], v[44:45], v[38:39], -v[46:47]
	v_fmac_f64_e32 v[38:39], v[44:45], v[36:37]
	v_add_f64 v[36:37], v[46:47], v[38:39]
	v_add_f64 v[48:49], v[42:43], -v[36:37]
	v_add_f64 v[46:47], v[36:37], -v[46:47]
	;; [unrolled: 1-line block ×5, first 2 shown]
	v_add_f64 v[36:37], v[38:39], v[36:37]
	v_add_f64 v[36:37], v[48:49], v[36:37]
	v_mul_f64 v[36:37], v[40:41], v[36:37]
	v_add_f64 v[38:39], v[44:45], v[36:37]
	v_add_f64 v[40:41], v[38:39], -v[44:45]
	s_mov_b32 s28, 0xbf559e2b
	v_add_f64 v[36:37], v[36:37], -v[40:41]
	v_mul_f64 v[40:41], v[38:39], v[38:39]
	v_mov_b32_e32 v42, 0x6b47b09a
	v_mov_b32_e32 v43, 0x3fc38538
	s_mov_b32 s29, 0x3fc3ab76
	v_fmac_f64_e32 v[42:43], s[28:29], v[40:41]
	v_mov_b32_e32 v44, 0xd7f4df2e
	v_mov_b32_e32 v45, 0x3fc7474d
	v_fmac_f64_e32 v[44:45], v[40:41], v[42:43]
	v_mov_b32_e32 v42, 0x16291751
	v_mov_b32_e32 v43, 0x3fcc71c0
	;; [unrolled: 3-line block ×5, first 2 shown]
	v_fmac_f64_e32 v[44:45], v[40:41], v[42:43]
	v_ldexp_f64 v[42:43], v[38:39], 1
	v_mul_f64 v[38:39], v[38:39], v[40:41]
	v_mul_f64 v[38:39], v[38:39], v[44:45]
	v_add_f64 v[40:41], v[42:43], v[38:39]
	v_add_f64 v[42:43], v[40:41], -v[42:43]
	v_ldexp_f64 v[36:37], v[36:37], 1
	v_add_f64 v[38:39], v[38:39], -v[42:43]
	v_add_f64 v[36:37], v[36:37], v[38:39]
	v_add_f64 v[38:39], v[40:41], v[36:37]
	v_add_f64 v[40:41], v[38:39], -v[40:41]
	s_mov_b32 s28, 0xfefa39ef
	v_add_f64 v[36:37], v[36:37], -v[40:41]
	v_cvt_f64_i32_e32 v[40:41], v50
	s_mov_b32 s29, 0x3fe62e42
	v_mul_f64 v[42:43], v[40:41], s[28:29]
	v_fma_f64 v[44:45], v[40:41], s[28:29], -v[42:43]
	s_mov_b32 s28, 0x3b39803f
	s_mov_b32 s29, 0x3c7abc9e
	v_fmac_f64_e32 v[44:45], s[28:29], v[40:41]
	v_add_f64 v[40:41], v[42:43], v[44:45]
	v_add_f64 v[42:43], v[40:41], -v[42:43]
	v_add_f64 v[42:43], v[44:45], -v[42:43]
	v_add_f64 v[44:45], v[40:41], v[38:39]
	v_add_f64 v[46:47], v[44:45], -v[40:41]
	v_add_f64 v[48:49], v[44:45], -v[46:47]
	;; [unrolled: 1-line block ×4, first 2 shown]
	v_add_f64 v[38:39], v[38:39], v[40:41]
	v_add_f64 v[40:41], v[42:43], v[36:37]
	v_add_f64 v[46:47], v[40:41], -v[42:43]
	v_add_f64 v[48:49], v[40:41], -v[46:47]
	v_add_f64 v[38:39], v[40:41], v[38:39]
	v_add_f64 v[42:43], v[42:43], -v[48:49]
	v_add_f64 v[36:37], v[36:37], -v[46:47]
	v_add_f64 v[40:41], v[44:45], v[38:39]
	v_add_f64 v[36:37], v[36:37], v[42:43]
	v_add_f64 v[42:43], v[40:41], -v[44:45]
	v_add_f64 v[38:39], v[38:39], -v[42:43]
	v_add_f64 v[36:37], v[36:37], v[38:39]
	s_movk_i32 s28, 0x204
	v_add_f64 v[36:37], v[40:41], v[36:37]
	v_cmp_class_f64_e64 s[28:29], v[34:35], s28
	v_cndmask_b32_e64 v36, v36, v34, s[28:29]
	v_cndmask_b32_e64 v37, v37, v35, s[28:29]
	v_mov_b32_e32 v38, 0x7ff80000
	v_cmp_ngt_f64_e64 s[28:29], 0, v[34:35]
	v_cndmask_b32_e64 v37, v38, v37, s[28:29]
	v_cmp_nge_f64_e64 s[28:29], 0, v[34:35]
	v_cndmask_b32_e64 v36, 0, v36, s[28:29]
	v_mov_b32_e32 v38, 0xfff00000
	v_cmp_neq_f64_e64 s[28:29], 0, v[34:35]
	v_cndmask_b32_e64 v37, v38, v37, s[28:29]
	v_mov_b32_e32 v34, s37
	v_add_co_u32_e64 v0, s[28:29], s36, v0
	v_addc_co_u32_e64 v1, s[28:29], v34, v1, s[28:29]
	v_add_f64 v[2:3], v[2:3], -v[36:37]
	global_store_dwordx2 v[0:1], v[2:3], off
	s_and_b64 exec, exec, vcc
	s_cbranch_execz .LBB19_50
; %bb.35:
	v_add_f64 v[2:3], v[10:11], -v[36:37]
	global_store_dwordx2 v[0:1], v[2:3], off offset:256
	s_and_b64 exec, exec, s[0:1]
	s_cbranch_execz .LBB19_50
; %bb.36:
	v_add_f64 v[2:3], v[12:13], -v[36:37]
	global_store_dwordx2 v[0:1], v[2:3], off offset:512
	s_and_b64 exec, exec, s[2:3]
	;; [unrolled: 5-line block ×14, first 2 shown]
	s_cbranch_execz .LBB19_50
; %bb.49:
	v_add_f64 v[2:3], v[4:5], -v[36:37]
	global_store_dwordx2 v[0:1], v[2:3], off offset:3840
.LBB19_50:
	s_endpgm
	.section	.rodata,"a",@progbits
	.p2align	6, 0x0
	.amdhsa_kernel _ZN12_GLOBAL__N_120softmax_warp_forwardIdddLi9ELb1ELb0ELi32EEEvPT0_PKT_iiiPKbib
		.amdhsa_group_segment_fixed_size 0
		.amdhsa_private_segment_fixed_size 0
		.amdhsa_kernarg_size 304
		.amdhsa_user_sgpr_count 6
		.amdhsa_user_sgpr_private_segment_buffer 1
		.amdhsa_user_sgpr_dispatch_ptr 0
		.amdhsa_user_sgpr_queue_ptr 0
		.amdhsa_user_sgpr_kernarg_segment_ptr 1
		.amdhsa_user_sgpr_dispatch_id 0
		.amdhsa_user_sgpr_flat_scratch_init 0
		.amdhsa_user_sgpr_kernarg_preload_length 0
		.amdhsa_user_sgpr_kernarg_preload_offset 0
		.amdhsa_user_sgpr_private_segment_size 0
		.amdhsa_uses_dynamic_stack 0
		.amdhsa_system_sgpr_private_segment_wavefront_offset 0
		.amdhsa_system_sgpr_workgroup_id_x 1
		.amdhsa_system_sgpr_workgroup_id_y 0
		.amdhsa_system_sgpr_workgroup_id_z 0
		.amdhsa_system_sgpr_workgroup_info 0
		.amdhsa_system_vgpr_workitem_id 1
		.amdhsa_next_free_vgpr 54
		.amdhsa_next_free_sgpr 66
		.amdhsa_accum_offset 56
		.amdhsa_reserve_vcc 1
		.amdhsa_reserve_flat_scratch 0
		.amdhsa_float_round_mode_32 0
		.amdhsa_float_round_mode_16_64 0
		.amdhsa_float_denorm_mode_32 3
		.amdhsa_float_denorm_mode_16_64 3
		.amdhsa_dx10_clamp 1
		.amdhsa_ieee_mode 1
		.amdhsa_fp16_overflow 0
		.amdhsa_tg_split 0
		.amdhsa_exception_fp_ieee_invalid_op 0
		.amdhsa_exception_fp_denorm_src 0
		.amdhsa_exception_fp_ieee_div_zero 0
		.amdhsa_exception_fp_ieee_overflow 0
		.amdhsa_exception_fp_ieee_underflow 0
		.amdhsa_exception_fp_ieee_inexact 0
		.amdhsa_exception_int_div_zero 0
	.end_amdhsa_kernel
	.section	.text._ZN12_GLOBAL__N_120softmax_warp_forwardIdddLi9ELb1ELb0ELi32EEEvPT0_PKT_iiiPKbib,"axG",@progbits,_ZN12_GLOBAL__N_120softmax_warp_forwardIdddLi9ELb1ELb0ELi32EEEvPT0_PKT_iiiPKbib,comdat
.Lfunc_end19:
	.size	_ZN12_GLOBAL__N_120softmax_warp_forwardIdddLi9ELb1ELb0ELi32EEEvPT0_PKT_iiiPKbib, .Lfunc_end19-_ZN12_GLOBAL__N_120softmax_warp_forwardIdddLi9ELb1ELb0ELi32EEEvPT0_PKT_iiiPKbib
                                        ; -- End function
	.section	.AMDGPU.csdata,"",@progbits
; Kernel info:
; codeLenInByte = 6152
; NumSgprs: 70
; NumVgprs: 54
; NumAgprs: 0
; TotalNumVgprs: 54
; ScratchSize: 0
; MemoryBound: 0
; FloatMode: 240
; IeeeMode: 1
; LDSByteSize: 0 bytes/workgroup (compile time only)
; SGPRBlocks: 8
; VGPRBlocks: 6
; NumSGPRsForWavesPerEU: 70
; NumVGPRsForWavesPerEU: 54
; AccumOffset: 56
; Occupancy: 8
; WaveLimiterHint : 0
; COMPUTE_PGM_RSRC2:SCRATCH_EN: 0
; COMPUTE_PGM_RSRC2:USER_SGPR: 6
; COMPUTE_PGM_RSRC2:TRAP_HANDLER: 0
; COMPUTE_PGM_RSRC2:TGID_X_EN: 1
; COMPUTE_PGM_RSRC2:TGID_Y_EN: 0
; COMPUTE_PGM_RSRC2:TGID_Z_EN: 0
; COMPUTE_PGM_RSRC2:TIDIG_COMP_CNT: 1
; COMPUTE_PGM_RSRC3_GFX90A:ACCUM_OFFSET: 13
; COMPUTE_PGM_RSRC3_GFX90A:TG_SPLIT: 0
	.section	.text._ZN12_GLOBAL__N_120softmax_warp_forwardIdddLi10ELb1ELb0ELi64EEEvPT0_PKT_iiiPKbib,"axG",@progbits,_ZN12_GLOBAL__N_120softmax_warp_forwardIdddLi10ELb1ELb0ELi64EEEvPT0_PKT_iiiPKbib,comdat
	.globl	_ZN12_GLOBAL__N_120softmax_warp_forwardIdddLi10ELb1ELb0ELi64EEEvPT0_PKT_iiiPKbib ; -- Begin function _ZN12_GLOBAL__N_120softmax_warp_forwardIdddLi10ELb1ELb0ELi64EEEvPT0_PKT_iiiPKbib
	.p2align	8
	.type	_ZN12_GLOBAL__N_120softmax_warp_forwardIdddLi10ELb1ELb0ELi64EEEvPT0_PKT_iiiPKbib,@function
_ZN12_GLOBAL__N_120softmax_warp_forwardIdddLi10ELb1ELb0ELi64EEEvPT0_PKT_iiiPKbib: ; @_ZN12_GLOBAL__N_120softmax_warp_forwardIdddLi10ELb1ELb0ELi64EEEvPT0_PKT_iiiPKbib
; %bb.0:
	s_load_dword s0, s[4:5], 0x3c
	s_load_dwordx8 s[36:43], s[4:5], 0x0
	v_bfe_u32 v1, v0, 10, 10
	v_and_b32_e32 v36, 0x3ff, v0
	v_mov_b32_e32 v14, 0
	s_waitcnt lgkmcnt(0)
	s_lshr_b32 s0, s0, 16
	s_mul_i32 s6, s6, s0
	v_add_u32_e32 v1, s6, v1
	v_sub_u32_e32 v38, s40, v1
	v_mad_u64_u32 v[0:1], s[0:1], v1, s41, v[36:37]
	v_ashrrev_i32_e32 v1, 31, v0
	v_lshlrev_b64 v[0:1], 3, v[0:1]
	v_mov_b32_e32 v2, s39
	v_add_co_u32_e32 v34, vcc, s38, v0
	v_cmp_lt_i32_e64 s[34:35], 0, v38
	v_cmp_gt_i32_e64 s[30:31], s42, v36
	v_mov_b32_e32 v15, 0xfff00000
	v_addc_co_u32_e32 v35, vcc, v2, v1, vcc
	s_and_b64 s[2:3], s[34:35], s[30:31]
	v_pk_mov_b32 v[2:3], v[14:15], v[14:15] op_sel:[0,1]
	s_and_saveexec_b64 s[0:1], s[2:3]
	s_cbranch_execz .LBB20_2
; %bb.1:
	global_load_dwordx2 v[2:3], v[34:35], off
.LBB20_2:
	s_or_b64 exec, exec, s[0:1]
	v_add_u32_e32 v4, 64, v36
	v_cmp_gt_i32_e64 s[0:1], s42, v4
	s_and_b64 s[4:5], s[34:35], s[0:1]
	s_and_saveexec_b64 s[2:3], s[4:5]
	s_cbranch_execz .LBB20_4
; %bb.3:
	global_load_dwordx2 v[14:15], v[34:35], off offset:512
.LBB20_4:
	s_or_b64 exec, exec, s[2:3]
	v_add_u32_e32 v4, 0x80, v36
	v_mov_b32_e32 v26, 0
	v_cmp_gt_i32_e64 s[2:3], s42, v4
	v_mov_b32_e32 v27, 0xfff00000
	s_and_b64 s[6:7], s[34:35], s[2:3]
	v_pk_mov_b32 v[20:21], v[26:27], v[26:27] op_sel:[0,1]
	s_and_saveexec_b64 s[4:5], s[6:7]
	s_cbranch_execz .LBB20_6
; %bb.5:
	global_load_dwordx2 v[20:21], v[34:35], off offset:1024
.LBB20_6:
	s_or_b64 exec, exec, s[4:5]
	v_add_u32_e32 v4, 0xc0, v36
	v_cmp_gt_i32_e64 s[4:5], s42, v4
	s_and_b64 s[8:9], s[34:35], s[4:5]
	s_and_saveexec_b64 s[6:7], s[8:9]
	s_cbranch_execz .LBB20_8
; %bb.7:
	global_load_dwordx2 v[26:27], v[34:35], off offset:1536
.LBB20_8:
	s_or_b64 exec, exec, s[6:7]
	v_add_u32_e32 v4, 0x100, v36
	v_mov_b32_e32 v28, 0
	v_cmp_gt_i32_e64 s[6:7], s42, v4
	v_mov_b32_e32 v29, 0xfff00000
	s_and_b64 s[10:11], s[34:35], s[6:7]
	v_pk_mov_b32 v[32:33], v[28:29], v[28:29] op_sel:[0,1]
	s_and_saveexec_b64 s[8:9], s[10:11]
	s_cbranch_execz .LBB20_10
; %bb.9:
	global_load_dwordx2 v[32:33], v[34:35], off offset:2048
.LBB20_10:
	s_or_b64 exec, exec, s[8:9]
	v_add_u32_e32 v4, 0x140, v36
	v_cmp_gt_i32_e64 s[8:9], s42, v4
	s_and_b64 s[12:13], s[34:35], s[8:9]
	s_and_saveexec_b64 s[10:11], s[12:13]
	s_cbranch_execz .LBB20_12
; %bb.11:
	global_load_dwordx2 v[28:29], v[34:35], off offset:2560
.LBB20_12:
	s_or_b64 exec, exec, s[10:11]
	v_add_u32_e32 v4, 0x180, v36
	v_mov_b32_e32 v22, 0
	v_cmp_gt_i32_e64 s[10:11], s42, v4
	v_mov_b32_e32 v23, 0xfff00000
	s_and_b64 s[14:15], s[34:35], s[10:11]
	v_pk_mov_b32 v[30:31], v[22:23], v[22:23] op_sel:[0,1]
	s_and_saveexec_b64 s[12:13], s[14:15]
	s_cbranch_execz .LBB20_14
; %bb.13:
	global_load_dwordx2 v[30:31], v[34:35], off offset:3072
.LBB20_14:
	s_or_b64 exec, exec, s[12:13]
	v_add_u32_e32 v4, 0x1c0, v36
	v_cmp_gt_i32_e64 s[12:13], s42, v4
	s_and_b64 s[16:17], s[34:35], s[12:13]
	s_and_saveexec_b64 s[14:15], s[16:17]
	s_cbranch_execz .LBB20_16
; %bb.15:
	global_load_dwordx2 v[22:23], v[34:35], off offset:3584
.LBB20_16:
	s_or_b64 exec, exec, s[14:15]
	v_add_u32_e32 v4, 0x200, v36
	v_mov_b32_e32 v16, 0
	v_cmp_gt_i32_e64 s[14:15], s42, v4
	v_mov_b32_e32 v17, 0xfff00000
	s_and_b64 s[18:19], s[34:35], s[14:15]
	v_pk_mov_b32 v[24:25], v[16:17], v[16:17] op_sel:[0,1]
	s_and_saveexec_b64 s[16:17], s[18:19]
	s_cbranch_execz .LBB20_18
; %bb.17:
	v_add_co_u32_e32 v4, vcc, 0x1000, v34
	v_addc_co_u32_e32 v5, vcc, 0, v35, vcc
	global_load_dwordx2 v[24:25], v[4:5], off
.LBB20_18:
	s_or_b64 exec, exec, s[16:17]
	v_add_u32_e32 v4, 0x240, v36
	v_cmp_gt_i32_e64 s[16:17], s42, v4
	s_and_b64 s[20:21], s[34:35], s[16:17]
	s_and_saveexec_b64 s[18:19], s[20:21]
	s_cbranch_execz .LBB20_20
; %bb.19:
	v_add_co_u32_e32 v4, vcc, 0x1000, v34
	v_addc_co_u32_e32 v5, vcc, 0, v35, vcc
	global_load_dwordx2 v[16:17], v[4:5], off offset:512
.LBB20_20:
	s_or_b64 exec, exec, s[18:19]
	v_add_u32_e32 v4, 0x280, v36
	v_mov_b32_e32 v10, 0
	v_cmp_gt_i32_e64 s[18:19], s42, v4
	v_mov_b32_e32 v11, 0xfff00000
	s_and_b64 s[22:23], s[34:35], s[18:19]
	v_pk_mov_b32 v[18:19], v[10:11], v[10:11] op_sel:[0,1]
	s_and_saveexec_b64 s[20:21], s[22:23]
	s_cbranch_execz .LBB20_22
; %bb.21:
	v_add_co_u32_e32 v4, vcc, 0x1000, v34
	v_addc_co_u32_e32 v5, vcc, 0, v35, vcc
	global_load_dwordx2 v[18:19], v[4:5], off offset:1024
.LBB20_22:
	s_or_b64 exec, exec, s[20:21]
	v_add_u32_e32 v4, 0x2c0, v36
	v_cmp_gt_i32_e64 s[20:21], s42, v4
	s_and_b64 s[24:25], s[34:35], s[20:21]
	s_and_saveexec_b64 s[22:23], s[24:25]
	s_cbranch_execz .LBB20_24
; %bb.23:
	v_add_co_u32_e32 v4, vcc, 0x1000, v34
	v_addc_co_u32_e32 v5, vcc, 0, v35, vcc
	global_load_dwordx2 v[10:11], v[4:5], off offset:1536
.LBB20_24:
	s_or_b64 exec, exec, s[22:23]
	v_add_u32_e32 v4, 0x300, v36
	v_mov_b32_e32 v6, 0
	v_cmp_gt_i32_e64 s[22:23], s42, v4
	v_mov_b32_e32 v7, 0xfff00000
	s_and_b64 s[26:27], s[34:35], s[22:23]
	v_pk_mov_b32 v[12:13], v[6:7], v[6:7] op_sel:[0,1]
	s_and_saveexec_b64 s[24:25], s[26:27]
	s_cbranch_execz .LBB20_26
; %bb.25:
	v_add_co_u32_e32 v4, vcc, 0x1000, v34
	v_addc_co_u32_e32 v5, vcc, 0, v35, vcc
	global_load_dwordx2 v[12:13], v[4:5], off offset:2048
.LBB20_26:
	s_or_b64 exec, exec, s[24:25]
	v_add_u32_e32 v4, 0x340, v36
	v_cmp_gt_i32_e64 s[24:25], s42, v4
	s_and_b64 s[28:29], s[34:35], s[24:25]
	s_and_saveexec_b64 s[26:27], s[28:29]
	s_cbranch_execz .LBB20_28
; %bb.27:
	v_add_co_u32_e32 v4, vcc, 0x1000, v34
	v_addc_co_u32_e32 v5, vcc, 0, v35, vcc
	global_load_dwordx2 v[6:7], v[4:5], off offset:2560
.LBB20_28:
	s_or_b64 exec, exec, s[26:27]
	v_add_u32_e32 v4, 0x380, v36
	v_cmp_gt_i32_e64 s[26:27], s42, v4
	v_mov_b32_e32 v4, 0
	v_mov_b32_e32 v5, 0xfff00000
	s_and_b64 s[38:39], s[34:35], s[26:27]
	v_pk_mov_b32 v[8:9], v[4:5], v[4:5] op_sel:[0,1]
	s_and_saveexec_b64 s[28:29], s[38:39]
	s_cbranch_execz .LBB20_30
; %bb.29:
	v_add_co_u32_e32 v8, vcc, 0x1000, v34
	v_addc_co_u32_e32 v9, vcc, 0, v35, vcc
	global_load_dwordx2 v[8:9], v[8:9], off offset:3072
.LBB20_30:
	s_or_b64 exec, exec, s[28:29]
	v_add_u32_e32 v36, 0x3c0, v36
	v_cmp_gt_i32_e64 s[28:29], s42, v36
	s_and_b64 s[38:39], s[34:35], s[28:29]
	s_and_saveexec_b64 s[34:35], s[38:39]
	s_cbranch_execz .LBB20_32
; %bb.31:
	v_add_co_u32_e32 v4, vcc, 0x1000, v34
	v_addc_co_u32_e32 v5, vcc, 0, v35, vcc
	global_load_dwordx2 v[4:5], v[4:5], off offset:3584
.LBB20_32:
	s_or_b64 exec, exec, s[34:35]
	s_waitcnt vmcnt(0)
	v_cmp_gt_f64_e32 vcc, v[2:3], v[14:15]
	v_cndmask_b32_e32 v35, v15, v3, vcc
	v_cndmask_b32_e32 v34, v14, v2, vcc
	v_cmp_gt_f64_e32 vcc, v[34:35], v[20:21]
	v_cndmask_b32_e32 v35, v21, v35, vcc
	v_cndmask_b32_e32 v34, v20, v34, vcc
	;; [unrolled: 3-line block ×13, first 2 shown]
	v_mbcnt_lo_u32_b32 v36, -1, 0
	v_cmp_gt_f64_e32 vcc, v[34:35], v[8:9]
	v_mbcnt_hi_u32_b32 v44, -1, v36
	v_cndmask_b32_e32 v35, v9, v35, vcc
	v_cndmask_b32_e32 v34, v8, v34, vcc
	v_and_b32_e32 v36, 64, v44
	v_cmp_gt_f64_e32 vcc, v[34:35], v[4:5]
	v_add_u32_e32 v45, 64, v36
	v_xor_b32_e32 v36, 32, v44
	v_cndmask_b32_e32 v35, v5, v35, vcc
	v_cndmask_b32_e32 v34, v4, v34, vcc
	v_cmp_lt_i32_e32 vcc, v36, v45
	v_cndmask_b32_e32 v36, v44, v36, vcc
	v_lshlrev_b32_e32 v39, 2, v36
	ds_bpermute_b32 v36, v39, v34
	ds_bpermute_b32 v37, v39, v35
	s_mov_b32 s38, 0x652b82fe
	s_mov_b32 s39, 0x3ff71547
	s_mov_b32 s40, 0xfefa39ef
	s_mov_b32 s41, 0xbfe62e42
	s_waitcnt lgkmcnt(0)
	v_cmp_lt_f64_e32 vcc, v[34:35], v[36:37]
	v_cndmask_b32_e32 v34, v34, v36, vcc
	v_xor_b32_e32 v36, 16, v44
	v_cndmask_b32_e32 v35, v35, v37, vcc
	v_cmp_lt_i32_e32 vcc, v36, v45
	v_cndmask_b32_e32 v36, v44, v36, vcc
	v_lshlrev_b32_e32 v40, 2, v36
	ds_bpermute_b32 v36, v40, v34
	ds_bpermute_b32 v37, v40, v35
	s_mov_b32 s42, 0x3b39803f
	s_mov_b32 s34, 0xfca7ab0c
	s_mov_b32 s43, 0xbc7abc9e
	s_mov_b32 s35, 0x3e928af3
	s_waitcnt lgkmcnt(0)
	v_cmp_lt_f64_e32 vcc, v[34:35], v[36:37]
	v_cndmask_b32_e32 v34, v34, v36, vcc
	v_xor_b32_e32 v36, 8, v44
	;; [unrolled: 14-line block ×5, first 2 shown]
	v_cndmask_b32_e32 v35, v35, v37, vcc
	v_cmp_lt_i32_e32 vcc, v36, v45
	v_cndmask_b32_e32 v36, v44, v36, vcc
	v_lshlrev_b32_e32 v44, 2, v36
	ds_bpermute_b32 v36, v44, v34
	ds_bpermute_b32 v37, v44, v35
	s_mov_b32 s56, 0x555502a1
	s_mov_b32 s57, 0x3fa55555
	;; [unrolled: 1-line block ×4, first 2 shown]
	s_waitcnt lgkmcnt(0)
	v_cmp_lt_f64_e32 vcc, v[34:35], v[36:37]
	v_cndmask_b32_e32 v35, v35, v37, vcc
	v_cndmask_b32_e32 v34, v34, v36, vcc
	v_add_f64 v[2:3], v[2:3], -v[34:35]
	v_mul_f64 v[36:37], v[2:3], s[38:39]
	v_rndne_f64_e32 v[46:47], v[36:37]
	v_fma_f64 v[48:49], s[40:41], v[46:47], v[2:3]
	v_fmac_f64_e32 v[48:49], s[42:43], v[46:47]
	v_pk_mov_b32 v[36:37], s[34:35], s[34:35] op_sel:[0,1]
	v_fma_f64 v[50:51], s[44:45], v[48:49], v[36:37]
	v_fma_f64 v[50:51], v[48:49], v[50:51], s[46:47]
	;; [unrolled: 1-line block ×7, first 2 shown]
	s_mov_b32 s60, 11
	v_fma_f64 v[50:51], v[48:49], v[50:51], s[58:59]
	s_mov_b32 s61, 0x3fe00000
	v_fma_f64 v[50:51], v[48:49], v[50:51], s[60:61]
	v_fma_f64 v[50:51], v[48:49], v[50:51], 1.0
	v_fma_f64 v[48:49], v[48:49], v[50:51], 1.0
	v_cvt_i32_f64_e32 v45, v[46:47]
	v_add_f64 v[14:15], v[14:15], -v[34:35]
	v_ldexp_f64 v[46:47], v[48:49], v45
	v_mul_f64 v[48:49], v[14:15], s[38:39]
	v_rndne_f64_e32 v[48:49], v[48:49]
	v_fma_f64 v[50:51], s[40:41], v[48:49], v[14:15]
	v_fmac_f64_e32 v[50:51], s[42:43], v[48:49]
	v_fma_f64 v[52:53], s[44:45], v[50:51], v[36:37]
	v_fma_f64 v[52:53], v[50:51], v[52:53], s[46:47]
	;; [unrolled: 1-line block ×7, first 2 shown]
	s_mov_b32 s62, 0
	s_mov_b32 s64, 0
	v_fma_f64 v[52:53], v[50:51], v[52:53], s[58:59]
	s_mov_b32 s63, 0x40900000
	s_mov_b32 s65, 0xc090cc00
	v_fma_f64 v[52:53], v[50:51], v[52:53], s[60:61]
	v_add_f64 v[46:47], v[46:47], 0
	v_mov_b32_e32 v45, 0x7ff00000
	v_cmp_nlt_f64_e32 vcc, s[62:63], v[2:3]
	v_cmp_ngt_f64_e64 s[34:35], s[64:65], v[2:3]
	v_fma_f64 v[52:53], v[50:51], v[52:53], 1.0
	v_cndmask_b32_e32 v47, v45, v47, vcc
	s_and_b64 vcc, s[34:35], vcc
	v_fma_f64 v[50:51], v[50:51], v[52:53], 1.0
	v_cvt_i32_f64_e32 v48, v[48:49]
	v_cndmask_b32_e64 v47, 0, v47, s[34:35]
	v_cndmask_b32_e32 v46, 0, v46, vcc
	v_ldexp_f64 v[48:49], v[50:51], v48
	v_cmp_nlt_f64_e32 vcc, s[62:63], v[14:15]
	v_cmp_ngt_f64_e64 s[34:35], s[64:65], v[14:15]
	v_cndmask_b32_e32 v49, v45, v49, vcc
	s_and_b64 vcc, s[34:35], vcc
	v_cndmask_b32_e64 v49, 0, v49, s[34:35]
	v_cndmask_b32_e32 v48, 0, v48, vcc
	v_add_f64 v[20:21], v[20:21], -v[34:35]
	v_add_f64 v[46:47], v[46:47], v[48:49]
	v_mul_f64 v[48:49], v[20:21], s[38:39]
	v_rndne_f64_e32 v[48:49], v[48:49]
	v_fma_f64 v[50:51], s[40:41], v[48:49], v[20:21]
	v_fmac_f64_e32 v[50:51], s[42:43], v[48:49]
	v_fma_f64 v[52:53], s[44:45], v[50:51], v[36:37]
	v_fma_f64 v[52:53], v[50:51], v[52:53], s[46:47]
	v_fma_f64 v[52:53], v[50:51], v[52:53], s[48:49]
	v_fma_f64 v[52:53], v[50:51], v[52:53], s[50:51]
	v_fma_f64 v[52:53], v[50:51], v[52:53], s[52:53]
	v_fma_f64 v[52:53], v[50:51], v[52:53], s[54:55]
	v_fma_f64 v[52:53], v[50:51], v[52:53], s[56:57]
	v_fma_f64 v[52:53], v[50:51], v[52:53], s[58:59]
	v_fma_f64 v[52:53], v[50:51], v[52:53], s[60:61]
	v_fma_f64 v[52:53], v[50:51], v[52:53], 1.0
	v_fma_f64 v[50:51], v[50:51], v[52:53], 1.0
	v_cvt_i32_f64_e32 v48, v[48:49]
	v_ldexp_f64 v[48:49], v[50:51], v48
	v_cmp_nlt_f64_e32 vcc, s[62:63], v[20:21]
	v_cmp_ngt_f64_e64 s[34:35], s[64:65], v[20:21]
	v_cndmask_b32_e32 v49, v45, v49, vcc
	s_and_b64 vcc, s[34:35], vcc
	v_cndmask_b32_e64 v49, 0, v49, s[34:35]
	v_cndmask_b32_e32 v48, 0, v48, vcc
	v_add_f64 v[26:27], v[26:27], -v[34:35]
	v_add_f64 v[46:47], v[46:47], v[48:49]
	v_mul_f64 v[48:49], v[26:27], s[38:39]
	v_rndne_f64_e32 v[48:49], v[48:49]
	v_fma_f64 v[50:51], s[40:41], v[48:49], v[26:27]
	v_fmac_f64_e32 v[50:51], s[42:43], v[48:49]
	v_fma_f64 v[52:53], s[44:45], v[50:51], v[36:37]
	v_fma_f64 v[52:53], v[50:51], v[52:53], s[46:47]
	v_fma_f64 v[52:53], v[50:51], v[52:53], s[48:49]
	v_fma_f64 v[52:53], v[50:51], v[52:53], s[50:51]
	v_fma_f64 v[52:53], v[50:51], v[52:53], s[52:53]
	v_fma_f64 v[52:53], v[50:51], v[52:53], s[54:55]
	v_fma_f64 v[52:53], v[50:51], v[52:53], s[56:57]
	v_fma_f64 v[52:53], v[50:51], v[52:53], s[58:59]
	v_fma_f64 v[52:53], v[50:51], v[52:53], s[60:61]
	v_fma_f64 v[52:53], v[50:51], v[52:53], 1.0
	v_fma_f64 v[50:51], v[50:51], v[52:53], 1.0
	v_cvt_i32_f64_e32 v48, v[48:49]
	;; [unrolled: 25-line block ×13, first 2 shown]
	v_ldexp_f64 v[48:49], v[50:51], v48
	v_cmp_nlt_f64_e32 vcc, s[62:63], v[8:9]
	v_cmp_ngt_f64_e64 s[34:35], s[64:65], v[8:9]
	v_add_f64 v[4:5], v[4:5], -v[34:35]
	v_cndmask_b32_e32 v49, v45, v49, vcc
	s_and_b64 vcc, s[34:35], vcc
	v_mul_f64 v[34:35], v[4:5], s[38:39]
	v_cndmask_b32_e64 v49, 0, v49, s[34:35]
	v_cndmask_b32_e32 v48, 0, v48, vcc
	v_rndne_f64_e32 v[34:35], v[34:35]
	v_add_f64 v[46:47], v[46:47], v[48:49]
	v_fma_f64 v[48:49], s[40:41], v[34:35], v[4:5]
	v_fmac_f64_e32 v[48:49], s[42:43], v[34:35]
	v_fmac_f64_e32 v[36:37], s[44:45], v[48:49]
	v_fma_f64 v[36:37], v[48:49], v[36:37], s[46:47]
	v_fma_f64 v[36:37], v[48:49], v[36:37], s[48:49]
	;; [unrolled: 1-line block ×8, first 2 shown]
	v_fma_f64 v[36:37], v[48:49], v[36:37], 1.0
	v_fma_f64 v[36:37], v[48:49], v[36:37], 1.0
	v_cvt_i32_f64_e32 v34, v[34:35]
	v_ldexp_f64 v[34:35], v[36:37], v34
	v_cmp_nlt_f64_e32 vcc, s[62:63], v[4:5]
	v_cmp_ngt_f64_e64 s[34:35], s[64:65], v[4:5]
	v_cndmask_b32_e32 v35, v45, v35, vcc
	s_and_b64 vcc, s[34:35], vcc
	v_cndmask_b32_e64 v35, 0, v35, s[34:35]
	v_cndmask_b32_e32 v34, 0, v34, vcc
	v_add_f64 v[34:35], v[46:47], v[34:35]
	ds_bpermute_b32 v36, v39, v34
	ds_bpermute_b32 v37, v39, v35
	v_cmp_lt_i32_e32 vcc, 0, v38
	s_waitcnt lgkmcnt(0)
	v_add_f64 v[34:35], v[34:35], v[36:37]
	ds_bpermute_b32 v36, v40, v34
	ds_bpermute_b32 v37, v40, v35
	s_waitcnt lgkmcnt(0)
	v_add_f64 v[34:35], v[34:35], v[36:37]
	ds_bpermute_b32 v36, v41, v34
	ds_bpermute_b32 v37, v41, v35
	;; [unrolled: 4-line block ×5, first 2 shown]
	s_and_saveexec_b64 s[34:35], vcc
	s_cbranch_execz .LBB20_50
; %bb.33:
	s_and_b64 exec, exec, s[30:31]
	s_cbranch_execz .LBB20_50
; %bb.34:
	s_waitcnt lgkmcnt(0)
	v_add_f64 v[36:37], v[34:35], v[36:37]
	s_mov_b32 s30, 0x55555555
	v_frexp_mant_f64_e32 v[34:35], v[36:37]
	s_mov_b32 s31, 0x3fe55555
	v_mov_b32_e32 v38, 0x3ff00000
	v_cmp_gt_f64_e32 vcc, s[30:31], v[34:35]
	v_cndmask_b32_e64 v39, v38, 2.0, vcc
	v_mov_b32_e32 v38, 0
	v_mul_f64 v[34:35], v[34:35], v[38:39]
	v_frexp_exp_i32_f64_e32 v40, v[36:37]
	v_add_f64 v[38:39], v[34:35], 1.0
	v_subbrev_co_u32_e32 v50, vcc, 0, v40, vcc
	v_rcp_f64_e32 v[40:41], v[38:39]
	v_add_f64 v[44:45], v[38:39], -1.0
	v_add_f64 v[42:43], v[34:35], -1.0
	v_add_f64 v[34:35], v[34:35], -v[44:45]
	v_fma_f64 v[44:45], -v[38:39], v[40:41], 1.0
	v_fmac_f64_e32 v[40:41], v[44:45], v[40:41]
	v_fma_f64 v[44:45], -v[38:39], v[40:41], 1.0
	v_fmac_f64_e32 v[40:41], v[44:45], v[40:41]
	v_mul_f64 v[44:45], v[42:43], v[40:41]
	v_mul_f64 v[46:47], v[38:39], v[44:45]
	v_fma_f64 v[38:39], v[44:45], v[38:39], -v[46:47]
	v_fmac_f64_e32 v[38:39], v[44:45], v[34:35]
	v_add_f64 v[34:35], v[46:47], v[38:39]
	v_add_f64 v[48:49], v[42:43], -v[34:35]
	v_add_f64 v[46:47], v[34:35], -v[46:47]
	;; [unrolled: 1-line block ×5, first 2 shown]
	v_add_f64 v[34:35], v[38:39], v[34:35]
	v_add_f64 v[34:35], v[48:49], v[34:35]
	v_mul_f64 v[34:35], v[40:41], v[34:35]
	v_add_f64 v[38:39], v[44:45], v[34:35]
	v_add_f64 v[40:41], v[38:39], -v[44:45]
	s_mov_b32 s30, 0xbf559e2b
	v_add_f64 v[34:35], v[34:35], -v[40:41]
	v_mul_f64 v[40:41], v[38:39], v[38:39]
	v_mov_b32_e32 v42, 0x6b47b09a
	v_mov_b32_e32 v43, 0x3fc38538
	s_mov_b32 s31, 0x3fc3ab76
	v_fmac_f64_e32 v[42:43], s[30:31], v[40:41]
	v_mov_b32_e32 v44, 0xd7f4df2e
	v_mov_b32_e32 v45, 0x3fc7474d
	v_fmac_f64_e32 v[44:45], v[40:41], v[42:43]
	v_mov_b32_e32 v42, 0x16291751
	v_mov_b32_e32 v43, 0x3fcc71c0
	;; [unrolled: 3-line block ×5, first 2 shown]
	v_fmac_f64_e32 v[44:45], v[40:41], v[42:43]
	v_ldexp_f64 v[42:43], v[38:39], 1
	v_mul_f64 v[38:39], v[38:39], v[40:41]
	v_mul_f64 v[38:39], v[38:39], v[44:45]
	v_add_f64 v[40:41], v[42:43], v[38:39]
	v_add_f64 v[42:43], v[40:41], -v[42:43]
	v_ldexp_f64 v[34:35], v[34:35], 1
	v_add_f64 v[38:39], v[38:39], -v[42:43]
	v_add_f64 v[34:35], v[34:35], v[38:39]
	v_add_f64 v[38:39], v[40:41], v[34:35]
	v_add_f64 v[40:41], v[38:39], -v[40:41]
	s_mov_b32 s30, 0xfefa39ef
	v_add_f64 v[34:35], v[34:35], -v[40:41]
	v_cvt_f64_i32_e32 v[40:41], v50
	s_mov_b32 s31, 0x3fe62e42
	v_mul_f64 v[42:43], v[40:41], s[30:31]
	v_fma_f64 v[44:45], v[40:41], s[30:31], -v[42:43]
	s_mov_b32 s30, 0x3b39803f
	s_mov_b32 s31, 0x3c7abc9e
	v_fmac_f64_e32 v[44:45], s[30:31], v[40:41]
	v_add_f64 v[40:41], v[42:43], v[44:45]
	v_add_f64 v[42:43], v[40:41], -v[42:43]
	v_add_f64 v[42:43], v[44:45], -v[42:43]
	v_add_f64 v[44:45], v[40:41], v[38:39]
	v_add_f64 v[46:47], v[44:45], -v[40:41]
	v_add_f64 v[48:49], v[44:45], -v[46:47]
	;; [unrolled: 1-line block ×4, first 2 shown]
	v_add_f64 v[38:39], v[38:39], v[40:41]
	v_add_f64 v[40:41], v[42:43], v[34:35]
	v_add_f64 v[46:47], v[40:41], -v[42:43]
	v_add_f64 v[48:49], v[40:41], -v[46:47]
	v_add_f64 v[38:39], v[40:41], v[38:39]
	v_add_f64 v[42:43], v[42:43], -v[48:49]
	v_add_f64 v[34:35], v[34:35], -v[46:47]
	v_add_f64 v[40:41], v[44:45], v[38:39]
	v_add_f64 v[34:35], v[34:35], v[42:43]
	v_add_f64 v[42:43], v[40:41], -v[44:45]
	v_add_f64 v[38:39], v[38:39], -v[42:43]
	v_add_f64 v[34:35], v[34:35], v[38:39]
	s_movk_i32 s30, 0x204
	v_add_f64 v[34:35], v[40:41], v[34:35]
	v_cmp_class_f64_e64 vcc, v[36:37], s30
	v_cndmask_b32_e32 v34, v34, v36, vcc
	v_cndmask_b32_e32 v35, v35, v37, vcc
	v_mov_b32_e32 v38, 0x7ff80000
	v_cmp_ngt_f64_e32 vcc, 0, v[36:37]
	v_cndmask_b32_e32 v35, v38, v35, vcc
	v_cmp_nge_f64_e32 vcc, 0, v[36:37]
	v_cndmask_b32_e32 v34, 0, v34, vcc
	v_mov_b32_e32 v38, 0xfff00000
	v_cmp_neq_f64_e32 vcc, 0, v[36:37]
	v_cndmask_b32_e32 v35, v38, v35, vcc
	v_mov_b32_e32 v36, s37
	v_add_co_u32_e32 v0, vcc, s36, v0
	v_addc_co_u32_e32 v1, vcc, v36, v1, vcc
	v_add_f64 v[2:3], v[2:3], -v[34:35]
	global_store_dwordx2 v[0:1], v[2:3], off
	s_and_b64 exec, exec, s[0:1]
	s_cbranch_execz .LBB20_50
; %bb.35:
	v_add_f64 v[2:3], v[14:15], -v[34:35]
	global_store_dwordx2 v[0:1], v[2:3], off offset:512
	s_and_b64 exec, exec, s[2:3]
	s_cbranch_execz .LBB20_50
; %bb.36:
	v_add_f64 v[2:3], v[20:21], -v[34:35]
	global_store_dwordx2 v[0:1], v[2:3], off offset:1024
	;; [unrolled: 5-line block ×7, first 2 shown]
	s_and_b64 exec, exec, s[14:15]
	s_cbranch_execz .LBB20_50
; %bb.42:
	v_add_co_u32_e32 v14, vcc, 0x1000, v0
	v_add_f64 v[2:3], v[24:25], -v[34:35]
	v_addc_co_u32_e32 v15, vcc, 0, v1, vcc
	global_store_dwordx2 v[14:15], v[2:3], off
	s_and_b64 exec, exec, s[16:17]
	s_cbranch_execz .LBB20_50
; %bb.43:
	v_add_co_u32_e32 v14, vcc, 0x1000, v0
	v_add_f64 v[2:3], v[16:17], -v[34:35]
	v_addc_co_u32_e32 v15, vcc, 0, v1, vcc
	global_store_dwordx2 v[14:15], v[2:3], off offset:512
	s_and_b64 exec, exec, s[18:19]
	s_cbranch_execz .LBB20_50
; %bb.44:
	v_add_co_u32_e32 v14, vcc, 0x1000, v0
	v_add_f64 v[2:3], v[18:19], -v[34:35]
	v_addc_co_u32_e32 v15, vcc, 0, v1, vcc
	global_store_dwordx2 v[14:15], v[2:3], off offset:1024
	s_and_b64 exec, exec, s[20:21]
	s_cbranch_execz .LBB20_50
; %bb.45:
	v_add_f64 v[2:3], v[10:11], -v[34:35]
	v_add_co_u32_e32 v10, vcc, 0x1000, v0
	v_addc_co_u32_e32 v11, vcc, 0, v1, vcc
	global_store_dwordx2 v[10:11], v[2:3], off offset:1536
	s_and_b64 exec, exec, s[22:23]
	s_cbranch_execz .LBB20_50
; %bb.46:
	v_add_co_u32_e32 v10, vcc, 0x1000, v0
	v_add_f64 v[2:3], v[12:13], -v[34:35]
	v_addc_co_u32_e32 v11, vcc, 0, v1, vcc
	global_store_dwordx2 v[10:11], v[2:3], off offset:2048
	s_and_b64 exec, exec, s[24:25]
	s_cbranch_execz .LBB20_50
; %bb.47:
	v_add_f64 v[2:3], v[6:7], -v[34:35]
	v_add_co_u32_e32 v6, vcc, 0x1000, v0
	v_addc_co_u32_e32 v7, vcc, 0, v1, vcc
	global_store_dwordx2 v[6:7], v[2:3], off offset:2560
	s_and_b64 exec, exec, s[26:27]
	s_cbranch_execz .LBB20_50
; %bb.48:
	v_add_co_u32_e32 v6, vcc, 0x1000, v0
	v_add_f64 v[2:3], v[8:9], -v[34:35]
	v_addc_co_u32_e32 v7, vcc, 0, v1, vcc
	global_store_dwordx2 v[6:7], v[2:3], off offset:3072
	s_and_b64 exec, exec, s[28:29]
	s_cbranch_execz .LBB20_50
; %bb.49:
	v_add_co_u32_e32 v0, vcc, 0x1000, v0
	v_add_f64 v[2:3], v[4:5], -v[34:35]
	v_addc_co_u32_e32 v1, vcc, 0, v1, vcc
	global_store_dwordx2 v[0:1], v[2:3], off offset:3584
.LBB20_50:
	s_endpgm
	.section	.rodata,"a",@progbits
	.p2align	6, 0x0
	.amdhsa_kernel _ZN12_GLOBAL__N_120softmax_warp_forwardIdddLi10ELb1ELb0ELi64EEEvPT0_PKT_iiiPKbib
		.amdhsa_group_segment_fixed_size 0
		.amdhsa_private_segment_fixed_size 0
		.amdhsa_kernarg_size 304
		.amdhsa_user_sgpr_count 6
		.amdhsa_user_sgpr_private_segment_buffer 1
		.amdhsa_user_sgpr_dispatch_ptr 0
		.amdhsa_user_sgpr_queue_ptr 0
		.amdhsa_user_sgpr_kernarg_segment_ptr 1
		.amdhsa_user_sgpr_dispatch_id 0
		.amdhsa_user_sgpr_flat_scratch_init 0
		.amdhsa_user_sgpr_kernarg_preload_length 0
		.amdhsa_user_sgpr_kernarg_preload_offset 0
		.amdhsa_user_sgpr_private_segment_size 0
		.amdhsa_uses_dynamic_stack 0
		.amdhsa_system_sgpr_private_segment_wavefront_offset 0
		.amdhsa_system_sgpr_workgroup_id_x 1
		.amdhsa_system_sgpr_workgroup_id_y 0
		.amdhsa_system_sgpr_workgroup_id_z 0
		.amdhsa_system_sgpr_workgroup_info 0
		.amdhsa_system_vgpr_workitem_id 1
		.amdhsa_next_free_vgpr 54
		.amdhsa_next_free_sgpr 66
		.amdhsa_accum_offset 56
		.amdhsa_reserve_vcc 1
		.amdhsa_reserve_flat_scratch 0
		.amdhsa_float_round_mode_32 0
		.amdhsa_float_round_mode_16_64 0
		.amdhsa_float_denorm_mode_32 3
		.amdhsa_float_denorm_mode_16_64 3
		.amdhsa_dx10_clamp 1
		.amdhsa_ieee_mode 1
		.amdhsa_fp16_overflow 0
		.amdhsa_tg_split 0
		.amdhsa_exception_fp_ieee_invalid_op 0
		.amdhsa_exception_fp_denorm_src 0
		.amdhsa_exception_fp_ieee_div_zero 0
		.amdhsa_exception_fp_ieee_overflow 0
		.amdhsa_exception_fp_ieee_underflow 0
		.amdhsa_exception_fp_ieee_inexact 0
		.amdhsa_exception_int_div_zero 0
	.end_amdhsa_kernel
	.section	.text._ZN12_GLOBAL__N_120softmax_warp_forwardIdddLi10ELb1ELb0ELi64EEEvPT0_PKT_iiiPKbib,"axG",@progbits,_ZN12_GLOBAL__N_120softmax_warp_forwardIdddLi10ELb1ELb0ELi64EEEvPT0_PKT_iiiPKbib,comdat
.Lfunc_end20:
	.size	_ZN12_GLOBAL__N_120softmax_warp_forwardIdddLi10ELb1ELb0ELi64EEEvPT0_PKT_iiiPKbib, .Lfunc_end20-_ZN12_GLOBAL__N_120softmax_warp_forwardIdddLi10ELb1ELb0ELi64EEEvPT0_PKT_iiiPKbib
                                        ; -- End function
	.section	.AMDGPU.csdata,"",@progbits
; Kernel info:
; codeLenInByte = 5900
; NumSgprs: 70
; NumVgprs: 54
; NumAgprs: 0
; TotalNumVgprs: 54
; ScratchSize: 0
; MemoryBound: 0
; FloatMode: 240
; IeeeMode: 1
; LDSByteSize: 0 bytes/workgroup (compile time only)
; SGPRBlocks: 8
; VGPRBlocks: 6
; NumSGPRsForWavesPerEU: 70
; NumVGPRsForWavesPerEU: 54
; AccumOffset: 56
; Occupancy: 8
; WaveLimiterHint : 0
; COMPUTE_PGM_RSRC2:SCRATCH_EN: 0
; COMPUTE_PGM_RSRC2:USER_SGPR: 6
; COMPUTE_PGM_RSRC2:TRAP_HANDLER: 0
; COMPUTE_PGM_RSRC2:TGID_X_EN: 1
; COMPUTE_PGM_RSRC2:TGID_Y_EN: 0
; COMPUTE_PGM_RSRC2:TGID_Z_EN: 0
; COMPUTE_PGM_RSRC2:TIDIG_COMP_CNT: 1
; COMPUTE_PGM_RSRC3_GFX90A:ACCUM_OFFSET: 13
; COMPUTE_PGM_RSRC3_GFX90A:TG_SPLIT: 0
	.section	.text._ZN12_GLOBAL__N_120softmax_warp_forwardIdddLi10ELb1ELb0ELi32EEEvPT0_PKT_iiiPKbib,"axG",@progbits,_ZN12_GLOBAL__N_120softmax_warp_forwardIdddLi10ELb1ELb0ELi32EEEvPT0_PKT_iiiPKbib,comdat
	.globl	_ZN12_GLOBAL__N_120softmax_warp_forwardIdddLi10ELb1ELb0ELi32EEEvPT0_PKT_iiiPKbib ; -- Begin function _ZN12_GLOBAL__N_120softmax_warp_forwardIdddLi10ELb1ELb0ELi32EEEvPT0_PKT_iiiPKbib
	.p2align	8
	.type	_ZN12_GLOBAL__N_120softmax_warp_forwardIdddLi10ELb1ELb0ELi32EEEvPT0_PKT_iiiPKbib,@function
_ZN12_GLOBAL__N_120softmax_warp_forwardIdddLi10ELb1ELb0ELi32EEEvPT0_PKT_iiiPKbib: ; @_ZN12_GLOBAL__N_120softmax_warp_forwardIdddLi10ELb1ELb0ELi32EEEvPT0_PKT_iiiPKbib
; %bb.0:
	s_load_dword s0, s[4:5], 0x3c
	s_load_dwordx8 s[68:75], s[4:5], 0x0
	v_bfe_u32 v1, v0, 10, 10
	v_and_b32_e32 v56, 0x3ff, v0
	v_mov_b32_e32 v22, 0
	s_waitcnt lgkmcnt(0)
	s_lshr_b32 s0, s0, 16
	s_mul_i32 s6, s6, s0
	v_add_u32_e32 v1, s6, v1
	v_sub_u32_e32 v70, s72, v1
	v_mad_u64_u32 v[0:1], s[0:1], v1, s73, v[56:57]
	v_ashrrev_i32_e32 v1, 31, v0
	v_lshlrev_b64 v[0:1], 3, v[0:1]
	v_mov_b32_e32 v2, s71
	v_add_co_u32_e32 v48, vcc, s70, v0
	v_cmp_lt_i32_e64 s[66:67], 0, v70
	v_cmp_gt_i32_e64 s[44:45], s74, v56
	v_mov_b32_e32 v23, 0xfff00000
	v_addc_co_u32_e32 v49, vcc, v2, v1, vcc
	s_and_b64 s[2:3], s[66:67], s[44:45]
	v_pk_mov_b32 v[4:5], v[22:23], v[22:23] op_sel:[0,1]
	s_and_saveexec_b64 s[0:1], s[2:3]
	s_cbranch_execz .LBB21_2
; %bb.1:
	global_load_dwordx2 v[4:5], v[48:49], off
.LBB21_2:
	s_or_b64 exec, exec, s[0:1]
	v_add_u32_e32 v2, 32, v56
	v_cmp_gt_i32_e64 s[0:1], s74, v2
	s_and_b64 s[4:5], s[66:67], s[0:1]
	s_and_saveexec_b64 s[2:3], s[4:5]
	s_cbranch_execz .LBB21_4
; %bb.3:
	global_load_dwordx2 v[22:23], v[48:49], off offset:256
.LBB21_4:
	s_or_b64 exec, exec, s[2:3]
	v_add_u32_e32 v2, 64, v56
	v_mov_b32_e32 v36, 0
	v_cmp_gt_i32_e64 s[2:3], s74, v2
	v_mov_b32_e32 v37, 0xfff00000
	s_and_b64 s[6:7], s[66:67], s[2:3]
	v_pk_mov_b32 v[30:31], v[36:37], v[36:37] op_sel:[0,1]
	s_and_saveexec_b64 s[4:5], s[6:7]
	s_cbranch_execz .LBB21_6
; %bb.5:
	global_load_dwordx2 v[30:31], v[48:49], off offset:512
.LBB21_6:
	s_or_b64 exec, exec, s[4:5]
	v_add_u32_e32 v2, 0x60, v56
	v_cmp_gt_i32_e64 s[4:5], s74, v2
	s_and_b64 s[8:9], s[66:67], s[4:5]
	s_and_saveexec_b64 s[6:7], s[8:9]
	s_cbranch_execz .LBB21_8
; %bb.7:
	global_load_dwordx2 v[36:37], v[48:49], off offset:768
.LBB21_8:
	s_or_b64 exec, exec, s[6:7]
	v_add_u32_e32 v2, 0x80, v56
	v_mov_b32_e32 v46, 0
	v_cmp_gt_i32_e64 s[6:7], s74, v2
	v_mov_b32_e32 v47, 0xfff00000
	s_and_b64 s[10:11], s[66:67], s[6:7]
	v_pk_mov_b32 v[40:41], v[46:47], v[46:47] op_sel:[0,1]
	s_and_saveexec_b64 s[8:9], s[10:11]
	s_cbranch_execz .LBB21_10
; %bb.9:
	global_load_dwordx2 v[40:41], v[48:49], off offset:1024
.LBB21_10:
	s_or_b64 exec, exec, s[8:9]
	v_add_u32_e32 v2, 0xa0, v56
	v_cmp_gt_i32_e64 s[8:9], s74, v2
	s_and_b64 s[12:13], s[66:67], s[8:9]
	s_and_saveexec_b64 s[10:11], s[12:13]
	s_cbranch_execz .LBB21_12
; %bb.11:
	global_load_dwordx2 v[46:47], v[48:49], off offset:1280
.LBB21_12:
	s_or_b64 exec, exec, s[10:11]
	v_add_u32_e32 v2, 0xc0, v56
	v_mov_b32_e32 v60, 0
	v_cmp_gt_i32_e64 s[10:11], s74, v2
                                        ; implicit-def: $vgpr86 : SGPR spill to VGPR lane
	v_mov_b32_e32 v61, 0xfff00000
	v_writelane_b32 v86, s10, 0
	s_and_b64 s[12:13], s[66:67], s[10:11]
	v_pk_mov_b32 v[54:55], v[60:61], v[60:61] op_sel:[0,1]
	v_writelane_b32 v86, s11, 1
	s_and_saveexec_b64 s[10:11], s[12:13]
	s_cbranch_execz .LBB21_14
; %bb.13:
	global_load_dwordx2 v[54:55], v[48:49], off offset:1536
.LBB21_14:
	s_or_b64 exec, exec, s[10:11]
	v_add_u32_e32 v2, 0xe0, v56
	v_cmp_gt_i32_e64 s[12:13], s74, v2
	s_and_b64 s[14:15], s[66:67], s[12:13]
	s_and_saveexec_b64 s[10:11], s[14:15]
	s_cbranch_execz .LBB21_16
; %bb.15:
	global_load_dwordx2 v[60:61], v[48:49], off offset:1792
.LBB21_16:
	s_or_b64 exec, exec, s[10:11]
	v_add_u32_e32 v2, 0x100, v56
	v_mov_b32_e32 v68, 0
	v_cmp_gt_i32_e64 s[14:15], s74, v2
	v_mov_b32_e32 v69, 0xfff00000
	s_and_b64 s[16:17], s[66:67], s[14:15]
	v_pk_mov_b32 v[64:65], v[68:69], v[68:69] op_sel:[0,1]
	s_and_saveexec_b64 s[10:11], s[16:17]
	s_cbranch_execz .LBB21_18
; %bb.17:
	global_load_dwordx2 v[64:65], v[48:49], off offset:2048
.LBB21_18:
	s_or_b64 exec, exec, s[10:11]
	v_add_u32_e32 v2, 0x120, v56
	v_cmp_gt_i32_e64 s[16:17], s74, v2
	s_and_b64 s[18:19], s[66:67], s[16:17]
	s_and_saveexec_b64 s[10:11], s[18:19]
	s_cbranch_execz .LBB21_20
; %bb.19:
	global_load_dwordx2 v[68:69], v[48:49], off offset:2304
.LBB21_20:
	s_or_b64 exec, exec, s[10:11]
	v_add_u32_e32 v2, 0x140, v56
	v_mov_b32_e32 v62, 0
	v_cmp_gt_i32_e64 s[18:19], s74, v2
	v_mov_b32_e32 v63, 0xfff00000
	s_and_b64 s[20:21], s[66:67], s[18:19]
	v_pk_mov_b32 v[66:67], v[62:63], v[62:63] op_sel:[0,1]
	;; [unrolled: 21-line block ×5, first 2 shown]
	s_and_saveexec_b64 s[10:11], s[34:35]
	s_cbranch_execz .LBB21_34
; %bb.33:
	v_add_co_u32_e32 v2, vcc, 0x1000, v48
	v_addc_co_u32_e32 v3, vcc, 0, v49, vcc
	global_load_dwordx2 v[44:45], v[2:3], off
.LBB21_34:
	s_or_b64 exec, exec, s[10:11]
	v_add_u32_e32 v2, 0x220, v56
	v_cmp_gt_i32_e64 s[34:35], s74, v2
	s_and_b64 s[36:37], s[66:67], s[34:35]
	s_and_saveexec_b64 s[10:11], s[36:37]
	s_cbranch_execz .LBB21_36
; %bb.35:
	v_add_co_u32_e32 v2, vcc, 0x1000, v48
	v_addc_co_u32_e32 v3, vcc, 0, v49, vcc
	global_load_dwordx2 v[34:35], v[2:3], off offset:256
.LBB21_36:
	s_or_b64 exec, exec, s[10:11]
	v_add_u32_e32 v2, 0x240, v56
	v_mov_b32_e32 v28, 0
	v_cmp_gt_i32_e64 s[36:37], s74, v2
	v_mov_b32_e32 v29, 0xfff00000
	s_and_b64 s[38:39], s[66:67], s[36:37]
	v_pk_mov_b32 v[38:39], v[28:29], v[28:29] op_sel:[0,1]
	s_and_saveexec_b64 s[10:11], s[38:39]
	s_cbranch_execz .LBB21_38
; %bb.37:
	v_add_co_u32_e32 v2, vcc, 0x1000, v48
	v_addc_co_u32_e32 v3, vcc, 0, v49, vcc
	global_load_dwordx2 v[38:39], v[2:3], off offset:512
.LBB21_38:
	s_or_b64 exec, exec, s[10:11]
	v_add_u32_e32 v2, 0x260, v56
	v_cmp_gt_i32_e64 s[38:39], s74, v2
	s_and_b64 s[40:41], s[66:67], s[38:39]
	s_and_saveexec_b64 s[10:11], s[40:41]
	s_cbranch_execz .LBB21_40
; %bb.39:
	v_add_co_u32_e32 v2, vcc, 0x1000, v48
	v_addc_co_u32_e32 v3, vcc, 0, v49, vcc
	global_load_dwordx2 v[28:29], v[2:3], off offset:768
.LBB21_40:
	s_or_b64 exec, exec, s[10:11]
	v_add_u32_e32 v2, 0x280, v56
	v_mov_b32_e32 v24, 0
	v_cmp_gt_i32_e64 s[40:41], s74, v2
	v_mov_b32_e32 v25, 0xfff00000
	s_and_b64 s[42:43], s[66:67], s[40:41]
	v_pk_mov_b32 v[32:33], v[24:25], v[24:25] op_sel:[0,1]
	s_and_saveexec_b64 s[10:11], s[42:43]
	s_cbranch_execz .LBB21_42
; %bb.41:
	v_add_co_u32_e32 v2, vcc, 0x1000, v48
	v_addc_co_u32_e32 v3, vcc, 0, v49, vcc
	global_load_dwordx2 v[32:33], v[2:3], off offset:1024
.LBB21_42:
	;; [unrolled: 25-line block ×6, first 2 shown]
	s_or_b64 exec, exec, s[10:11]
	v_add_u32_e32 v2, 0x3a0, v56
	v_cmp_gt_i32_e64 s[60:61], s74, v2
	s_and_b64 s[62:63], s[66:67], s[60:61]
	s_and_saveexec_b64 s[10:11], s[62:63]
	s_cbranch_execz .LBB21_60
; %bb.59:
	v_add_co_u32_e32 v2, vcc, 0x1000, v48
	v_addc_co_u32_e32 v3, vcc, 0, v49, vcc
	global_load_dwordx2 v[6:7], v[2:3], off offset:3328
.LBB21_60:
	s_or_b64 exec, exec, s[10:11]
	v_add_u32_e32 v2, 0x3c0, v56
	v_cmp_gt_i32_e64 s[62:63], s74, v2
	v_mov_b32_e32 v2, 0
	v_mov_b32_e32 v3, 0xfff00000
	s_and_b64 s[64:65], s[66:67], s[62:63]
	v_pk_mov_b32 v[8:9], v[2:3], v[2:3] op_sel:[0,1]
	s_and_saveexec_b64 s[10:11], s[64:65]
	s_cbranch_execz .LBB21_62
; %bb.61:
	v_add_co_u32_e32 v8, vcc, 0x1000, v48
	v_addc_co_u32_e32 v9, vcc, 0, v49, vcc
	global_load_dwordx2 v[8:9], v[8:9], off offset:3584
.LBB21_62:
	s_or_b64 exec, exec, s[10:11]
	v_add_u32_e32 v56, 0x3e0, v56
	v_cmp_gt_i32_e64 s[64:65], s74, v56
	s_and_b64 s[66:67], s[66:67], s[64:65]
	s_and_saveexec_b64 s[10:11], s[66:67]
	s_cbranch_execz .LBB21_64
; %bb.63:
	v_add_co_u32_e32 v2, vcc, 0x1000, v48
	v_addc_co_u32_e32 v3, vcc, 0, v49, vcc
	global_load_dwordx2 v[2:3], v[2:3], off offset:3840
.LBB21_64:
	s_or_b64 exec, exec, s[10:11]
	s_waitcnt vmcnt(0)
	v_cmp_gt_f64_e32 vcc, v[4:5], v[22:23]
	v_cndmask_b32_e32 v49, v23, v5, vcc
	v_cndmask_b32_e32 v48, v22, v4, vcc
	v_cmp_gt_f64_e32 vcc, v[48:49], v[30:31]
	v_cndmask_b32_e32 v49, v31, v49, vcc
	v_cndmask_b32_e32 v48, v30, v48, vcc
	;; [unrolled: 3-line block ×29, first 2 shown]
	v_mbcnt_lo_u32_b32 v56, -1, 0
	v_cmp_gt_f64_e32 vcc, v[48:49], v[8:9]
	v_mbcnt_hi_u32_b32 v75, -1, v56
	v_cndmask_b32_e32 v49, v9, v49, vcc
	v_cndmask_b32_e32 v48, v8, v48, vcc
	v_and_b32_e32 v56, 0x60, v75
	v_cmp_gt_f64_e32 vcc, v[48:49], v[2:3]
	v_add_u32_e32 v76, 32, v56
	v_xor_b32_e32 v56, 16, v75
	v_cndmask_b32_e32 v49, v3, v49, vcc
	v_cndmask_b32_e32 v48, v2, v48, vcc
	v_cmp_lt_i32_e32 vcc, v56, v76
	v_cndmask_b32_e32 v56, v75, v56, vcc
	v_lshlrev_b32_e32 v71, 2, v56
	ds_bpermute_b32 v56, v71, v48
	ds_bpermute_b32 v57, v71, v49
	s_mov_b32 s70, 0x652b82fe
	s_mov_b32 s71, 0x3ff71547
	s_mov_b32 s72, 0xfefa39ef
	s_mov_b32 s73, 0xbfe62e42
	s_waitcnt lgkmcnt(0)
	v_cmp_lt_f64_e32 vcc, v[48:49], v[56:57]
	v_cndmask_b32_e32 v48, v48, v56, vcc
	v_xor_b32_e32 v56, 8, v75
	v_cndmask_b32_e32 v49, v49, v57, vcc
	v_cmp_lt_i32_e32 vcc, v56, v76
	v_cndmask_b32_e32 v56, v75, v56, vcc
	v_lshlrev_b32_e32 v72, 2, v56
	ds_bpermute_b32 v56, v72, v48
	ds_bpermute_b32 v57, v72, v49
	s_mov_b32 s74, 0x3b39803f
	s_mov_b32 s10, 0xfca7ab0c
	s_mov_b32 s75, 0xbc7abc9e
	s_mov_b32 s11, 0x3e928af3
	s_waitcnt lgkmcnt(0)
	v_cmp_lt_f64_e32 vcc, v[48:49], v[56:57]
	v_cndmask_b32_e32 v48, v48, v56, vcc
	v_xor_b32_e32 v56, 4, v75
	;; [unrolled: 14-line block ×4, first 2 shown]
	v_cndmask_b32_e32 v49, v49, v57, vcc
	v_cmp_lt_i32_e32 vcc, v56, v76
	v_cndmask_b32_e32 v56, v75, v56, vcc
	v_lshlrev_b32_e32 v75, 2, v56
	ds_bpermute_b32 v56, v75, v48
	ds_bpermute_b32 v57, v75, v49
	s_mov_b32 s84, 0x1852b7b0
	s_mov_b32 s85, 0x3f56c16c
	;; [unrolled: 1-line block ×4, first 2 shown]
	s_waitcnt lgkmcnt(0)
	v_cmp_lt_f64_e32 vcc, v[48:49], v[56:57]
	v_cndmask_b32_e32 v49, v49, v57, vcc
	v_cndmask_b32_e32 v48, v48, v56, vcc
	v_add_f64 v[4:5], v[4:5], -v[48:49]
	v_mul_f64 v[56:57], v[4:5], s[70:71]
	v_rndne_f64_e32 v[76:77], v[56:57]
	v_fma_f64 v[78:79], s[72:73], v[76:77], v[4:5]
	v_fmac_f64_e32 v[78:79], s[74:75], v[76:77]
	v_pk_mov_b32 v[56:57], s[10:11], s[10:11] op_sel:[0,1]
	v_fma_f64 v[80:81], s[76:77], v[78:79], v[56:57]
	v_fma_f64 v[80:81], v[78:79], v[80:81], s[78:79]
	;; [unrolled: 1-line block ×5, first 2 shown]
	s_mov_b32 s88, 0x555502a1
	v_fma_f64 v[80:81], v[78:79], v[80:81], s[86:87]
	s_mov_b32 s89, 0x3fa55555
	s_mov_b32 s90, 0x55555511
	v_fma_f64 v[80:81], v[78:79], v[80:81], s[88:89]
	s_mov_b32 s91, 0x3fc55555
	;; [unrolled: 3-line block ×3, first 2 shown]
	v_fma_f64 v[80:81], v[78:79], v[80:81], s[92:93]
	v_fma_f64 v[80:81], v[78:79], v[80:81], 1.0
	v_add_f64 v[22:23], v[22:23], -v[48:49]
	v_fma_f64 v[78:79], v[78:79], v[80:81], 1.0
	v_mul_f64 v[80:81], v[22:23], s[70:71]
	v_rndne_f64_e32 v[80:81], v[80:81]
	v_fma_f64 v[82:83], s[72:73], v[80:81], v[22:23]
	v_fmac_f64_e32 v[82:83], s[74:75], v[80:81]
	v_fma_f64 v[84:85], s[76:77], v[82:83], v[56:57]
	v_fma_f64 v[84:85], v[82:83], v[84:85], s[78:79]
	;; [unrolled: 1-line block ×7, first 2 shown]
	v_cvt_i32_f64_e32 v76, v[76:77]
	s_mov_b32 s10, 0
	v_fma_f64 v[84:85], v[82:83], v[84:85], s[90:91]
	v_ldexp_f64 v[76:77], v[78:79], v76
	s_mov_b32 s11, 0x40900000
	s_mov_b32 s94, 0
	v_fma_f64 v[84:85], v[82:83], v[84:85], s[92:93]
	v_add_f64 v[78:79], v[76:77], 0
	s_mov_b32 s95, 0xc090cc00
	v_mov_b32_e32 v76, 0x7ff00000
	v_cmp_nlt_f64_e32 vcc, s[10:11], v[4:5]
	v_fma_f64 v[84:85], v[82:83], v[84:85], 1.0
	v_cndmask_b32_e32 v77, v76, v79, vcc
	v_cmp_ngt_f64_e64 s[66:67], s[94:95], v[4:5]
	v_fma_f64 v[82:83], v[82:83], v[84:85], 1.0
	v_cndmask_b32_e64 v79, 0, v77, s[66:67]
	s_and_b64 vcc, s[66:67], vcc
	v_cvt_i32_f64_e32 v77, v[80:81]
	v_cndmask_b32_e32 v78, 0, v78, vcc
	v_ldexp_f64 v[80:81], v[82:83], v77
	v_cmp_nlt_f64_e32 vcc, s[10:11], v[22:23]
	v_cmp_ngt_f64_e64 s[66:67], s[94:95], v[22:23]
	v_cndmask_b32_e32 v77, v76, v81, vcc
	s_and_b64 vcc, s[66:67], vcc
	v_cndmask_b32_e64 v81, 0, v77, s[66:67]
	v_cndmask_b32_e32 v80, 0, v80, vcc
	v_add_f64 v[30:31], v[30:31], -v[48:49]
	v_add_f64 v[78:79], v[78:79], v[80:81]
	v_mul_f64 v[80:81], v[30:31], s[70:71]
	v_rndne_f64_e32 v[80:81], v[80:81]
	v_fma_f64 v[82:83], s[72:73], v[80:81], v[30:31]
	v_fmac_f64_e32 v[82:83], s[74:75], v[80:81]
	v_fma_f64 v[84:85], s[76:77], v[82:83], v[56:57]
	v_fma_f64 v[84:85], v[82:83], v[84:85], s[78:79]
	v_fma_f64 v[84:85], v[82:83], v[84:85], s[80:81]
	v_fma_f64 v[84:85], v[82:83], v[84:85], s[82:83]
	v_fma_f64 v[84:85], v[82:83], v[84:85], s[84:85]
	v_fma_f64 v[84:85], v[82:83], v[84:85], s[86:87]
	v_fma_f64 v[84:85], v[82:83], v[84:85], s[88:89]
	v_fma_f64 v[84:85], v[82:83], v[84:85], s[90:91]
	v_fma_f64 v[84:85], v[82:83], v[84:85], s[92:93]
	v_fma_f64 v[84:85], v[82:83], v[84:85], 1.0
	v_fma_f64 v[82:83], v[82:83], v[84:85], 1.0
	v_cvt_i32_f64_e32 v77, v[80:81]
	v_ldexp_f64 v[80:81], v[82:83], v77
	v_cmp_nlt_f64_e32 vcc, s[10:11], v[30:31]
	v_cmp_ngt_f64_e64 s[66:67], s[94:95], v[30:31]
	v_cndmask_b32_e32 v77, v76, v81, vcc
	s_and_b64 vcc, s[66:67], vcc
	v_cndmask_b32_e64 v81, 0, v77, s[66:67]
	v_cndmask_b32_e32 v80, 0, v80, vcc
	v_add_f64 v[36:37], v[36:37], -v[48:49]
	v_add_f64 v[78:79], v[78:79], v[80:81]
	v_mul_f64 v[80:81], v[36:37], s[70:71]
	v_rndne_f64_e32 v[80:81], v[80:81]
	v_fma_f64 v[82:83], s[72:73], v[80:81], v[36:37]
	v_fmac_f64_e32 v[82:83], s[74:75], v[80:81]
	v_fma_f64 v[84:85], s[76:77], v[82:83], v[56:57]
	v_fma_f64 v[84:85], v[82:83], v[84:85], s[78:79]
	v_fma_f64 v[84:85], v[82:83], v[84:85], s[80:81]
	v_fma_f64 v[84:85], v[82:83], v[84:85], s[82:83]
	v_fma_f64 v[84:85], v[82:83], v[84:85], s[84:85]
	v_fma_f64 v[84:85], v[82:83], v[84:85], s[86:87]
	v_fma_f64 v[84:85], v[82:83], v[84:85], s[88:89]
	v_fma_f64 v[84:85], v[82:83], v[84:85], s[90:91]
	v_fma_f64 v[84:85], v[82:83], v[84:85], s[92:93]
	v_fma_f64 v[84:85], v[82:83], v[84:85], 1.0
	v_fma_f64 v[82:83], v[82:83], v[84:85], 1.0
	v_cvt_i32_f64_e32 v77, v[80:81]
	;; [unrolled: 25-line block ×29, first 2 shown]
	v_ldexp_f64 v[80:81], v[82:83], v77
	v_cmp_nlt_f64_e32 vcc, s[10:11], v[8:9]
	v_cmp_ngt_f64_e64 s[66:67], s[94:95], v[8:9]
	v_add_f64 v[2:3], v[2:3], -v[48:49]
	v_cndmask_b32_e32 v77, v76, v81, vcc
	s_and_b64 vcc, s[66:67], vcc
	v_mul_f64 v[48:49], v[2:3], s[70:71]
	v_cndmask_b32_e64 v81, 0, v77, s[66:67]
	v_cndmask_b32_e32 v80, 0, v80, vcc
	v_rndne_f64_e32 v[48:49], v[48:49]
	v_add_f64 v[78:79], v[78:79], v[80:81]
	v_fma_f64 v[80:81], s[72:73], v[48:49], v[2:3]
	v_fmac_f64_e32 v[80:81], s[74:75], v[48:49]
	v_fmac_f64_e32 v[56:57], s[76:77], v[80:81]
	v_fma_f64 v[56:57], v[80:81], v[56:57], s[78:79]
	v_fma_f64 v[56:57], v[80:81], v[56:57], s[80:81]
	;; [unrolled: 1-line block ×8, first 2 shown]
	v_fma_f64 v[56:57], v[80:81], v[56:57], 1.0
	v_fma_f64 v[56:57], v[80:81], v[56:57], 1.0
	v_cvt_i32_f64_e32 v48, v[48:49]
	v_ldexp_f64 v[48:49], v[56:57], v48
	v_cmp_nlt_f64_e32 vcc, s[10:11], v[2:3]
	v_cmp_ngt_f64_e64 s[66:67], s[94:95], v[2:3]
	v_cndmask_b32_e32 v49, v76, v49, vcc
	s_and_b64 vcc, s[66:67], vcc
	v_cndmask_b32_e64 v49, 0, v49, s[66:67]
	v_cndmask_b32_e32 v48, 0, v48, vcc
	v_add_f64 v[48:49], v[78:79], v[48:49]
	ds_bpermute_b32 v56, v71, v48
	ds_bpermute_b32 v57, v71, v49
	v_cmp_lt_i32_e32 vcc, 0, v70
	s_waitcnt lgkmcnt(0)
	v_add_f64 v[48:49], v[48:49], v[56:57]
	ds_bpermute_b32 v56, v72, v48
	ds_bpermute_b32 v57, v72, v49
	s_waitcnt lgkmcnt(0)
	v_add_f64 v[48:49], v[48:49], v[56:57]
	ds_bpermute_b32 v56, v73, v48
	ds_bpermute_b32 v57, v73, v49
	;; [unrolled: 4-line block ×4, first 2 shown]
	s_and_saveexec_b64 s[10:11], vcc
	s_cbranch_execz .LBB21_98
; %bb.65:
	s_and_b64 exec, exec, s[44:45]
	s_cbranch_execz .LBB21_98
; %bb.66:
	s_waitcnt lgkmcnt(0)
	v_add_f64 v[56:57], v[48:49], v[56:57]
	s_mov_b32 s10, 0x55555555
	v_frexp_mant_f64_e32 v[48:49], v[56:57]
	s_mov_b32 s11, 0x3fe55555
	v_mov_b32_e32 v70, 0x3ff00000
	v_cmp_gt_f64_e32 vcc, s[10:11], v[48:49]
	v_cndmask_b32_e64 v71, v70, 2.0, vcc
	v_mov_b32_e32 v70, 0
	v_mul_f64 v[48:49], v[48:49], v[70:71]
	v_frexp_exp_i32_f64_e32 v72, v[56:57]
	v_add_f64 v[70:71], v[48:49], 1.0
	v_subbrev_co_u32_e32 v82, vcc, 0, v72, vcc
	v_rcp_f64_e32 v[72:73], v[70:71]
	v_add_f64 v[76:77], v[70:71], -1.0
	v_add_f64 v[74:75], v[48:49], -1.0
	v_add_f64 v[48:49], v[48:49], -v[76:77]
	v_fma_f64 v[76:77], -v[70:71], v[72:73], 1.0
	v_fmac_f64_e32 v[72:73], v[76:77], v[72:73]
	v_fma_f64 v[76:77], -v[70:71], v[72:73], 1.0
	v_fmac_f64_e32 v[72:73], v[76:77], v[72:73]
	v_mul_f64 v[76:77], v[74:75], v[72:73]
	v_mul_f64 v[78:79], v[70:71], v[76:77]
	v_fma_f64 v[70:71], v[76:77], v[70:71], -v[78:79]
	v_fmac_f64_e32 v[70:71], v[76:77], v[48:49]
	v_add_f64 v[48:49], v[78:79], v[70:71]
	v_add_f64 v[80:81], v[74:75], -v[48:49]
	v_add_f64 v[78:79], v[48:49], -v[78:79]
	;; [unrolled: 1-line block ×5, first 2 shown]
	v_add_f64 v[48:49], v[70:71], v[48:49]
	v_add_f64 v[48:49], v[80:81], v[48:49]
	v_mul_f64 v[48:49], v[72:73], v[48:49]
	v_add_f64 v[70:71], v[76:77], v[48:49]
	v_add_f64 v[72:73], v[70:71], -v[76:77]
	s_mov_b32 s10, 0xbf559e2b
	v_add_f64 v[48:49], v[48:49], -v[72:73]
	v_mul_f64 v[72:73], v[70:71], v[70:71]
	v_mov_b32_e32 v74, 0x6b47b09a
	v_mov_b32_e32 v75, 0x3fc38538
	s_mov_b32 s11, 0x3fc3ab76
	v_fmac_f64_e32 v[74:75], s[10:11], v[72:73]
	v_mov_b32_e32 v76, 0xd7f4df2e
	v_mov_b32_e32 v77, 0x3fc7474d
	v_fmac_f64_e32 v[76:77], v[72:73], v[74:75]
	v_mov_b32_e32 v74, 0x16291751
	v_mov_b32_e32 v75, 0x3fcc71c0
	;; [unrolled: 3-line block ×5, first 2 shown]
	v_fmac_f64_e32 v[76:77], v[72:73], v[74:75]
	v_ldexp_f64 v[74:75], v[70:71], 1
	v_mul_f64 v[70:71], v[70:71], v[72:73]
	v_mul_f64 v[70:71], v[70:71], v[76:77]
	v_add_f64 v[72:73], v[74:75], v[70:71]
	v_add_f64 v[74:75], v[72:73], -v[74:75]
	v_ldexp_f64 v[48:49], v[48:49], 1
	v_add_f64 v[70:71], v[70:71], -v[74:75]
	v_add_f64 v[48:49], v[48:49], v[70:71]
	v_add_f64 v[70:71], v[72:73], v[48:49]
	v_add_f64 v[72:73], v[70:71], -v[72:73]
	s_mov_b32 s10, 0xfefa39ef
	v_add_f64 v[48:49], v[48:49], -v[72:73]
	v_cvt_f64_i32_e32 v[72:73], v82
	s_mov_b32 s11, 0x3fe62e42
	v_mul_f64 v[74:75], v[72:73], s[10:11]
	v_fma_f64 v[76:77], v[72:73], s[10:11], -v[74:75]
	s_mov_b32 s10, 0x3b39803f
	s_mov_b32 s11, 0x3c7abc9e
	v_fmac_f64_e32 v[76:77], s[10:11], v[72:73]
	v_add_f64 v[72:73], v[74:75], v[76:77]
	v_add_f64 v[74:75], v[72:73], -v[74:75]
	v_add_f64 v[74:75], v[76:77], -v[74:75]
	v_add_f64 v[76:77], v[72:73], v[70:71]
	v_add_f64 v[78:79], v[76:77], -v[72:73]
	v_add_f64 v[80:81], v[76:77], -v[78:79]
	;; [unrolled: 1-line block ×4, first 2 shown]
	v_add_f64 v[70:71], v[70:71], v[72:73]
	v_add_f64 v[72:73], v[74:75], v[48:49]
	v_add_f64 v[78:79], v[72:73], -v[74:75]
	v_add_f64 v[80:81], v[72:73], -v[78:79]
	v_add_f64 v[70:71], v[72:73], v[70:71]
	v_add_f64 v[74:75], v[74:75], -v[80:81]
	v_add_f64 v[48:49], v[48:49], -v[78:79]
	v_add_f64 v[72:73], v[76:77], v[70:71]
	v_add_f64 v[48:49], v[48:49], v[74:75]
	v_add_f64 v[74:75], v[72:73], -v[76:77]
	v_add_f64 v[70:71], v[70:71], -v[74:75]
	v_add_f64 v[48:49], v[48:49], v[70:71]
	s_movk_i32 s10, 0x204
	v_add_f64 v[48:49], v[72:73], v[48:49]
	v_cmp_class_f64_e64 vcc, v[56:57], s10
	v_cndmask_b32_e32 v48, v48, v56, vcc
	v_cndmask_b32_e32 v49, v49, v57, vcc
	v_mov_b32_e32 v70, 0x7ff80000
	v_cmp_ngt_f64_e32 vcc, 0, v[56:57]
	v_cndmask_b32_e32 v49, v70, v49, vcc
	v_cmp_nge_f64_e32 vcc, 0, v[56:57]
	v_cndmask_b32_e32 v48, 0, v48, vcc
	v_mov_b32_e32 v70, 0xfff00000
	v_cmp_neq_f64_e32 vcc, 0, v[56:57]
	v_cndmask_b32_e32 v49, v70, v49, vcc
	v_mov_b32_e32 v56, s69
	v_add_co_u32_e32 v0, vcc, s68, v0
	v_addc_co_u32_e32 v1, vcc, v56, v1, vcc
	v_add_f64 v[4:5], v[4:5], -v[48:49]
	global_store_dwordx2 v[0:1], v[4:5], off
	s_and_b64 exec, exec, s[0:1]
	s_cbranch_execz .LBB21_98
; %bb.67:
	v_add_f64 v[4:5], v[22:23], -v[48:49]
	global_store_dwordx2 v[0:1], v[4:5], off offset:256
	s_and_b64 exec, exec, s[2:3]
	s_cbranch_execz .LBB21_98
; %bb.68:
	v_add_f64 v[4:5], v[30:31], -v[48:49]
	global_store_dwordx2 v[0:1], v[4:5], off offset:512
	s_and_b64 exec, exec, s[4:5]
	s_cbranch_execz .LBB21_98
; %bb.69:
	v_add_f64 v[4:5], v[36:37], -v[48:49]
	global_store_dwordx2 v[0:1], v[4:5], off offset:768
	s_and_b64 exec, exec, s[6:7]
	s_cbranch_execz .LBB21_98
; %bb.70:
	v_add_f64 v[4:5], v[40:41], -v[48:49]
	global_store_dwordx2 v[0:1], v[4:5], off offset:1024
	s_and_b64 exec, exec, s[8:9]
	s_cbranch_execz .LBB21_98
; %bb.71:
	v_readlane_b32 s0, v86, 0
	v_add_f64 v[4:5], v[46:47], -v[48:49]
	v_readlane_b32 s1, v86, 1
	global_store_dwordx2 v[0:1], v[4:5], off offset:1280
	s_and_b64 exec, exec, s[0:1]
	s_cbranch_execz .LBB21_98
; %bb.72:
	v_add_f64 v[4:5], v[54:55], -v[48:49]
	global_store_dwordx2 v[0:1], v[4:5], off offset:1536
	s_and_b64 exec, exec, s[12:13]
	s_cbranch_execz .LBB21_98
; %bb.73:
	v_add_f64 v[4:5], v[60:61], -v[48:49]
	global_store_dwordx2 v[0:1], v[4:5], off offset:1792
	s_and_b64 exec, exec, s[14:15]
	s_cbranch_execz .LBB21_98
; %bb.74:
	v_add_f64 v[4:5], v[64:65], -v[48:49]
	global_store_dwordx2 v[0:1], v[4:5], off offset:2048
	s_and_b64 exec, exec, s[16:17]
	s_cbranch_execz .LBB21_98
; %bb.75:
	v_add_f64 v[4:5], v[68:69], -v[48:49]
	global_store_dwordx2 v[0:1], v[4:5], off offset:2304
	s_and_b64 exec, exec, s[18:19]
	s_cbranch_execz .LBB21_98
; %bb.76:
	v_add_f64 v[4:5], v[66:67], -v[48:49]
	global_store_dwordx2 v[0:1], v[4:5], off offset:2560
	s_and_b64 exec, exec, s[20:21]
	s_cbranch_execz .LBB21_98
; %bb.77:
	v_add_f64 v[4:5], v[62:63], -v[48:49]
	global_store_dwordx2 v[0:1], v[4:5], off offset:2816
	s_and_b64 exec, exec, s[22:23]
	s_cbranch_execz .LBB21_98
; %bb.78:
	v_add_f64 v[4:5], v[58:59], -v[48:49]
	global_store_dwordx2 v[0:1], v[4:5], off offset:3072
	s_and_b64 exec, exec, s[24:25]
	s_cbranch_execz .LBB21_98
; %bb.79:
	v_add_f64 v[4:5], v[52:53], -v[48:49]
	global_store_dwordx2 v[0:1], v[4:5], off offset:3328
	s_and_b64 exec, exec, s[26:27]
	s_cbranch_execz .LBB21_98
; %bb.80:
	v_add_f64 v[4:5], v[50:51], -v[48:49]
	global_store_dwordx2 v[0:1], v[4:5], off offset:3584
	s_and_b64 exec, exec, s[28:29]
	s_cbranch_execz .LBB21_98
; %bb.81:
	v_add_f64 v[4:5], v[42:43], -v[48:49]
	global_store_dwordx2 v[0:1], v[4:5], off offset:3840
	s_and_b64 exec, exec, s[30:31]
	s_cbranch_execz .LBB21_98
; %bb.82:
	v_add_co_u32_e32 v22, vcc, 0x1000, v0
	v_add_f64 v[4:5], v[44:45], -v[48:49]
	v_addc_co_u32_e32 v23, vcc, 0, v1, vcc
	global_store_dwordx2 v[22:23], v[4:5], off
	s_and_b64 exec, exec, s[34:35]
	s_cbranch_execz .LBB21_98
; %bb.83:
	v_add_co_u32_e32 v22, vcc, 0x1000, v0
	v_add_f64 v[4:5], v[34:35], -v[48:49]
	v_addc_co_u32_e32 v23, vcc, 0, v1, vcc
	global_store_dwordx2 v[22:23], v[4:5], off offset:256
	s_and_b64 exec, exec, s[36:37]
	s_cbranch_execz .LBB21_98
; %bb.84:
	v_add_co_u32_e32 v22, vcc, 0x1000, v0
	v_add_f64 v[4:5], v[38:39], -v[48:49]
	v_addc_co_u32_e32 v23, vcc, 0, v1, vcc
	global_store_dwordx2 v[22:23], v[4:5], off offset:512
	;; [unrolled: 7-line block ×6, first 2 shown]
	s_and_b64 exec, exec, s[48:49]
	s_cbranch_execz .LBB21_98
; %bb.89:
	v_add_f64 v[4:5], v[18:19], -v[48:49]
	v_add_co_u32_e32 v18, vcc, 0x1000, v0
	v_addc_co_u32_e32 v19, vcc, 0, v1, vcc
	global_store_dwordx2 v[18:19], v[4:5], off offset:1792
	s_and_b64 exec, exec, s[50:51]
	s_cbranch_execz .LBB21_98
; %bb.90:
	v_add_co_u32_e32 v18, vcc, 0x1000, v0
	v_add_f64 v[4:5], v[20:21], -v[48:49]
	v_addc_co_u32_e32 v19, vcc, 0, v1, vcc
	global_store_dwordx2 v[18:19], v[4:5], off offset:2048
	s_and_b64 exec, exec, s[52:53]
	s_cbranch_execz .LBB21_98
; %bb.91:
	v_add_f64 v[4:5], v[14:15], -v[48:49]
	v_add_co_u32_e32 v14, vcc, 0x1000, v0
	v_addc_co_u32_e32 v15, vcc, 0, v1, vcc
	global_store_dwordx2 v[14:15], v[4:5], off offset:2304
	s_and_b64 exec, exec, s[54:55]
	s_cbranch_execz .LBB21_98
; %bb.92:
	v_add_co_u32_e32 v14, vcc, 0x1000, v0
	v_add_f64 v[4:5], v[16:17], -v[48:49]
	v_addc_co_u32_e32 v15, vcc, 0, v1, vcc
	global_store_dwordx2 v[14:15], v[4:5], off offset:2560
	;; [unrolled: 14-line block ×4, first 2 shown]
	s_and_b64 exec, exec, s[64:65]
	s_cbranch_execz .LBB21_98
; %bb.97:
	v_add_co_u32_e32 v0, vcc, 0x1000, v0
	v_add_f64 v[2:3], v[2:3], -v[48:49]
	v_addc_co_u32_e32 v1, vcc, 0, v1, vcc
	global_store_dwordx2 v[0:1], v[2:3], off offset:3840
.LBB21_98:
	s_endpgm
	.section	.rodata,"a",@progbits
	.p2align	6, 0x0
	.amdhsa_kernel _ZN12_GLOBAL__N_120softmax_warp_forwardIdddLi10ELb1ELb0ELi32EEEvPT0_PKT_iiiPKbib
		.amdhsa_group_segment_fixed_size 0
		.amdhsa_private_segment_fixed_size 0
		.amdhsa_kernarg_size 304
		.amdhsa_user_sgpr_count 6
		.amdhsa_user_sgpr_private_segment_buffer 1
		.amdhsa_user_sgpr_dispatch_ptr 0
		.amdhsa_user_sgpr_queue_ptr 0
		.amdhsa_user_sgpr_kernarg_segment_ptr 1
		.amdhsa_user_sgpr_dispatch_id 0
		.amdhsa_user_sgpr_flat_scratch_init 0
		.amdhsa_user_sgpr_kernarg_preload_length 0
		.amdhsa_user_sgpr_kernarg_preload_offset 0
		.amdhsa_user_sgpr_private_segment_size 0
		.amdhsa_uses_dynamic_stack 0
		.amdhsa_system_sgpr_private_segment_wavefront_offset 0
		.amdhsa_system_sgpr_workgroup_id_x 1
		.amdhsa_system_sgpr_workgroup_id_y 0
		.amdhsa_system_sgpr_workgroup_id_z 0
		.amdhsa_system_sgpr_workgroup_info 0
		.amdhsa_system_vgpr_workitem_id 1
		.amdhsa_next_free_vgpr 87
		.amdhsa_next_free_sgpr 96
		.amdhsa_accum_offset 88
		.amdhsa_reserve_vcc 1
		.amdhsa_reserve_flat_scratch 0
		.amdhsa_float_round_mode_32 0
		.amdhsa_float_round_mode_16_64 0
		.amdhsa_float_denorm_mode_32 3
		.amdhsa_float_denorm_mode_16_64 3
		.amdhsa_dx10_clamp 1
		.amdhsa_ieee_mode 1
		.amdhsa_fp16_overflow 0
		.amdhsa_tg_split 0
		.amdhsa_exception_fp_ieee_invalid_op 0
		.amdhsa_exception_fp_denorm_src 0
		.amdhsa_exception_fp_ieee_div_zero 0
		.amdhsa_exception_fp_ieee_overflow 0
		.amdhsa_exception_fp_ieee_underflow 0
		.amdhsa_exception_fp_ieee_inexact 0
		.amdhsa_exception_int_div_zero 0
	.end_amdhsa_kernel
	.section	.text._ZN12_GLOBAL__N_120softmax_warp_forwardIdddLi10ELb1ELb0ELi32EEEvPT0_PKT_iiiPKbib,"axG",@progbits,_ZN12_GLOBAL__N_120softmax_warp_forwardIdddLi10ELb1ELb0ELi32EEEvPT0_PKT_iiiPKbib,comdat
.Lfunc_end21:
	.size	_ZN12_GLOBAL__N_120softmax_warp_forwardIdddLi10ELb1ELb0ELi32EEEvPT0_PKT_iiiPKbib, .Lfunc_end21-_ZN12_GLOBAL__N_120softmax_warp_forwardIdddLi10ELb1ELb0ELi32EEEvPT0_PKT_iiiPKbib
                                        ; -- End function
	.section	.AMDGPU.csdata,"",@progbits
; Kernel info:
; codeLenInByte = 10176
; NumSgprs: 100
; NumVgprs: 87
; NumAgprs: 0
; TotalNumVgprs: 87
; ScratchSize: 0
; MemoryBound: 0
; FloatMode: 240
; IeeeMode: 1
; LDSByteSize: 0 bytes/workgroup (compile time only)
; SGPRBlocks: 12
; VGPRBlocks: 10
; NumSGPRsForWavesPerEU: 100
; NumVGPRsForWavesPerEU: 87
; AccumOffset: 88
; Occupancy: 5
; WaveLimiterHint : 0
; COMPUTE_PGM_RSRC2:SCRATCH_EN: 0
; COMPUTE_PGM_RSRC2:USER_SGPR: 6
; COMPUTE_PGM_RSRC2:TRAP_HANDLER: 0
; COMPUTE_PGM_RSRC2:TGID_X_EN: 1
; COMPUTE_PGM_RSRC2:TGID_Y_EN: 0
; COMPUTE_PGM_RSRC2:TGID_Z_EN: 0
; COMPUTE_PGM_RSRC2:TIDIG_COMP_CNT: 1
; COMPUTE_PGM_RSRC3_GFX90A:ACCUM_OFFSET: 21
; COMPUTE_PGM_RSRC3_GFX90A:TG_SPLIT: 0
	.section	.text._ZN12_GLOBAL__N_120softmax_warp_forwardIdddLi11ELb1ELb0ELi64EEEvPT0_PKT_iiiPKbib,"axG",@progbits,_ZN12_GLOBAL__N_120softmax_warp_forwardIdddLi11ELb1ELb0ELi64EEEvPT0_PKT_iiiPKbib,comdat
	.globl	_ZN12_GLOBAL__N_120softmax_warp_forwardIdddLi11ELb1ELb0ELi64EEEvPT0_PKT_iiiPKbib ; -- Begin function _ZN12_GLOBAL__N_120softmax_warp_forwardIdddLi11ELb1ELb0ELi64EEEvPT0_PKT_iiiPKbib
	.p2align	8
	.type	_ZN12_GLOBAL__N_120softmax_warp_forwardIdddLi11ELb1ELb0ELi64EEEvPT0_PKT_iiiPKbib,@function
_ZN12_GLOBAL__N_120softmax_warp_forwardIdddLi11ELb1ELb0ELi64EEEvPT0_PKT_iiiPKbib: ; @_ZN12_GLOBAL__N_120softmax_warp_forwardIdddLi11ELb1ELb0ELi64EEEvPT0_PKT_iiiPKbib
; %bb.0:
	s_load_dword s0, s[4:5], 0x3c
	s_load_dwordx8 s[68:75], s[4:5], 0x0
	v_bfe_u32 v1, v0, 10, 10
	v_and_b32_e32 v60, 0x3ff, v0
	v_mov_b32_e32 v22, 0
	s_waitcnt lgkmcnt(0)
	s_lshr_b32 s0, s0, 16
	s_mul_i32 s6, s6, s0
	v_add_u32_e32 v1, s6, v1
	v_sub_u32_e32 v70, s72, v1
	v_mad_u64_u32 v[0:1], s[0:1], v1, s73, v[60:61]
	v_ashrrev_i32_e32 v1, 31, v0
	v_lshlrev_b64 v[0:1], 3, v[0:1]
	v_mov_b32_e32 v2, s71
	v_add_co_u32_e32 v52, vcc, s70, v0
	v_cmp_lt_i32_e64 s[66:67], 0, v70
	v_cmp_gt_i32_e64 s[44:45], s74, v60
	v_mov_b32_e32 v23, 0xfff00000
	v_addc_co_u32_e32 v53, vcc, v2, v1, vcc
	s_and_b64 s[2:3], s[66:67], s[44:45]
	v_pk_mov_b32 v[6:7], v[22:23], v[22:23] op_sel:[0,1]
	s_and_saveexec_b64 s[0:1], s[2:3]
	s_cbranch_execz .LBB22_2
; %bb.1:
	global_load_dwordx2 v[6:7], v[52:53], off
.LBB22_2:
	s_or_b64 exec, exec, s[0:1]
	v_add_u32_e32 v2, 64, v60
	v_cmp_gt_i32_e64 s[0:1], s74, v2
	s_and_b64 s[4:5], s[66:67], s[0:1]
	s_and_saveexec_b64 s[2:3], s[4:5]
	s_cbranch_execz .LBB22_4
; %bb.3:
	global_load_dwordx2 v[22:23], v[52:53], off offset:512
.LBB22_4:
	s_or_b64 exec, exec, s[2:3]
	v_add_u32_e32 v2, 0x80, v60
	v_mov_b32_e32 v38, 0
	v_cmp_gt_i32_e64 s[2:3], s74, v2
	v_mov_b32_e32 v39, 0xfff00000
	s_and_b64 s[6:7], s[66:67], s[2:3]
	v_pk_mov_b32 v[32:33], v[38:39], v[38:39] op_sel:[0,1]
	s_and_saveexec_b64 s[4:5], s[6:7]
	s_cbranch_execz .LBB22_6
; %bb.5:
	global_load_dwordx2 v[32:33], v[52:53], off offset:1024
.LBB22_6:
	s_or_b64 exec, exec, s[4:5]
	v_add_u32_e32 v2, 0xc0, v60
	v_cmp_gt_i32_e64 s[4:5], s74, v2
	s_and_b64 s[8:9], s[66:67], s[4:5]
	s_and_saveexec_b64 s[6:7], s[8:9]
	s_cbranch_execz .LBB22_8
; %bb.7:
	global_load_dwordx2 v[38:39], v[52:53], off offset:1536
.LBB22_8:
	s_or_b64 exec, exec, s[6:7]
	v_add_u32_e32 v2, 0x100, v60
	v_mov_b32_e32 v50, 0
	v_cmp_gt_i32_e64 s[6:7], s74, v2
	v_mov_b32_e32 v51, 0xfff00000
	s_and_b64 s[10:11], s[66:67], s[6:7]
	v_pk_mov_b32 v[44:45], v[50:51], v[50:51] op_sel:[0,1]
	s_and_saveexec_b64 s[8:9], s[10:11]
	s_cbranch_execz .LBB22_10
; %bb.9:
	global_load_dwordx2 v[44:45], v[52:53], off offset:2048
.LBB22_10:
	s_or_b64 exec, exec, s[8:9]
	v_add_u32_e32 v2, 0x140, v60
	v_cmp_gt_i32_e64 s[8:9], s74, v2
	s_and_b64 s[12:13], s[66:67], s[8:9]
	s_and_saveexec_b64 s[10:11], s[12:13]
	s_cbranch_execz .LBB22_12
; %bb.11:
	global_load_dwordx2 v[50:51], v[52:53], off offset:2560
.LBB22_12:
	s_or_b64 exec, exec, s[10:11]
	v_add_u32_e32 v2, 0x180, v60
	v_mov_b32_e32 v66, 0
	v_cmp_gt_i32_e64 s[10:11], s74, v2
                                        ; implicit-def: $vgpr88 : SGPR spill to VGPR lane
	v_mov_b32_e32 v67, 0xfff00000
	v_writelane_b32 v88, s10, 0
	s_and_b64 s[12:13], s[66:67], s[10:11]
	v_pk_mov_b32 v[58:59], v[66:67], v[66:67] op_sel:[0,1]
	v_writelane_b32 v88, s11, 1
	s_and_saveexec_b64 s[10:11], s[12:13]
	s_cbranch_execz .LBB22_14
; %bb.13:
	global_load_dwordx2 v[58:59], v[52:53], off offset:3072
.LBB22_14:
	s_or_b64 exec, exec, s[10:11]
	v_add_u32_e32 v2, 0x1c0, v60
	v_cmp_gt_i32_e64 s[12:13], s74, v2
	s_and_b64 s[14:15], s[66:67], s[12:13]
	s_and_saveexec_b64 s[10:11], s[14:15]
	s_cbranch_execz .LBB22_16
; %bb.15:
	global_load_dwordx2 v[66:67], v[52:53], off offset:3584
.LBB22_16:
	s_or_b64 exec, exec, s[10:11]
	v_add_u32_e32 v2, 0x200, v60
	v_mov_b32_e32 v62, 0
	v_cmp_gt_i32_e64 s[14:15], s74, v2
	v_mov_b32_e32 v63, 0xfff00000
	s_and_b64 s[16:17], s[66:67], s[14:15]
	v_pk_mov_b32 v[68:69], v[62:63], v[62:63] op_sel:[0,1]
	s_and_saveexec_b64 s[10:11], s[16:17]
	s_cbranch_execz .LBB22_18
; %bb.17:
	v_add_co_u32_e32 v2, vcc, 0x1000, v52
	v_addc_co_u32_e32 v3, vcc, 0, v53, vcc
	global_load_dwordx2 v[68:69], v[2:3], off
.LBB22_18:
	s_or_b64 exec, exec, s[10:11]
	v_add_u32_e32 v2, 0x240, v60
	v_cmp_gt_i32_e64 s[16:17], s74, v2
	s_and_b64 s[18:19], s[66:67], s[16:17]
	s_and_saveexec_b64 s[10:11], s[18:19]
	s_cbranch_execz .LBB22_20
; %bb.19:
	v_add_co_u32_e32 v2, vcc, 0x1000, v52
	v_addc_co_u32_e32 v3, vcc, 0, v53, vcc
	global_load_dwordx2 v[62:63], v[2:3], off offset:512
.LBB22_20:
	s_or_b64 exec, exec, s[10:11]
	v_add_u32_e32 v2, 0x280, v60
	v_mov_b32_e32 v54, 0
	v_cmp_gt_i32_e64 s[18:19], s74, v2
	v_mov_b32_e32 v55, 0xfff00000
	s_and_b64 s[20:21], s[66:67], s[18:19]
	v_pk_mov_b32 v[64:65], v[54:55], v[54:55] op_sel:[0,1]
	s_and_saveexec_b64 s[10:11], s[20:21]
	s_cbranch_execz .LBB22_22
; %bb.21:
	v_add_co_u32_e32 v2, vcc, 0x1000, v52
	v_addc_co_u32_e32 v3, vcc, 0, v53, vcc
	global_load_dwordx2 v[64:65], v[2:3], off offset:1024
.LBB22_22:
	s_or_b64 exec, exec, s[10:11]
	v_add_u32_e32 v2, 0x2c0, v60
	v_cmp_gt_i32_e64 s[20:21], s74, v2
	s_and_b64 s[22:23], s[66:67], s[20:21]
	s_and_saveexec_b64 s[10:11], s[22:23]
	s_cbranch_execz .LBB22_24
; %bb.23:
	v_add_co_u32_e32 v2, vcc, 0x1000, v52
	v_addc_co_u32_e32 v3, vcc, 0, v53, vcc
	global_load_dwordx2 v[54:55], v[2:3], off offset:1536
.LBB22_24:
	s_or_b64 exec, exec, s[10:11]
	v_add_u32_e32 v2, 0x300, v60
	v_mov_b32_e32 v46, 0
	v_cmp_gt_i32_e64 s[22:23], s74, v2
	v_mov_b32_e32 v47, 0xfff00000
	s_and_b64 s[24:25], s[66:67], s[22:23]
	v_pk_mov_b32 v[56:57], v[46:47], v[46:47] op_sel:[0,1]
	s_and_saveexec_b64 s[10:11], s[24:25]
	s_cbranch_execz .LBB22_26
; %bb.25:
	v_add_co_u32_e32 v2, vcc, 0x1000, v52
	v_addc_co_u32_e32 v3, vcc, 0, v53, vcc
	global_load_dwordx2 v[56:57], v[2:3], off offset:2048
.LBB22_26:
	;; [unrolled: 25-line block ×3, first 2 shown]
	s_or_b64 exec, exec, s[10:11]
	v_add_u32_e32 v2, 0x3c0, v60
	v_cmp_gt_i32_e64 s[28:29], s74, v2
	s_and_b64 s[30:31], s[66:67], s[28:29]
	s_and_saveexec_b64 s[10:11], s[30:31]
	s_cbranch_execz .LBB22_32
; %bb.31:
	v_add_co_u32_e32 v2, vcc, 0x1000, v52
	v_addc_co_u32_e32 v3, vcc, 0, v53, vcc
	global_load_dwordx2 v[40:41], v[2:3], off offset:3584
.LBB22_32:
	s_or_b64 exec, exec, s[10:11]
	v_or_b32_e32 v2, 0x400, v60
	v_mov_b32_e32 v34, 0
	v_cmp_gt_i32_e64 s[30:31], s74, v2
	v_mov_b32_e32 v35, 0xfff00000
	s_and_b64 s[34:35], s[66:67], s[30:31]
	v_pk_mov_b32 v[42:43], v[34:35], v[34:35] op_sel:[0,1]
	s_and_saveexec_b64 s[10:11], s[34:35]
	s_cbranch_execz .LBB22_34
; %bb.33:
	v_add_co_u32_e32 v2, vcc, 0x2000, v52
	v_addc_co_u32_e32 v3, vcc, 0, v53, vcc
	global_load_dwordx2 v[42:43], v[2:3], off
.LBB22_34:
	s_or_b64 exec, exec, s[10:11]
	v_add_u32_e32 v2, 0x440, v60
	v_cmp_gt_i32_e64 s[34:35], s74, v2
	s_and_b64 s[36:37], s[66:67], s[34:35]
	s_and_saveexec_b64 s[10:11], s[36:37]
	s_cbranch_execz .LBB22_36
; %bb.35:
	v_add_co_u32_e32 v2, vcc, 0x2000, v52
	v_addc_co_u32_e32 v3, vcc, 0, v53, vcc
	global_load_dwordx2 v[34:35], v[2:3], off offset:512
.LBB22_36:
	s_or_b64 exec, exec, s[10:11]
	v_add_u32_e32 v2, 0x480, v60
	v_mov_b32_e32 v28, 0
	v_cmp_gt_i32_e64 s[36:37], s74, v2
	v_mov_b32_e32 v29, 0xfff00000
	s_and_b64 s[38:39], s[66:67], s[36:37]
	v_pk_mov_b32 v[36:37], v[28:29], v[28:29] op_sel:[0,1]
	s_and_saveexec_b64 s[10:11], s[38:39]
	s_cbranch_execz .LBB22_38
; %bb.37:
	v_add_co_u32_e32 v2, vcc, 0x2000, v52
	v_addc_co_u32_e32 v3, vcc, 0, v53, vcc
	global_load_dwordx2 v[36:37], v[2:3], off offset:1024
.LBB22_38:
	s_or_b64 exec, exec, s[10:11]
	v_add_u32_e32 v2, 0x4c0, v60
	v_cmp_gt_i32_e64 s[38:39], s74, v2
	s_and_b64 s[40:41], s[66:67], s[38:39]
	s_and_saveexec_b64 s[10:11], s[40:41]
	s_cbranch_execz .LBB22_40
; %bb.39:
	v_add_co_u32_e32 v2, vcc, 0x2000, v52
	v_addc_co_u32_e32 v3, vcc, 0, v53, vcc
	global_load_dwordx2 v[28:29], v[2:3], off offset:1536
.LBB22_40:
	s_or_b64 exec, exec, s[10:11]
	v_add_u32_e32 v2, 0x500, v60
	v_mov_b32_e32 v24, 0
	v_cmp_gt_i32_e64 s[40:41], s74, v2
	v_mov_b32_e32 v25, 0xfff00000
	s_and_b64 s[42:43], s[66:67], s[40:41]
	v_pk_mov_b32 v[30:31], v[24:25], v[24:25] op_sel:[0,1]
	s_and_saveexec_b64 s[10:11], s[42:43]
	s_cbranch_execz .LBB22_42
; %bb.41:
	v_add_co_u32_e32 v2, vcc, 0x2000, v52
	v_addc_co_u32_e32 v3, vcc, 0, v53, vcc
	global_load_dwordx2 v[30:31], v[2:3], off offset:2048
.LBB22_42:
	;; [unrolled: 25-line block ×3, first 2 shown]
	s_or_b64 exec, exec, s[10:11]
	v_add_u32_e32 v2, 0x5c0, v60
	v_cmp_gt_i32_e64 s[48:49], s74, v2
	s_and_b64 s[50:51], s[66:67], s[48:49]
	s_and_saveexec_b64 s[10:11], s[50:51]
	s_cbranch_execz .LBB22_48
; %bb.47:
	v_add_co_u32_e32 v2, vcc, 0x2000, v52
	v_addc_co_u32_e32 v3, vcc, 0, v53, vcc
	global_load_dwordx2 v[18:19], v[2:3], off offset:3584
.LBB22_48:
	s_or_b64 exec, exec, s[10:11]
	v_add_u32_e32 v2, 0x600, v60
	v_mov_b32_e32 v14, 0
	v_cmp_gt_i32_e64 s[50:51], s74, v2
	v_mov_b32_e32 v15, 0xfff00000
	s_and_b64 s[52:53], s[66:67], s[50:51]
	v_pk_mov_b32 v[20:21], v[14:15], v[14:15] op_sel:[0,1]
	s_and_saveexec_b64 s[10:11], s[52:53]
	s_cbranch_execz .LBB22_50
; %bb.49:
	v_add_co_u32_e32 v2, vcc, 0x3000, v52
	v_addc_co_u32_e32 v3, vcc, 0, v53, vcc
	global_load_dwordx2 v[20:21], v[2:3], off
.LBB22_50:
	s_or_b64 exec, exec, s[10:11]
	v_add_u32_e32 v2, 0x640, v60
	v_cmp_gt_i32_e64 s[52:53], s74, v2
	s_and_b64 s[54:55], s[66:67], s[52:53]
	s_and_saveexec_b64 s[10:11], s[54:55]
	s_cbranch_execz .LBB22_52
; %bb.51:
	v_add_co_u32_e32 v2, vcc, 0x3000, v52
	v_addc_co_u32_e32 v3, vcc, 0, v53, vcc
	global_load_dwordx2 v[14:15], v[2:3], off offset:512
.LBB22_52:
	s_or_b64 exec, exec, s[10:11]
	v_add_u32_e32 v2, 0x680, v60
	v_mov_b32_e32 v10, 0
	v_cmp_gt_i32_e64 s[54:55], s74, v2
	v_mov_b32_e32 v11, 0xfff00000
	s_and_b64 s[56:57], s[66:67], s[54:55]
	v_pk_mov_b32 v[16:17], v[10:11], v[10:11] op_sel:[0,1]
	s_and_saveexec_b64 s[10:11], s[56:57]
	s_cbranch_execz .LBB22_54
; %bb.53:
	v_add_co_u32_e32 v2, vcc, 0x3000, v52
	v_addc_co_u32_e32 v3, vcc, 0, v53, vcc
	global_load_dwordx2 v[16:17], v[2:3], off offset:1024
.LBB22_54:
	s_or_b64 exec, exec, s[10:11]
	v_add_u32_e32 v2, 0x6c0, v60
	v_cmp_gt_i32_e64 s[56:57], s74, v2
	s_and_b64 s[58:59], s[66:67], s[56:57]
	s_and_saveexec_b64 s[10:11], s[58:59]
	s_cbranch_execz .LBB22_56
; %bb.55:
	v_add_co_u32_e32 v2, vcc, 0x3000, v52
	v_addc_co_u32_e32 v3, vcc, 0, v53, vcc
	global_load_dwordx2 v[10:11], v[2:3], off offset:1536
.LBB22_56:
	s_or_b64 exec, exec, s[10:11]
	v_add_u32_e32 v2, 0x700, v60
	v_mov_b32_e32 v4, 0
	v_cmp_gt_i32_e64 s[58:59], s74, v2
	v_mov_b32_e32 v5, 0xfff00000
	s_and_b64 s[60:61], s[66:67], s[58:59]
	v_pk_mov_b32 v[12:13], v[4:5], v[4:5] op_sel:[0,1]
	s_and_saveexec_b64 s[10:11], s[60:61]
	s_cbranch_execz .LBB22_58
; %bb.57:
	v_add_co_u32_e32 v2, vcc, 0x3000, v52
	v_addc_co_u32_e32 v3, vcc, 0, v53, vcc
	global_load_dwordx2 v[12:13], v[2:3], off offset:2048
.LBB22_58:
	s_or_b64 exec, exec, s[10:11]
	v_add_u32_e32 v2, 0x740, v60
	v_cmp_gt_i32_e64 s[60:61], s74, v2
	s_and_b64 s[62:63], s[66:67], s[60:61]
	s_and_saveexec_b64 s[10:11], s[62:63]
	s_cbranch_execz .LBB22_60
; %bb.59:
	v_add_co_u32_e32 v2, vcc, 0x3000, v52
	v_addc_co_u32_e32 v3, vcc, 0, v53, vcc
	global_load_dwordx2 v[4:5], v[2:3], off offset:2560
.LBB22_60:
	s_or_b64 exec, exec, s[10:11]
	v_add_u32_e32 v2, 0x780, v60
	v_cmp_gt_i32_e64 s[62:63], s74, v2
	v_mov_b32_e32 v2, 0
	v_mov_b32_e32 v3, 0xfff00000
	s_and_b64 s[64:65], s[66:67], s[62:63]
	v_pk_mov_b32 v[8:9], v[2:3], v[2:3] op_sel:[0,1]
	s_and_saveexec_b64 s[10:11], s[64:65]
	s_cbranch_execz .LBB22_62
; %bb.61:
	v_add_co_u32_e32 v8, vcc, 0x3000, v52
	v_addc_co_u32_e32 v9, vcc, 0, v53, vcc
	global_load_dwordx2 v[8:9], v[8:9], off offset:3072
.LBB22_62:
	s_or_b64 exec, exec, s[10:11]
	v_add_u32_e32 v60, 0x7c0, v60
	v_cmp_gt_i32_e64 s[64:65], s74, v60
	s_and_b64 s[66:67], s[66:67], s[64:65]
	s_and_saveexec_b64 s[10:11], s[66:67]
	s_cbranch_execz .LBB22_64
; %bb.63:
	v_add_co_u32_e32 v2, vcc, 0x3000, v52
	v_addc_co_u32_e32 v3, vcc, 0, v53, vcc
	global_load_dwordx2 v[2:3], v[2:3], off offset:3584
.LBB22_64:
	s_or_b64 exec, exec, s[10:11]
	s_waitcnt vmcnt(0)
	v_cmp_gt_f64_e32 vcc, v[6:7], v[22:23]
	v_cndmask_b32_e32 v53, v23, v7, vcc
	v_cndmask_b32_e32 v52, v22, v6, vcc
	v_cmp_gt_f64_e32 vcc, v[52:53], v[32:33]
	v_cndmask_b32_e32 v53, v33, v53, vcc
	v_cndmask_b32_e32 v52, v32, v52, vcc
	;; [unrolled: 3-line block ×29, first 2 shown]
	v_mbcnt_lo_u32_b32 v60, -1, 0
	v_cmp_gt_f64_e32 vcc, v[52:53], v[8:9]
	v_mbcnt_hi_u32_b32 v76, -1, v60
	v_cndmask_b32_e32 v53, v9, v53, vcc
	v_cndmask_b32_e32 v52, v8, v52, vcc
	v_and_b32_e32 v60, 64, v76
	v_cmp_gt_f64_e32 vcc, v[52:53], v[2:3]
	v_add_u32_e32 v77, 64, v60
	v_xor_b32_e32 v60, 32, v76
	v_cndmask_b32_e32 v53, v3, v53, vcc
	v_cndmask_b32_e32 v52, v2, v52, vcc
	v_cmp_lt_i32_e32 vcc, v60, v77
	v_cndmask_b32_e32 v60, v76, v60, vcc
	v_lshlrev_b32_e32 v71, 2, v60
	ds_bpermute_b32 v60, v71, v52
	ds_bpermute_b32 v61, v71, v53
	s_mov_b32 s70, 0x652b82fe
	s_mov_b32 s71, 0x3ff71547
	s_mov_b32 s72, 0xfefa39ef
	s_mov_b32 s73, 0xbfe62e42
	s_waitcnt lgkmcnt(0)
	v_cmp_lt_f64_e32 vcc, v[52:53], v[60:61]
	v_cndmask_b32_e32 v52, v52, v60, vcc
	v_xor_b32_e32 v60, 16, v76
	v_cndmask_b32_e32 v53, v53, v61, vcc
	v_cmp_lt_i32_e32 vcc, v60, v77
	v_cndmask_b32_e32 v60, v76, v60, vcc
	v_lshlrev_b32_e32 v72, 2, v60
	ds_bpermute_b32 v60, v72, v52
	ds_bpermute_b32 v61, v72, v53
	s_mov_b32 s74, 0x3b39803f
	s_mov_b32 s10, 0xfca7ab0c
	s_mov_b32 s75, 0xbc7abc9e
	s_mov_b32 s11, 0x3e928af3
	s_waitcnt lgkmcnt(0)
	v_cmp_lt_f64_e32 vcc, v[52:53], v[60:61]
	v_cndmask_b32_e32 v52, v52, v60, vcc
	v_xor_b32_e32 v60, 8, v76
	v_cndmask_b32_e32 v53, v53, v61, vcc
	v_cmp_lt_i32_e32 vcc, v60, v77
	v_cndmask_b32_e32 v60, v76, v60, vcc
	v_lshlrev_b32_e32 v73, 2, v60
	ds_bpermute_b32 v60, v73, v52
	ds_bpermute_b32 v61, v73, v53
	s_mov_b32 s76, 0x6a5dcb37
	s_mov_b32 s77, 0x3e5ade15
	s_mov_b32 s78, 0x623fde64
	s_mov_b32 s79, 0x3ec71dee
	s_waitcnt lgkmcnt(0)
	v_cmp_lt_f64_e32 vcc, v[52:53], v[60:61]
	v_cndmask_b32_e32 v52, v52, v60, vcc
	v_xor_b32_e32 v60, 4, v76
	v_cndmask_b32_e32 v53, v53, v61, vcc
	v_cmp_lt_i32_e32 vcc, v60, v77
	v_cndmask_b32_e32 v60, v76, v60, vcc
	v_lshlrev_b32_e32 v74, 2, v60
	ds_bpermute_b32 v60, v74, v52
	ds_bpermute_b32 v61, v74, v53
	s_mov_b32 s80, 0x7c89e6b0
	s_mov_b32 s81, 0x3efa0199
	s_mov_b32 s82, 0x14761f6e
	s_mov_b32 s83, 0x3f2a01a0
	s_waitcnt lgkmcnt(0)
	v_cmp_lt_f64_e32 vcc, v[52:53], v[60:61]
	v_cndmask_b32_e32 v52, v52, v60, vcc
	v_xor_b32_e32 v60, 2, v76
	v_cndmask_b32_e32 v53, v53, v61, vcc
	v_cmp_lt_i32_e32 vcc, v60, v77
	v_cndmask_b32_e32 v60, v76, v60, vcc
	v_lshlrev_b32_e32 v75, 2, v60
	ds_bpermute_b32 v60, v75, v52
	ds_bpermute_b32 v61, v75, v53
	s_mov_b32 s84, 0x1852b7b0
	s_mov_b32 s85, 0x3f56c16c
	s_mov_b32 s86, 0x11122322
	s_mov_b32 s87, 0x3f811111
	s_waitcnt lgkmcnt(0)
	v_cmp_lt_f64_e32 vcc, v[52:53], v[60:61]
	v_cndmask_b32_e32 v52, v52, v60, vcc
	v_xor_b32_e32 v60, 1, v76
	v_cndmask_b32_e32 v53, v53, v61, vcc
	v_cmp_lt_i32_e32 vcc, v60, v77
	v_cndmask_b32_e32 v60, v76, v60, vcc
	v_lshlrev_b32_e32 v76, 2, v60
	ds_bpermute_b32 v60, v76, v52
	ds_bpermute_b32 v61, v76, v53
	s_mov_b32 s88, 0x555502a1
	s_mov_b32 s89, 0x3fa55555
	;; [unrolled: 1-line block ×4, first 2 shown]
	s_waitcnt lgkmcnt(0)
	v_cmp_lt_f64_e32 vcc, v[52:53], v[60:61]
	v_cndmask_b32_e32 v53, v53, v61, vcc
	v_cndmask_b32_e32 v52, v52, v60, vcc
	v_add_f64 v[6:7], v[6:7], -v[52:53]
	v_mul_f64 v[60:61], v[6:7], s[70:71]
	v_rndne_f64_e32 v[78:79], v[60:61]
	v_fma_f64 v[80:81], s[72:73], v[78:79], v[6:7]
	v_fmac_f64_e32 v[80:81], s[74:75], v[78:79]
	v_pk_mov_b32 v[60:61], s[10:11], s[10:11] op_sel:[0,1]
	v_fma_f64 v[82:83], s[76:77], v[80:81], v[60:61]
	v_fma_f64 v[82:83], v[80:81], v[82:83], s[78:79]
	;; [unrolled: 1-line block ×7, first 2 shown]
	s_mov_b32 s92, 11
	v_fma_f64 v[82:83], v[80:81], v[82:83], s[90:91]
	s_mov_b32 s93, 0x3fe00000
	v_fma_f64 v[82:83], v[80:81], v[82:83], s[92:93]
	v_fma_f64 v[82:83], v[80:81], v[82:83], 1.0
	v_add_f64 v[22:23], v[22:23], -v[52:53]
	v_fma_f64 v[80:81], v[80:81], v[82:83], 1.0
	v_mul_f64 v[82:83], v[22:23], s[70:71]
	v_rndne_f64_e32 v[82:83], v[82:83]
	v_fma_f64 v[84:85], s[72:73], v[82:83], v[22:23]
	v_fmac_f64_e32 v[84:85], s[74:75], v[82:83]
	v_fma_f64 v[86:87], s[76:77], v[84:85], v[60:61]
	v_fma_f64 v[86:87], v[84:85], v[86:87], s[78:79]
	;; [unrolled: 1-line block ×8, first 2 shown]
	v_cvt_i32_f64_e32 v77, v[78:79]
	s_mov_b32 s10, 0
	s_mov_b32 s94, 0
	v_fma_f64 v[86:87], v[84:85], v[86:87], s[92:93]
	v_ldexp_f64 v[78:79], v[80:81], v77
	s_mov_b32 s11, 0x40900000
	s_mov_b32 s95, 0xc090cc00
	v_fma_f64 v[86:87], v[84:85], v[86:87], 1.0
	v_add_f64 v[78:79], v[78:79], 0
	v_mov_b32_e32 v77, 0x7ff00000
	v_cmp_nlt_f64_e32 vcc, s[10:11], v[6:7]
	v_cmp_ngt_f64_e64 s[66:67], s[94:95], v[6:7]
	v_fma_f64 v[84:85], v[84:85], v[86:87], 1.0
	v_cndmask_b32_e32 v79, v77, v79, vcc
	s_and_b64 vcc, s[66:67], vcc
	v_cvt_i32_f64_e32 v80, v[82:83]
	v_cndmask_b32_e64 v79, 0, v79, s[66:67]
	v_cndmask_b32_e32 v78, 0, v78, vcc
	v_ldexp_f64 v[80:81], v[84:85], v80
	v_cmp_nlt_f64_e32 vcc, s[10:11], v[22:23]
	v_cmp_ngt_f64_e64 s[66:67], s[94:95], v[22:23]
	v_cndmask_b32_e32 v81, v77, v81, vcc
	s_and_b64 vcc, s[66:67], vcc
	v_cndmask_b32_e64 v81, 0, v81, s[66:67]
	v_cndmask_b32_e32 v80, 0, v80, vcc
	v_add_f64 v[32:33], v[32:33], -v[52:53]
	v_add_f64 v[78:79], v[78:79], v[80:81]
	v_mul_f64 v[80:81], v[32:33], s[70:71]
	v_rndne_f64_e32 v[80:81], v[80:81]
	v_fma_f64 v[82:83], s[72:73], v[80:81], v[32:33]
	v_fmac_f64_e32 v[82:83], s[74:75], v[80:81]
	v_fma_f64 v[84:85], s[76:77], v[82:83], v[60:61]
	v_fma_f64 v[84:85], v[82:83], v[84:85], s[78:79]
	v_fma_f64 v[84:85], v[82:83], v[84:85], s[80:81]
	v_fma_f64 v[84:85], v[82:83], v[84:85], s[82:83]
	v_fma_f64 v[84:85], v[82:83], v[84:85], s[84:85]
	v_fma_f64 v[84:85], v[82:83], v[84:85], s[86:87]
	v_fma_f64 v[84:85], v[82:83], v[84:85], s[88:89]
	v_fma_f64 v[84:85], v[82:83], v[84:85], s[90:91]
	v_fma_f64 v[84:85], v[82:83], v[84:85], s[92:93]
	v_fma_f64 v[84:85], v[82:83], v[84:85], 1.0
	v_fma_f64 v[82:83], v[82:83], v[84:85], 1.0
	v_cvt_i32_f64_e32 v80, v[80:81]
	v_ldexp_f64 v[80:81], v[82:83], v80
	v_cmp_nlt_f64_e32 vcc, s[10:11], v[32:33]
	v_cmp_ngt_f64_e64 s[66:67], s[94:95], v[32:33]
	v_cndmask_b32_e32 v81, v77, v81, vcc
	s_and_b64 vcc, s[66:67], vcc
	v_cndmask_b32_e64 v81, 0, v81, s[66:67]
	v_cndmask_b32_e32 v80, 0, v80, vcc
	v_add_f64 v[38:39], v[38:39], -v[52:53]
	v_add_f64 v[78:79], v[78:79], v[80:81]
	v_mul_f64 v[80:81], v[38:39], s[70:71]
	v_rndne_f64_e32 v[80:81], v[80:81]
	v_fma_f64 v[82:83], s[72:73], v[80:81], v[38:39]
	v_fmac_f64_e32 v[82:83], s[74:75], v[80:81]
	v_fma_f64 v[84:85], s[76:77], v[82:83], v[60:61]
	v_fma_f64 v[84:85], v[82:83], v[84:85], s[78:79]
	v_fma_f64 v[84:85], v[82:83], v[84:85], s[80:81]
	v_fma_f64 v[84:85], v[82:83], v[84:85], s[82:83]
	v_fma_f64 v[84:85], v[82:83], v[84:85], s[84:85]
	v_fma_f64 v[84:85], v[82:83], v[84:85], s[86:87]
	v_fma_f64 v[84:85], v[82:83], v[84:85], s[88:89]
	v_fma_f64 v[84:85], v[82:83], v[84:85], s[90:91]
	v_fma_f64 v[84:85], v[82:83], v[84:85], s[92:93]
	v_fma_f64 v[84:85], v[82:83], v[84:85], 1.0
	v_fma_f64 v[82:83], v[82:83], v[84:85], 1.0
	v_cvt_i32_f64_e32 v80, v[80:81]
	;; [unrolled: 25-line block ×29, first 2 shown]
	v_ldexp_f64 v[80:81], v[82:83], v80
	v_cmp_nlt_f64_e32 vcc, s[10:11], v[8:9]
	v_cmp_ngt_f64_e64 s[66:67], s[94:95], v[8:9]
	v_add_f64 v[2:3], v[2:3], -v[52:53]
	v_cndmask_b32_e32 v81, v77, v81, vcc
	s_and_b64 vcc, s[66:67], vcc
	v_mul_f64 v[52:53], v[2:3], s[70:71]
	v_cndmask_b32_e64 v81, 0, v81, s[66:67]
	v_cndmask_b32_e32 v80, 0, v80, vcc
	v_rndne_f64_e32 v[52:53], v[52:53]
	v_add_f64 v[78:79], v[78:79], v[80:81]
	v_fma_f64 v[80:81], s[72:73], v[52:53], v[2:3]
	v_fmac_f64_e32 v[80:81], s[74:75], v[52:53]
	v_fmac_f64_e32 v[60:61], s[76:77], v[80:81]
	v_fma_f64 v[60:61], v[80:81], v[60:61], s[78:79]
	v_fma_f64 v[60:61], v[80:81], v[60:61], s[80:81]
	;; [unrolled: 1-line block ×8, first 2 shown]
	v_fma_f64 v[60:61], v[80:81], v[60:61], 1.0
	v_fma_f64 v[60:61], v[80:81], v[60:61], 1.0
	v_cvt_i32_f64_e32 v52, v[52:53]
	v_ldexp_f64 v[52:53], v[60:61], v52
	v_cmp_nlt_f64_e32 vcc, s[10:11], v[2:3]
	v_cmp_ngt_f64_e64 s[66:67], s[94:95], v[2:3]
	v_cndmask_b32_e32 v53, v77, v53, vcc
	s_and_b64 vcc, s[66:67], vcc
	v_cndmask_b32_e64 v53, 0, v53, s[66:67]
	v_cndmask_b32_e32 v52, 0, v52, vcc
	v_add_f64 v[52:53], v[78:79], v[52:53]
	ds_bpermute_b32 v60, v71, v52
	ds_bpermute_b32 v61, v71, v53
	v_cmp_lt_i32_e32 vcc, 0, v70
	s_waitcnt lgkmcnt(0)
	v_add_f64 v[52:53], v[52:53], v[60:61]
	ds_bpermute_b32 v60, v72, v52
	ds_bpermute_b32 v61, v72, v53
	s_waitcnt lgkmcnt(0)
	v_add_f64 v[52:53], v[52:53], v[60:61]
	ds_bpermute_b32 v60, v73, v52
	ds_bpermute_b32 v61, v73, v53
	;; [unrolled: 4-line block ×5, first 2 shown]
	s_and_saveexec_b64 s[10:11], vcc
	s_cbranch_execz .LBB22_98
; %bb.65:
	s_and_b64 exec, exec, s[44:45]
	s_cbranch_execz .LBB22_98
; %bb.66:
	s_waitcnt lgkmcnt(0)
	v_add_f64 v[60:61], v[52:53], v[60:61]
	s_mov_b32 s10, 0x55555555
	v_frexp_mant_f64_e32 v[52:53], v[60:61]
	s_mov_b32 s11, 0x3fe55555
	v_mov_b32_e32 v70, 0x3ff00000
	v_cmp_gt_f64_e32 vcc, s[10:11], v[52:53]
	v_cndmask_b32_e64 v71, v70, 2.0, vcc
	v_mov_b32_e32 v70, 0
	v_mul_f64 v[52:53], v[52:53], v[70:71]
	v_frexp_exp_i32_f64_e32 v72, v[60:61]
	v_add_f64 v[70:71], v[52:53], 1.0
	v_subbrev_co_u32_e32 v82, vcc, 0, v72, vcc
	v_rcp_f64_e32 v[72:73], v[70:71]
	v_add_f64 v[76:77], v[70:71], -1.0
	v_add_f64 v[74:75], v[52:53], -1.0
	v_add_f64 v[52:53], v[52:53], -v[76:77]
	v_fma_f64 v[76:77], -v[70:71], v[72:73], 1.0
	v_fmac_f64_e32 v[72:73], v[76:77], v[72:73]
	v_fma_f64 v[76:77], -v[70:71], v[72:73], 1.0
	v_fmac_f64_e32 v[72:73], v[76:77], v[72:73]
	v_mul_f64 v[76:77], v[74:75], v[72:73]
	v_mul_f64 v[78:79], v[70:71], v[76:77]
	v_fma_f64 v[70:71], v[76:77], v[70:71], -v[78:79]
	v_fmac_f64_e32 v[70:71], v[76:77], v[52:53]
	v_add_f64 v[52:53], v[78:79], v[70:71]
	v_add_f64 v[80:81], v[74:75], -v[52:53]
	v_add_f64 v[78:79], v[52:53], -v[78:79]
	;; [unrolled: 1-line block ×5, first 2 shown]
	v_add_f64 v[52:53], v[70:71], v[52:53]
	v_add_f64 v[52:53], v[80:81], v[52:53]
	v_mul_f64 v[52:53], v[72:73], v[52:53]
	v_add_f64 v[70:71], v[76:77], v[52:53]
	v_add_f64 v[72:73], v[70:71], -v[76:77]
	s_mov_b32 s10, 0xbf559e2b
	v_add_f64 v[52:53], v[52:53], -v[72:73]
	v_mul_f64 v[72:73], v[70:71], v[70:71]
	v_mov_b32_e32 v74, 0x6b47b09a
	v_mov_b32_e32 v75, 0x3fc38538
	s_mov_b32 s11, 0x3fc3ab76
	v_fmac_f64_e32 v[74:75], s[10:11], v[72:73]
	v_mov_b32_e32 v76, 0xd7f4df2e
	v_mov_b32_e32 v77, 0x3fc7474d
	v_fmac_f64_e32 v[76:77], v[72:73], v[74:75]
	v_mov_b32_e32 v74, 0x16291751
	v_mov_b32_e32 v75, 0x3fcc71c0
	;; [unrolled: 3-line block ×5, first 2 shown]
	v_fmac_f64_e32 v[76:77], v[72:73], v[74:75]
	v_ldexp_f64 v[74:75], v[70:71], 1
	v_mul_f64 v[70:71], v[70:71], v[72:73]
	v_mul_f64 v[70:71], v[70:71], v[76:77]
	v_add_f64 v[72:73], v[74:75], v[70:71]
	v_add_f64 v[74:75], v[72:73], -v[74:75]
	v_ldexp_f64 v[52:53], v[52:53], 1
	v_add_f64 v[70:71], v[70:71], -v[74:75]
	v_add_f64 v[52:53], v[52:53], v[70:71]
	v_add_f64 v[70:71], v[72:73], v[52:53]
	v_add_f64 v[72:73], v[70:71], -v[72:73]
	s_mov_b32 s10, 0xfefa39ef
	v_add_f64 v[52:53], v[52:53], -v[72:73]
	v_cvt_f64_i32_e32 v[72:73], v82
	s_mov_b32 s11, 0x3fe62e42
	v_mul_f64 v[74:75], v[72:73], s[10:11]
	v_fma_f64 v[76:77], v[72:73], s[10:11], -v[74:75]
	s_mov_b32 s10, 0x3b39803f
	s_mov_b32 s11, 0x3c7abc9e
	v_fmac_f64_e32 v[76:77], s[10:11], v[72:73]
	v_add_f64 v[72:73], v[74:75], v[76:77]
	v_add_f64 v[74:75], v[72:73], -v[74:75]
	v_add_f64 v[74:75], v[76:77], -v[74:75]
	v_add_f64 v[76:77], v[72:73], v[70:71]
	v_add_f64 v[78:79], v[76:77], -v[72:73]
	v_add_f64 v[80:81], v[76:77], -v[78:79]
	;; [unrolled: 1-line block ×4, first 2 shown]
	v_add_f64 v[70:71], v[70:71], v[72:73]
	v_add_f64 v[72:73], v[74:75], v[52:53]
	v_add_f64 v[78:79], v[72:73], -v[74:75]
	v_add_f64 v[80:81], v[72:73], -v[78:79]
	v_add_f64 v[70:71], v[72:73], v[70:71]
	v_add_f64 v[74:75], v[74:75], -v[80:81]
	v_add_f64 v[52:53], v[52:53], -v[78:79]
	v_add_f64 v[72:73], v[76:77], v[70:71]
	v_add_f64 v[52:53], v[52:53], v[74:75]
	v_add_f64 v[74:75], v[72:73], -v[76:77]
	v_add_f64 v[70:71], v[70:71], -v[74:75]
	v_add_f64 v[52:53], v[52:53], v[70:71]
	s_movk_i32 s10, 0x204
	v_add_f64 v[52:53], v[72:73], v[52:53]
	v_cmp_class_f64_e64 vcc, v[60:61], s10
	v_cndmask_b32_e32 v52, v52, v60, vcc
	v_cndmask_b32_e32 v53, v53, v61, vcc
	v_mov_b32_e32 v70, 0x7ff80000
	v_cmp_ngt_f64_e32 vcc, 0, v[60:61]
	v_cndmask_b32_e32 v53, v70, v53, vcc
	v_cmp_nge_f64_e32 vcc, 0, v[60:61]
	v_cndmask_b32_e32 v52, 0, v52, vcc
	v_mov_b32_e32 v70, 0xfff00000
	v_cmp_neq_f64_e32 vcc, 0, v[60:61]
	v_cndmask_b32_e32 v53, v70, v53, vcc
	v_mov_b32_e32 v60, s69
	v_add_co_u32_e32 v0, vcc, s68, v0
	v_addc_co_u32_e32 v1, vcc, v60, v1, vcc
	v_add_f64 v[6:7], v[6:7], -v[52:53]
	global_store_dwordx2 v[0:1], v[6:7], off
	s_and_b64 exec, exec, s[0:1]
	s_cbranch_execz .LBB22_98
; %bb.67:
	v_add_f64 v[6:7], v[22:23], -v[52:53]
	global_store_dwordx2 v[0:1], v[6:7], off offset:512
	s_and_b64 exec, exec, s[2:3]
	s_cbranch_execz .LBB22_98
; %bb.68:
	v_add_f64 v[6:7], v[32:33], -v[52:53]
	global_store_dwordx2 v[0:1], v[6:7], off offset:1024
	;; [unrolled: 5-line block ×4, first 2 shown]
	s_and_b64 exec, exec, s[8:9]
	s_cbranch_execz .LBB22_98
; %bb.71:
	v_readlane_b32 s0, v88, 0
	v_add_f64 v[6:7], v[50:51], -v[52:53]
	v_readlane_b32 s1, v88, 1
	global_store_dwordx2 v[0:1], v[6:7], off offset:2560
	s_and_b64 exec, exec, s[0:1]
	s_cbranch_execz .LBB22_98
; %bb.72:
	v_add_f64 v[6:7], v[58:59], -v[52:53]
	global_store_dwordx2 v[0:1], v[6:7], off offset:3072
	s_and_b64 exec, exec, s[12:13]
	s_cbranch_execz .LBB22_98
; %bb.73:
	v_add_f64 v[6:7], v[66:67], -v[52:53]
	global_store_dwordx2 v[0:1], v[6:7], off offset:3584
	s_and_b64 exec, exec, s[14:15]
	s_cbranch_execz .LBB22_98
; %bb.74:
	v_add_co_u32_e32 v22, vcc, 0x1000, v0
	v_add_f64 v[6:7], v[68:69], -v[52:53]
	v_addc_co_u32_e32 v23, vcc, 0, v1, vcc
	global_store_dwordx2 v[22:23], v[6:7], off
	s_and_b64 exec, exec, s[16:17]
	s_cbranch_execz .LBB22_98
; %bb.75:
	v_add_co_u32_e32 v22, vcc, 0x1000, v0
	v_add_f64 v[6:7], v[62:63], -v[52:53]
	v_addc_co_u32_e32 v23, vcc, 0, v1, vcc
	global_store_dwordx2 v[22:23], v[6:7], off offset:512
	s_and_b64 exec, exec, s[18:19]
	s_cbranch_execz .LBB22_98
; %bb.76:
	v_add_co_u32_e32 v22, vcc, 0x1000, v0
	v_add_f64 v[6:7], v[64:65], -v[52:53]
	v_addc_co_u32_e32 v23, vcc, 0, v1, vcc
	global_store_dwordx2 v[22:23], v[6:7], off offset:1024
	;; [unrolled: 7-line block ×7, first 2 shown]
	s_and_b64 exec, exec, s[30:31]
	s_cbranch_execz .LBB22_98
; %bb.82:
	v_add_co_u32_e32 v22, vcc, 0x2000, v0
	v_add_f64 v[6:7], v[42:43], -v[52:53]
	v_addc_co_u32_e32 v23, vcc, 0, v1, vcc
	global_store_dwordx2 v[22:23], v[6:7], off
	s_and_b64 exec, exec, s[34:35]
	s_cbranch_execz .LBB22_98
; %bb.83:
	v_add_co_u32_e32 v22, vcc, 0x2000, v0
	v_add_f64 v[6:7], v[34:35], -v[52:53]
	v_addc_co_u32_e32 v23, vcc, 0, v1, vcc
	global_store_dwordx2 v[22:23], v[6:7], off offset:512
	s_and_b64 exec, exec, s[36:37]
	s_cbranch_execz .LBB22_98
; %bb.84:
	v_add_co_u32_e32 v22, vcc, 0x2000, v0
	v_add_f64 v[6:7], v[36:37], -v[52:53]
	v_addc_co_u32_e32 v23, vcc, 0, v1, vcc
	global_store_dwordx2 v[22:23], v[6:7], off offset:1024
	;; [unrolled: 7-line block ×6, first 2 shown]
	s_and_b64 exec, exec, s[48:49]
	s_cbranch_execz .LBB22_98
; %bb.89:
	v_add_f64 v[6:7], v[18:19], -v[52:53]
	v_add_co_u32_e32 v18, vcc, 0x2000, v0
	v_addc_co_u32_e32 v19, vcc, 0, v1, vcc
	global_store_dwordx2 v[18:19], v[6:7], off offset:3584
	s_and_b64 exec, exec, s[50:51]
	s_cbranch_execz .LBB22_98
; %bb.90:
	v_add_co_u32_e32 v18, vcc, 0x3000, v0
	v_add_f64 v[6:7], v[20:21], -v[52:53]
	v_addc_co_u32_e32 v19, vcc, 0, v1, vcc
	global_store_dwordx2 v[18:19], v[6:7], off
	s_and_b64 exec, exec, s[52:53]
	s_cbranch_execz .LBB22_98
; %bb.91:
	v_add_f64 v[6:7], v[14:15], -v[52:53]
	v_add_co_u32_e32 v14, vcc, 0x3000, v0
	v_addc_co_u32_e32 v15, vcc, 0, v1, vcc
	global_store_dwordx2 v[14:15], v[6:7], off offset:512
	s_and_b64 exec, exec, s[54:55]
	s_cbranch_execz .LBB22_98
; %bb.92:
	v_add_co_u32_e32 v14, vcc, 0x3000, v0
	v_add_f64 v[6:7], v[16:17], -v[52:53]
	v_addc_co_u32_e32 v15, vcc, 0, v1, vcc
	global_store_dwordx2 v[14:15], v[6:7], off offset:1024
	s_and_b64 exec, exec, s[56:57]
	s_cbranch_execz .LBB22_98
; %bb.93:
	v_add_f64 v[6:7], v[10:11], -v[52:53]
	v_add_co_u32_e32 v10, vcc, 0x3000, v0
	v_addc_co_u32_e32 v11, vcc, 0, v1, vcc
	global_store_dwordx2 v[10:11], v[6:7], off offset:1536
	s_and_b64 exec, exec, s[58:59]
	s_cbranch_execz .LBB22_98
; %bb.94:
	v_add_co_u32_e32 v10, vcc, 0x3000, v0
	v_add_f64 v[6:7], v[12:13], -v[52:53]
	v_addc_co_u32_e32 v11, vcc, 0, v1, vcc
	global_store_dwordx2 v[10:11], v[6:7], off offset:2048
	s_and_b64 exec, exec, s[60:61]
	s_cbranch_execz .LBB22_98
; %bb.95:
	v_add_co_u32_e32 v6, vcc, 0x3000, v0
	v_add_f64 v[4:5], v[4:5], -v[52:53]
	;; [unrolled: 7-line block ×4, first 2 shown]
	v_addc_co_u32_e32 v1, vcc, 0, v1, vcc
	global_store_dwordx2 v[0:1], v[2:3], off offset:3584
.LBB22_98:
	s_endpgm
	.section	.rodata,"a",@progbits
	.p2align	6, 0x0
	.amdhsa_kernel _ZN12_GLOBAL__N_120softmax_warp_forwardIdddLi11ELb1ELb0ELi64EEEvPT0_PKT_iiiPKbib
		.amdhsa_group_segment_fixed_size 0
		.amdhsa_private_segment_fixed_size 0
		.amdhsa_kernarg_size 304
		.amdhsa_user_sgpr_count 6
		.amdhsa_user_sgpr_private_segment_buffer 1
		.amdhsa_user_sgpr_dispatch_ptr 0
		.amdhsa_user_sgpr_queue_ptr 0
		.amdhsa_user_sgpr_kernarg_segment_ptr 1
		.amdhsa_user_sgpr_dispatch_id 0
		.amdhsa_user_sgpr_flat_scratch_init 0
		.amdhsa_user_sgpr_kernarg_preload_length 0
		.amdhsa_user_sgpr_kernarg_preload_offset 0
		.amdhsa_user_sgpr_private_segment_size 0
		.amdhsa_uses_dynamic_stack 0
		.amdhsa_system_sgpr_private_segment_wavefront_offset 0
		.amdhsa_system_sgpr_workgroup_id_x 1
		.amdhsa_system_sgpr_workgroup_id_y 0
		.amdhsa_system_sgpr_workgroup_id_z 0
		.amdhsa_system_sgpr_workgroup_info 0
		.amdhsa_system_vgpr_workitem_id 1
		.amdhsa_next_free_vgpr 89
		.amdhsa_next_free_sgpr 96
		.amdhsa_accum_offset 92
		.amdhsa_reserve_vcc 1
		.amdhsa_reserve_flat_scratch 0
		.amdhsa_float_round_mode_32 0
		.amdhsa_float_round_mode_16_64 0
		.amdhsa_float_denorm_mode_32 3
		.amdhsa_float_denorm_mode_16_64 3
		.amdhsa_dx10_clamp 1
		.amdhsa_ieee_mode 1
		.amdhsa_fp16_overflow 0
		.amdhsa_tg_split 0
		.amdhsa_exception_fp_ieee_invalid_op 0
		.amdhsa_exception_fp_denorm_src 0
		.amdhsa_exception_fp_ieee_div_zero 0
		.amdhsa_exception_fp_ieee_overflow 0
		.amdhsa_exception_fp_ieee_underflow 0
		.amdhsa_exception_fp_ieee_inexact 0
		.amdhsa_exception_int_div_zero 0
	.end_amdhsa_kernel
	.section	.text._ZN12_GLOBAL__N_120softmax_warp_forwardIdddLi11ELb1ELb0ELi64EEEvPT0_PKT_iiiPKbib,"axG",@progbits,_ZN12_GLOBAL__N_120softmax_warp_forwardIdddLi11ELb1ELb0ELi64EEEvPT0_PKT_iiiPKbib,comdat
.Lfunc_end22:
	.size	_ZN12_GLOBAL__N_120softmax_warp_forwardIdddLi11ELb1ELb0ELi64EEEvPT0_PKT_iiiPKbib, .Lfunc_end22-_ZN12_GLOBAL__N_120softmax_warp_forwardIdddLi11ELb1ELb0ELi64EEEvPT0_PKT_iiiPKbib
                                        ; -- End function
	.section	.AMDGPU.csdata,"",@progbits
; Kernel info:
; codeLenInByte = 10444
; NumSgprs: 100
; NumVgprs: 89
; NumAgprs: 0
; TotalNumVgprs: 89
; ScratchSize: 0
; MemoryBound: 0
; FloatMode: 240
; IeeeMode: 1
; LDSByteSize: 0 bytes/workgroup (compile time only)
; SGPRBlocks: 12
; VGPRBlocks: 11
; NumSGPRsForWavesPerEU: 100
; NumVGPRsForWavesPerEU: 89
; AccumOffset: 92
; Occupancy: 5
; WaveLimiterHint : 0
; COMPUTE_PGM_RSRC2:SCRATCH_EN: 0
; COMPUTE_PGM_RSRC2:USER_SGPR: 6
; COMPUTE_PGM_RSRC2:TRAP_HANDLER: 0
; COMPUTE_PGM_RSRC2:TGID_X_EN: 1
; COMPUTE_PGM_RSRC2:TGID_Y_EN: 0
; COMPUTE_PGM_RSRC2:TGID_Z_EN: 0
; COMPUTE_PGM_RSRC2:TIDIG_COMP_CNT: 1
; COMPUTE_PGM_RSRC3_GFX90A:ACCUM_OFFSET: 22
; COMPUTE_PGM_RSRC3_GFX90A:TG_SPLIT: 0
	.section	.text._ZN12_GLOBAL__N_120softmax_warp_forwardIdddLi11ELb1ELb0ELi32EEEvPT0_PKT_iiiPKbib,"axG",@progbits,_ZN12_GLOBAL__N_120softmax_warp_forwardIdddLi11ELb1ELb0ELi32EEEvPT0_PKT_iiiPKbib,comdat
	.globl	_ZN12_GLOBAL__N_120softmax_warp_forwardIdddLi11ELb1ELb0ELi32EEEvPT0_PKT_iiiPKbib ; -- Begin function _ZN12_GLOBAL__N_120softmax_warp_forwardIdddLi11ELb1ELb0ELi32EEEvPT0_PKT_iiiPKbib
	.p2align	8
	.type	_ZN12_GLOBAL__N_120softmax_warp_forwardIdddLi11ELb1ELb0ELi32EEEvPT0_PKT_iiiPKbib,@function
_ZN12_GLOBAL__N_120softmax_warp_forwardIdddLi11ELb1ELb0ELi32EEEvPT0_PKT_iiiPKbib: ; @_ZN12_GLOBAL__N_120softmax_warp_forwardIdddLi11ELb1ELb0ELi32EEEvPT0_PKT_iiiPKbib
; %bb.0:
	s_mov_b64 s[98:99], s[2:3]
	s_mov_b64 s[96:97], s[0:1]
	s_load_dword s0, s[4:5], 0x3c
	s_load_dwordx8 s[48:55], s[4:5], 0x0
	s_add_u32 s96, s96, s7
	s_addc_u32 s97, s97, 0
	v_bfe_u32 v1, v0, 10, 10
	s_waitcnt lgkmcnt(0)
	s_lshr_b32 s0, s0, 16
	s_mul_i32 s6, s6, s0
	v_add_u32_e32 v1, s6, v1
	v_and_b32_e32 v14, 0x3ff, v0
	v_sub_u32_e32 v4, s52, v1
	v_mad_u64_u32 v[0:1], s[0:1], v1, s53, v[14:15]
	v_ashrrev_i32_e32 v1, 31, v0
	v_lshlrev_b64 v[2:3], 3, v[0:1]
	v_add_co_u32_e32 v88, vcc, s50, v2
	buffer_store_dword v2, off, s[96:99], 0 offset:136 ; 4-byte Folded Spill
	s_nop 0
	buffer_store_dword v3, off, s[96:99], 0 offset:140 ; 4-byte Folded Spill
	v_mov_b32_e32 v10, 0
	v_mov_b32_e32 v0, s51
	v_cmp_lt_i32_e64 s[40:41], 0, v4
	v_cmp_gt_i32_e64 s[44:45], s54, v14
	v_mov_b32_e32 v11, 0xfff00000
	s_and_b64 s[2:3], s[40:41], s[44:45]
	v_pk_mov_b32 v[98:99], v[10:11], v[10:11] op_sel:[0,1]
	buffer_store_dword v4, off, s[96:99], 0 offset:24 ; 4-byte Folded Spill
	v_addc_co_u32_e32 v89, vcc, v0, v3, vcc
	s_and_saveexec_b64 s[0:1], s[2:3]
	s_cbranch_execz .LBB23_2
; %bb.1:
	global_load_dwordx2 v[98:99], v[88:89], off
.LBB23_2:
	s_or_b64 exec, exec, s[0:1]
	v_add_u32_e32 v0, 32, v14
	v_cmp_gt_i32_e64 s[0:1], s54, v0
	s_and_b64 s[4:5], s[40:41], s[0:1]
	s_and_saveexec_b64 s[2:3], s[4:5]
	s_cbranch_execz .LBB23_4
; %bb.3:
	global_load_dwordx2 v[10:11], v[88:89], off offset:256
.LBB23_4:
	s_or_b64 exec, exec, s[2:3]
	v_add_u32_e32 v0, 64, v14
	v_cmp_gt_i32_e64 s[2:3], s54, v0
                                        ; implicit-def: $vgpr126 : SGPR spill to VGPR lane
	v_mov_b32_e32 v72, 0
	v_writelane_b32 v126, s2, 0
	v_mov_b32_e32 v73, 0xfff00000
	v_writelane_b32 v126, s3, 1
	s_and_b64 s[4:5], s[40:41], s[2:3]
	v_pk_mov_b32 v[6:7], v[72:73], v[72:73] op_sel:[0,1]
	s_and_saveexec_b64 s[2:3], s[4:5]
	s_cbranch_execz .LBB23_6
; %bb.5:
	global_load_dwordx2 v[6:7], v[88:89], off offset:512
.LBB23_6:
	s_or_b64 exec, exec, s[2:3]
	v_add_u32_e32 v0, 0x60, v14
	v_cmp_gt_i32_e64 s[2:3], s54, v0
	v_writelane_b32 v126, s2, 2
	v_writelane_b32 v126, s3, 3
	s_and_b64 s[4:5], s[40:41], s[2:3]
	s_and_saveexec_b64 s[2:3], s[4:5]
	s_cbranch_execz .LBB23_8
; %bb.7:
	global_load_dwordx2 v[72:73], v[88:89], off offset:768
.LBB23_8:
	s_or_b64 exec, exec, s[2:3]
	v_add_u32_e32 v0, 0x80, v14
	v_cmp_gt_i32_e64 s[2:3], s54, v0
	v_mov_b32_e32 v84, 0
	v_writelane_b32 v126, s2, 4
	v_mov_b32_e32 v85, 0xfff00000
	v_writelane_b32 v126, s3, 5
	s_and_b64 s[4:5], s[40:41], s[2:3]
	v_pk_mov_b32 v[78:79], v[84:85], v[84:85] op_sel:[0,1]
	s_and_saveexec_b64 s[2:3], s[4:5]
	s_cbranch_execz .LBB23_10
; %bb.9:
	global_load_dwordx2 v[78:79], v[88:89], off offset:1024
.LBB23_10:
	s_or_b64 exec, exec, s[2:3]
	v_add_u32_e32 v0, 0xa0, v14
	v_cmp_gt_i32_e64 s[2:3], s54, v0
	v_writelane_b32 v126, s2, 6
	v_writelane_b32 v126, s3, 7
	s_and_b64 s[4:5], s[40:41], s[2:3]
	s_and_saveexec_b64 s[2:3], s[4:5]
	s_cbranch_execz .LBB23_12
; %bb.11:
	global_load_dwordx2 v[84:85], v[88:89], off offset:1280
.LBB23_12:
	s_or_b64 exec, exec, s[2:3]
	v_add_u32_e32 v0, 0xc0, v14
	v_cmp_gt_i32_e64 s[2:3], s54, v0
	;; [unrolled: 25-line block ×7, first 2 shown]
	v_mov_b32_e32 v114, 0
	v_writelane_b32 v126, s2, 28
	v_mov_b32_e32 v115, 0xfff00000
	v_writelane_b32 v126, s3, 29
	s_and_b64 s[4:5], s[40:41], s[2:3]
	v_pk_mov_b32 v[124:125], v[114:115], v[114:115] op_sel:[0,1]
	s_and_saveexec_b64 s[2:3], s[4:5]
	s_cbranch_execz .LBB23_34
; %bb.33:
	v_add_co_u32_e32 v2, vcc, 0x1000, v88
	v_addc_co_u32_e32 v3, vcc, 0, v89, vcc
	global_load_dwordx2 v[124:125], v[2:3], off
.LBB23_34:
	s_or_b64 exec, exec, s[2:3]
	v_add_u32_e32 v2, 0x220, v14
	v_cmp_gt_i32_e64 s[2:3], s54, v2
	v_writelane_b32 v126, s2, 30
	v_writelane_b32 v126, s3, 31
	s_and_b64 s[4:5], s[40:41], s[2:3]
	s_and_saveexec_b64 s[2:3], s[4:5]
	s_cbranch_execz .LBB23_36
; %bb.35:
	v_add_co_u32_e32 v2, vcc, 0x1000, v88
	v_addc_co_u32_e32 v3, vcc, 0, v89, vcc
	global_load_dwordx2 v[114:115], v[2:3], off offset:256
.LBB23_36:
	s_or_b64 exec, exec, s[2:3]
	v_add_u32_e32 v2, 0x240, v14
	v_cmp_gt_i32_e64 s[2:3], s54, v2
	v_mov_b32_e32 v110, 0
	v_writelane_b32 v126, s2, 32
	v_mov_b32_e32 v111, 0xfff00000
	v_writelane_b32 v126, s3, 33
	s_and_b64 s[4:5], s[40:41], s[2:3]
	v_pk_mov_b32 v[118:119], v[110:111], v[110:111] op_sel:[0,1]
	s_and_saveexec_b64 s[2:3], s[4:5]
	s_cbranch_execz .LBB23_38
; %bb.37:
	v_add_co_u32_e32 v2, vcc, 0x1000, v88
	v_addc_co_u32_e32 v3, vcc, 0, v89, vcc
	global_load_dwordx2 v[118:119], v[2:3], off offset:512
.LBB23_38:
	s_or_b64 exec, exec, s[2:3]
	v_add_u32_e32 v2, 0x260, v14
	v_cmp_gt_i32_e64 s[2:3], s54, v2
	v_writelane_b32 v126, s2, 34
	v_writelane_b32 v126, s3, 35
	s_and_b64 s[4:5], s[40:41], s[2:3]
	s_and_saveexec_b64 s[2:3], s[4:5]
	s_cbranch_execz .LBB23_40
; %bb.39:
	v_add_co_u32_e32 v2, vcc, 0x1000, v88
	v_addc_co_u32_e32 v3, vcc, 0, v89, vcc
	global_load_dwordx2 v[110:111], v[2:3], off offset:768
.LBB23_40:
	s_or_b64 exec, exec, s[2:3]
	v_add_u32_e32 v2, 0x280, v14
	v_cmp_gt_i32_e64 s[2:3], s54, v2
	v_writelane_b32 v126, s2, 36
	v_mov_b32_e32 v104, 0
	v_writelane_b32 v126, s3, 37
	s_and_b64 s[4:5], s[40:41], s[2:3]
	v_mov_b32_e32 v105, 0xfff00000
	buffer_store_dword v104, off, s[96:99], 0 offset:16 ; 4-byte Folded Spill
	s_nop 0
	buffer_store_dword v105, off, s[96:99], 0 offset:20 ; 4-byte Folded Spill
	s_and_saveexec_b64 s[2:3], s[4:5]
	s_cbranch_execz .LBB23_42
; %bb.41:
	v_add_co_u32_e32 v2, vcc, 0x1000, v88
	v_addc_co_u32_e32 v3, vcc, 0, v89, vcc
	global_load_dwordx2 v[2:3], v[2:3], off offset:1024
	s_waitcnt vmcnt(0)
	buffer_store_dword v2, off, s[96:99], 0 offset:16 ; 4-byte Folded Spill
	s_nop 0
	buffer_store_dword v3, off, s[96:99], 0 offset:20 ; 4-byte Folded Spill
.LBB23_42:
	s_or_b64 exec, exec, s[2:3]
	v_add_u32_e32 v2, 0x2a0, v14
	v_cmp_gt_i32_e64 s[2:3], s54, v2
	v_writelane_b32 v126, s2, 38
	v_writelane_b32 v126, s3, 39
	s_and_b64 s[4:5], s[40:41], s[2:3]
	s_and_saveexec_b64 s[2:3], s[4:5]
	s_cbranch_execz .LBB23_44
; %bb.43:
	v_add_co_u32_e32 v2, vcc, 0x1000, v88
	v_addc_co_u32_e32 v3, vcc, 0, v89, vcc
	global_load_dwordx2 v[104:105], v[2:3], off offset:1280
.LBB23_44:
	s_or_b64 exec, exec, s[2:3]
	v_add_u32_e32 v2, 0x2c0, v14
	v_cmp_gt_i32_e64 s[2:3], s54, v2
	v_mov_b32_e32 v96, 0
	v_writelane_b32 v126, s2, 40
	v_mov_b32_e32 v97, 0xfff00000
	v_writelane_b32 v126, s3, 41
	s_and_b64 s[4:5], s[40:41], s[2:3]
	v_pk_mov_b32 v[112:113], v[96:97], v[96:97] op_sel:[0,1]
	s_and_saveexec_b64 s[2:3], s[4:5]
	s_cbranch_execz .LBB23_46
; %bb.45:
	v_add_co_u32_e32 v2, vcc, 0x1000, v88
	v_addc_co_u32_e32 v3, vcc, 0, v89, vcc
	global_load_dwordx2 v[112:113], v[2:3], off offset:1536
.LBB23_46:
	s_or_b64 exec, exec, s[2:3]
	v_add_u32_e32 v2, 0x2e0, v14
	v_cmp_gt_i32_e64 s[2:3], s54, v2
	v_writelane_b32 v126, s2, 42
	v_writelane_b32 v126, s3, 43
	s_and_b64 s[4:5], s[40:41], s[2:3]
	s_and_saveexec_b64 s[2:3], s[4:5]
	s_cbranch_execz .LBB23_48
; %bb.47:
	v_add_co_u32_e32 v2, vcc, 0x1000, v88
	v_addc_co_u32_e32 v3, vcc, 0, v89, vcc
	global_load_dwordx2 v[96:97], v[2:3], off offset:1792
.LBB23_48:
	s_or_b64 exec, exec, s[2:3]
	v_add_u32_e32 v2, 0x300, v14
	v_cmp_gt_i32_e64 s[2:3], s54, v2
	v_writelane_b32 v126, s2, 44
	v_mov_b32_e32 v90, 0
	v_writelane_b32 v126, s3, 45
	s_and_b64 s[4:5], s[40:41], s[2:3]
	v_mov_b32_e32 v91, 0xfff00000
	buffer_store_dword v90, off, s[96:99], 0 offset:8 ; 4-byte Folded Spill
	s_nop 0
	buffer_store_dword v91, off, s[96:99], 0 offset:12 ; 4-byte Folded Spill
	s_and_saveexec_b64 s[2:3], s[4:5]
	s_cbranch_execz .LBB23_50
; %bb.49:
	v_add_co_u32_e32 v2, vcc, 0x1000, v88
	v_addc_co_u32_e32 v3, vcc, 0, v89, vcc
	global_load_dwordx2 v[2:3], v[2:3], off offset:2048
	s_waitcnt vmcnt(0)
	buffer_store_dword v2, off, s[96:99], 0 offset:8 ; 4-byte Folded Spill
	s_nop 0
	buffer_store_dword v3, off, s[96:99], 0 offset:12 ; 4-byte Folded Spill
.LBB23_50:
	s_or_b64 exec, exec, s[2:3]
	v_add_u32_e32 v2, 0x320, v14
	v_cmp_gt_i32_e64 s[2:3], s54, v2
	v_writelane_b32 v126, s2, 46
	v_writelane_b32 v126, s3, 47
	s_and_b64 s[4:5], s[40:41], s[2:3]
	s_and_saveexec_b64 s[2:3], s[4:5]
	s_cbranch_execz .LBB23_52
; %bb.51:
	v_add_co_u32_e32 v2, vcc, 0x1000, v88
	v_addc_co_u32_e32 v3, vcc, 0, v89, vcc
	global_load_dwordx2 v[90:91], v[2:3], off offset:2304
.LBB23_52:
	s_or_b64 exec, exec, s[2:3]
	v_add_u32_e32 v2, 0x340, v14
	v_cmp_gt_i32_e64 s[2:3], s54, v2
	v_writelane_b32 v126, s2, 48
	v_mov_b32_e32 v82, 0
	v_writelane_b32 v126, s3, 49
	s_and_b64 s[4:5], s[40:41], s[2:3]
	v_mov_b32_e32 v83, 0xfff00000
	buffer_store_dword v82, off, s[96:99], 0 ; 4-byte Folded Spill
	s_nop 0
	buffer_store_dword v83, off, s[96:99], 0 offset:4 ; 4-byte Folded Spill
	s_and_saveexec_b64 s[2:3], s[4:5]
	s_cbranch_execz .LBB23_54
; %bb.53:
	v_add_co_u32_e32 v2, vcc, 0x1000, v88
	v_addc_co_u32_e32 v3, vcc, 0, v89, vcc
	global_load_dwordx2 v[2:3], v[2:3], off offset:2560
	s_waitcnt vmcnt(0)
	buffer_store_dword v2, off, s[96:99], 0 ; 4-byte Folded Spill
	s_nop 0
	buffer_store_dword v3, off, s[96:99], 0 offset:4 ; 4-byte Folded Spill
.LBB23_54:
	s_or_b64 exec, exec, s[2:3]
	v_add_u32_e32 v2, 0x360, v14
	v_cmp_gt_i32_e64 s[2:3], s54, v2
	v_writelane_b32 v126, s2, 50
	v_writelane_b32 v126, s3, 51
	s_and_b64 s[4:5], s[40:41], s[2:3]
	s_and_saveexec_b64 s[2:3], s[4:5]
	s_cbranch_execz .LBB23_56
; %bb.55:
	v_add_co_u32_e32 v2, vcc, 0x1000, v88
	v_addc_co_u32_e32 v3, vcc, 0, v89, vcc
	global_load_dwordx2 v[82:83], v[2:3], off offset:2816
.LBB23_56:
	s_or_b64 exec, exec, s[2:3]
	v_add_u32_e32 v2, 0x380, v14
	v_cmp_gt_i32_e64 s[2:3], s54, v2
	v_mov_b32_e32 v76, 0
	v_writelane_b32 v126, s2, 52
	v_mov_b32_e32 v77, 0xfff00000
	v_writelane_b32 v126, s3, 53
	s_and_b64 s[4:5], s[40:41], s[2:3]
	v_pk_mov_b32 v[34:35], v[76:77], v[76:77] op_sel:[0,1]
	s_and_saveexec_b64 s[2:3], s[4:5]
	s_cbranch_execz .LBB23_58
; %bb.57:
	v_add_co_u32_e32 v2, vcc, 0x1000, v88
	v_addc_co_u32_e32 v3, vcc, 0, v89, vcc
	global_load_dwordx2 v[34:35], v[2:3], off offset:3072
.LBB23_58:
	s_or_b64 exec, exec, s[2:3]
	v_add_u32_e32 v2, 0x3a0, v14
	v_cmp_gt_i32_e64 s[2:3], s54, v2
	v_writelane_b32 v126, s2, 54
	v_writelane_b32 v126, s3, 55
	s_and_b64 s[4:5], s[40:41], s[2:3]
	s_and_saveexec_b64 s[2:3], s[4:5]
	s_cbranch_execz .LBB23_60
; %bb.59:
	v_add_co_u32_e32 v2, vcc, 0x1000, v88
	v_addc_co_u32_e32 v3, vcc, 0, v89, vcc
	global_load_dwordx2 v[76:77], v[2:3], off offset:3328
.LBB23_60:
	s_or_b64 exec, exec, s[2:3]
	v_add_u32_e32 v2, 0x3c0, v14
	v_cmp_gt_i32_e64 s[2:3], s54, v2
	v_mov_b32_e32 v70, 0
	v_writelane_b32 v126, s2, 56
	v_mov_b32_e32 v71, 0xfff00000
	v_writelane_b32 v126, s3, 57
	s_and_b64 s[4:5], s[40:41], s[2:3]
	v_pk_mov_b32 v[8:9], v[70:71], v[70:71] op_sel:[0,1]
	s_and_saveexec_b64 s[2:3], s[4:5]
	s_cbranch_execz .LBB23_62
; %bb.61:
	v_add_co_u32_e32 v2, vcc, 0x1000, v88
	v_addc_co_u32_e32 v3, vcc, 0, v89, vcc
	global_load_dwordx2 v[8:9], v[2:3], off offset:3584
.LBB23_62:
	s_or_b64 exec, exec, s[2:3]
	v_add_u32_e32 v2, 0x3e0, v14
	v_cmp_gt_i32_e64 s[2:3], s54, v2
	v_writelane_b32 v126, s2, 58
	v_writelane_b32 v126, s3, 59
	s_and_b64 s[4:5], s[40:41], s[2:3]
	s_and_saveexec_b64 s[2:3], s[4:5]
	s_cbranch_execz .LBB23_64
; %bb.63:
	v_add_co_u32_e32 v2, vcc, 0x1000, v88
	v_addc_co_u32_e32 v3, vcc, 0, v89, vcc
	global_load_dwordx2 v[70:71], v[2:3], off offset:3840
.LBB23_64:
	s_or_b64 exec, exec, s[2:3]
	v_or_b32_e32 v2, 0x400, v14
	v_cmp_gt_i32_e64 s[2:3], s54, v2
	v_mov_b32_e32 v4, 0
	v_writelane_b32 v126, s2, 60
	v_mov_b32_e32 v5, 0xfff00000
	v_writelane_b32 v126, s3, 61
	s_and_b64 s[4:5], s[40:41], s[2:3]
	v_pk_mov_b32 v[64:65], v[4:5], v[4:5] op_sel:[0,1]
	s_and_saveexec_b64 s[2:3], s[4:5]
	s_cbranch_execz .LBB23_66
; %bb.65:
	v_add_co_u32_e32 v2, vcc, 0x2000, v88
	v_addc_co_u32_e32 v3, vcc, 0, v89, vcc
	global_load_dwordx2 v[64:65], v[2:3], off
.LBB23_66:
	s_or_b64 exec, exec, s[2:3]
	v_add_u32_e32 v2, 0x420, v14
	v_cmp_gt_i32_e64 s[2:3], s54, v2
	v_writelane_b32 v126, s2, 62
	v_writelane_b32 v126, s3, 63
	s_and_b64 s[4:5], s[40:41], s[2:3]
	s_and_saveexec_b64 s[2:3], s[4:5]
	s_cbranch_execz .LBB23_68
; %bb.67:
	v_add_co_u32_e32 v2, vcc, 0x2000, v88
	v_addc_co_u32_e32 v3, vcc, 0, v89, vcc
	global_load_dwordx2 v[4:5], v[2:3], off offset:256
.LBB23_68:
	s_or_b64 exec, exec, s[2:3]
	v_add_u32_e32 v2, 0x440, v14
	v_cmp_gt_i32_e64 s[2:3], s54, v2
                                        ; implicit-def: $vgpr127 : SGPR spill to VGPR lane
	v_mov_b32_e32 v86, 0
	v_writelane_b32 v127, s2, 0
	v_mov_b32_e32 v87, 0xfff00000
	v_writelane_b32 v127, s3, 1
	s_and_b64 s[4:5], s[40:41], s[2:3]
	v_pk_mov_b32 v[60:61], v[86:87], v[86:87] op_sel:[0,1]
	s_and_saveexec_b64 s[2:3], s[4:5]
	s_cbranch_execz .LBB23_70
; %bb.69:
	v_add_co_u32_e32 v2, vcc, 0x2000, v88
	v_addc_co_u32_e32 v3, vcc, 0, v89, vcc
	global_load_dwordx2 v[60:61], v[2:3], off offset:512
.LBB23_70:
	s_or_b64 exec, exec, s[2:3]
	v_add_u32_e32 v2, 0x460, v14
	v_cmp_gt_i32_e64 s[72:73], s54, v2
	s_and_b64 s[4:5], s[40:41], s[72:73]
	s_and_saveexec_b64 s[2:3], s[4:5]
	s_cbranch_execz .LBB23_72
; %bb.71:
	v_add_co_u32_e32 v2, vcc, 0x2000, v88
	v_addc_co_u32_e32 v3, vcc, 0, v89, vcc
	global_load_dwordx2 v[86:87], v[2:3], off offset:768
.LBB23_72:
	s_or_b64 exec, exec, s[2:3]
	v_add_u32_e32 v2, 0x480, v14
	v_mov_b32_e32 v80, 0
	v_cmp_gt_i32_e64 s[74:75], s54, v2
	v_mov_b32_e32 v81, 0xfff00000
	s_and_b64 s[4:5], s[40:41], s[74:75]
	v_pk_mov_b32 v[54:55], v[80:81], v[80:81] op_sel:[0,1]
	s_and_saveexec_b64 s[2:3], s[4:5]
	s_cbranch_execz .LBB23_74
; %bb.73:
	v_add_co_u32_e32 v2, vcc, 0x2000, v88
	v_addc_co_u32_e32 v3, vcc, 0, v89, vcc
	global_load_dwordx2 v[54:55], v[2:3], off offset:1024
.LBB23_74:
	s_or_b64 exec, exec, s[2:3]
	v_add_u32_e32 v2, 0x4a0, v14
	v_cmp_gt_i32_e64 s[76:77], s54, v2
	s_and_b64 s[4:5], s[40:41], s[76:77]
	s_and_saveexec_b64 s[2:3], s[4:5]
	s_cbranch_execz .LBB23_76
; %bb.75:
	v_add_co_u32_e32 v2, vcc, 0x2000, v88
	v_addc_co_u32_e32 v3, vcc, 0, v89, vcc
	global_load_dwordx2 v[80:81], v[2:3], off offset:1280
.LBB23_76:
	s_or_b64 exec, exec, s[2:3]
	v_add_u32_e32 v2, 0x4c0, v14
	v_mov_b32_e32 v74, 0
	v_cmp_gt_i32_e64 s[78:79], s54, v2
	v_mov_b32_e32 v75, 0xfff00000
	;; [unrolled: 25-line block ×7, first 2 shown]
	s_and_b64 s[4:5], s[40:41], s[10:11]
	v_pk_mov_b32 v[28:29], v[30:31], v[30:31] op_sel:[0,1]
	s_and_saveexec_b64 s[2:3], s[4:5]
	s_cbranch_execz .LBB23_98
; %bb.97:
	v_add_co_u32_e32 v2, vcc, 0x3000, v88
	v_addc_co_u32_e32 v3, vcc, 0, v89, vcc
	global_load_dwordx2 v[28:29], v[2:3], off
.LBB23_98:
	s_or_b64 exec, exec, s[2:3]
	v_add_u32_e32 v2, 0x620, v14
	v_cmp_gt_i32_e64 s[14:15], s54, v2
	s_and_b64 s[4:5], s[40:41], s[14:15]
	s_and_saveexec_b64 s[2:3], s[4:5]
	s_cbranch_execz .LBB23_100
; %bb.99:
	v_add_co_u32_e32 v2, vcc, 0x3000, v88
	v_addc_co_u32_e32 v3, vcc, 0, v89, vcc
	global_load_dwordx2 v[30:31], v[2:3], off offset:256
.LBB23_100:
	s_or_b64 exec, exec, s[2:3]
	v_add_u32_e32 v2, 0x640, v14
	v_mov_b32_e32 v48, 0
	v_cmp_gt_i32_e64 s[16:17], s54, v2
	v_mov_b32_e32 v49, 0xfff00000
	s_and_b64 s[4:5], s[40:41], s[16:17]
	v_pk_mov_b32 v[24:25], v[48:49], v[48:49] op_sel:[0,1]
	s_and_saveexec_b64 s[2:3], s[4:5]
	s_cbranch_execz .LBB23_102
; %bb.101:
	v_add_co_u32_e32 v2, vcc, 0x3000, v88
	v_addc_co_u32_e32 v3, vcc, 0, v89, vcc
	global_load_dwordx2 v[24:25], v[2:3], off offset:512
.LBB23_102:
	s_or_b64 exec, exec, s[2:3]
	v_add_u32_e32 v2, 0x660, v14
	v_cmp_gt_i32_e64 s[8:9], s54, v2
	s_and_b64 s[4:5], s[40:41], s[8:9]
	s_and_saveexec_b64 s[2:3], s[4:5]
	s_cbranch_execz .LBB23_104
; %bb.103:
	v_add_co_u32_e32 v2, vcc, 0x3000, v88
	v_addc_co_u32_e32 v3, vcc, 0, v89, vcc
	global_load_dwordx2 v[48:49], v[2:3], off offset:768
.LBB23_104:
	s_or_b64 exec, exec, s[2:3]
	v_add_u32_e32 v2, 0x680, v14
	v_mov_b32_e32 v44, 0
	v_cmp_gt_i32_e64 s[18:19], s54, v2
	v_mov_b32_e32 v45, 0xfff00000
	s_and_b64 s[4:5], s[40:41], s[18:19]
	v_pk_mov_b32 v[20:21], v[44:45], v[44:45] op_sel:[0,1]
	s_and_saveexec_b64 s[2:3], s[4:5]
	s_cbranch_execz .LBB23_106
; %bb.105:
	v_add_co_u32_e32 v2, vcc, 0x3000, v88
	v_addc_co_u32_e32 v3, vcc, 0, v89, vcc
	global_load_dwordx2 v[20:21], v[2:3], off offset:1024
.LBB23_106:
	;; [unrolled: 25-line block ×6, first 2 shown]
	s_or_b64 exec, exec, s[2:3]
	v_add_u32_e32 v2, 0x7a0, v14
	v_cmp_gt_i32_e64 s[36:37], s54, v2
	s_and_b64 s[4:5], s[40:41], s[36:37]
	s_and_saveexec_b64 s[2:3], s[4:5]
	s_cbranch_execz .LBB23_124
; %bb.123:
	v_add_co_u32_e32 v2, vcc, 0x3000, v88
	v_addc_co_u32_e32 v3, vcc, 0, v89, vcc
	global_load_dwordx2 v[94:95], v[2:3], off offset:3328
.LBB23_124:
	s_or_b64 exec, exec, s[2:3]
	v_add_u32_e32 v2, 0x7c0, v14
	v_cmp_gt_i32_e64 s[38:39], s54, v2
	v_mov_b32_e32 v2, 0
	v_mov_b32_e32 v3, 0xfff00000
	s_and_b64 s[4:5], s[40:41], s[38:39]
	v_pk_mov_b32 v[18:19], v[2:3], v[2:3] op_sel:[0,1]
	s_and_saveexec_b64 s[2:3], s[4:5]
	s_cbranch_execz .LBB23_126
; %bb.125:
	v_add_co_u32_e32 v18, vcc, 0x3000, v88
	v_addc_co_u32_e32 v19, vcc, 0, v89, vcc
	global_load_dwordx2 v[18:19], v[18:19], off offset:3584
.LBB23_126:
	s_or_b64 exec, exec, s[2:3]
	v_add_u32_e32 v14, 0x7e0, v14
	v_cmp_gt_i32_e64 s[4:5], s54, v14
	s_and_b64 s[40:41], s[40:41], s[4:5]
	s_and_saveexec_b64 s[2:3], s[40:41]
	s_cbranch_execz .LBB23_128
; %bb.127:
	v_add_co_u32_e32 v2, vcc, 0x3000, v88
	v_addc_co_u32_e32 v3, vcc, 0, v89, vcc
	global_load_dwordx2 v[2:3], v[2:3], off offset:3840
.LBB23_128:
	s_or_b64 exec, exec, s[2:3]
	s_waitcnt vmcnt(6)
	v_cmp_gt_f64_e32 vcc, v[98:99], v[10:11]
	v_cndmask_b32_e32 v15, v11, v99, vcc
	v_cndmask_b32_e32 v14, v10, v98, vcc
	v_cmp_gt_f64_e32 vcc, v[14:15], v[6:7]
	v_cndmask_b32_e32 v15, v7, v15, vcc
	v_cndmask_b32_e32 v14, v6, v14, vcc
	;; [unrolled: 3-line block ×18, first 2 shown]
	buffer_store_dword v118, off, s[96:99], 0 offset:128 ; 4-byte Folded Spill
	s_nop 0
	buffer_store_dword v119, off, s[96:99], 0 offset:132 ; 4-byte Folded Spill
	buffer_load_dword v118, off, s[96:99], 0 offset:16 ; 4-byte Folded Reload
	s_nop 0
	buffer_load_dword v119, off, s[96:99], 0 offset:20 ; 4-byte Folded Reload
	v_cmp_gt_f64_e32 vcc, v[14:15], v[110:111]
	v_cndmask_b32_e32 v15, v111, v15, vcc
	v_cndmask_b32_e32 v14, v110, v14, vcc
	s_waitcnt vmcnt(4)
	v_pk_mov_b32 v[88:89], v[2:3], v[2:3] op_sel:[0,1]
	s_mov_b32 s54, 0x652b82fe
	s_mov_b32 s2, 0xfca7ab0c
	;; [unrolled: 1-line block ×28, first 2 shown]
	s_waitcnt vmcnt(0)
	v_cmp_gt_f64_e32 vcc, v[14:15], v[118:119]
	v_cndmask_b32_e32 v15, v119, v15, vcc
	v_cndmask_b32_e32 v14, v118, v14, vcc
	v_cmp_gt_f64_e32 vcc, v[14:15], v[104:105]
	v_cndmask_b32_e32 v15, v105, v15, vcc
	v_cndmask_b32_e32 v14, v104, v14, vcc
	;; [unrolled: 3-line block ×3, first 2 shown]
	buffer_store_dword v112, off, s[96:99], 0 offset:120 ; 4-byte Folded Spill
	s_nop 0
	buffer_store_dword v113, off, s[96:99], 0 offset:124 ; 4-byte Folded Spill
	buffer_load_dword v112, off, s[96:99], 0 offset:8 ; 4-byte Folded Reload
	s_nop 0
	buffer_load_dword v113, off, s[96:99], 0 offset:12 ; 4-byte Folded Reload
	buffer_load_dword v2, off, s[96:99], 0  ; 4-byte Folded Reload
	buffer_load_dword v3, off, s[96:99], 0 offset:4 ; 4-byte Folded Reload
	s_nop 0
	buffer_store_dword v44, off, s[96:99], 0 offset:104 ; 4-byte Folded Spill
	s_nop 0
	buffer_store_dword v45, off, s[96:99], 0 offset:108 ; 4-byte Folded Spill
	buffer_store_dword v40, off, s[96:99], 0 offset:96 ; 4-byte Folded Spill
	s_nop 0
	buffer_store_dword v41, off, s[96:99], 0 offset:100 ; 4-byte Folded Spill
	;; [unrolled: 3-line block ×5, first 2 shown]
	v_cmp_gt_f64_e32 vcc, v[14:15], v[96:97]
	v_cndmask_b32_e32 v15, v97, v15, vcc
	v_cndmask_b32_e32 v14, v96, v14, vcc
	buffer_store_dword v88, off, s[96:99], 0 offset:64 ; 4-byte Folded Spill
	s_nop 0
	buffer_store_dword v89, off, s[96:99], 0 offset:68 ; 4-byte Folded Spill
	s_waitcnt vmcnt(14)
	v_cmp_gt_f64_e32 vcc, v[14:15], v[112:113]
	v_cndmask_b32_e32 v15, v113, v15, vcc
	v_cndmask_b32_e32 v14, v112, v14, vcc
	v_cmp_gt_f64_e32 vcc, v[14:15], v[90:91]
	v_cndmask_b32_e32 v15, v91, v15, vcc
	v_cndmask_b32_e32 v14, v90, v14, vcc
	s_waitcnt vmcnt(12)
	v_cmp_gt_f64_e32 vcc, v[14:15], v[2:3]
	v_cndmask_b32_e32 v15, v3, v15, vcc
	v_cndmask_b32_e32 v14, v2, v14, vcc
	v_cmp_gt_f64_e32 vcc, v[14:15], v[82:83]
	v_cndmask_b32_e32 v15, v83, v15, vcc
	v_cndmask_b32_e32 v14, v82, v14, vcc
	v_cmp_gt_f64_e32 vcc, v[14:15], v[34:35]
	v_cndmask_b32_e32 v15, v35, v15, vcc
	v_cndmask_b32_e32 v14, v34, v14, vcc
	v_cmp_gt_f64_e32 vcc, v[14:15], v[76:77]
	v_cndmask_b32_e32 v15, v77, v15, vcc
	v_cndmask_b32_e32 v14, v76, v14, vcc
	v_cmp_gt_f64_e32 vcc, v[14:15], v[8:9]
	v_cndmask_b32_e32 v15, v9, v15, vcc
	v_cndmask_b32_e32 v14, v8, v14, vcc
	v_cmp_gt_f64_e32 vcc, v[14:15], v[70:71]
	v_cndmask_b32_e32 v15, v71, v15, vcc
	v_cndmask_b32_e32 v14, v70, v14, vcc
	v_cmp_gt_f64_e32 vcc, v[14:15], v[64:65]
	v_cndmask_b32_e32 v15, v65, v15, vcc
	v_cndmask_b32_e32 v14, v64, v14, vcc
	v_cmp_gt_f64_e32 vcc, v[14:15], v[4:5]
	v_cndmask_b32_e32 v15, v5, v15, vcc
	v_cndmask_b32_e32 v14, v4, v14, vcc
	v_cmp_gt_f64_e32 vcc, v[14:15], v[60:61]
	v_cndmask_b32_e32 v15, v61, v15, vcc
	v_cndmask_b32_e32 v14, v60, v14, vcc
	v_cmp_gt_f64_e32 vcc, v[14:15], v[86:87]
	v_cndmask_b32_e32 v15, v87, v15, vcc
	v_cndmask_b32_e32 v14, v86, v14, vcc
	v_cmp_gt_f64_e32 vcc, v[14:15], v[54:55]
	v_cndmask_b32_e32 v15, v55, v15, vcc
	v_cndmask_b32_e32 v14, v54, v14, vcc
	v_cmp_gt_f64_e32 vcc, v[14:15], v[80:81]
	v_cndmask_b32_e32 v15, v81, v15, vcc
	v_cndmask_b32_e32 v14, v80, v14, vcc
	v_cmp_gt_f64_e32 vcc, v[14:15], v[50:51]
	v_cndmask_b32_e32 v15, v51, v15, vcc
	v_cndmask_b32_e32 v14, v50, v14, vcc
	v_cmp_gt_f64_e32 vcc, v[14:15], v[74:75]
	v_cndmask_b32_e32 v15, v75, v15, vcc
	v_cndmask_b32_e32 v14, v74, v14, vcc
	v_cmp_gt_f64_e32 vcc, v[14:15], v[46:47]
	v_cndmask_b32_e32 v15, v47, v15, vcc
	v_cndmask_b32_e32 v14, v46, v14, vcc
	v_cmp_gt_f64_e32 vcc, v[14:15], v[68:69]
	v_cndmask_b32_e32 v15, v69, v15, vcc
	v_cndmask_b32_e32 v14, v68, v14, vcc
	v_cmp_gt_f64_e32 vcc, v[14:15], v[42:43]
	v_cndmask_b32_e32 v15, v43, v15, vcc
	v_cndmask_b32_e32 v14, v42, v14, vcc
	v_cmp_gt_f64_e32 vcc, v[14:15], v[62:63]
	v_cndmask_b32_e32 v15, v63, v15, vcc
	v_cndmask_b32_e32 v14, v62, v14, vcc
	v_cmp_gt_f64_e32 vcc, v[14:15], v[38:39]
	v_cndmask_b32_e32 v15, v39, v15, vcc
	v_cndmask_b32_e32 v14, v38, v14, vcc
	v_cmp_gt_f64_e32 vcc, v[14:15], v[58:59]
	v_cndmask_b32_e32 v15, v59, v15, vcc
	v_cndmask_b32_e32 v14, v58, v14, vcc
	v_cmp_gt_f64_e32 vcc, v[14:15], v[52:53]
	v_cndmask_b32_e32 v15, v53, v15, vcc
	v_cndmask_b32_e32 v14, v52, v14, vcc
	v_cmp_gt_f64_e32 vcc, v[14:15], v[32:33]
	v_cndmask_b32_e32 v15, v33, v15, vcc
	v_cndmask_b32_e32 v14, v32, v14, vcc
	v_cmp_gt_f64_e32 vcc, v[14:15], v[28:29]
	v_cndmask_b32_e32 v15, v29, v15, vcc
	v_cndmask_b32_e32 v14, v28, v14, vcc
	v_cmp_gt_f64_e32 vcc, v[14:15], v[30:31]
	v_cndmask_b32_e32 v15, v31, v15, vcc
	v_cndmask_b32_e32 v14, v30, v14, vcc
	v_cmp_gt_f64_e32 vcc, v[14:15], v[24:25]
	v_cndmask_b32_e32 v15, v25, v15, vcc
	v_cndmask_b32_e32 v14, v24, v14, vcc
	v_cmp_gt_f64_e32 vcc, v[14:15], v[48:49]
	v_cndmask_b32_e32 v15, v49, v15, vcc
	v_cndmask_b32_e32 v14, v48, v14, vcc
	v_cmp_gt_f64_e32 vcc, v[14:15], v[20:21]
	v_cndmask_b32_e32 v15, v21, v15, vcc
	v_cndmask_b32_e32 v14, v20, v14, vcc
	v_cmp_gt_f64_e32 vcc, v[14:15], v[44:45]
	v_cndmask_b32_e32 v15, v45, v15, vcc
	v_cndmask_b32_e32 v14, v44, v14, vcc
	v_cmp_gt_f64_e32 vcc, v[14:15], v[16:17]
	v_cndmask_b32_e32 v15, v17, v15, vcc
	v_cndmask_b32_e32 v14, v16, v14, vcc
	v_cmp_gt_f64_e32 vcc, v[14:15], v[40:41]
	v_cndmask_b32_e32 v15, v41, v15, vcc
	v_cndmask_b32_e32 v14, v40, v14, vcc
	v_cmp_gt_f64_e32 vcc, v[14:15], v[12:13]
	v_cndmask_b32_e32 v15, v13, v15, vcc
	v_cndmask_b32_e32 v14, v12, v14, vcc
	v_cmp_gt_f64_e32 vcc, v[14:15], v[106:107]
	v_cndmask_b32_e32 v15, v107, v15, vcc
	v_cndmask_b32_e32 v14, v106, v14, vcc
	v_cmp_gt_f64_e32 vcc, v[14:15], v[26:27]
	v_cndmask_b32_e32 v15, v27, v15, vcc
	v_cndmask_b32_e32 v14, v26, v14, vcc
	v_cmp_gt_f64_e32 vcc, v[14:15], v[100:101]
	v_cndmask_b32_e32 v15, v101, v15, vcc
	v_cndmask_b32_e32 v14, v100, v14, vcc
	v_cmp_gt_f64_e32 vcc, v[14:15], v[22:23]
	v_cndmask_b32_e32 v15, v23, v15, vcc
	v_cndmask_b32_e32 v14, v22, v14, vcc
	v_cmp_gt_f64_e32 vcc, v[14:15], v[94:95]
	v_cndmask_b32_e32 v15, v95, v15, vcc
	v_cndmask_b32_e32 v14, v94, v14, vcc
	v_cmp_gt_f64_e32 vcc, v[14:15], v[18:19]
	v_cndmask_b32_e32 v15, v19, v15, vcc
	v_cndmask_b32_e32 v14, v18, v14, vcc
	buffer_store_dword v18, off, s[96:99], 0 offset:48 ; 4-byte Folded Spill
	s_nop 0
	buffer_store_dword v19, off, s[96:99], 0 offset:52 ; 4-byte Folded Spill
	v_mbcnt_lo_u32_b32 v18, -1, 0
	buffer_store_dword v22, off, s[96:99], 0 offset:72 ; 4-byte Folded Spill
	s_nop 0
	buffer_store_dword v23, off, s[96:99], 0 offset:76 ; 4-byte Folded Spill
	v_mbcnt_hi_u32_b32 v22, -1, v18
	v_and_b32_e32 v18, 0x60, v22
	v_cmp_gt_f64_e32 vcc, v[14:15], v[88:89]
	v_add_u32_e32 v23, 32, v18
	v_xor_b32_e32 v18, 16, v22
	v_cndmask_b32_e32 v15, v89, v15, vcc
	v_cndmask_b32_e32 v14, v88, v14, vcc
	v_cmp_lt_i32_e32 vcc, v18, v23
	v_cndmask_b32_e32 v18, v22, v18, vcc
	v_lshlrev_b32_e32 v19, 2, v18
	buffer_store_dword v19, off, s[96:99], 0 offset:28 ; 4-byte Folded Spill
	ds_bpermute_b32 v18, v19, v14
	ds_bpermute_b32 v19, v19, v15
	v_pk_mov_b32 v[100:101], v[52:53], v[52:53] op_sel:[0,1]
	s_waitcnt lgkmcnt(0)
	v_cmp_lt_f64_e32 vcc, v[14:15], v[18:19]
	v_cndmask_b32_e32 v14, v14, v18, vcc
	v_xor_b32_e32 v18, 8, v22
	v_cndmask_b32_e32 v15, v15, v19, vcc
	v_cmp_lt_i32_e32 vcc, v18, v23
	v_cndmask_b32_e32 v18, v22, v18, vcc
	v_lshlrev_b32_e32 v19, 2, v18
	buffer_store_dword v19, off, s[96:99], 0 offset:32 ; 4-byte Folded Spill
	ds_bpermute_b32 v18, v19, v14
	ds_bpermute_b32 v19, v19, v15
	s_waitcnt lgkmcnt(0)
	v_cmp_lt_f64_e32 vcc, v[14:15], v[18:19]
	v_cndmask_b32_e32 v14, v14, v18, vcc
	v_xor_b32_e32 v18, 4, v22
	v_cndmask_b32_e32 v15, v15, v19, vcc
	v_cmp_lt_i32_e32 vcc, v18, v23
	v_cndmask_b32_e32 v18, v22, v18, vcc
	v_lshlrev_b32_e32 v19, 2, v18
	buffer_store_dword v19, off, s[96:99], 0 offset:36 ; 4-byte Folded Spill
	ds_bpermute_b32 v18, v19, v14
	ds_bpermute_b32 v19, v19, v15
	;; [unrolled: 11-line block ×4, first 2 shown]
	s_waitcnt lgkmcnt(0)
	v_cmp_lt_f64_e32 vcc, v[14:15], v[18:19]
	v_cndmask_b32_e32 v89, v15, v19, vcc
	v_cndmask_b32_e32 v88, v14, v18, vcc
	v_add_f64 v[52:53], v[98:99], -v[88:89]
	v_mul_f64 v[14:15], v[52:53], s[54:55]
	v_pk_mov_b32 v[98:99], s[2:3], s[2:3] op_sel:[0,1]
	s_mov_b32 s2, 0
	v_rndne_f64_e32 v[14:15], v[14:15]
	s_mov_b32 s3, 0x40900000
	v_fma_f64 v[18:19], s[50:51], v[14:15], v[52:53]
	v_cmp_nlt_f64_e32 vcc, s[2:3], v[52:53]
	buffer_store_dword v52, off, s[96:99], 0 offset:144 ; 4-byte Folded Spill
	s_nop 0
	buffer_store_dword v53, off, s[96:99], 0 offset:148 ; 4-byte Folded Spill
	v_fmac_f64_e32 v[18:19], s[52:53], v[14:15]
	v_fma_f64 v[22:23], s[42:43], v[18:19], v[98:99]
	v_fma_f64 v[22:23], v[18:19], v[22:23], s[46:47]
	;; [unrolled: 1-line block ×9, first 2 shown]
	v_fma_f64 v[22:23], v[18:19], v[22:23], 1.0
	v_fma_f64 v[18:19], v[18:19], v[22:23], 1.0
	v_cvt_i32_f64_e32 v14, v[14:15]
	v_ldexp_f64 v[14:15], v[18:19], v14
	v_add_f64 v[18:19], v[14:15], 0
	v_mov_b32_e32 v14, 0x7ff00000
	v_cndmask_b32_e32 v15, v14, v19, vcc
	buffer_store_dword v26, off, s[96:99], 0 offset:112 ; 4-byte Folded Spill
	s_nop 0
	buffer_store_dword v27, off, s[96:99], 0 offset:116 ; 4-byte Folded Spill
	v_add_f64 v[40:41], v[102:103], -v[88:89]
	v_add_f64 v[108:109], v[108:109], -v[88:89]
	;; [unrolled: 1-line block ×13, first 2 shown]
	v_cmp_ngt_f64_e64 s[40:41], s[70:71], v[52:53]
	v_add_f64 v[52:53], v[10:11], -v[88:89]
	v_mul_f64 v[10:11], v[52:53], s[54:55]
	s_and_b64 vcc, s[40:41], vcc
	v_rndne_f64_e32 v[10:11], v[10:11]
	v_cndmask_b32_e32 v18, 0, v18, vcc
	v_fma_f64 v[22:23], s[50:51], v[10:11], v[52:53]
	v_cmp_nlt_f64_e32 vcc, s[2:3], v[52:53]
	buffer_store_dword v52, off, s[96:99], 0 offset:152 ; 4-byte Folded Spill
	s_nop 0
	buffer_store_dword v53, off, s[96:99], 0 offset:156 ; 4-byte Folded Spill
	v_fmac_f64_e32 v[22:23], s[52:53], v[10:11]
	v_fma_f64 v[26:27], s[42:43], v[22:23], v[98:99]
	v_fma_f64 v[26:27], v[22:23], v[26:27], s[46:47]
	;; [unrolled: 1-line block ×9, first 2 shown]
	v_fma_f64 v[26:27], v[22:23], v[26:27], 1.0
	v_fma_f64 v[22:23], v[22:23], v[26:27], 1.0
	v_cvt_i32_f64_e32 v10, v[10:11]
	v_cndmask_b32_e64 v19, 0, v15, s[40:41]
	v_ldexp_f64 v[10:11], v[22:23], v10
	v_add_f64 v[26:27], v[6:7], -v[88:89]
	v_cndmask_b32_e32 v11, v14, v11, vcc
	v_mul_f64 v[6:7], v[26:27], s[54:55]
	v_rndne_f64_e32 v[6:7], v[6:7]
	v_cmp_ngt_f64_e64 s[40:41], s[70:71], v[52:53]
	s_and_b64 vcc, s[40:41], vcc
	v_cndmask_b32_e64 v11, 0, v11, s[40:41]
	v_cndmask_b32_e32 v10, 0, v10, vcc
	v_add_f64 v[10:11], v[18:19], v[10:11]
	v_fma_f64 v[18:19], s[50:51], v[6:7], v[26:27]
	v_cmp_nlt_f64_e32 vcc, s[2:3], v[26:27]
	buffer_store_dword v26, off, s[96:99], 0 offset:160 ; 4-byte Folded Spill
	s_nop 0
	buffer_store_dword v27, off, s[96:99], 0 offset:164 ; 4-byte Folded Spill
	v_fmac_f64_e32 v[18:19], s[52:53], v[6:7]
	v_fma_f64 v[22:23], s[42:43], v[18:19], v[98:99]
	v_fma_f64 v[22:23], v[18:19], v[22:23], s[46:47]
	;; [unrolled: 1-line block ×9, first 2 shown]
	v_fma_f64 v[22:23], v[18:19], v[22:23], 1.0
	v_fma_f64 v[18:19], v[18:19], v[22:23], 1.0
	v_cvt_i32_f64_e32 v6, v[6:7]
	v_ldexp_f64 v[6:7], v[18:19], v6
	v_cndmask_b32_e32 v7, v14, v7, vcc
	v_add_f64 v[52:53], v[46:47], -v[88:89]
	v_add_f64 v[46:47], v[68:69], -v[88:89]
	v_cmp_ngt_f64_e64 s[40:41], s[70:71], v[26:27]
	s_and_b64 vcc, s[40:41], vcc
	v_cndmask_b32_e64 v7, 0, v7, s[40:41]
	v_cndmask_b32_e32 v6, 0, v6, vcc
	v_add_f64 v[26:27], v[72:73], -v[88:89]
	v_add_f64 v[6:7], v[10:11], v[6:7]
	v_mul_f64 v[10:11], v[26:27], s[54:55]
	v_rndne_f64_e32 v[10:11], v[10:11]
	v_fma_f64 v[18:19], s[50:51], v[10:11], v[26:27]
	v_cmp_nlt_f64_e32 vcc, s[2:3], v[26:27]
	buffer_store_dword v26, off, s[96:99], 0 offset:168 ; 4-byte Folded Spill
	s_nop 0
	buffer_store_dword v27, off, s[96:99], 0 offset:172 ; 4-byte Folded Spill
	v_fmac_f64_e32 v[18:19], s[52:53], v[10:11]
	v_fma_f64 v[22:23], s[42:43], v[18:19], v[98:99]
	v_fma_f64 v[22:23], v[18:19], v[22:23], s[46:47]
	v_fma_f64 v[22:23], v[18:19], v[22:23], s[56:57]
	v_fma_f64 v[22:23], v[18:19], v[22:23], s[58:59]
	v_fma_f64 v[22:23], v[18:19], v[22:23], s[60:61]
	v_fma_f64 v[22:23], v[18:19], v[22:23], s[62:63]
	v_fma_f64 v[22:23], v[18:19], v[22:23], s[64:65]
	v_fma_f64 v[22:23], v[18:19], v[22:23], s[66:67]
	v_fma_f64 v[22:23], v[18:19], v[22:23], s[68:69]
	v_fma_f64 v[22:23], v[18:19], v[22:23], 1.0
	v_fma_f64 v[18:19], v[18:19], v[22:23], 1.0
	v_cvt_i32_f64_e32 v10, v[10:11]
	v_ldexp_f64 v[10:11], v[18:19], v10
	v_cndmask_b32_e32 v11, v14, v11, vcc
	v_cmp_ngt_f64_e64 s[40:41], s[70:71], v[26:27]
	s_and_b64 vcc, s[40:41], vcc
	v_cndmask_b32_e64 v11, 0, v11, s[40:41]
	v_cndmask_b32_e32 v10, 0, v10, vcc
	v_add_f64 v[26:27], v[78:79], -v[88:89]
	v_add_f64 v[6:7], v[6:7], v[10:11]
	v_mul_f64 v[10:11], v[26:27], s[54:55]
	v_rndne_f64_e32 v[10:11], v[10:11]
	v_fma_f64 v[18:19], s[50:51], v[10:11], v[26:27]
	v_cmp_nlt_f64_e32 vcc, s[2:3], v[26:27]
	buffer_store_dword v26, off, s[96:99], 0 offset:176 ; 4-byte Folded Spill
	s_nop 0
	buffer_store_dword v27, off, s[96:99], 0 offset:180 ; 4-byte Folded Spill
	v_fmac_f64_e32 v[18:19], s[52:53], v[10:11]
	v_fma_f64 v[22:23], s[42:43], v[18:19], v[98:99]
	v_fma_f64 v[22:23], v[18:19], v[22:23], s[46:47]
	v_fma_f64 v[22:23], v[18:19], v[22:23], s[56:57]
	v_fma_f64 v[22:23], v[18:19], v[22:23], s[58:59]
	v_fma_f64 v[22:23], v[18:19], v[22:23], s[60:61]
	v_fma_f64 v[22:23], v[18:19], v[22:23], s[62:63]
	v_fma_f64 v[22:23], v[18:19], v[22:23], s[64:65]
	v_fma_f64 v[22:23], v[18:19], v[22:23], s[66:67]
	v_fma_f64 v[22:23], v[18:19], v[22:23], s[68:69]
	v_fma_f64 v[22:23], v[18:19], v[22:23], 1.0
	v_fma_f64 v[18:19], v[18:19], v[22:23], 1.0
	v_cvt_i32_f64_e32 v10, v[10:11]
	v_ldexp_f64 v[10:11], v[18:19], v10
	v_cndmask_b32_e32 v11, v14, v11, vcc
	;; [unrolled: 28-line block ×4, first 2 shown]
	v_cmp_ngt_f64_e64 s[40:41], s[70:71], v[26:27]
	s_and_b64 vcc, s[40:41], vcc
	v_cndmask_b32_e64 v11, 0, v11, s[40:41]
	v_cndmask_b32_e32 v10, 0, v10, vcc
	v_add_f64 v[6:7], v[6:7], v[10:11]
	v_mul_f64 v[10:11], v[40:41], s[54:55]
	v_rndne_f64_e32 v[10:11], v[10:11]
	v_fma_f64 v[18:19], s[50:51], v[10:11], v[40:41]
	v_fmac_f64_e32 v[18:19], s[52:53], v[10:11]
	v_fma_f64 v[22:23], s[42:43], v[18:19], v[98:99]
	v_fma_f64 v[22:23], v[18:19], v[22:23], s[46:47]
	v_fma_f64 v[22:23], v[18:19], v[22:23], s[56:57]
	v_fma_f64 v[22:23], v[18:19], v[22:23], s[58:59]
	v_fma_f64 v[22:23], v[18:19], v[22:23], s[60:61]
	v_fma_f64 v[22:23], v[18:19], v[22:23], s[62:63]
	v_fma_f64 v[22:23], v[18:19], v[22:23], s[64:65]
	v_fma_f64 v[22:23], v[18:19], v[22:23], s[66:67]
	v_fma_f64 v[22:23], v[18:19], v[22:23], s[68:69]
	v_fma_f64 v[22:23], v[18:19], v[22:23], 1.0
	v_fma_f64 v[18:19], v[18:19], v[22:23], 1.0
	v_cvt_i32_f64_e32 v10, v[10:11]
	v_ldexp_f64 v[10:11], v[18:19], v10
	v_cmp_nlt_f64_e32 vcc, s[2:3], v[40:41]
	v_cmp_ngt_f64_e64 s[40:41], s[70:71], v[40:41]
	v_cndmask_b32_e32 v11, v14, v11, vcc
	s_and_b64 vcc, s[40:41], vcc
	v_cndmask_b32_e64 v11, 0, v11, s[40:41]
	v_cndmask_b32_e32 v10, 0, v10, vcc
	v_add_f64 v[6:7], v[6:7], v[10:11]
	v_mul_f64 v[10:11], v[108:109], s[54:55]
	v_rndne_f64_e32 v[10:11], v[10:11]
	v_fma_f64 v[18:19], s[50:51], v[10:11], v[108:109]
	v_fmac_f64_e32 v[18:19], s[52:53], v[10:11]
	v_fma_f64 v[22:23], s[42:43], v[18:19], v[98:99]
	v_fma_f64 v[22:23], v[18:19], v[22:23], s[46:47]
	v_fma_f64 v[22:23], v[18:19], v[22:23], s[56:57]
	v_fma_f64 v[22:23], v[18:19], v[22:23], s[58:59]
	v_fma_f64 v[22:23], v[18:19], v[22:23], s[60:61]
	v_fma_f64 v[22:23], v[18:19], v[22:23], s[62:63]
	v_fma_f64 v[22:23], v[18:19], v[22:23], s[64:65]
	v_fma_f64 v[22:23], v[18:19], v[22:23], s[66:67]
	v_fma_f64 v[22:23], v[18:19], v[22:23], s[68:69]
	v_fma_f64 v[22:23], v[18:19], v[22:23], 1.0
	v_fma_f64 v[18:19], v[18:19], v[22:23], 1.0
	v_cvt_i32_f64_e32 v10, v[10:11]
	v_ldexp_f64 v[10:11], v[18:19], v10
	v_cmp_nlt_f64_e32 vcc, s[2:3], v[108:109]
	v_cmp_ngt_f64_e64 s[40:41], s[70:71], v[108:109]
	v_cndmask_b32_e32 v11, v14, v11, vcc
	;; [unrolled: 24-line block ×5, first 2 shown]
	s_and_b64 vcc, s[40:41], vcc
	v_cndmask_b32_e64 v11, 0, v11, s[40:41]
	v_cndmask_b32_e32 v10, 0, v10, vcc
	v_add_f64 v[26:27], v[66:67], -v[88:89]
	v_add_f64 v[6:7], v[6:7], v[10:11]
	v_mul_f64 v[10:11], v[26:27], s[54:55]
	v_rndne_f64_e32 v[10:11], v[10:11]
	v_fma_f64 v[18:19], s[50:51], v[10:11], v[26:27]
	v_cmp_nlt_f64_e32 vcc, s[2:3], v[26:27]
	buffer_store_dword v26, off, s[96:99], 0 offset:200 ; 4-byte Folded Spill
	s_nop 0
	buffer_store_dword v27, off, s[96:99], 0 offset:204 ; 4-byte Folded Spill
	v_fmac_f64_e32 v[18:19], s[52:53], v[10:11]
	v_fma_f64 v[22:23], s[42:43], v[18:19], v[98:99]
	v_fma_f64 v[22:23], v[18:19], v[22:23], s[46:47]
	;; [unrolled: 1-line block ×9, first 2 shown]
	v_fma_f64 v[22:23], v[18:19], v[22:23], 1.0
	v_fma_f64 v[18:19], v[18:19], v[22:23], 1.0
	v_cvt_i32_f64_e32 v10, v[10:11]
	v_ldexp_f64 v[10:11], v[18:19], v10
	v_cndmask_b32_e32 v11, v14, v11, vcc
	v_add_f64 v[66:67], v[100:101], -v[88:89]
	v_cmp_ngt_f64_e64 s[40:41], s[70:71], v[26:27]
	s_and_b64 vcc, s[40:41], vcc
	v_cndmask_b32_e64 v11, 0, v11, s[40:41]
	v_cndmask_b32_e32 v10, 0, v10, vcc
	v_add_f64 v[26:27], v[36:37], -v[88:89]
	v_add_f64 v[6:7], v[6:7], v[10:11]
	v_mul_f64 v[10:11], v[26:27], s[54:55]
	v_rndne_f64_e32 v[10:11], v[10:11]
	v_fma_f64 v[18:19], s[50:51], v[10:11], v[26:27]
	v_cmp_nlt_f64_e32 vcc, s[2:3], v[26:27]
	buffer_store_dword v26, off, s[96:99], 0 offset:208 ; 4-byte Folded Spill
	s_nop 0
	buffer_store_dword v27, off, s[96:99], 0 offset:212 ; 4-byte Folded Spill
	v_fmac_f64_e32 v[18:19], s[52:53], v[10:11]
	v_fma_f64 v[22:23], s[42:43], v[18:19], v[98:99]
	v_fma_f64 v[22:23], v[18:19], v[22:23], s[46:47]
	v_fma_f64 v[22:23], v[18:19], v[22:23], s[56:57]
	v_fma_f64 v[22:23], v[18:19], v[22:23], s[58:59]
	v_fma_f64 v[22:23], v[18:19], v[22:23], s[60:61]
	v_fma_f64 v[22:23], v[18:19], v[22:23], s[62:63]
	v_fma_f64 v[22:23], v[18:19], v[22:23], s[64:65]
	v_fma_f64 v[22:23], v[18:19], v[22:23], s[66:67]
	v_fma_f64 v[22:23], v[18:19], v[22:23], s[68:69]
	v_fma_f64 v[22:23], v[18:19], v[22:23], 1.0
	v_fma_f64 v[18:19], v[18:19], v[22:23], 1.0
	v_cvt_i32_f64_e32 v10, v[10:11]
	v_ldexp_f64 v[10:11], v[18:19], v10
	v_cndmask_b32_e32 v11, v14, v11, vcc
	v_add_f64 v[36:37], v[38:39], -v[88:89]
	v_add_f64 v[38:39], v[58:59], -v[88:89]
	v_cmp_ngt_f64_e64 s[40:41], s[70:71], v[26:27]
	s_and_b64 vcc, s[40:41], vcc
	v_cndmask_b32_e64 v11, 0, v11, s[40:41]
	v_cndmask_b32_e32 v10, 0, v10, vcc
	v_add_f64 v[26:27], v[56:57], -v[88:89]
	v_add_f64 v[6:7], v[6:7], v[10:11]
	v_mul_f64 v[10:11], v[26:27], s[54:55]
	v_rndne_f64_e32 v[10:11], v[10:11]
	v_fma_f64 v[18:19], s[50:51], v[10:11], v[26:27]
	v_cmp_nlt_f64_e32 vcc, s[2:3], v[26:27]
	buffer_store_dword v26, off, s[96:99], 0 offset:216 ; 4-byte Folded Spill
	s_nop 0
	buffer_store_dword v27, off, s[96:99], 0 offset:220 ; 4-byte Folded Spill
	v_fmac_f64_e32 v[18:19], s[52:53], v[10:11]
	v_fma_f64 v[22:23], s[42:43], v[18:19], v[98:99]
	v_fma_f64 v[22:23], v[18:19], v[22:23], s[46:47]
	v_fma_f64 v[22:23], v[18:19], v[22:23], s[56:57]
	v_fma_f64 v[22:23], v[18:19], v[22:23], s[58:59]
	v_fma_f64 v[22:23], v[18:19], v[22:23], s[60:61]
	v_fma_f64 v[22:23], v[18:19], v[22:23], s[62:63]
	v_fma_f64 v[22:23], v[18:19], v[22:23], s[64:65]
	v_fma_f64 v[22:23], v[18:19], v[22:23], s[66:67]
	v_fma_f64 v[22:23], v[18:19], v[22:23], s[68:69]
	v_fma_f64 v[22:23], v[18:19], v[22:23], 1.0
	v_fma_f64 v[18:19], v[18:19], v[22:23], 1.0
	v_cvt_i32_f64_e32 v10, v[10:11]
	v_ldexp_f64 v[10:11], v[18:19], v10
	v_cndmask_b32_e32 v11, v14, v11, vcc
	v_add_f64 v[56:57], v[42:43], -v[88:89]
	;; [unrolled: 30-line block ×5, first 2 shown]
	v_add_f64 v[60:61], v[86:87], -v[88:89]
	v_cmp_ngt_f64_e64 s[40:41], s[70:71], v[26:27]
	s_and_b64 vcc, s[40:41], vcc
	v_cndmask_b32_e64 v11, 0, v11, s[40:41]
	v_cndmask_b32_e32 v10, 0, v10, vcc
	v_add_f64 v[6:7], v[6:7], v[10:11]
	buffer_load_dword v10, off, s[96:99], 0 offset:128 ; 4-byte Folded Reload
	buffer_load_dword v11, off, s[96:99], 0 offset:132 ; 4-byte Folded Reload
	s_waitcnt vmcnt(0)
	v_add_f64 v[26:27], v[10:11], -v[88:89]
	v_mul_f64 v[10:11], v[26:27], s[54:55]
	v_rndne_f64_e32 v[10:11], v[10:11]
	v_fma_f64 v[18:19], s[50:51], v[10:11], v[26:27]
	v_cmp_nlt_f64_e32 vcc, s[2:3], v[26:27]
	buffer_store_dword v26, off, s[96:99], 0 offset:128 ; 4-byte Folded Spill
	s_nop 0
	buffer_store_dword v27, off, s[96:99], 0 offset:132 ; 4-byte Folded Spill
	v_fmac_f64_e32 v[18:19], s[52:53], v[10:11]
	v_fma_f64 v[22:23], s[42:43], v[18:19], v[98:99]
	v_fma_f64 v[22:23], v[18:19], v[22:23], s[46:47]
	;; [unrolled: 1-line block ×9, first 2 shown]
	v_fma_f64 v[22:23], v[18:19], v[22:23], 1.0
	v_fma_f64 v[18:19], v[18:19], v[22:23], 1.0
	v_cvt_i32_f64_e32 v10, v[10:11]
	v_ldexp_f64 v[10:11], v[18:19], v10
	v_cndmask_b32_e32 v11, v14, v11, vcc
	v_cmp_ngt_f64_e64 s[40:41], s[70:71], v[26:27]
	s_and_b64 vcc, s[40:41], vcc
	v_cndmask_b32_e64 v11, 0, v11, s[40:41]
	v_cndmask_b32_e32 v10, 0, v10, vcc
	v_add_f64 v[26:27], v[110:111], -v[88:89]
	v_add_f64 v[6:7], v[6:7], v[10:11]
	v_mul_f64 v[10:11], v[26:27], s[54:55]
	v_rndne_f64_e32 v[10:11], v[10:11]
	v_fma_f64 v[18:19], s[50:51], v[10:11], v[26:27]
	v_cmp_nlt_f64_e32 vcc, s[2:3], v[26:27]
	buffer_store_dword v26, off, s[96:99], 0 offset:248 ; 4-byte Folded Spill
	s_nop 0
	buffer_store_dword v27, off, s[96:99], 0 offset:252 ; 4-byte Folded Spill
	v_fmac_f64_e32 v[18:19], s[52:53], v[10:11]
	v_fma_f64 v[22:23], s[42:43], v[18:19], v[98:99]
	v_fma_f64 v[22:23], v[18:19], v[22:23], s[46:47]
	v_fma_f64 v[22:23], v[18:19], v[22:23], s[56:57]
	v_fma_f64 v[22:23], v[18:19], v[22:23], s[58:59]
	v_fma_f64 v[22:23], v[18:19], v[22:23], s[60:61]
	v_fma_f64 v[22:23], v[18:19], v[22:23], s[62:63]
	v_fma_f64 v[22:23], v[18:19], v[22:23], s[64:65]
	v_fma_f64 v[22:23], v[18:19], v[22:23], s[66:67]
	v_fma_f64 v[22:23], v[18:19], v[22:23], s[68:69]
	v_fma_f64 v[22:23], v[18:19], v[22:23], 1.0
	v_fma_f64 v[18:19], v[18:19], v[22:23], 1.0
	v_cvt_i32_f64_e32 v10, v[10:11]
	v_ldexp_f64 v[10:11], v[18:19], v10
	v_cndmask_b32_e32 v11, v14, v11, vcc
	v_add_f64 v[110:111], v[8:9], -v[88:89]
	v_cmp_ngt_f64_e64 s[40:41], s[70:71], v[26:27]
	s_and_b64 vcc, s[40:41], vcc
	v_cndmask_b32_e64 v11, 0, v11, s[40:41]
	v_cndmask_b32_e32 v10, 0, v10, vcc
	v_add_f64 v[26:27], v[118:119], -v[88:89]
	v_add_f64 v[6:7], v[6:7], v[10:11]
	v_mul_f64 v[10:11], v[26:27], s[54:55]
	v_rndne_f64_e32 v[10:11], v[10:11]
	v_fma_f64 v[18:19], s[50:51], v[10:11], v[26:27]
	v_cmp_nlt_f64_e32 vcc, s[2:3], v[26:27]
	buffer_store_dword v26, off, s[96:99], 0 offset:16 ; 4-byte Folded Spill
	s_nop 0
	buffer_store_dword v27, off, s[96:99], 0 offset:20 ; 4-byte Folded Spill
	v_fmac_f64_e32 v[18:19], s[52:53], v[10:11]
	v_fma_f64 v[22:23], s[42:43], v[18:19], v[98:99]
	v_fma_f64 v[22:23], v[18:19], v[22:23], s[46:47]
	;; [unrolled: 1-line block ×9, first 2 shown]
	v_fma_f64 v[22:23], v[18:19], v[22:23], 1.0
	v_fma_f64 v[18:19], v[18:19], v[22:23], 1.0
	v_cvt_i32_f64_e32 v10, v[10:11]
	v_ldexp_f64 v[10:11], v[18:19], v10
	v_cndmask_b32_e32 v11, v14, v11, vcc
	v_add_f64 v[118:119], v[64:65], -v[88:89]
	v_add_f64 v[64:65], v[4:5], -v[88:89]
	v_cmp_ngt_f64_e64 s[40:41], s[70:71], v[26:27]
	s_and_b64 vcc, s[40:41], vcc
	v_cndmask_b32_e64 v11, 0, v11, s[40:41]
	v_cndmask_b32_e32 v10, 0, v10, vcc
	v_add_f64 v[6:7], v[6:7], v[10:11]
	v_mul_f64 v[10:11], v[104:105], s[54:55]
	v_rndne_f64_e32 v[10:11], v[10:11]
	v_fma_f64 v[18:19], s[50:51], v[10:11], v[104:105]
	v_fmac_f64_e32 v[18:19], s[52:53], v[10:11]
	v_fma_f64 v[22:23], s[42:43], v[18:19], v[98:99]
	v_fma_f64 v[22:23], v[18:19], v[22:23], s[46:47]
	;; [unrolled: 1-line block ×9, first 2 shown]
	v_fma_f64 v[22:23], v[18:19], v[22:23], 1.0
	v_fma_f64 v[18:19], v[18:19], v[22:23], 1.0
	v_cvt_i32_f64_e32 v10, v[10:11]
	v_ldexp_f64 v[10:11], v[18:19], v10
	v_cmp_nlt_f64_e32 vcc, s[2:3], v[104:105]
	v_cmp_ngt_f64_e64 s[40:41], s[70:71], v[104:105]
	v_cndmask_b32_e32 v11, v14, v11, vcc
	s_and_b64 vcc, s[40:41], vcc
	v_cndmask_b32_e64 v11, 0, v11, s[40:41]
	v_cndmask_b32_e32 v10, 0, v10, vcc
	v_add_f64 v[10:11], v[6:7], v[10:11]
	buffer_load_dword v6, off, s[96:99], 0 offset:120 ; 4-byte Folded Reload
	buffer_load_dword v7, off, s[96:99], 0 offset:124 ; 4-byte Folded Reload
	;; [unrolled: 1-line block ×4, first 2 shown]
	s_waitcnt vmcnt(2)
	v_add_f64 v[6:7], v[6:7], -v[88:89]
	v_mul_f64 v[18:19], v[6:7], s[54:55]
	v_rndne_f64_e32 v[18:19], v[18:19]
	v_fma_f64 v[22:23], s[50:51], v[18:19], v[6:7]
	v_fmac_f64_e32 v[22:23], s[52:53], v[18:19]
	v_fma_f64 v[26:27], s[42:43], v[22:23], v[98:99]
	v_fma_f64 v[26:27], v[22:23], v[26:27], s[46:47]
	;; [unrolled: 1-line block ×9, first 2 shown]
	v_fma_f64 v[26:27], v[22:23], v[26:27], 1.0
	v_fma_f64 v[22:23], v[22:23], v[26:27], 1.0
	v_cvt_i32_f64_e32 v15, v[18:19]
	v_ldexp_f64 v[18:19], v[22:23], v15
	v_cmp_nlt_f64_e32 vcc, s[2:3], v[6:7]
	v_cmp_ngt_f64_e64 s[40:41], s[70:71], v[6:7]
	v_cndmask_b32_e32 v15, v14, v19, vcc
	s_and_b64 vcc, s[40:41], vcc
	v_cndmask_b32_e64 v19, 0, v15, s[40:41]
	v_cndmask_b32_e32 v18, 0, v18, vcc
	v_add_f64 v[18:19], v[10:11], v[18:19]
	v_add_f64 v[10:11], v[96:97], -v[88:89]
	v_mul_f64 v[22:23], v[10:11], s[54:55]
	v_rndne_f64_e32 v[22:23], v[22:23]
	v_fma_f64 v[26:27], s[50:51], v[22:23], v[10:11]
	v_fmac_f64_e32 v[26:27], s[52:53], v[22:23]
	v_fma_f64 v[72:73], s[42:43], v[26:27], v[98:99]
	v_fma_f64 v[72:73], v[26:27], v[72:73], s[46:47]
	;; [unrolled: 1-line block ×9, first 2 shown]
	v_fma_f64 v[72:73], v[26:27], v[72:73], 1.0
	v_fma_f64 v[26:27], v[26:27], v[72:73], 1.0
	v_cvt_i32_f64_e32 v15, v[22:23]
	v_ldexp_f64 v[22:23], v[26:27], v15
	v_cmp_nlt_f64_e32 vcc, s[2:3], v[10:11]
	v_cmp_ngt_f64_e64 s[40:41], s[70:71], v[10:11]
	v_cndmask_b32_e32 v15, v14, v23, vcc
	s_and_b64 vcc, s[40:41], vcc
	v_cndmask_b32_e64 v23, 0, v15, s[40:41]
	v_cndmask_b32_e32 v22, 0, v22, vcc
	v_add_f64 v[96:97], v[112:113], -v[88:89]
	v_add_f64 v[18:19], v[18:19], v[22:23]
	v_mul_f64 v[22:23], v[96:97], s[54:55]
	v_rndne_f64_e32 v[22:23], v[22:23]
	v_fma_f64 v[26:27], s[50:51], v[22:23], v[96:97]
	v_fmac_f64_e32 v[26:27], s[52:53], v[22:23]
	v_fma_f64 v[72:73], s[42:43], v[26:27], v[98:99]
	v_fma_f64 v[72:73], v[26:27], v[72:73], s[46:47]
	v_fma_f64 v[72:73], v[26:27], v[72:73], s[56:57]
	v_fma_f64 v[72:73], v[26:27], v[72:73], s[58:59]
	v_fma_f64 v[72:73], v[26:27], v[72:73], s[60:61]
	v_fma_f64 v[72:73], v[26:27], v[72:73], s[62:63]
	v_fma_f64 v[72:73], v[26:27], v[72:73], s[64:65]
	v_fma_f64 v[72:73], v[26:27], v[72:73], s[66:67]
	v_fma_f64 v[72:73], v[26:27], v[72:73], s[68:69]
	v_fma_f64 v[72:73], v[26:27], v[72:73], 1.0
	v_fma_f64 v[26:27], v[26:27], v[72:73], 1.0
	v_cvt_i32_f64_e32 v15, v[22:23]
	v_ldexp_f64 v[22:23], v[26:27], v15
	v_cmp_nlt_f64_e32 vcc, s[2:3], v[96:97]
	v_cmp_ngt_f64_e64 s[40:41], s[70:71], v[96:97]
	v_cndmask_b32_e32 v15, v14, v23, vcc
	s_and_b64 vcc, s[40:41], vcc
	v_cndmask_b32_e64 v23, 0, v15, s[40:41]
	v_cndmask_b32_e32 v22, 0, v22, vcc
	v_add_f64 v[18:19], v[18:19], v[22:23]
	v_mul_f64 v[22:23], v[90:91], s[54:55]
	v_rndne_f64_e32 v[22:23], v[22:23]
	v_fma_f64 v[26:27], s[50:51], v[22:23], v[90:91]
	v_fmac_f64_e32 v[26:27], s[52:53], v[22:23]
	v_fma_f64 v[72:73], s[42:43], v[26:27], v[98:99]
	v_fma_f64 v[72:73], v[26:27], v[72:73], s[46:47]
	v_fma_f64 v[72:73], v[26:27], v[72:73], s[56:57]
	v_fma_f64 v[72:73], v[26:27], v[72:73], s[58:59]
	v_fma_f64 v[72:73], v[26:27], v[72:73], s[60:61]
	v_fma_f64 v[72:73], v[26:27], v[72:73], s[62:63]
	v_fma_f64 v[72:73], v[26:27], v[72:73], s[64:65]
	v_fma_f64 v[72:73], v[26:27], v[72:73], s[66:67]
	v_fma_f64 v[72:73], v[26:27], v[72:73], s[68:69]
	v_fma_f64 v[72:73], v[26:27], v[72:73], 1.0
	v_fma_f64 v[26:27], v[26:27], v[72:73], 1.0
	v_cvt_i32_f64_e32 v15, v[22:23]
	v_ldexp_f64 v[22:23], v[26:27], v15
	v_cmp_nlt_f64_e32 vcc, s[2:3], v[90:91]
	v_cmp_ngt_f64_e64 s[40:41], s[70:71], v[90:91]
	v_cndmask_b32_e32 v15, v14, v23, vcc
	s_and_b64 vcc, s[40:41], vcc
	v_cndmask_b32_e64 v23, 0, v15, s[40:41]
	v_cndmask_b32_e32 v22, 0, v22, vcc
	v_add_f64 v[18:19], v[18:19], v[22:23]
	v_mul_f64 v[22:23], v[94:95], s[54:55]
	v_rndne_f64_e32 v[22:23], v[22:23]
	v_fma_f64 v[26:27], s[50:51], v[22:23], v[94:95]
	v_fmac_f64_e32 v[26:27], s[52:53], v[22:23]
	v_fma_f64 v[72:73], s[42:43], v[26:27], v[98:99]
	v_fma_f64 v[72:73], v[26:27], v[72:73], s[46:47]
	v_fma_f64 v[72:73], v[26:27], v[72:73], s[56:57]
	v_fma_f64 v[72:73], v[26:27], v[72:73], s[58:59]
	v_fma_f64 v[72:73], v[26:27], v[72:73], s[60:61]
	v_fma_f64 v[72:73], v[26:27], v[72:73], s[62:63]
	v_fma_f64 v[72:73], v[26:27], v[72:73], s[64:65]
	v_fma_f64 v[72:73], v[26:27], v[72:73], s[66:67]
	v_fma_f64 v[72:73], v[26:27], v[72:73], s[68:69]
	v_fma_f64 v[72:73], v[26:27], v[72:73], 1.0
	v_fma_f64 v[26:27], v[26:27], v[72:73], 1.0
	v_cvt_i32_f64_e32 v15, v[22:23]
	v_ldexp_f64 v[22:23], v[26:27], v15
	v_cmp_nlt_f64_e32 vcc, s[2:3], v[94:95]
	v_cmp_ngt_f64_e64 s[40:41], s[70:71], v[94:95]
	v_cndmask_b32_e32 v15, v14, v23, vcc
	s_and_b64 vcc, s[40:41], vcc
	v_cndmask_b32_e64 v23, 0, v15, s[40:41]
	v_cndmask_b32_e32 v22, 0, v22, vcc
	v_add_f64 v[18:19], v[18:19], v[22:23]
	v_mul_f64 v[22:23], v[82:83], s[54:55]
	v_rndne_f64_e32 v[22:23], v[22:23]
	v_fma_f64 v[26:27], s[50:51], v[22:23], v[82:83]
	v_fmac_f64_e32 v[26:27], s[52:53], v[22:23]
	v_fma_f64 v[72:73], s[42:43], v[26:27], v[98:99]
	v_fma_f64 v[72:73], v[26:27], v[72:73], s[46:47]
	v_fma_f64 v[72:73], v[26:27], v[72:73], s[56:57]
	v_fma_f64 v[72:73], v[26:27], v[72:73], s[58:59]
	v_fma_f64 v[72:73], v[26:27], v[72:73], s[60:61]
	v_fma_f64 v[72:73], v[26:27], v[72:73], s[62:63]
	v_fma_f64 v[72:73], v[26:27], v[72:73], s[64:65]
	v_fma_f64 v[72:73], v[26:27], v[72:73], s[66:67]
	v_fma_f64 v[72:73], v[26:27], v[72:73], s[68:69]
	v_fma_f64 v[72:73], v[26:27], v[72:73], 1.0
	v_fma_f64 v[26:27], v[26:27], v[72:73], 1.0
	v_cvt_i32_f64_e32 v15, v[22:23]
	v_ldexp_f64 v[22:23], v[26:27], v15
	v_cmp_nlt_f64_e32 vcc, s[2:3], v[82:83]
	v_cmp_ngt_f64_e64 s[40:41], s[70:71], v[82:83]
	v_cndmask_b32_e32 v15, v14, v23, vcc
	s_and_b64 vcc, s[40:41], vcc
	v_cndmask_b32_e64 v23, 0, v15, s[40:41]
	v_cndmask_b32_e32 v22, 0, v22, vcc
	v_add_f64 v[112:113], v[34:35], -v[88:89]
	v_add_f64 v[18:19], v[18:19], v[22:23]
	v_mul_f64 v[22:23], v[112:113], s[54:55]
	v_rndne_f64_e32 v[22:23], v[22:23]
	v_fma_f64 v[26:27], s[50:51], v[22:23], v[112:113]
	v_fmac_f64_e32 v[26:27], s[52:53], v[22:23]
	v_fma_f64 v[72:73], s[42:43], v[26:27], v[98:99]
	v_fma_f64 v[72:73], v[26:27], v[72:73], s[46:47]
	v_fma_f64 v[72:73], v[26:27], v[72:73], s[56:57]
	v_fma_f64 v[72:73], v[26:27], v[72:73], s[58:59]
	v_fma_f64 v[72:73], v[26:27], v[72:73], s[60:61]
	v_fma_f64 v[72:73], v[26:27], v[72:73], s[62:63]
	v_fma_f64 v[72:73], v[26:27], v[72:73], s[64:65]
	v_fma_f64 v[72:73], v[26:27], v[72:73], s[66:67]
	v_fma_f64 v[72:73], v[26:27], v[72:73], s[68:69]
	v_fma_f64 v[72:73], v[26:27], v[72:73], 1.0
	v_fma_f64 v[26:27], v[26:27], v[72:73], 1.0
	v_cvt_i32_f64_e32 v15, v[22:23]
	v_ldexp_f64 v[22:23], v[26:27], v15
	v_cmp_nlt_f64_e32 vcc, s[2:3], v[112:113]
	v_cmp_ngt_f64_e64 s[40:41], s[70:71], v[112:113]
	v_cndmask_b32_e32 v15, v14, v23, vcc
	s_and_b64 vcc, s[40:41], vcc
	v_cndmask_b32_e64 v23, 0, v15, s[40:41]
	v_cndmask_b32_e32 v22, 0, v22, vcc
	v_add_f64 v[18:19], v[18:19], v[22:23]
	v_mul_f64 v[22:23], v[76:77], s[54:55]
	v_rndne_f64_e32 v[22:23], v[22:23]
	v_fma_f64 v[26:27], s[50:51], v[22:23], v[76:77]
	v_fmac_f64_e32 v[26:27], s[52:53], v[22:23]
	v_fma_f64 v[72:73], s[42:43], v[26:27], v[98:99]
	v_fma_f64 v[72:73], v[26:27], v[72:73], s[46:47]
	v_fma_f64 v[72:73], v[26:27], v[72:73], s[56:57]
	v_fma_f64 v[72:73], v[26:27], v[72:73], s[58:59]
	v_fma_f64 v[72:73], v[26:27], v[72:73], s[60:61]
	v_fma_f64 v[72:73], v[26:27], v[72:73], s[62:63]
	v_fma_f64 v[72:73], v[26:27], v[72:73], s[64:65]
	v_fma_f64 v[72:73], v[26:27], v[72:73], s[66:67]
	v_fma_f64 v[72:73], v[26:27], v[72:73], s[68:69]
	v_fma_f64 v[72:73], v[26:27], v[72:73], 1.0
	v_fma_f64 v[26:27], v[26:27], v[72:73], 1.0
	v_cvt_i32_f64_e32 v15, v[22:23]
	v_ldexp_f64 v[22:23], v[26:27], v15
	v_cmp_nlt_f64_e32 vcc, s[2:3], v[76:77]
	v_cmp_ngt_f64_e64 s[40:41], s[70:71], v[76:77]
	v_cndmask_b32_e32 v15, v14, v23, vcc
	s_and_b64 vcc, s[40:41], vcc
	v_cndmask_b32_e64 v23, 0, v15, s[40:41]
	v_cndmask_b32_e32 v22, 0, v22, vcc
	;; [unrolled: 24-line block ×21, first 2 shown]
	v_add_f64 v[72:73], v[30:31], -v[88:89]
	v_add_f64 v[18:19], v[18:19], v[22:23]
	v_mul_f64 v[22:23], v[72:73], s[54:55]
	v_rndne_f64_e32 v[22:23], v[22:23]
	v_fma_f64 v[26:27], s[50:51], v[22:23], v[72:73]
	v_fmac_f64_e32 v[26:27], s[52:53], v[22:23]
	v_fma_f64 v[28:29], s[42:43], v[26:27], v[98:99]
	v_fma_f64 v[28:29], v[26:27], v[28:29], s[46:47]
	;; [unrolled: 1-line block ×9, first 2 shown]
	v_fma_f64 v[28:29], v[26:27], v[28:29], 1.0
	v_fma_f64 v[26:27], v[26:27], v[28:29], 1.0
	v_cvt_i32_f64_e32 v15, v[22:23]
	v_ldexp_f64 v[22:23], v[26:27], v15
	v_cmp_nlt_f64_e32 vcc, s[2:3], v[72:73]
	v_cmp_ngt_f64_e64 s[40:41], s[70:71], v[72:73]
	v_cndmask_b32_e32 v15, v14, v23, vcc
	s_and_b64 vcc, s[40:41], vcc
	v_cndmask_b32_e64 v23, 0, v15, s[40:41]
	v_cndmask_b32_e32 v22, 0, v22, vcc
	v_add_f64 v[28:29], v[24:25], -v[88:89]
	v_add_f64 v[18:19], v[18:19], v[22:23]
	v_mul_f64 v[22:23], v[28:29], s[54:55]
	v_rndne_f64_e32 v[22:23], v[22:23]
	v_fma_f64 v[26:27], s[50:51], v[22:23], v[28:29]
	v_fmac_f64_e32 v[26:27], s[52:53], v[22:23]
	v_fma_f64 v[30:31], s[42:43], v[26:27], v[98:99]
	v_fma_f64 v[30:31], v[26:27], v[30:31], s[46:47]
	;; [unrolled: 1-line block ×9, first 2 shown]
	v_fma_f64 v[30:31], v[26:27], v[30:31], 1.0
	v_fma_f64 v[26:27], v[26:27], v[30:31], 1.0
	v_cvt_i32_f64_e32 v15, v[22:23]
	v_ldexp_f64 v[22:23], v[26:27], v15
	v_cmp_nlt_f64_e32 vcc, s[2:3], v[28:29]
	v_cmp_ngt_f64_e64 s[40:41], s[70:71], v[28:29]
	v_cndmask_b32_e32 v15, v14, v23, vcc
	s_and_b64 vcc, s[40:41], vcc
	v_cndmask_b32_e64 v23, 0, v15, s[40:41]
	v_cndmask_b32_e32 v22, 0, v22, vcc
	v_add_f64 v[24:25], v[48:49], -v[88:89]
	v_add_f64 v[18:19], v[18:19], v[22:23]
	v_mul_f64 v[22:23], v[24:25], s[54:55]
	v_rndne_f64_e32 v[22:23], v[22:23]
	v_fma_f64 v[26:27], s[50:51], v[22:23], v[24:25]
	v_fmac_f64_e32 v[26:27], s[52:53], v[22:23]
	v_fma_f64 v[30:31], s[42:43], v[26:27], v[98:99]
	v_fma_f64 v[30:31], v[26:27], v[30:31], s[46:47]
	;; [unrolled: 1-line block ×9, first 2 shown]
	v_fma_f64 v[30:31], v[26:27], v[30:31], 1.0
	v_fma_f64 v[26:27], v[26:27], v[30:31], 1.0
	v_cvt_i32_f64_e32 v15, v[22:23]
	v_ldexp_f64 v[22:23], v[26:27], v15
	v_add_f64 v[26:27], v[20:21], -v[88:89]
	s_waitcnt vmcnt(0)
	v_add_f64 v[20:21], v[2:3], -v[88:89]
	buffer_load_dword v2, off, s[96:99], 0 offset:96 ; 4-byte Folded Reload
	buffer_load_dword v3, off, s[96:99], 0 offset:100 ; 4-byte Folded Reload
	v_cmp_nlt_f64_e32 vcc, s[2:3], v[24:25]
	v_cmp_ngt_f64_e64 s[40:41], s[70:71], v[24:25]
	v_cndmask_b32_e32 v15, v14, v23, vcc
	s_and_b64 vcc, s[40:41], vcc
	v_cndmask_b32_e64 v23, 0, v15, s[40:41]
	v_cndmask_b32_e32 v22, 0, v22, vcc
	v_add_f64 v[18:19], v[18:19], v[22:23]
	v_mul_f64 v[22:23], v[26:27], s[54:55]
	v_rndne_f64_e32 v[22:23], v[22:23]
	v_fma_f64 v[30:31], s[50:51], v[22:23], v[26:27]
	v_fmac_f64_e32 v[30:31], s[52:53], v[22:23]
	v_fma_f64 v[100:101], s[42:43], v[30:31], v[98:99]
	v_fma_f64 v[100:101], v[30:31], v[100:101], s[46:47]
	;; [unrolled: 1-line block ×9, first 2 shown]
	v_fma_f64 v[100:101], v[30:31], v[100:101], 1.0
	v_fma_f64 v[30:31], v[30:31], v[100:101], 1.0
	v_cvt_i32_f64_e32 v15, v[22:23]
	v_ldexp_f64 v[22:23], v[30:31], v15
	v_cmp_nlt_f64_e32 vcc, s[2:3], v[26:27]
	v_cmp_ngt_f64_e64 s[40:41], s[70:71], v[26:27]
	v_cndmask_b32_e32 v15, v14, v23, vcc
	s_and_b64 vcc, s[40:41], vcc
	v_cndmask_b32_e64 v23, 0, v15, s[40:41]
	v_cndmask_b32_e32 v22, 0, v22, vcc
	v_add_f64 v[18:19], v[18:19], v[22:23]
	v_mul_f64 v[22:23], v[20:21], s[54:55]
	v_rndne_f64_e32 v[22:23], v[22:23]
	v_fma_f64 v[30:31], s[50:51], v[22:23], v[20:21]
	v_fmac_f64_e32 v[30:31], s[52:53], v[22:23]
	v_fma_f64 v[100:101], s[42:43], v[30:31], v[98:99]
	v_fma_f64 v[100:101], v[30:31], v[100:101], s[46:47]
	v_fma_f64 v[100:101], v[30:31], v[100:101], s[56:57]
	v_fma_f64 v[100:101], v[30:31], v[100:101], s[58:59]
	v_fma_f64 v[100:101], v[30:31], v[100:101], s[60:61]
	v_fma_f64 v[100:101], v[30:31], v[100:101], s[62:63]
	v_fma_f64 v[100:101], v[30:31], v[100:101], s[64:65]
	v_fma_f64 v[100:101], v[30:31], v[100:101], s[66:67]
	v_fma_f64 v[100:101], v[30:31], v[100:101], s[68:69]
	v_fma_f64 v[100:101], v[30:31], v[100:101], 1.0
	v_fma_f64 v[30:31], v[30:31], v[100:101], 1.0
	v_cvt_i32_f64_e32 v15, v[22:23]
	v_ldexp_f64 v[22:23], v[30:31], v15
	v_cmp_nlt_f64_e32 vcc, s[2:3], v[20:21]
	v_cmp_ngt_f64_e64 s[40:41], s[70:71], v[20:21]
	v_cndmask_b32_e32 v15, v14, v23, vcc
	s_and_b64 vcc, s[40:41], vcc
	v_cndmask_b32_e64 v23, 0, v15, s[40:41]
	v_cndmask_b32_e32 v22, 0, v22, vcc
	v_add_f64 v[18:19], v[18:19], v[22:23]
	v_add_f64 v[22:23], v[16:17], -v[88:89]
	v_mul_f64 v[30:31], v[22:23], s[54:55]
	v_rndne_f64_e32 v[30:31], v[30:31]
	v_fma_f64 v[100:101], s[50:51], v[30:31], v[22:23]
	v_fmac_f64_e32 v[100:101], s[52:53], v[30:31]
	v_fma_f64 v[106:107], s[42:43], v[100:101], v[98:99]
	v_fma_f64 v[106:107], v[100:101], v[106:107], s[46:47]
	;; [unrolled: 1-line block ×9, first 2 shown]
	v_fma_f64 v[106:107], v[100:101], v[106:107], 1.0
	v_fma_f64 v[100:101], v[100:101], v[106:107], 1.0
	v_cvt_i32_f64_e32 v15, v[30:31]
	v_ldexp_f64 v[30:31], v[100:101], v15
	v_cmp_nlt_f64_e32 vcc, s[2:3], v[22:23]
	v_cmp_ngt_f64_e64 s[40:41], s[70:71], v[22:23]
	v_cndmask_b32_e32 v15, v14, v31, vcc
	s_and_b64 vcc, s[40:41], vcc
	v_cndmask_b32_e64 v31, 0, v15, s[40:41]
	v_cndmask_b32_e32 v30, 0, v30, vcc
	s_waitcnt vmcnt(0)
	v_add_f64 v[16:17], v[2:3], -v[88:89]
	buffer_load_dword v2, off, s[96:99], 0 offset:88 ; 4-byte Folded Reload
	buffer_load_dword v3, off, s[96:99], 0 offset:92 ; 4-byte Folded Reload
	v_add_f64 v[18:19], v[18:19], v[30:31]
	v_mul_f64 v[30:31], v[16:17], s[54:55]
	v_rndne_f64_e32 v[30:31], v[30:31]
	v_fma_f64 v[100:101], s[50:51], v[30:31], v[16:17]
	v_fmac_f64_e32 v[100:101], s[52:53], v[30:31]
	v_fma_f64 v[106:107], s[42:43], v[100:101], v[98:99]
	v_fma_f64 v[106:107], v[100:101], v[106:107], s[46:47]
	;; [unrolled: 1-line block ×9, first 2 shown]
	v_fma_f64 v[106:107], v[100:101], v[106:107], 1.0
	v_fma_f64 v[100:101], v[100:101], v[106:107], 1.0
	v_cvt_i32_f64_e32 v15, v[30:31]
	v_ldexp_f64 v[30:31], v[100:101], v15
	v_cmp_nlt_f64_e32 vcc, s[2:3], v[16:17]
	v_cmp_ngt_f64_e64 s[40:41], s[70:71], v[16:17]
	v_cndmask_b32_e32 v15, v14, v31, vcc
	s_and_b64 vcc, s[40:41], vcc
	v_cndmask_b32_e64 v31, 0, v15, s[40:41]
	v_cndmask_b32_e32 v30, 0, v30, vcc
	v_add_f64 v[30:31], v[18:19], v[30:31]
	v_add_f64 v[18:19], v[12:13], -v[88:89]
	v_mul_f64 v[100:101], v[18:19], s[54:55]
	v_rndne_f64_e32 v[100:101], v[100:101]
	v_fma_f64 v[106:107], s[50:51], v[100:101], v[18:19]
	v_fmac_f64_e32 v[106:107], s[52:53], v[100:101]
	v_fma_f64 v[78:79], s[42:43], v[106:107], v[98:99]
	v_fma_f64 v[78:79], v[106:107], v[78:79], s[46:47]
	v_fma_f64 v[78:79], v[106:107], v[78:79], s[56:57]
	v_fma_f64 v[78:79], v[106:107], v[78:79], s[58:59]
	v_fma_f64 v[78:79], v[106:107], v[78:79], s[60:61]
	v_fma_f64 v[78:79], v[106:107], v[78:79], s[62:63]
	v_fma_f64 v[78:79], v[106:107], v[78:79], s[64:65]
	v_fma_f64 v[78:79], v[106:107], v[78:79], s[66:67]
	v_fma_f64 v[78:79], v[106:107], v[78:79], s[68:69]
	v_fma_f64 v[78:79], v[106:107], v[78:79], 1.0
	v_fma_f64 v[78:79], v[106:107], v[78:79], 1.0
	v_cvt_i32_f64_e32 v15, v[100:101]
	v_ldexp_f64 v[78:79], v[78:79], v15
	v_cmp_nlt_f64_e32 vcc, s[2:3], v[18:19]
	v_cmp_ngt_f64_e64 s[40:41], s[70:71], v[18:19]
	v_cndmask_b32_e32 v15, v14, v79, vcc
	s_and_b64 vcc, s[40:41], vcc
	v_cndmask_b32_e64 v79, 0, v15, s[40:41]
	v_cndmask_b32_e32 v78, 0, v78, vcc
	v_add_f64 v[30:31], v[30:31], v[78:79]
	s_waitcnt vmcnt(0)
	v_add_f64 v[12:13], v[2:3], -v[88:89]
	buffer_load_dword v2, off, s[96:99], 0 offset:112 ; 4-byte Folded Reload
	buffer_load_dword v3, off, s[96:99], 0 offset:116 ; 4-byte Folded Reload
	v_mul_f64 v[78:79], v[12:13], s[54:55]
	v_rndne_f64_e32 v[78:79], v[78:79]
	v_fma_f64 v[100:101], s[50:51], v[78:79], v[12:13]
	v_fmac_f64_e32 v[100:101], s[52:53], v[78:79]
	v_fma_f64 v[106:107], s[42:43], v[100:101], v[98:99]
	v_fma_f64 v[106:107], v[100:101], v[106:107], s[46:47]
	v_fma_f64 v[106:107], v[100:101], v[106:107], s[56:57]
	v_fma_f64 v[106:107], v[100:101], v[106:107], s[58:59]
	v_fma_f64 v[106:107], v[100:101], v[106:107], s[60:61]
	v_fma_f64 v[106:107], v[100:101], v[106:107], s[62:63]
	v_fma_f64 v[106:107], v[100:101], v[106:107], s[64:65]
	v_fma_f64 v[106:107], v[100:101], v[106:107], s[66:67]
	v_fma_f64 v[106:107], v[100:101], v[106:107], s[68:69]
	v_fma_f64 v[106:107], v[100:101], v[106:107], 1.0
	v_fma_f64 v[100:101], v[100:101], v[106:107], 1.0
	v_cvt_i32_f64_e32 v15, v[78:79]
	v_ldexp_f64 v[78:79], v[100:101], v15
	v_cmp_nlt_f64_e32 vcc, s[2:3], v[12:13]
	v_cmp_ngt_f64_e64 s[40:41], s[70:71], v[12:13]
	v_cndmask_b32_e32 v15, v14, v79, vcc
	s_and_b64 vcc, s[40:41], vcc
	v_cndmask_b32_e64 v79, 0, v15, s[40:41]
	v_cndmask_b32_e32 v78, 0, v78, vcc
	v_add_f64 v[78:79], v[30:31], v[78:79]
	s_waitcnt vmcnt(0)
	v_add_f64 v[30:31], v[2:3], -v[88:89]
	buffer_load_dword v2, off, s[96:99], 0 offset:80 ; 4-byte Folded Reload
	buffer_load_dword v3, off, s[96:99], 0 offset:84 ; 4-byte Folded Reload
	;; [unrolled: 28-line block ×3, first 2 shown]
	buffer_load_dword v4, off, s[96:99], 0 offset:56 ; 4-byte Folded Reload
	buffer_load_dword v5, off, s[96:99], 0 offset:60 ; 4-byte Folded Reload
	;; [unrolled: 1-line block ×4, first 2 shown]
	v_mul_f64 v[84:85], v[8:9], s[54:55]
	v_rndne_f64_e32 v[84:85], v[84:85]
	v_fma_f64 v[100:101], s[50:51], v[84:85], v[8:9]
	v_fmac_f64_e32 v[100:101], s[52:53], v[84:85]
	v_fma_f64 v[106:107], s[42:43], v[100:101], v[98:99]
	v_fma_f64 v[106:107], v[100:101], v[106:107], s[46:47]
	;; [unrolled: 1-line block ×9, first 2 shown]
	v_fma_f64 v[106:107], v[100:101], v[106:107], 1.0
	v_fma_f64 v[100:101], v[100:101], v[106:107], 1.0
	v_cvt_i32_f64_e32 v15, v[84:85]
	v_ldexp_f64 v[84:85], v[100:101], v15
	v_cmp_nlt_f64_e32 vcc, s[2:3], v[8:9]
	v_cmp_ngt_f64_e64 s[40:41], s[70:71], v[8:9]
	v_cndmask_b32_e32 v15, v14, v85, vcc
	s_and_b64 vcc, s[40:41], vcc
	v_cndmask_b32_e64 v85, 0, v15, s[40:41]
	v_cndmask_b32_e32 v84, 0, v84, vcc
	v_add_f64 v[78:79], v[78:79], v[84:85]
	s_waitcnt vmcnt(4)
	v_add_f64 v[100:101], v[2:3], -v[88:89]
	v_mul_f64 v[84:85], v[100:101], s[54:55]
	v_rndne_f64_e32 v[84:85], v[84:85]
	v_fma_f64 v[106:107], s[50:51], v[84:85], v[100:101]
	v_fmac_f64_e32 v[106:107], s[52:53], v[84:85]
	v_fma_f64 v[92:93], s[42:43], v[106:107], v[98:99]
	v_fma_f64 v[92:93], v[106:107], v[92:93], s[46:47]
	;; [unrolled: 1-line block ×9, first 2 shown]
	buffer_load_dword v2, off, s[96:99], 0 offset:64 ; 4-byte Folded Reload
	buffer_load_dword v3, off, s[96:99], 0 offset:68 ; 4-byte Folded Reload
	v_fma_f64 v[92:93], v[106:107], v[92:93], 1.0
	v_fma_f64 v[92:93], v[106:107], v[92:93], 1.0
	v_cvt_i32_f64_e32 v15, v[84:85]
	v_ldexp_f64 v[84:85], v[92:93], v15
	v_cmp_nlt_f64_e32 vcc, s[2:3], v[100:101]
	v_cmp_ngt_f64_e64 s[40:41], s[70:71], v[100:101]
	v_cndmask_b32_e32 v15, v14, v85, vcc
	s_and_b64 vcc, s[40:41], vcc
	v_cndmask_b32_e64 v85, 0, v15, s[40:41]
	v_cndmask_b32_e32 v84, 0, v84, vcc
	s_waitcnt vmcnt(4)
	v_add_f64 v[4:5], v[4:5], -v[88:89]
	v_add_f64 v[78:79], v[78:79], v[84:85]
	v_mul_f64 v[84:85], v[4:5], s[54:55]
	v_rndne_f64_e32 v[84:85], v[84:85]
	v_fma_f64 v[92:93], s[50:51], v[84:85], v[4:5]
	v_fmac_f64_e32 v[92:93], s[52:53], v[84:85]
	v_fma_f64 v[106:107], s[42:43], v[92:93], v[98:99]
	v_fma_f64 v[106:107], v[92:93], v[106:107], s[46:47]
	v_fma_f64 v[106:107], v[92:93], v[106:107], s[56:57]
	v_fma_f64 v[106:107], v[92:93], v[106:107], s[58:59]
	v_fma_f64 v[106:107], v[92:93], v[106:107], s[60:61]
	v_fma_f64 v[106:107], v[92:93], v[106:107], s[62:63]
	v_fma_f64 v[106:107], v[92:93], v[106:107], s[64:65]
	v_fma_f64 v[106:107], v[92:93], v[106:107], s[66:67]
	v_fma_f64 v[106:107], v[92:93], v[106:107], s[68:69]
	v_fma_f64 v[106:107], v[92:93], v[106:107], 1.0
	v_fma_f64 v[92:93], v[92:93], v[106:107], 1.0
	s_waitcnt vmcnt(2)
	v_add_f64 v[106:107], v[34:35], -v[88:89]
	buffer_load_dword v34, off, s[96:99], 0 offset:28 ; 4-byte Folded Reload
	v_cvt_i32_f64_e32 v15, v[84:85]
	v_ldexp_f64 v[84:85], v[92:93], v15
	v_cmp_nlt_f64_e32 vcc, s[2:3], v[4:5]
	v_cmp_ngt_f64_e64 s[40:41], s[70:71], v[4:5]
	v_cndmask_b32_e32 v15, v14, v85, vcc
	s_and_b64 vcc, s[40:41], vcc
	v_cndmask_b32_e64 v85, 0, v15, s[40:41]
	v_cndmask_b32_e32 v84, 0, v84, vcc
	v_add_f64 v[78:79], v[78:79], v[84:85]
	v_mul_f64 v[84:85], v[106:107], s[54:55]
	v_rndne_f64_e32 v[84:85], v[84:85]
	v_fma_f64 v[92:93], s[50:51], v[84:85], v[106:107]
	v_fmac_f64_e32 v[92:93], s[52:53], v[84:85]
	v_fma_f64 v[102:103], s[42:43], v[92:93], v[98:99]
	v_fma_f64 v[102:103], v[92:93], v[102:103], s[46:47]
	;; [unrolled: 1-line block ×9, first 2 shown]
	v_fma_f64 v[102:103], v[92:93], v[102:103], 1.0
	v_fma_f64 v[92:93], v[92:93], v[102:103], 1.0
	v_cvt_i32_f64_e32 v15, v[84:85]
	v_ldexp_f64 v[84:85], v[92:93], v15
	v_cmp_nlt_f64_e32 vcc, s[2:3], v[106:107]
	v_cmp_ngt_f64_e64 s[40:41], s[70:71], v[106:107]
	v_cndmask_b32_e32 v15, v14, v85, vcc
	s_and_b64 vcc, s[40:41], vcc
	v_cndmask_b32_e64 v85, 0, v15, s[40:41]
	v_cndmask_b32_e32 v84, 0, v84, vcc
	v_add_f64 v[78:79], v[78:79], v[84:85]
	s_waitcnt vmcnt(1)
	v_add_f64 v[2:3], v[2:3], -v[88:89]
	v_mul_f64 v[84:85], v[2:3], s[54:55]
	v_rndne_f64_e32 v[84:85], v[84:85]
	v_fma_f64 v[88:89], s[50:51], v[84:85], v[2:3]
	v_fmac_f64_e32 v[88:89], s[52:53], v[84:85]
	v_fmac_f64_e32 v[98:99], s[42:43], v[88:89]
	v_fma_f64 v[92:93], v[88:89], v[98:99], s[46:47]
	v_fma_f64 v[92:93], v[88:89], v[92:93], s[56:57]
	;; [unrolled: 1-line block ×8, first 2 shown]
	v_fma_f64 v[92:93], v[88:89], v[92:93], 1.0
	v_fma_f64 v[88:89], v[88:89], v[92:93], 1.0
	v_cvt_i32_f64_e32 v15, v[84:85]
	v_ldexp_f64 v[84:85], v[88:89], v15
	v_cmp_nlt_f64_e32 vcc, s[2:3], v[2:3]
	v_cmp_ngt_f64_e64 s[40:41], s[70:71], v[2:3]
	v_cndmask_b32_e32 v14, v14, v85, vcc
	s_and_b64 vcc, s[40:41], vcc
	v_cndmask_b32_e64 v15, 0, v14, s[40:41]
	v_cndmask_b32_e32 v14, 0, v84, vcc
	v_add_f64 v[14:15], v[78:79], v[14:15]
	s_waitcnt vmcnt(0)
	ds_bpermute_b32 v78, v34, v14
	ds_bpermute_b32 v79, v34, v15
	buffer_load_dword v34, off, s[96:99], 0 offset:32 ; 4-byte Folded Reload
	s_waitcnt lgkmcnt(0)
	v_add_f64 v[14:15], v[14:15], v[78:79]
	s_waitcnt vmcnt(0)
	ds_bpermute_b32 v78, v34, v14
	ds_bpermute_b32 v79, v34, v15
	buffer_load_dword v34, off, s[96:99], 0 offset:36 ; 4-byte Folded Reload
	s_waitcnt lgkmcnt(0)
	;; [unrolled: 6-line block ×3, first 2 shown]
	v_add_f64 v[14:15], v[14:15], v[78:79]
	s_waitcnt vmcnt(0)
	ds_bpermute_b32 v78, v34, v14
	ds_bpermute_b32 v79, v34, v15
	s_waitcnt lgkmcnt(0)
	v_add_f64 v[88:89], v[14:15], v[78:79]
	buffer_load_dword v14, off, s[96:99], 0 offset:44 ; 4-byte Folded Reload
	s_waitcnt vmcnt(0)
	ds_bpermute_b32 v98, v14, v88
	ds_bpermute_b32 v99, v14, v89
	buffer_load_dword v14, off, s[96:99], 0 offset:24 ; 4-byte Folded Reload
	s_waitcnt vmcnt(0)
	v_cmp_lt_i32_e32 vcc, 0, v14
	s_and_saveexec_b64 s[2:3], vcc
	s_cbranch_execz .LBB23_194
; %bb.129:
	s_and_b64 exec, exec, s[44:45]
	s_cbranch_execz .LBB23_194
; %bb.130:
	s_waitcnt lgkmcnt(0)
	v_add_f64 v[98:99], v[88:89], v[98:99]
	s_mov_b32 s2, 0x55555555
	v_frexp_mant_f64_e32 v[14:15], v[98:99]
	s_mov_b32 s3, 0x3fe55555
	v_mov_b32_e32 v78, 0x3ff00000
	v_cmp_gt_f64_e32 vcc, s[2:3], v[14:15]
	v_cndmask_b32_e64 v79, v78, 2.0, vcc
	v_mov_b32_e32 v78, 0
	v_mul_f64 v[14:15], v[14:15], v[78:79]
	v_frexp_exp_i32_f64_e32 v84, v[98:99]
	v_add_f64 v[78:79], v[14:15], 1.0
	v_pk_mov_b32 v[48:49], v[116:117], v[116:117] op_sel:[0,1]
	v_subbrev_co_u32_e32 v116, vcc, 0, v84, vcc
	v_rcp_f64_e32 v[84:85], v[78:79]
	v_add_f64 v[92:93], v[78:79], -1.0
	v_add_f64 v[88:89], v[14:15], -1.0
	v_add_f64 v[14:15], v[14:15], -v[92:93]
	v_fma_f64 v[92:93], -v[78:79], v[84:85], 1.0
	v_fmac_f64_e32 v[84:85], v[92:93], v[84:85]
	v_fma_f64 v[92:93], -v[78:79], v[84:85], 1.0
	v_fmac_f64_e32 v[84:85], v[92:93], v[84:85]
	v_mul_f64 v[92:93], v[88:89], v[84:85]
	v_mul_f64 v[102:103], v[78:79], v[92:93]
	v_fma_f64 v[78:79], v[92:93], v[78:79], -v[102:103]
	v_fmac_f64_e32 v[78:79], v[92:93], v[14:15]
	v_add_f64 v[14:15], v[102:103], v[78:79]
	v_pk_mov_b32 v[34:35], v[108:109], v[108:109] op_sel:[0,1]
	v_add_f64 v[108:109], v[88:89], -v[14:15]
	v_add_f64 v[102:103], v[14:15], -v[102:103]
	;; [unrolled: 1-line block ×5, first 2 shown]
	v_add_f64 v[14:15], v[78:79], v[14:15]
	v_add_f64 v[14:15], v[108:109], v[14:15]
	v_mul_f64 v[14:15], v[84:85], v[14:15]
	v_add_f64 v[78:79], v[92:93], v[14:15]
	v_add_f64 v[84:85], v[78:79], -v[92:93]
	s_mov_b32 s2, 0xbf559e2b
	v_add_f64 v[14:15], v[14:15], -v[84:85]
	v_mul_f64 v[84:85], v[78:79], v[78:79]
	v_mov_b32_e32 v88, 0x6b47b09a
	v_mov_b32_e32 v89, 0x3fc38538
	s_mov_b32 s3, 0x3fc3ab76
	v_fmac_f64_e32 v[88:89], s[2:3], v[84:85]
	v_mov_b32_e32 v92, 0xd7f4df2e
	v_mov_b32_e32 v93, 0x3fc7474d
	v_fmac_f64_e32 v[92:93], v[84:85], v[88:89]
	v_mov_b32_e32 v88, 0x16291751
	v_mov_b32_e32 v89, 0x3fcc71c0
	;; [unrolled: 3-line block ×5, first 2 shown]
	v_fmac_f64_e32 v[92:93], v[84:85], v[88:89]
	v_ldexp_f64 v[88:89], v[78:79], 1
	v_mul_f64 v[78:79], v[78:79], v[84:85]
	v_mul_f64 v[78:79], v[78:79], v[92:93]
	v_add_f64 v[84:85], v[88:89], v[78:79]
	v_add_f64 v[88:89], v[84:85], -v[88:89]
	v_ldexp_f64 v[14:15], v[14:15], 1
	v_add_f64 v[78:79], v[78:79], -v[88:89]
	v_add_f64 v[14:15], v[14:15], v[78:79]
	v_add_f64 v[78:79], v[84:85], v[14:15]
	v_add_f64 v[84:85], v[78:79], -v[84:85]
	s_mov_b32 s2, 0xfefa39ef
	v_add_f64 v[14:15], v[14:15], -v[84:85]
	v_cvt_f64_i32_e32 v[84:85], v116
	s_mov_b32 s3, 0x3fe62e42
	v_mul_f64 v[88:89], v[84:85], s[2:3]
	v_fma_f64 v[92:93], v[84:85], s[2:3], -v[88:89]
	s_mov_b32 s2, 0x3b39803f
	s_mov_b32 s3, 0x3c7abc9e
	v_fmac_f64_e32 v[92:93], s[2:3], v[84:85]
	v_add_f64 v[84:85], v[88:89], v[92:93]
	v_add_f64 v[88:89], v[84:85], -v[88:89]
	v_add_f64 v[88:89], v[92:93], -v[88:89]
	v_add_f64 v[92:93], v[84:85], v[78:79]
	v_add_f64 v[102:103], v[92:93], -v[84:85]
	v_add_f64 v[108:109], v[92:93], -v[102:103]
	;; [unrolled: 1-line block ×4, first 2 shown]
	v_add_f64 v[78:79], v[78:79], v[84:85]
	v_add_f64 v[84:85], v[88:89], v[14:15]
	v_add_f64 v[102:103], v[84:85], -v[88:89]
	v_add_f64 v[108:109], v[84:85], -v[102:103]
	v_add_f64 v[78:79], v[84:85], v[78:79]
	v_add_f64 v[88:89], v[88:89], -v[108:109]
	v_add_f64 v[14:15], v[14:15], -v[102:103]
	v_add_f64 v[84:85], v[92:93], v[78:79]
	v_add_f64 v[14:15], v[14:15], v[88:89]
	v_add_f64 v[88:89], v[84:85], -v[92:93]
	v_add_f64 v[78:79], v[78:79], -v[88:89]
	v_add_f64 v[14:15], v[14:15], v[78:79]
	s_movk_i32 s2, 0x204
	v_add_f64 v[14:15], v[84:85], v[14:15]
	v_cmp_class_f64_e64 vcc, v[98:99], s2
	v_cndmask_b32_e32 v14, v14, v98, vcc
	v_cndmask_b32_e32 v15, v15, v99, vcc
	v_mov_b32_e32 v78, 0x7ff80000
	v_cmp_ngt_f64_e32 vcc, 0, v[98:99]
	v_cndmask_b32_e32 v15, v78, v15, vcc
	buffer_load_dword v78, off, s[96:99], 0 offset:136 ; 4-byte Folded Reload
	buffer_load_dword v79, off, s[96:99], 0 offset:140 ; 4-byte Folded Reload
	v_cmp_nge_f64_e32 vcc, 0, v[98:99]
	v_cndmask_b32_e32 v88, 0, v14, vcc
	v_mov_b32_e32 v14, 0xfff00000
	v_cmp_neq_f64_e32 vcc, 0, v[98:99]
	v_cndmask_b32_e32 v89, v14, v15, vcc
	v_mov_b32_e32 v14, s49
	s_waitcnt vmcnt(1)
	v_add_co_u32_e32 v98, vcc, s48, v78
	s_waitcnt vmcnt(0)
	v_addc_co_u32_e32 v99, vcc, v14, v79, vcc
	buffer_load_dword v14, off, s[96:99], 0 offset:144 ; 4-byte Folded Reload
	buffer_load_dword v15, off, s[96:99], 0 offset:148 ; 4-byte Folded Reload
	s_waitcnt vmcnt(0)
	v_add_f64 v[14:15], v[14:15], -v[88:89]
	global_store_dwordx2 v[98:99], v[14:15], off
	s_and_b64 exec, exec, s[0:1]
	s_cbranch_execz .LBB23_194
; %bb.131:
	buffer_load_dword v14, off, s[96:99], 0 offset:152 ; 4-byte Folded Reload
	buffer_load_dword v15, off, s[96:99], 0 offset:156 ; 4-byte Folded Reload
	v_readlane_b32 s0, v126, 0
	v_readlane_b32 s1, v126, 1
	s_waitcnt vmcnt(0)
	v_add_f64 v[14:15], v[14:15], -v[88:89]
	global_store_dwordx2 v[98:99], v[14:15], off offset:256
	s_and_b64 exec, exec, s[0:1]
	s_cbranch_execz .LBB23_194
; %bb.132:
	buffer_load_dword v14, off, s[96:99], 0 offset:160 ; 4-byte Folded Reload
	buffer_load_dword v15, off, s[96:99], 0 offset:164 ; 4-byte Folded Reload
	v_readlane_b32 s0, v126, 2
	v_readlane_b32 s1, v126, 3
	s_waitcnt vmcnt(0)
	v_add_f64 v[14:15], v[14:15], -v[88:89]
	global_store_dwordx2 v[98:99], v[14:15], off offset:512
	;; [unrolled: 10-line block ×6, first 2 shown]
	s_and_b64 exec, exec, s[0:1]
	s_cbranch_execz .LBB23_194
; %bb.137:
	v_readlane_b32 s0, v126, 12
	v_add_f64 v[14:15], v[40:41], -v[88:89]
	v_readlane_b32 s1, v126, 13
	global_store_dwordx2 v[98:99], v[14:15], off offset:1792
	s_and_b64 exec, exec, s[0:1]
	s_cbranch_execz .LBB23_194
; %bb.138:
	v_readlane_b32 s0, v126, 14
	v_add_f64 v[14:15], v[34:35], -v[88:89]
	v_readlane_b32 s1, v126, 15
	global_store_dwordx2 v[98:99], v[14:15], off offset:2048
	;; [unrolled: 7-line block ×5, first 2 shown]
	s_and_b64 exec, exec, s[0:1]
	s_cbranch_execz .LBB23_194
; %bb.142:
	buffer_load_dword v0, off, s[96:99], 0 offset:200 ; 4-byte Folded Reload
	buffer_load_dword v1, off, s[96:99], 0 offset:204 ; 4-byte Folded Reload
	v_readlane_b32 s0, v126, 22
	v_readlane_b32 s1, v126, 23
	s_waitcnt vmcnt(0)
	v_add_f64 v[0:1], v[0:1], -v[88:89]
	global_store_dwordx2 v[98:99], v[0:1], off offset:3072
	s_and_b64 exec, exec, s[0:1]
	s_cbranch_execz .LBB23_194
; %bb.143:
	buffer_load_dword v0, off, s[96:99], 0 offset:208 ; 4-byte Folded Reload
	buffer_load_dword v1, off, s[96:99], 0 offset:212 ; 4-byte Folded Reload
	v_readlane_b32 s0, v126, 24
	v_readlane_b32 s1, v126, 25
	s_waitcnt vmcnt(0)
	v_add_f64 v[0:1], v[0:1], -v[88:89]
	global_store_dwordx2 v[98:99], v[0:1], off offset:3328
	;; [unrolled: 10-line block ×4, first 2 shown]
	s_and_b64 exec, exec, s[0:1]
	s_cbranch_execz .LBB23_194
; %bb.146:
	buffer_load_dword v0, off, s[96:99], 0 offset:232 ; 4-byte Folded Reload
	buffer_load_dword v1, off, s[96:99], 0 offset:236 ; 4-byte Folded Reload
	v_add_co_u32_e32 v14, vcc, 0x1000, v98
	v_readlane_b32 s0, v126, 30
	v_addc_co_u32_e32 v15, vcc, 0, v99, vcc
	v_readlane_b32 s1, v126, 31
	s_waitcnt vmcnt(0)
	v_add_f64 v[0:1], v[0:1], -v[88:89]
	global_store_dwordx2 v[14:15], v[0:1], off
	s_and_b64 exec, exec, s[0:1]
	s_cbranch_execz .LBB23_194
; %bb.147:
	buffer_load_dword v0, off, s[96:99], 0 offset:240 ; 4-byte Folded Reload
	buffer_load_dword v1, off, s[96:99], 0 offset:244 ; 4-byte Folded Reload
	v_add_co_u32_e32 v14, vcc, 0x1000, v98
	v_readlane_b32 s0, v126, 32
	v_addc_co_u32_e32 v15, vcc, 0, v99, vcc
	v_readlane_b32 s1, v126, 33
	s_waitcnt vmcnt(0)
	v_add_f64 v[0:1], v[0:1], -v[88:89]
	global_store_dwordx2 v[14:15], v[0:1], off offset:256
	s_and_b64 exec, exec, s[0:1]
	s_cbranch_execz .LBB23_194
; %bb.148:
	buffer_load_dword v0, off, s[96:99], 0 offset:128 ; 4-byte Folded Reload
	buffer_load_dword v1, off, s[96:99], 0 offset:132 ; 4-byte Folded Reload
	v_add_co_u32_e32 v14, vcc, 0x1000, v98
	v_readlane_b32 s0, v126, 34
	v_addc_co_u32_e32 v15, vcc, 0, v99, vcc
	v_readlane_b32 s1, v126, 35
	s_waitcnt vmcnt(0)
	v_add_f64 v[0:1], v[0:1], -v[88:89]
	global_store_dwordx2 v[14:15], v[0:1], off offset:512
	;; [unrolled: 12-line block ×4, first 2 shown]
	s_and_b64 exec, exec, s[0:1]
	s_cbranch_execz .LBB23_194
; %bb.151:
	v_add_co_u32_e32 v14, vcc, 0x1000, v98
	v_readlane_b32 s0, v126, 40
	v_add_f64 v[0:1], v[104:105], -v[88:89]
	v_addc_co_u32_e32 v15, vcc, 0, v99, vcc
	v_readlane_b32 s1, v126, 41
	global_store_dwordx2 v[14:15], v[0:1], off offset:1280
	s_and_b64 exec, exec, s[0:1]
	s_cbranch_execz .LBB23_194
; %bb.152:
	v_add_f64 v[0:1], v[6:7], -v[88:89]
	v_add_co_u32_e32 v6, vcc, 0x1000, v98
	v_readlane_b32 s0, v126, 42
	v_addc_co_u32_e32 v7, vcc, 0, v99, vcc
	v_readlane_b32 s1, v126, 43
	global_store_dwordx2 v[6:7], v[0:1], off offset:1536
	s_and_b64 exec, exec, s[0:1]
	s_cbranch_execz .LBB23_194
; %bb.153:
	v_add_co_u32_e32 v6, vcc, 0x1000, v98
	v_readlane_b32 s0, v126, 44
	v_add_f64 v[0:1], v[10:11], -v[88:89]
	v_addc_co_u32_e32 v7, vcc, 0, v99, vcc
	v_readlane_b32 s1, v126, 45
	global_store_dwordx2 v[6:7], v[0:1], off offset:1792
	s_and_b64 exec, exec, s[0:1]
	s_cbranch_execz .LBB23_194
; %bb.154:
	v_add_co_u32_e32 v6, vcc, 0x1000, v98
	v_readlane_b32 s0, v126, 46
	v_add_f64 v[0:1], v[96:97], -v[88:89]
	v_addc_co_u32_e32 v7, vcc, 0, v99, vcc
	v_readlane_b32 s1, v126, 47
	global_store_dwordx2 v[6:7], v[0:1], off offset:2048
	s_and_b64 exec, exec, s[0:1]
	s_cbranch_execz .LBB23_194
; %bb.155:
	v_add_co_u32_e32 v6, vcc, 0x1000, v98
	v_readlane_b32 s0, v126, 48
	v_add_f64 v[0:1], v[90:91], -v[88:89]
	v_addc_co_u32_e32 v7, vcc, 0, v99, vcc
	v_readlane_b32 s1, v126, 49
	global_store_dwordx2 v[6:7], v[0:1], off offset:2304
	s_and_b64 exec, exec, s[0:1]
	s_cbranch_execz .LBB23_194
; %bb.156:
	v_add_co_u32_e32 v6, vcc, 0x1000, v98
	v_readlane_b32 s0, v126, 50
	v_add_f64 v[0:1], v[94:95], -v[88:89]
	v_addc_co_u32_e32 v7, vcc, 0, v99, vcc
	v_readlane_b32 s1, v126, 51
	global_store_dwordx2 v[6:7], v[0:1], off offset:2560
	s_and_b64 exec, exec, s[0:1]
	s_cbranch_execz .LBB23_194
; %bb.157:
	v_add_co_u32_e32 v6, vcc, 0x1000, v98
	v_readlane_b32 s0, v126, 52
	v_add_f64 v[0:1], v[82:83], -v[88:89]
	v_addc_co_u32_e32 v7, vcc, 0, v99, vcc
	v_readlane_b32 s1, v126, 53
	global_store_dwordx2 v[6:7], v[0:1], off offset:2816
	s_and_b64 exec, exec, s[0:1]
	s_cbranch_execz .LBB23_194
; %bb.158:
	v_add_co_u32_e32 v6, vcc, 0x1000, v98
	v_readlane_b32 s0, v126, 54
	v_add_f64 v[0:1], v[112:113], -v[88:89]
	v_addc_co_u32_e32 v7, vcc, 0, v99, vcc
	v_readlane_b32 s1, v126, 55
	global_store_dwordx2 v[6:7], v[0:1], off offset:3072
	s_and_b64 exec, exec, s[0:1]
	s_cbranch_execz .LBB23_194
; %bb.159:
	v_add_co_u32_e32 v6, vcc, 0x1000, v98
	v_readlane_b32 s0, v126, 56
	v_add_f64 v[0:1], v[76:77], -v[88:89]
	v_addc_co_u32_e32 v7, vcc, 0, v99, vcc
	v_readlane_b32 s1, v126, 57
	global_store_dwordx2 v[6:7], v[0:1], off offset:3328
	s_and_b64 exec, exec, s[0:1]
	s_cbranch_execz .LBB23_194
; %bb.160:
	v_add_co_u32_e32 v6, vcc, 0x1000, v98
	v_readlane_b32 s0, v126, 58
	v_add_f64 v[0:1], v[110:111], -v[88:89]
	v_addc_co_u32_e32 v7, vcc, 0, v99, vcc
	v_readlane_b32 s1, v126, 59
	global_store_dwordx2 v[6:7], v[0:1], off offset:3584
	s_and_b64 exec, exec, s[0:1]
	s_cbranch_execz .LBB23_194
; %bb.161:
	v_add_co_u32_e32 v6, vcc, 0x1000, v98
	v_readlane_b32 s0, v126, 60
	v_add_f64 v[0:1], v[70:71], -v[88:89]
	v_addc_co_u32_e32 v7, vcc, 0, v99, vcc
	v_readlane_b32 s1, v126, 61
	global_store_dwordx2 v[6:7], v[0:1], off offset:3840
	s_and_b64 exec, exec, s[0:1]
	s_cbranch_execz .LBB23_194
; %bb.162:
	v_add_co_u32_e32 v6, vcc, 0x2000, v98
	v_readlane_b32 s0, v126, 62
	v_add_f64 v[0:1], v[118:119], -v[88:89]
	v_addc_co_u32_e32 v7, vcc, 0, v99, vcc
	v_readlane_b32 s1, v126, 63
	global_store_dwordx2 v[6:7], v[0:1], off
	s_and_b64 exec, exec, s[0:1]
	s_cbranch_execz .LBB23_194
; %bb.163:
	v_add_co_u32_e32 v6, vcc, 0x2000, v98
	v_readlane_b32 s0, v127, 0
	v_add_f64 v[0:1], v[64:65], -v[88:89]
	v_addc_co_u32_e32 v7, vcc, 0, v99, vcc
	v_readlane_b32 s1, v127, 1
	global_store_dwordx2 v[6:7], v[0:1], off offset:256
	s_and_b64 exec, exec, s[0:1]
	s_cbranch_execz .LBB23_194
; %bb.164:
	v_add_co_u32_e32 v6, vcc, 0x2000, v98
	v_add_f64 v[0:1], v[114:115], -v[88:89]
	v_addc_co_u32_e32 v7, vcc, 0, v99, vcc
	global_store_dwordx2 v[6:7], v[0:1], off offset:512
	s_and_b64 exec, exec, s[72:73]
	s_cbranch_execz .LBB23_194
; %bb.165:
	v_add_co_u32_e32 v6, vcc, 0x2000, v98
	v_add_f64 v[0:1], v[60:61], -v[88:89]
	v_addc_co_u32_e32 v7, vcc, 0, v99, vcc
	;; [unrolled: 7-line block ×15, first 2 shown]
	global_store_dwordx2 v[6:7], v[0:1], off
	s_and_b64 exec, exec, s[14:15]
	s_cbranch_execz .LBB23_194
; %bb.179:
	v_add_co_u32_e32 v6, vcc, 0x3000, v98
	v_add_f64 v[0:1], v[72:73], -v[88:89]
	v_addc_co_u32_e32 v7, vcc, 0, v99, vcc
	global_store_dwordx2 v[6:7], v[0:1], off offset:256
	s_and_b64 exec, exec, s[16:17]
	s_cbranch_execz .LBB23_194
; %bb.180:
	v_add_co_u32_e32 v6, vcc, 0x3000, v98
	v_add_f64 v[0:1], v[28:29], -v[88:89]
	v_addc_co_u32_e32 v7, vcc, 0, v99, vcc
	global_store_dwordx2 v[6:7], v[0:1], off offset:512
	;; [unrolled: 7-line block ×12, first 2 shown]
	s_and_b64 exec, exec, s[36:37]
	s_cbranch_execz .LBB23_194
; %bb.191:
	v_add_f64 v[0:1], v[4:5], -v[88:89]
	v_add_co_u32_e32 v4, vcc, 0x3000, v98
	v_addc_co_u32_e32 v5, vcc, 0, v99, vcc
	global_store_dwordx2 v[4:5], v[0:1], off offset:3328
	s_and_b64 exec, exec, s[38:39]
	s_cbranch_execz .LBB23_194
; %bb.192:
	v_add_co_u32_e32 v4, vcc, 0x3000, v98
	v_add_f64 v[0:1], v[106:107], -v[88:89]
	v_addc_co_u32_e32 v5, vcc, 0, v99, vcc
	global_store_dwordx2 v[4:5], v[0:1], off offset:3584
	s_and_b64 exec, exec, s[4:5]
	s_cbranch_execz .LBB23_194
; %bb.193:
	v_add_f64 v[0:1], v[2:3], -v[88:89]
	v_add_co_u32_e32 v2, vcc, 0x3000, v98
	v_addc_co_u32_e32 v3, vcc, 0, v99, vcc
	global_store_dwordx2 v[2:3], v[0:1], off offset:3840
.LBB23_194:
	s_endpgm
	.section	.rodata,"a",@progbits
	.p2align	6, 0x0
	.amdhsa_kernel _ZN12_GLOBAL__N_120softmax_warp_forwardIdddLi11ELb1ELb0ELi32EEEvPT0_PKT_iiiPKbib
		.amdhsa_group_segment_fixed_size 0
		.amdhsa_private_segment_fixed_size 260
		.amdhsa_kernarg_size 304
		.amdhsa_user_sgpr_count 6
		.amdhsa_user_sgpr_private_segment_buffer 1
		.amdhsa_user_sgpr_dispatch_ptr 0
		.amdhsa_user_sgpr_queue_ptr 0
		.amdhsa_user_sgpr_kernarg_segment_ptr 1
		.amdhsa_user_sgpr_dispatch_id 0
		.amdhsa_user_sgpr_flat_scratch_init 0
		.amdhsa_user_sgpr_kernarg_preload_length 0
		.amdhsa_user_sgpr_kernarg_preload_offset 0
		.amdhsa_user_sgpr_private_segment_size 0
		.amdhsa_uses_dynamic_stack 0
		.amdhsa_system_sgpr_private_segment_wavefront_offset 1
		.amdhsa_system_sgpr_workgroup_id_x 1
		.amdhsa_system_sgpr_workgroup_id_y 0
		.amdhsa_system_sgpr_workgroup_id_z 0
		.amdhsa_system_sgpr_workgroup_info 0
		.amdhsa_system_vgpr_workitem_id 1
		.amdhsa_next_free_vgpr 128
		.amdhsa_next_free_sgpr 100
		.amdhsa_accum_offset 128
		.amdhsa_reserve_vcc 1
		.amdhsa_reserve_flat_scratch 0
		.amdhsa_float_round_mode_32 0
		.amdhsa_float_round_mode_16_64 0
		.amdhsa_float_denorm_mode_32 3
		.amdhsa_float_denorm_mode_16_64 3
		.amdhsa_dx10_clamp 1
		.amdhsa_ieee_mode 1
		.amdhsa_fp16_overflow 0
		.amdhsa_tg_split 0
		.amdhsa_exception_fp_ieee_invalid_op 0
		.amdhsa_exception_fp_denorm_src 0
		.amdhsa_exception_fp_ieee_div_zero 0
		.amdhsa_exception_fp_ieee_overflow 0
		.amdhsa_exception_fp_ieee_underflow 0
		.amdhsa_exception_fp_ieee_inexact 0
		.amdhsa_exception_int_div_zero 0
	.end_amdhsa_kernel
	.section	.text._ZN12_GLOBAL__N_120softmax_warp_forwardIdddLi11ELb1ELb0ELi32EEEvPT0_PKT_iiiPKbib,"axG",@progbits,_ZN12_GLOBAL__N_120softmax_warp_forwardIdddLi11ELb1ELb0ELi32EEEvPT0_PKT_iiiPKbib,comdat
.Lfunc_end23:
	.size	_ZN12_GLOBAL__N_120softmax_warp_forwardIdddLi11ELb1ELb0ELi32EEEvPT0_PKT_iiiPKbib, .Lfunc_end23-_ZN12_GLOBAL__N_120softmax_warp_forwardIdddLi11ELb1ELb0ELi32EEEvPT0_PKT_iiiPKbib
                                        ; -- End function
	.section	.AMDGPU.csdata,"",@progbits
; Kernel info:
; codeLenInByte = 21700
; NumSgprs: 104
; NumVgprs: 128
; NumAgprs: 0
; TotalNumVgprs: 128
; ScratchSize: 260
; MemoryBound: 0
; FloatMode: 240
; IeeeMode: 1
; LDSByteSize: 0 bytes/workgroup (compile time only)
; SGPRBlocks: 12
; VGPRBlocks: 15
; NumSGPRsForWavesPerEU: 104
; NumVGPRsForWavesPerEU: 128
; AccumOffset: 128
; Occupancy: 4
; WaveLimiterHint : 0
; COMPUTE_PGM_RSRC2:SCRATCH_EN: 1
; COMPUTE_PGM_RSRC2:USER_SGPR: 6
; COMPUTE_PGM_RSRC2:TRAP_HANDLER: 0
; COMPUTE_PGM_RSRC2:TGID_X_EN: 1
; COMPUTE_PGM_RSRC2:TGID_Y_EN: 0
; COMPUTE_PGM_RSRC2:TGID_Z_EN: 0
; COMPUTE_PGM_RSRC2:TIDIG_COMP_CNT: 1
; COMPUTE_PGM_RSRC3_GFX90A:ACCUM_OFFSET: 31
; COMPUTE_PGM_RSRC3_GFX90A:TG_SPLIT: 0
	.section	.text._ZN2at6native12_GLOBAL__N_122cunn_SoftMaxForwardRegIdddNS1_25LogSoftMaxForwardEpilogueElLi1EEEvPT1_PKT_T3_,"axG",@progbits,_ZN2at6native12_GLOBAL__N_122cunn_SoftMaxForwardRegIdddNS1_25LogSoftMaxForwardEpilogueElLi1EEEvPT1_PKT_T3_,comdat
	.globl	_ZN2at6native12_GLOBAL__N_122cunn_SoftMaxForwardRegIdddNS1_25LogSoftMaxForwardEpilogueElLi1EEEvPT1_PKT_T3_ ; -- Begin function _ZN2at6native12_GLOBAL__N_122cunn_SoftMaxForwardRegIdddNS1_25LogSoftMaxForwardEpilogueElLi1EEEvPT1_PKT_T3_
	.p2align	8
	.type	_ZN2at6native12_GLOBAL__N_122cunn_SoftMaxForwardRegIdddNS1_25LogSoftMaxForwardEpilogueElLi1EEEvPT1_PKT_T3_,@function
_ZN2at6native12_GLOBAL__N_122cunn_SoftMaxForwardRegIdddNS1_25LogSoftMaxForwardEpilogueElLi1EEEvPT1_PKT_T3_: ; @_ZN2at6native12_GLOBAL__N_122cunn_SoftMaxForwardRegIdddNS1_25LogSoftMaxForwardEpilogueElLi1EEEvPT1_PKT_T3_
; %bb.0:
	s_load_dwordx2 s[0:1], s[4:5], 0x10
	s_load_dwordx4 s[12:15], s[4:5], 0x0
	v_mov_b32_e32 v1, 0
	v_lshlrev_b32_e32 v8, 3, v0
                                        ; implicit-def: $vgpr2_vgpr3
	s_waitcnt lgkmcnt(0)
	s_mul_i32 s2, s6, s1
	s_mul_hi_u32 s3, s6, s0
	s_mul_i32 s16, s6, s0
	v_cmp_gt_i64_e32 vcc, s[0:1], v[0:1]
	s_mov_b32 s0, -1
	s_mov_b32 s1, 0xffefffff
	s_add_i32 s17, s3, s2
	v_pk_mov_b32 v[4:5], s[0:1], s[0:1] op_sel:[0,1]
	s_and_saveexec_b64 s[2:3], vcc
	s_cbranch_execz .LBB24_2
; %bb.1:
	s_lshl_b64 s[6:7], s[16:17], 3
	s_add_u32 s6, s14, s6
	s_addc_u32 s7, s15, s7
	global_load_dwordx2 v[2:3], v8, s[6:7]
	s_waitcnt vmcnt(0)
	v_max_f64 v[4:5], v[2:3], v[2:3]
	v_max_f64 v[4:5], v[4:5], s[0:1]
.LBB24_2:
	s_or_b64 exec, exec, s[2:3]
	v_mbcnt_lo_u32_b32 v1, -1, 0
	v_mbcnt_hi_u32_b32 v14, -1, v1
	v_and_b32_e32 v15, 63, v14
	v_cmp_gt_u32_e64 s[0:1], 32, v15
	v_cndmask_b32_e64 v1, 0, 1, s[0:1]
	v_lshlrev_b32_e32 v1, 5, v1
	v_add_lshl_u32 v9, v1, v14, 2
	ds_bpermute_b32 v6, v9, v4
	ds_bpermute_b32 v7, v9, v5
	s_waitcnt lgkmcnt(0)
	s_barrier
	v_cmp_lt_f64_e64 s[0:1], v[4:5], v[6:7]
	v_cndmask_b32_e64 v5, v5, v7, s[0:1]
	v_cndmask_b32_e64 v4, v4, v6, s[0:1]
	v_cmp_gt_u32_e64 s[0:1], 48, v15
	v_cndmask_b32_e64 v1, 0, 1, s[0:1]
	v_lshlrev_b32_e32 v1, 4, v1
	v_add_lshl_u32 v10, v1, v14, 2
	ds_bpermute_b32 v7, v10, v5
	ds_bpermute_b32 v6, v10, v4
	s_waitcnt lgkmcnt(0)
	v_cmp_lt_f64_e64 s[0:1], v[4:5], v[6:7]
	v_cndmask_b32_e64 v5, v5, v7, s[0:1]
	v_cndmask_b32_e64 v4, v4, v6, s[0:1]
	v_cmp_gt_u32_e64 s[0:1], 56, v15
	v_cndmask_b32_e64 v1, 0, 1, s[0:1]
	v_lshlrev_b32_e32 v1, 3, v1
	v_add_lshl_u32 v11, v1, v14, 2
	ds_bpermute_b32 v6, v11, v4
	ds_bpermute_b32 v7, v11, v5
	s_waitcnt lgkmcnt(0)
	;; [unrolled: 10-line block ×3, first 2 shown]
	v_cmp_lt_f64_e64 s[0:1], v[4:5], v[6:7]
	v_cndmask_b32_e64 v5, v5, v7, s[0:1]
	v_cndmask_b32_e64 v4, v4, v6, s[0:1]
	v_cmp_gt_u32_e64 s[0:1], 62, v15
	v_cndmask_b32_e64 v1, 0, 1, s[0:1]
	v_lshlrev_b32_e32 v1, 1, v1
	v_add_lshl_u32 v13, v1, v14, 2
	ds_bpermute_b32 v6, v13, v4
	ds_bpermute_b32 v7, v13, v5
	v_and_b32_e32 v1, 63, v0
	s_waitcnt lgkmcnt(0)
	v_cmp_lt_f64_e64 s[0:1], v[4:5], v[6:7]
	v_cndmask_b32_e64 v5, v5, v7, s[0:1]
	v_cndmask_b32_e64 v4, v4, v6, s[0:1]
	v_cmp_ne_u32_e64 s[0:1], 63, v15
	v_addc_co_u32_e64 v6, s[0:1], 0, v14, s[0:1]
	v_lshlrev_b32_e32 v14, 2, v6
	ds_bpermute_b32 v6, v14, v4
	ds_bpermute_b32 v7, v14, v5
	v_cmp_eq_u32_e64 s[0:1], 0, v1
	v_lshrrev_b32_e32 v15, 3, v0
	s_and_saveexec_b64 s[2:3], s[0:1]
	s_xor_b64 s[6:7], exec, s[2:3]
	s_cbranch_execz .LBB24_4
; %bb.3:
	s_waitcnt lgkmcnt(0)
	v_cmp_lt_f64_e64 s[2:3], v[4:5], v[6:7]
	v_add_u32_e32 v16, 0, v15
	v_cndmask_b32_e64 v5, v5, v7, s[2:3]
	v_cndmask_b32_e64 v4, v4, v6, s[2:3]
	ds_write_b64 v16, v[4:5]
.LBB24_4:
	s_or_b64 exec, exec, s[6:7]
	s_waitcnt lgkmcnt(0)
	s_barrier
	s_load_dword s2, s[4:5], 0x24
	s_mov_b32 s4, -1
	s_mov_b32 s5, 0xffefffff
	v_pk_mov_b32 v[4:5], s[4:5], s[4:5] op_sel:[0,1]
	v_lshl_add_u32 v6, v1, 3, 0
	s_waitcnt lgkmcnt(0)
	s_bfe_u32 s2, s2, 0xa0006
	v_cmp_gt_u32_e64 s[2:3], s2, v0
	s_and_saveexec_b64 s[4:5], s[2:3]
	s_cbranch_execnz .LBB24_17
; %bb.5:
	s_or_b64 exec, exec, s[4:5]
	v_cmp_gt_u32_e64 s[4:5], 64, v0
	s_and_saveexec_b64 s[8:9], s[4:5]
	s_cbranch_execnz .LBB24_18
.LBB24_6:
	s_or_b64 exec, exec, s[8:9]
	v_cmp_eq_u32_e64 s[6:7], 0, v0
	s_and_saveexec_b64 s[8:9], s[6:7]
	s_cbranch_execz .LBB24_8
.LBB24_7:
	v_mov_b32_e32 v0, 0
	s_waitcnt lgkmcnt(0)
	ds_write_b64 v0, v[4:5]
.LBB24_8:
	s_or_b64 exec, exec, s[8:9]
	v_mov_b32_e32 v0, 0
	s_waitcnt lgkmcnt(0)
	s_barrier
	ds_read_b64 v[0:1], v0
	s_mov_b32 s8, 0x652b82fe
	s_mov_b32 s9, 0x3ff71547
	v_mov_b32_e32 v16, 0xfca7ab0c
	v_mov_b32_e32 v17, 0x3e928af3
	s_waitcnt lgkmcnt(0)
	v_add_f64 v[0:1], v[2:3], -v[0:1]
	v_mul_f64 v[2:3], v[0:1], s[8:9]
	s_mov_b32 s8, 0xfefa39ef
	v_rndne_f64_e32 v[2:3], v[2:3]
	s_mov_b32 s9, 0xbfe62e42
	v_fma_f64 v[4:5], s[8:9], v[2:3], v[0:1]
	s_mov_b32 s8, 0x3b39803f
	s_mov_b32 s9, 0xbc7abc9e
	v_fmac_f64_e32 v[4:5], s[8:9], v[2:3]
	s_mov_b32 s8, 0x6a5dcb37
	s_mov_b32 s9, 0x3e5ade15
	v_fmac_f64_e32 v[16:17], s[8:9], v[4:5]
	v_mov_b32_e32 v18, 0x623fde64
	v_mov_b32_e32 v19, 0x3ec71dee
	v_fmac_f64_e32 v[18:19], v[4:5], v[16:17]
	v_mov_b32_e32 v16, 0x7c89e6b0
	v_mov_b32_e32 v17, 0x3efa0199
	;; [unrolled: 3-line block ×8, first 2 shown]
	v_fmac_f64_e32 v[16:17], v[4:5], v[18:19]
	v_fma_f64 v[16:17], v[4:5], v[16:17], 1.0
	s_mov_b32 s10, 0
	v_fma_f64 v[4:5], v[4:5], v[16:17], 1.0
	v_cvt_i32_f64_e32 v2, v[2:3]
	s_mov_b32 s8, 0
	s_mov_b32 s11, 0xc090cc00
	v_ldexp_f64 v[2:3], v[4:5], v2
	s_mov_b32 s9, 0x40900000
	v_cmp_ngt_f64_e64 s[10:11], s[10:11], v[0:1]
	v_add_f64 v[2:3], v[2:3], 0
	v_mov_b32_e32 v4, 0x7ff00000
	v_cmp_nlt_f64_e64 s[8:9], s[8:9], v[0:1]
	s_and_b64 s[10:11], vcc, s[10:11]
	v_cndmask_b32_e64 v3, v4, v3, s[8:9]
	s_and_b64 s[8:9], s[10:11], s[8:9]
	v_cndmask_b32_e64 v3, 0, v3, s[10:11]
	v_cndmask_b32_e64 v2, 0, v2, s[8:9]
	ds_bpermute_b32 v4, v9, v2
	ds_bpermute_b32 v5, v9, v3
	s_waitcnt lgkmcnt(0)
	s_barrier
	v_add_f64 v[2:3], v[2:3], v[4:5]
	ds_bpermute_b32 v4, v10, v2
	ds_bpermute_b32 v5, v10, v3
	s_waitcnt lgkmcnt(0)
	v_add_f64 v[2:3], v[2:3], v[4:5]
	ds_bpermute_b32 v4, v11, v2
	ds_bpermute_b32 v5, v11, v3
	s_waitcnt lgkmcnt(0)
	;; [unrolled: 4-line block ×4, first 2 shown]
	v_add_f64 v[2:3], v[2:3], v[4:5]
	ds_bpermute_b32 v4, v14, v2
	ds_bpermute_b32 v5, v14, v3
	s_and_saveexec_b64 s[8:9], s[0:1]
	s_cbranch_execz .LBB24_10
; %bb.9:
	v_add_u32_e32 v7, 0, v15
	s_waitcnt lgkmcnt(0)
	v_add_f64 v[2:3], v[2:3], v[4:5]
	ds_write_b64 v7, v[2:3]
.LBB24_10:
	s_or_b64 exec, exec, s[8:9]
	v_pk_mov_b32 v[2:3], 0, 0
	s_waitcnt lgkmcnt(0)
	s_barrier
	s_and_saveexec_b64 s[0:1], s[2:3]
	s_cbranch_execnz .LBB24_19
; %bb.11:
	s_or_b64 exec, exec, s[0:1]
	s_and_saveexec_b64 s[0:1], s[4:5]
	s_cbranch_execnz .LBB24_20
.LBB24_12:
	s_or_b64 exec, exec, s[0:1]
	s_and_saveexec_b64 s[0:1], s[6:7]
	s_cbranch_execz .LBB24_14
.LBB24_13:
	v_mov_b32_e32 v4, 0
	s_waitcnt lgkmcnt(0)
	ds_write_b64 v4, v[2:3]
.LBB24_14:
	s_or_b64 exec, exec, s[0:1]
	s_waitcnt lgkmcnt(0)
	s_barrier
	s_and_saveexec_b64 s[0:1], vcc
	s_cbranch_execz .LBB24_16
; %bb.15:
	v_mov_b32_e32 v2, 0
	ds_read_b64 v[2:3], v2
	s_lshl_b64 s[0:1], s[16:17], 3
	s_add_u32 s2, s12, s0
	s_addc_u32 s3, s13, s1
	s_mov_b32 s0, 0x55555555
	s_waitcnt lgkmcnt(0)
	v_frexp_mant_f64_e32 v[4:5], v[2:3]
	s_mov_b32 s1, 0x3fe55555
	v_cmp_gt_f64_e32 vcc, s[0:1], v[4:5]
	s_and_b64 s[6:7], vcc, exec
	s_mov_b32 s4, 0
	s_cselect_b32 s5, 2.0, 0x3ff00000
	v_mul_f64 v[4:5], v[4:5], s[4:5]
	v_add_f64 v[14:15], v[4:5], 1.0
	v_rcp_f64_e32 v[16:17], v[14:15]
	v_add_f64 v[18:19], v[4:5], -1.0
	v_add_f64 v[24:25], v[14:15], -1.0
	v_add_f64 v[4:5], v[4:5], -v[24:25]
	v_fma_f64 v[20:21], -v[14:15], v[16:17], 1.0
	v_fmac_f64_e32 v[16:17], v[20:21], v[16:17]
	v_fma_f64 v[20:21], -v[14:15], v[16:17], 1.0
	v_fmac_f64_e32 v[16:17], v[20:21], v[16:17]
	v_mul_f64 v[20:21], v[18:19], v[16:17]
	v_mul_f64 v[22:23], v[14:15], v[20:21]
	v_fma_f64 v[14:15], v[20:21], v[14:15], -v[22:23]
	v_fmac_f64_e32 v[14:15], v[20:21], v[4:5]
	v_frexp_exp_i32_f64_e32 v6, v[2:3]
	v_add_f64 v[4:5], v[22:23], v[14:15]
	v_subbrev_co_u32_e64 v6, s[0:1], 0, v6, vcc
	v_add_f64 v[24:25], v[18:19], -v[4:5]
	s_mov_b32 s0, 0xfefa39ef
	v_add_f64 v[22:23], v[4:5], -v[22:23]
	v_add_f64 v[18:19], v[18:19], -v[24:25]
	v_cvt_f64_i32_e32 v[6:7], v6
	s_mov_b32 s1, 0x3fe62e42
	v_add_f64 v[14:15], v[22:23], -v[14:15]
	v_add_f64 v[4:5], v[18:19], -v[4:5]
	v_mul_f64 v[10:11], v[6:7], s[0:1]
	v_add_f64 v[4:5], v[14:15], v[4:5]
	v_fma_f64 v[12:13], v[6:7], s[0:1], -v[10:11]
	s_mov_b32 s0, 0x3b39803f
	v_add_f64 v[4:5], v[24:25], v[4:5]
	s_mov_b32 s1, 0x3c7abc9e
	v_mul_f64 v[4:5], v[16:17], v[4:5]
	v_fmac_f64_e32 v[12:13], s[0:1], v[6:7]
	v_add_f64 v[14:15], v[20:21], v[4:5]
	s_mov_b32 s0, 0xbf559e2b
	v_mul_f64 v[18:19], v[14:15], v[14:15]
	v_mov_b32_e32 v24, 0x6b47b09a
	v_mov_b32_e32 v25, 0x3fc38538
	s_mov_b32 s1, 0x3fc3ab76
	v_fmac_f64_e32 v[24:25], s[0:1], v[18:19]
	v_mov_b32_e32 v26, 0xd7f4df2e
	v_mov_b32_e32 v27, 0x3fc7474d
	v_fmac_f64_e32 v[26:27], v[18:19], v[24:25]
	v_mov_b32_e32 v24, 0x16291751
	v_mov_b32_e32 v25, 0x3fcc71c0
	;; [unrolled: 3-line block ×5, first 2 shown]
	v_mul_f64 v[22:23], v[14:15], v[18:19]
	v_fmac_f64_e32 v[26:27], v[18:19], v[24:25]
	v_ldexp_f64 v[16:17], v[14:15], 1
	v_mul_f64 v[18:19], v[22:23], v[26:27]
	v_add_f64 v[22:23], v[16:17], v[18:19]
	v_add_f64 v[14:15], v[14:15], -v[20:21]
	v_add_f64 v[4:5], v[4:5], -v[14:15]
	;; [unrolled: 1-line block ×3, first 2 shown]
	v_ldexp_f64 v[4:5], v[4:5], 1
	v_add_f64 v[14:15], v[18:19], -v[14:15]
	v_add_f64 v[4:5], v[4:5], v[14:15]
	v_add_f64 v[6:7], v[10:11], v[12:13]
	;; [unrolled: 1-line block ×4, first 2 shown]
	v_add_f64 v[10:11], v[6:7], -v[10:11]
	v_add_f64 v[10:11], v[12:13], -v[10:11]
	v_add_f64 v[12:13], v[14:15], -v[22:23]
	v_add_f64 v[18:19], v[16:17], -v[6:7]
	v_add_f64 v[4:5], v[4:5], -v[12:13]
	v_add_f64 v[14:15], v[14:15], -v[18:19]
	v_add_f64 v[18:19], v[16:17], -v[18:19]
	v_add_f64 v[12:13], v[10:11], v[4:5]
	v_add_f64 v[6:7], v[6:7], -v[18:19]
	v_add_f64 v[6:7], v[14:15], v[6:7]
	v_add_f64 v[18:19], v[12:13], -v[10:11]
	;; [unrolled: 2-line block ×4, first 2 shown]
	v_add_f64 v[10:11], v[10:11], -v[12:13]
	v_add_f64 v[4:5], v[4:5], v[10:11]
	v_add_f64 v[10:11], v[14:15], -v[16:17]
	v_add_f64 v[6:7], v[6:7], -v[10:11]
	s_movk_i32 s8, 0x204
	v_add_f64 v[4:5], v[4:5], v[6:7]
	v_add_f64 v[4:5], v[14:15], v[4:5]
	v_cmp_class_f64_e64 vcc, v[2:3], s8
	v_cndmask_b32_e32 v4, v4, v2, vcc
	v_cndmask_b32_e32 v5, v5, v3, vcc
	v_mov_b32_e32 v6, 0x7ff80000
	v_cmp_ngt_f64_e32 vcc, 0, v[2:3]
	v_cndmask_b32_e32 v5, v6, v5, vcc
	v_cmp_nge_f64_e32 vcc, 0, v[2:3]
	v_cndmask_b32_e32 v4, 0, v4, vcc
	v_mov_b32_e32 v6, 0xfff00000
	v_cmp_neq_f64_e32 vcc, 0, v[2:3]
	v_cndmask_b32_e32 v5, v6, v5, vcc
	v_add_f64 v[0:1], v[0:1], -v[4:5]
	global_store_dwordx2 v8, v[0:1], s[2:3]
.LBB24_16:
	s_endpgm
.LBB24_17:
	ds_read_b64 v[4:5], v6
	s_or_b64 exec, exec, s[4:5]
	v_cmp_gt_u32_e64 s[4:5], 64, v0
	s_and_saveexec_b64 s[8:9], s[4:5]
	s_cbranch_execz .LBB24_6
.LBB24_18:
	s_waitcnt lgkmcnt(0)
	ds_bpermute_b32 v16, v9, v4
	ds_bpermute_b32 v17, v9, v5
	s_waitcnt lgkmcnt(0)
	v_cmp_lt_f64_e64 s[6:7], v[4:5], v[16:17]
	v_cndmask_b32_e64 v5, v5, v17, s[6:7]
	v_cndmask_b32_e64 v4, v4, v16, s[6:7]
	ds_bpermute_b32 v17, v10, v5
	ds_bpermute_b32 v16, v10, v4
	s_waitcnt lgkmcnt(0)
	v_cmp_lt_f64_e64 s[6:7], v[4:5], v[16:17]
	v_cndmask_b32_e64 v5, v5, v17, s[6:7]
	v_cndmask_b32_e64 v4, v4, v16, s[6:7]
	ds_bpermute_b32 v17, v11, v5
	ds_bpermute_b32 v16, v11, v4
	s_waitcnt lgkmcnt(0)
	v_cmp_lt_f64_e64 s[6:7], v[4:5], v[16:17]
	v_cndmask_b32_e64 v5, v5, v17, s[6:7]
	v_cndmask_b32_e64 v4, v4, v16, s[6:7]
	ds_bpermute_b32 v17, v12, v5
	ds_bpermute_b32 v16, v12, v4
	s_waitcnt lgkmcnt(0)
	v_cmp_lt_f64_e64 s[6:7], v[4:5], v[16:17]
	v_cndmask_b32_e64 v5, v5, v17, s[6:7]
	v_cndmask_b32_e64 v4, v4, v16, s[6:7]
	ds_bpermute_b32 v17, v13, v5
	ds_bpermute_b32 v16, v13, v4
	s_waitcnt lgkmcnt(0)
	v_cmp_lt_f64_e64 s[6:7], v[4:5], v[16:17]
	v_cndmask_b32_e64 v5, v5, v17, s[6:7]
	v_cndmask_b32_e64 v4, v4, v16, s[6:7]
	ds_bpermute_b32 v17, v14, v5
	ds_bpermute_b32 v16, v14, v4
	s_waitcnt lgkmcnt(0)
	v_cmp_lt_f64_e64 s[6:7], v[4:5], v[16:17]
	v_cndmask_b32_e64 v5, v5, v17, s[6:7]
	v_cndmask_b32_e64 v4, v4, v16, s[6:7]
	s_or_b64 exec, exec, s[8:9]
	v_cmp_eq_u32_e64 s[6:7], 0, v0
	s_and_saveexec_b64 s[8:9], s[6:7]
	s_cbranch_execnz .LBB24_7
	s_branch .LBB24_8
.LBB24_19:
	ds_read_b64 v[2:3], v6
	s_or_b64 exec, exec, s[0:1]
	s_and_saveexec_b64 s[0:1], s[4:5]
	s_cbranch_execz .LBB24_12
.LBB24_20:
	s_waitcnt lgkmcnt(0)
	ds_bpermute_b32 v4, v9, v2
	ds_bpermute_b32 v5, v9, v3
	s_waitcnt lgkmcnt(0)
	v_add_f64 v[2:3], v[2:3], v[4:5]
	ds_bpermute_b32 v4, v10, v2
	ds_bpermute_b32 v5, v10, v3
	s_waitcnt lgkmcnt(0)
	v_add_f64 v[2:3], v[2:3], v[4:5]
	;; [unrolled: 4-line block ×6, first 2 shown]
	s_or_b64 exec, exec, s[0:1]
	s_and_saveexec_b64 s[0:1], s[6:7]
	s_cbranch_execnz .LBB24_13
	s_branch .LBB24_14
	.section	.rodata,"a",@progbits
	.p2align	6, 0x0
	.amdhsa_kernel _ZN2at6native12_GLOBAL__N_122cunn_SoftMaxForwardRegIdddNS1_25LogSoftMaxForwardEpilogueElLi1EEEvPT1_PKT_T3_
		.amdhsa_group_segment_fixed_size 0
		.amdhsa_private_segment_fixed_size 0
		.amdhsa_kernarg_size 280
		.amdhsa_user_sgpr_count 6
		.amdhsa_user_sgpr_private_segment_buffer 1
		.amdhsa_user_sgpr_dispatch_ptr 0
		.amdhsa_user_sgpr_queue_ptr 0
		.amdhsa_user_sgpr_kernarg_segment_ptr 1
		.amdhsa_user_sgpr_dispatch_id 0
		.amdhsa_user_sgpr_flat_scratch_init 0
		.amdhsa_user_sgpr_kernarg_preload_length 0
		.amdhsa_user_sgpr_kernarg_preload_offset 0
		.amdhsa_user_sgpr_private_segment_size 0
		.amdhsa_uses_dynamic_stack 0
		.amdhsa_system_sgpr_private_segment_wavefront_offset 0
		.amdhsa_system_sgpr_workgroup_id_x 1
		.amdhsa_system_sgpr_workgroup_id_y 0
		.amdhsa_system_sgpr_workgroup_id_z 0
		.amdhsa_system_sgpr_workgroup_info 0
		.amdhsa_system_vgpr_workitem_id 0
		.amdhsa_next_free_vgpr 28
		.amdhsa_next_free_sgpr 18
		.amdhsa_accum_offset 28
		.amdhsa_reserve_vcc 1
		.amdhsa_reserve_flat_scratch 0
		.amdhsa_float_round_mode_32 0
		.amdhsa_float_round_mode_16_64 0
		.amdhsa_float_denorm_mode_32 3
		.amdhsa_float_denorm_mode_16_64 3
		.amdhsa_dx10_clamp 1
		.amdhsa_ieee_mode 1
		.amdhsa_fp16_overflow 0
		.amdhsa_tg_split 0
		.amdhsa_exception_fp_ieee_invalid_op 0
		.amdhsa_exception_fp_denorm_src 0
		.amdhsa_exception_fp_ieee_div_zero 0
		.amdhsa_exception_fp_ieee_overflow 0
		.amdhsa_exception_fp_ieee_underflow 0
		.amdhsa_exception_fp_ieee_inexact 0
		.amdhsa_exception_int_div_zero 0
	.end_amdhsa_kernel
	.section	.text._ZN2at6native12_GLOBAL__N_122cunn_SoftMaxForwardRegIdddNS1_25LogSoftMaxForwardEpilogueElLi1EEEvPT1_PKT_T3_,"axG",@progbits,_ZN2at6native12_GLOBAL__N_122cunn_SoftMaxForwardRegIdddNS1_25LogSoftMaxForwardEpilogueElLi1EEEvPT1_PKT_T3_,comdat
.Lfunc_end24:
	.size	_ZN2at6native12_GLOBAL__N_122cunn_SoftMaxForwardRegIdddNS1_25LogSoftMaxForwardEpilogueElLi1EEEvPT1_PKT_T3_, .Lfunc_end24-_ZN2at6native12_GLOBAL__N_122cunn_SoftMaxForwardRegIdddNS1_25LogSoftMaxForwardEpilogueElLi1EEEvPT1_PKT_T3_
                                        ; -- End function
	.section	.AMDGPU.csdata,"",@progbits
; Kernel info:
; codeLenInByte = 2772
; NumSgprs: 22
; NumVgprs: 28
; NumAgprs: 0
; TotalNumVgprs: 28
; ScratchSize: 0
; MemoryBound: 0
; FloatMode: 240
; IeeeMode: 1
; LDSByteSize: 0 bytes/workgroup (compile time only)
; SGPRBlocks: 2
; VGPRBlocks: 3
; NumSGPRsForWavesPerEU: 22
; NumVGPRsForWavesPerEU: 28
; AccumOffset: 28
; Occupancy: 8
; WaveLimiterHint : 0
; COMPUTE_PGM_RSRC2:SCRATCH_EN: 0
; COMPUTE_PGM_RSRC2:USER_SGPR: 6
; COMPUTE_PGM_RSRC2:TRAP_HANDLER: 0
; COMPUTE_PGM_RSRC2:TGID_X_EN: 1
; COMPUTE_PGM_RSRC2:TGID_Y_EN: 0
; COMPUTE_PGM_RSRC2:TGID_Z_EN: 0
; COMPUTE_PGM_RSRC2:TIDIG_COMP_CNT: 0
; COMPUTE_PGM_RSRC3_GFX90A:ACCUM_OFFSET: 6
; COMPUTE_PGM_RSRC3_GFX90A:TG_SPLIT: 0
	.section	.text._ZN2at6native12_GLOBAL__N_122cunn_SoftMaxForwardRegIdddNS1_25LogSoftMaxForwardEpilogueElLi2EEEvPT1_PKT_T3_,"axG",@progbits,_ZN2at6native12_GLOBAL__N_122cunn_SoftMaxForwardRegIdddNS1_25LogSoftMaxForwardEpilogueElLi2EEEvPT1_PKT_T3_,comdat
	.globl	_ZN2at6native12_GLOBAL__N_122cunn_SoftMaxForwardRegIdddNS1_25LogSoftMaxForwardEpilogueElLi2EEEvPT1_PKT_T3_ ; -- Begin function _ZN2at6native12_GLOBAL__N_122cunn_SoftMaxForwardRegIdddNS1_25LogSoftMaxForwardEpilogueElLi2EEEvPT1_PKT_T3_
	.p2align	8
	.type	_ZN2at6native12_GLOBAL__N_122cunn_SoftMaxForwardRegIdddNS1_25LogSoftMaxForwardEpilogueElLi2EEEvPT1_PKT_T3_,@function
_ZN2at6native12_GLOBAL__N_122cunn_SoftMaxForwardRegIdddNS1_25LogSoftMaxForwardEpilogueElLi2EEEvPT1_PKT_T3_: ; @_ZN2at6native12_GLOBAL__N_122cunn_SoftMaxForwardRegIdddNS1_25LogSoftMaxForwardEpilogueElLi2EEEvPT1_PKT_T3_
; %bb.0:
	s_load_dwordx2 s[12:13], s[4:5], 0x10
	s_load_dwordx4 s[16:19], s[4:5], 0x0
	s_load_dword s8, s[4:5], 0x24
	v_mov_b32_e32 v9, 0
	v_mov_b32_e32 v1, v9
	s_waitcnt lgkmcnt(0)
	s_mul_i32 s0, s6, s13
	s_mul_hi_u32 s1, s6, s12
	s_add_i32 s1, s1, s0
	s_mul_i32 s0, s6, s12
	s_lshl_b64 s[14:15], s[0:1], 3
	s_add_u32 s2, s18, s14
	s_addc_u32 s3, s19, s15
	s_mov_b32 s0, -1
	s_add_u32 s4, s4, 24
	s_mov_b32 s1, 0xffefffff
	s_addc_u32 s5, s5, 0
	v_cmp_gt_i64_e32 vcc, s[12:13], v[0:1]
	v_pk_mov_b32 v[6:7], s[0:1], s[0:1] op_sel:[0,1]
	v_lshlrev_b32_e32 v12, 3, v0
                                        ; implicit-def: $vgpr2_vgpr3_vgpr4_vgpr5
	s_and_saveexec_b64 s[6:7], vcc
	s_cbranch_execz .LBB25_2
; %bb.1:
	global_load_dwordx2 v[2:3], v12, s[2:3]
	s_waitcnt vmcnt(0)
	v_max_f64 v[4:5], v[2:3], v[2:3]
	v_max_f64 v[6:7], v[4:5], s[0:1]
.LBB25_2:
	s_or_b64 exec, exec, s[6:7]
	s_and_b32 s0, 0xffff, s8
	v_add_u32_e32 v8, s0, v0
	v_cmp_gt_i64_e64 s[0:1], s[12:13], v[8:9]
	s_and_saveexec_b64 s[6:7], s[0:1]
	s_cbranch_execz .LBB25_4
; %bb.3:
	v_lshlrev_b32_e32 v1, 3, v8
	global_load_dwordx2 v[4:5], v1, s[2:3]
	v_max_f64 v[6:7], v[6:7], v[6:7]
	s_waitcnt vmcnt(0)
	v_max_f64 v[8:9], v[4:5], v[4:5]
	v_max_f64 v[6:7], v[6:7], v[8:9]
.LBB25_4:
	s_or_b64 exec, exec, s[6:7]
	v_mbcnt_lo_u32_b32 v1, -1, 0
	v_mbcnt_hi_u32_b32 v10, -1, v1
	v_and_b32_e32 v11, 63, v10
	v_cmp_gt_u32_e64 s[0:1], 32, v11
	v_cndmask_b32_e64 v1, 0, 1, s[0:1]
	v_lshlrev_b32_e32 v1, 5, v1
	v_add_lshl_u32 v13, v1, v10, 2
	ds_bpermute_b32 v8, v13, v6
	ds_bpermute_b32 v9, v13, v7
	s_mov_b32 s6, -1
	v_lshrrev_b32_e32 v19, 3, v0
	s_waitcnt lgkmcnt(0)
	s_barrier
	v_cmp_lt_f64_e64 s[0:1], v[6:7], v[8:9]
	v_cndmask_b32_e64 v7, v7, v9, s[0:1]
	v_cndmask_b32_e64 v6, v6, v8, s[0:1]
	v_cmp_gt_u32_e64 s[0:1], 48, v11
	v_cndmask_b32_e64 v1, 0, 1, s[0:1]
	v_lshlrev_b32_e32 v1, 4, v1
	v_add_lshl_u32 v14, v1, v10, 2
	ds_bpermute_b32 v9, v14, v7
	ds_bpermute_b32 v8, v14, v6
	s_waitcnt lgkmcnt(0)
	v_cmp_lt_f64_e64 s[0:1], v[6:7], v[8:9]
	v_cndmask_b32_e64 v7, v7, v9, s[0:1]
	v_cndmask_b32_e64 v6, v6, v8, s[0:1]
	v_cmp_gt_u32_e64 s[0:1], 56, v11
	v_cndmask_b32_e64 v1, 0, 1, s[0:1]
	v_lshlrev_b32_e32 v1, 3, v1
	v_add_lshl_u32 v15, v1, v10, 2
	ds_bpermute_b32 v8, v15, v6
	ds_bpermute_b32 v9, v15, v7
	s_waitcnt lgkmcnt(0)
	;; [unrolled: 10-line block ×3, first 2 shown]
	v_cmp_lt_f64_e64 s[0:1], v[6:7], v[8:9]
	v_cndmask_b32_e64 v7, v7, v9, s[0:1]
	v_cndmask_b32_e64 v6, v6, v8, s[0:1]
	v_cmp_gt_u32_e64 s[0:1], 62, v11
	v_cndmask_b32_e64 v1, 0, 1, s[0:1]
	v_lshlrev_b32_e32 v1, 1, v1
	v_add_lshl_u32 v17, v1, v10, 2
	ds_bpermute_b32 v8, v17, v6
	ds_bpermute_b32 v9, v17, v7
	v_and_b32_e32 v1, 63, v0
	v_cmp_eq_u32_e64 s[2:3], 0, v1
	s_waitcnt lgkmcnt(0)
	v_cmp_lt_f64_e64 s[0:1], v[6:7], v[8:9]
	v_cndmask_b32_e64 v7, v7, v9, s[0:1]
	v_cndmask_b32_e64 v6, v6, v8, s[0:1]
	v_cmp_ne_u32_e64 s[0:1], 63, v11
	v_addc_co_u32_e64 v8, s[0:1], 0, v10, s[0:1]
	v_lshlrev_b32_e32 v18, 2, v8
	ds_bpermute_b32 v8, v18, v6
	ds_bpermute_b32 v9, v18, v7
	s_and_saveexec_b64 s[0:1], s[2:3]
	s_xor_b64 s[8:9], exec, s[0:1]
	s_cbranch_execz .LBB25_6
; %bb.5:
	s_waitcnt lgkmcnt(0)
	v_cmp_lt_f64_e64 s[0:1], v[6:7], v[8:9]
	v_add_u32_e32 v10, 0, v19
	v_cndmask_b32_e64 v7, v7, v9, s[0:1]
	v_cndmask_b32_e64 v6, v6, v8, s[0:1]
	ds_write_b64 v10, v[6:7]
.LBB25_6:
	s_or_b64 exec, exec, s[8:9]
	s_waitcnt lgkmcnt(0)
	s_barrier
	s_load_dword s10, s[4:5], 0xc
	s_mov_b32 s7, 0xffefffff
	v_pk_mov_b32 v[6:7], s[6:7], s[6:7] op_sel:[0,1]
	v_lshl_add_u32 v20, v1, 3, 0
	s_waitcnt lgkmcnt(0)
	s_bfe_u32 s0, s10, 0xa0006
	v_cmp_gt_u32_e64 s[4:5], s0, v0
	s_and_saveexec_b64 s[0:1], s[4:5]
	s_cbranch_execnz .LBB25_23
; %bb.7:
	s_or_b64 exec, exec, s[0:1]
	v_cmp_gt_u32_e64 s[6:7], 64, v0
	s_and_saveexec_b64 s[8:9], s[6:7]
	s_cbranch_execnz .LBB25_24
.LBB25_8:
	s_or_b64 exec, exec, s[8:9]
	v_cmp_eq_u32_e64 s[8:9], 0, v0
	s_and_saveexec_b64 s[0:1], s[8:9]
	s_cbranch_execz .LBB25_10
.LBB25_9:
	v_mov_b32_e32 v1, 0
	s_waitcnt lgkmcnt(0)
	ds_write_b64 v1, v[6:7]
.LBB25_10:
	s_or_b64 exec, exec, s[0:1]
	v_mov_b32_e32 v1, 0
	s_waitcnt lgkmcnt(0)
	s_barrier
	ds_read_b64 v[6:7], v1
	s_and_b32 s20, s10, 0xffff
	v_pk_mov_b32 v[8:9], 0, 0
	s_and_saveexec_b64 s[18:19], vcc
	s_cbranch_execz .LBB25_12
; %bb.11:
	s_mov_b32 s0, 0x652b82fe
	s_waitcnt lgkmcnt(0)
	v_add_f64 v[8:9], v[2:3], -v[6:7]
	s_mov_b32 s1, 0x3ff71547
	v_mul_f64 v[10:11], v[8:9], s[0:1]
	s_mov_b32 s0, 0xfefa39ef
	v_rndne_f64_e32 v[10:11], v[10:11]
	s_mov_b32 s1, 0xbfe62e42
	v_fma_f64 v[22:23], s[0:1], v[10:11], v[8:9]
	s_mov_b32 s0, 0x3b39803f
	s_mov_b32 s1, 0xbc7abc9e
	v_fmac_f64_e32 v[22:23], s[0:1], v[10:11]
	s_mov_b32 s0, 0x6a5dcb37
	v_mov_b32_e32 v24, 0xfca7ab0c
	v_mov_b32_e32 v25, 0x3e928af3
	s_mov_b32 s1, 0x3e5ade15
	v_fmac_f64_e32 v[24:25], s[0:1], v[22:23]
	v_mov_b32_e32 v26, 0x623fde64
	v_mov_b32_e32 v27, 0x3ec71dee
	v_fmac_f64_e32 v[26:27], v[22:23], v[24:25]
	v_mov_b32_e32 v24, 0x7c89e6b0
	v_mov_b32_e32 v25, 0x3efa0199
	;; [unrolled: 3-line block ×8, first 2 shown]
	v_fmac_f64_e32 v[24:25], v[22:23], v[26:27]
	v_fma_f64 v[24:25], v[22:23], v[24:25], 1.0
	v_fma_f64 v[22:23], v[22:23], v[24:25], 1.0
	v_cvt_i32_f64_e32 v10, v[10:11]
	s_mov_b32 s0, 0
	s_mov_b32 s10, 0
	v_ldexp_f64 v[10:11], v[22:23], v10
	s_mov_b32 s1, 0x40900000
	s_mov_b32 s11, 0xc090cc00
	v_add_f64 v[10:11], v[10:11], 0
	v_mov_b32_e32 v21, 0x7ff00000
	v_cmp_nlt_f64_e64 s[0:1], s[0:1], v[8:9]
	v_cmp_ngt_f64_e64 s[10:11], s[10:11], v[8:9]
	v_cndmask_b32_e64 v11, v21, v11, s[0:1]
	s_and_b64 s[0:1], s[10:11], s[0:1]
	v_cndmask_b32_e64 v9, 0, v11, s[10:11]
	v_cndmask_b32_e64 v8, 0, v10, s[0:1]
.LBB25_12:
	s_or_b64 exec, exec, s[18:19]
	v_add_u32_e32 v0, s20, v0
	v_cmp_gt_i64_e64 s[0:1], s[12:13], v[0:1]
	s_and_saveexec_b64 s[18:19], s[0:1]
	s_cbranch_execz .LBB25_14
; %bb.13:
	s_mov_b32 s10, 0x652b82fe
	s_waitcnt lgkmcnt(0)
	v_add_f64 v[10:11], v[4:5], -v[6:7]
	s_mov_b32 s11, 0x3ff71547
	v_mul_f64 v[22:23], v[10:11], s[10:11]
	s_mov_b32 s10, 0xfefa39ef
	v_rndne_f64_e32 v[22:23], v[22:23]
	s_mov_b32 s11, 0xbfe62e42
	v_fma_f64 v[24:25], s[10:11], v[22:23], v[10:11]
	s_mov_b32 s10, 0x3b39803f
	s_mov_b32 s11, 0xbc7abc9e
	v_fmac_f64_e32 v[24:25], s[10:11], v[22:23]
	s_mov_b32 s10, 0x6a5dcb37
	v_mov_b32_e32 v26, 0xfca7ab0c
	v_mov_b32_e32 v27, 0x3e928af3
	s_mov_b32 s11, 0x3e5ade15
	v_fmac_f64_e32 v[26:27], s[10:11], v[24:25]
	v_mov_b32_e32 v28, 0x623fde64
	v_mov_b32_e32 v29, 0x3ec71dee
	v_fmac_f64_e32 v[28:29], v[24:25], v[26:27]
	v_mov_b32_e32 v26, 0x7c89e6b0
	v_mov_b32_e32 v27, 0x3efa0199
	;; [unrolled: 3-line block ×8, first 2 shown]
	v_fmac_f64_e32 v[26:27], v[24:25], v[28:29]
	v_fma_f64 v[26:27], v[24:25], v[26:27], 1.0
	s_mov_b32 s10, 0
	s_mov_b32 s12, 0
	v_fma_f64 v[24:25], v[24:25], v[26:27], 1.0
	v_cvt_i32_f64_e32 v1, v[22:23]
	s_mov_b32 s11, 0x40900000
	s_mov_b32 s13, 0xc090cc00
	v_ldexp_f64 v[22:23], v[24:25], v1
	v_mov_b32_e32 v1, 0x7ff00000
	v_cmp_nlt_f64_e64 s[10:11], s[10:11], v[10:11]
	v_cmp_ngt_f64_e64 s[12:13], s[12:13], v[10:11]
	v_cndmask_b32_e64 v1, v1, v23, s[10:11]
	s_and_b64 s[10:11], s[12:13], s[10:11]
	v_cndmask_b32_e64 v11, 0, v1, s[12:13]
	v_cndmask_b32_e64 v10, 0, v22, s[10:11]
	v_add_f64 v[8:9], v[8:9], v[10:11]
.LBB25_14:
	s_or_b64 exec, exec, s[18:19]
	ds_bpermute_b32 v10, v13, v8
	ds_bpermute_b32 v11, v13, v9
	s_waitcnt lgkmcnt(0)
	s_barrier
	v_add_f64 v[8:9], v[8:9], v[10:11]
	ds_bpermute_b32 v10, v14, v8
	ds_bpermute_b32 v11, v14, v9
	s_waitcnt lgkmcnt(0)
	v_add_f64 v[8:9], v[8:9], v[10:11]
	ds_bpermute_b32 v10, v15, v8
	ds_bpermute_b32 v11, v15, v9
	s_waitcnt lgkmcnt(0)
	;; [unrolled: 4-line block ×4, first 2 shown]
	v_add_f64 v[8:9], v[8:9], v[10:11]
	ds_bpermute_b32 v10, v18, v8
	ds_bpermute_b32 v11, v18, v9
	s_and_saveexec_b64 s[10:11], s[2:3]
	s_xor_b64 s[2:3], exec, s[10:11]
	s_cbranch_execz .LBB25_16
; %bb.15:
	v_add_u32_e32 v1, 0, v19
	s_waitcnt lgkmcnt(0)
	v_add_f64 v[8:9], v[8:9], v[10:11]
	ds_write_b64 v1, v[8:9]
.LBB25_16:
	s_or_b64 exec, exec, s[2:3]
	v_pk_mov_b32 v[8:9], 0, 0
	s_waitcnt lgkmcnt(0)
	s_barrier
	s_and_saveexec_b64 s[2:3], s[4:5]
	s_cbranch_execnz .LBB25_25
; %bb.17:
	s_or_b64 exec, exec, s[2:3]
	s_and_saveexec_b64 s[2:3], s[6:7]
	s_cbranch_execnz .LBB25_26
.LBB25_18:
	s_or_b64 exec, exec, s[2:3]
	s_and_saveexec_b64 s[2:3], s[8:9]
	s_cbranch_execz .LBB25_20
.LBB25_19:
	v_mov_b32_e32 v1, 0
	s_waitcnt lgkmcnt(0)
	ds_write_b64 v1, v[8:9]
.LBB25_20:
	s_or_b64 exec, exec, s[2:3]
	v_mov_b32_e32 v1, 0
	s_waitcnt lgkmcnt(0)
	s_barrier
	ds_read_b64 v[8:9], v1
	s_mov_b32 s2, 0x55555555
	s_add_u32 s6, s16, s14
	s_mov_b32 s3, 0x3fe55555
	s_addc_u32 s7, s17, s15
	s_waitcnt lgkmcnt(0)
	v_frexp_mant_f64_e32 v[10:11], v[8:9]
	v_frexp_exp_i32_f64_e32 v1, v[8:9]
	v_cmp_gt_f64_e64 s[2:3], s[2:3], v[10:11]
	v_subbrev_co_u32_e64 v1, s[4:5], 0, v1, s[2:3]
	s_and_b64 s[2:3], s[2:3], exec
	s_mov_b32 s8, 0
	s_cselect_b32 s9, 2.0, 0x3ff00000
	v_mul_f64 v[10:11], v[10:11], s[8:9]
	v_add_f64 v[14:15], v[10:11], 1.0
	v_rcp_f64_e32 v[16:17], v[14:15]
	v_add_f64 v[20:21], v[14:15], -1.0
	v_add_f64 v[18:19], v[10:11], -1.0
	v_add_f64 v[10:11], v[10:11], -v[20:21]
	v_fma_f64 v[20:21], -v[14:15], v[16:17], 1.0
	v_fmac_f64_e32 v[16:17], v[20:21], v[16:17]
	v_fma_f64 v[20:21], -v[14:15], v[16:17], 1.0
	v_fmac_f64_e32 v[16:17], v[20:21], v[16:17]
	v_mul_f64 v[20:21], v[18:19], v[16:17]
	v_mul_f64 v[22:23], v[14:15], v[20:21]
	v_fma_f64 v[14:15], v[20:21], v[14:15], -v[22:23]
	v_fmac_f64_e32 v[14:15], v[20:21], v[10:11]
	v_add_f64 v[10:11], v[22:23], v[14:15]
	v_add_f64 v[24:25], v[18:19], -v[10:11]
	v_add_f64 v[22:23], v[10:11], -v[22:23]
	;; [unrolled: 1-line block ×5, first 2 shown]
	v_add_f64 v[10:11], v[14:15], v[10:11]
	v_add_f64 v[10:11], v[24:25], v[10:11]
	v_mul_f64 v[10:11], v[16:17], v[10:11]
	v_add_f64 v[14:15], v[20:21], v[10:11]
	v_add_f64 v[16:17], v[14:15], -v[20:21]
	s_mov_b32 s2, 0xbf559e2b
	v_add_f64 v[10:11], v[10:11], -v[16:17]
	v_mul_f64 v[16:17], v[14:15], v[14:15]
	v_mov_b32_e32 v18, 0x6b47b09a
	v_mov_b32_e32 v19, 0x3fc38538
	s_mov_b32 s3, 0x3fc3ab76
	v_fmac_f64_e32 v[18:19], s[2:3], v[16:17]
	v_mov_b32_e32 v20, 0xd7f4df2e
	v_mov_b32_e32 v21, 0x3fc7474d
	v_fmac_f64_e32 v[20:21], v[16:17], v[18:19]
	v_mov_b32_e32 v18, 0x16291751
	v_mov_b32_e32 v19, 0x3fcc71c0
	;; [unrolled: 3-line block ×5, first 2 shown]
	v_fmac_f64_e32 v[20:21], v[16:17], v[18:19]
	v_ldexp_f64 v[18:19], v[14:15], 1
	v_mul_f64 v[14:15], v[14:15], v[16:17]
	v_mul_f64 v[14:15], v[14:15], v[20:21]
	v_add_f64 v[16:17], v[18:19], v[14:15]
	v_add_f64 v[18:19], v[16:17], -v[18:19]
	v_ldexp_f64 v[10:11], v[10:11], 1
	v_add_f64 v[14:15], v[14:15], -v[18:19]
	v_add_f64 v[10:11], v[10:11], v[14:15]
	v_add_f64 v[14:15], v[16:17], v[10:11]
	v_add_f64 v[16:17], v[14:15], -v[16:17]
	s_mov_b32 s2, 0xfefa39ef
	v_add_f64 v[10:11], v[10:11], -v[16:17]
	v_cvt_f64_i32_e32 v[16:17], v1
	s_mov_b32 s3, 0x3fe62e42
	v_mul_f64 v[18:19], v[16:17], s[2:3]
	v_fma_f64 v[20:21], v[16:17], s[2:3], -v[18:19]
	s_mov_b32 s2, 0x3b39803f
	s_mov_b32 s3, 0x3c7abc9e
	v_fmac_f64_e32 v[20:21], s[2:3], v[16:17]
	v_add_f64 v[16:17], v[18:19], v[20:21]
	v_add_f64 v[18:19], v[16:17], -v[18:19]
	v_add_f64 v[18:19], v[20:21], -v[18:19]
	v_add_f64 v[20:21], v[16:17], v[14:15]
	v_add_f64 v[22:23], v[20:21], -v[16:17]
	v_add_f64 v[24:25], v[20:21], -v[22:23]
	v_add_f64 v[16:17], v[16:17], -v[24:25]
	v_add_f64 v[14:15], v[14:15], -v[22:23]
	v_add_f64 v[14:15], v[14:15], v[16:17]
	v_add_f64 v[16:17], v[18:19], v[10:11]
	v_add_f64 v[22:23], v[16:17], -v[18:19]
	v_add_f64 v[24:25], v[16:17], -v[22:23]
	v_add_f64 v[14:15], v[16:17], v[14:15]
	v_add_f64 v[18:19], v[18:19], -v[24:25]
	v_add_f64 v[10:11], v[10:11], -v[22:23]
	v_add_f64 v[16:17], v[20:21], v[14:15]
	v_add_f64 v[10:11], v[10:11], v[18:19]
	v_add_f64 v[18:19], v[16:17], -v[20:21]
	v_add_f64 v[14:15], v[14:15], -v[18:19]
	v_add_f64 v[10:11], v[10:11], v[14:15]
	s_movk_i32 s2, 0x204
	v_add_f64 v[10:11], v[16:17], v[10:11]
	v_cmp_class_f64_e64 s[2:3], v[8:9], s2
	v_cndmask_b32_e64 v1, v10, v8, s[2:3]
	v_cndmask_b32_e64 v10, v11, v9, s[2:3]
	v_mov_b32_e32 v11, 0x7ff80000
	v_cmp_ngt_f64_e64 s[2:3], 0, v[8:9]
	v_cndmask_b32_e64 v11, v11, v10, s[2:3]
	v_cmp_nge_f64_e64 s[2:3], 0, v[8:9]
	v_cndmask_b32_e64 v10, 0, v1, s[2:3]
	v_mov_b32_e32 v1, 0xfff00000
	v_cmp_neq_f64_e64 s[2:3], 0, v[8:9]
	v_cndmask_b32_e64 v11, v1, v11, s[2:3]
	s_and_saveexec_b64 s[2:3], vcc
	s_cbranch_execnz .LBB25_27
; %bb.21:
	s_or_b64 exec, exec, s[2:3]
	s_and_saveexec_b64 s[2:3], s[0:1]
	s_cbranch_execnz .LBB25_28
.LBB25_22:
	s_endpgm
.LBB25_23:
	ds_read_b64 v[6:7], v20
	s_or_b64 exec, exec, s[0:1]
	v_cmp_gt_u32_e64 s[6:7], 64, v0
	s_and_saveexec_b64 s[8:9], s[6:7]
	s_cbranch_execz .LBB25_8
.LBB25_24:
	s_waitcnt lgkmcnt(0)
	ds_bpermute_b32 v8, v13, v6
	ds_bpermute_b32 v9, v13, v7
	s_waitcnt lgkmcnt(0)
	v_cmp_lt_f64_e64 s[0:1], v[6:7], v[8:9]
	v_cndmask_b32_e64 v7, v7, v9, s[0:1]
	v_cndmask_b32_e64 v6, v6, v8, s[0:1]
	ds_bpermute_b32 v9, v14, v7
	ds_bpermute_b32 v8, v14, v6
	s_waitcnt lgkmcnt(0)
	v_cmp_lt_f64_e64 s[0:1], v[6:7], v[8:9]
	v_cndmask_b32_e64 v7, v7, v9, s[0:1]
	v_cndmask_b32_e64 v6, v6, v8, s[0:1]
	;; [unrolled: 6-line block ×6, first 2 shown]
	s_or_b64 exec, exec, s[8:9]
	v_cmp_eq_u32_e64 s[8:9], 0, v0
	s_and_saveexec_b64 s[0:1], s[8:9]
	s_cbranch_execnz .LBB25_9
	s_branch .LBB25_10
.LBB25_25:
	ds_read_b64 v[8:9], v20
	s_or_b64 exec, exec, s[2:3]
	s_and_saveexec_b64 s[2:3], s[6:7]
	s_cbranch_execz .LBB25_18
.LBB25_26:
	s_waitcnt lgkmcnt(0)
	ds_bpermute_b32 v10, v13, v8
	ds_bpermute_b32 v11, v13, v9
	s_waitcnt lgkmcnt(0)
	v_add_f64 v[8:9], v[8:9], v[10:11]
	ds_bpermute_b32 v10, v14, v8
	ds_bpermute_b32 v11, v14, v9
	s_waitcnt lgkmcnt(0)
	v_add_f64 v[8:9], v[8:9], v[10:11]
	;; [unrolled: 4-line block ×6, first 2 shown]
	s_or_b64 exec, exec, s[2:3]
	s_and_saveexec_b64 s[2:3], s[8:9]
	s_cbranch_execnz .LBB25_19
	s_branch .LBB25_20
.LBB25_27:
	v_add_f64 v[2:3], v[2:3], -v[6:7]
	v_add_f64 v[2:3], v[2:3], -v[10:11]
	global_store_dwordx2 v12, v[2:3], s[6:7]
	s_or_b64 exec, exec, s[2:3]
	s_and_saveexec_b64 s[2:3], s[0:1]
	s_cbranch_execz .LBB25_22
.LBB25_28:
	v_lshlrev_b32_e32 v2, 3, v0
	v_add_f64 v[0:1], v[4:5], -v[6:7]
	v_add_f64 v[0:1], v[0:1], -v[10:11]
	global_store_dwordx2 v2, v[0:1], s[6:7]
	s_endpgm
	.section	.rodata,"a",@progbits
	.p2align	6, 0x0
	.amdhsa_kernel _ZN2at6native12_GLOBAL__N_122cunn_SoftMaxForwardRegIdddNS1_25LogSoftMaxForwardEpilogueElLi2EEEvPT1_PKT_T3_
		.amdhsa_group_segment_fixed_size 0
		.amdhsa_private_segment_fixed_size 0
		.amdhsa_kernarg_size 280
		.amdhsa_user_sgpr_count 6
		.amdhsa_user_sgpr_private_segment_buffer 1
		.amdhsa_user_sgpr_dispatch_ptr 0
		.amdhsa_user_sgpr_queue_ptr 0
		.amdhsa_user_sgpr_kernarg_segment_ptr 1
		.amdhsa_user_sgpr_dispatch_id 0
		.amdhsa_user_sgpr_flat_scratch_init 0
		.amdhsa_user_sgpr_kernarg_preload_length 0
		.amdhsa_user_sgpr_kernarg_preload_offset 0
		.amdhsa_user_sgpr_private_segment_size 0
		.amdhsa_uses_dynamic_stack 0
		.amdhsa_system_sgpr_private_segment_wavefront_offset 0
		.amdhsa_system_sgpr_workgroup_id_x 1
		.amdhsa_system_sgpr_workgroup_id_y 0
		.amdhsa_system_sgpr_workgroup_id_z 0
		.amdhsa_system_sgpr_workgroup_info 0
		.amdhsa_system_vgpr_workitem_id 0
		.amdhsa_next_free_vgpr 30
		.amdhsa_next_free_sgpr 21
		.amdhsa_accum_offset 32
		.amdhsa_reserve_vcc 1
		.amdhsa_reserve_flat_scratch 0
		.amdhsa_float_round_mode_32 0
		.amdhsa_float_round_mode_16_64 0
		.amdhsa_float_denorm_mode_32 3
		.amdhsa_float_denorm_mode_16_64 3
		.amdhsa_dx10_clamp 1
		.amdhsa_ieee_mode 1
		.amdhsa_fp16_overflow 0
		.amdhsa_tg_split 0
		.amdhsa_exception_fp_ieee_invalid_op 0
		.amdhsa_exception_fp_denorm_src 0
		.amdhsa_exception_fp_ieee_div_zero 0
		.amdhsa_exception_fp_ieee_overflow 0
		.amdhsa_exception_fp_ieee_underflow 0
		.amdhsa_exception_fp_ieee_inexact 0
		.amdhsa_exception_int_div_zero 0
	.end_amdhsa_kernel
	.section	.text._ZN2at6native12_GLOBAL__N_122cunn_SoftMaxForwardRegIdddNS1_25LogSoftMaxForwardEpilogueElLi2EEEvPT1_PKT_T3_,"axG",@progbits,_ZN2at6native12_GLOBAL__N_122cunn_SoftMaxForwardRegIdddNS1_25LogSoftMaxForwardEpilogueElLi2EEEvPT1_PKT_T3_,comdat
.Lfunc_end25:
	.size	_ZN2at6native12_GLOBAL__N_122cunn_SoftMaxForwardRegIdddNS1_25LogSoftMaxForwardEpilogueElLi2EEEvPT1_PKT_T3_, .Lfunc_end25-_ZN2at6native12_GLOBAL__N_122cunn_SoftMaxForwardRegIdddNS1_25LogSoftMaxForwardEpilogueElLi2EEEvPT1_PKT_T3_
                                        ; -- End function
	.section	.AMDGPU.csdata,"",@progbits
; Kernel info:
; codeLenInByte = 3400
; NumSgprs: 25
; NumVgprs: 30
; NumAgprs: 0
; TotalNumVgprs: 30
; ScratchSize: 0
; MemoryBound: 0
; FloatMode: 240
; IeeeMode: 1
; LDSByteSize: 0 bytes/workgroup (compile time only)
; SGPRBlocks: 3
; VGPRBlocks: 3
; NumSGPRsForWavesPerEU: 25
; NumVGPRsForWavesPerEU: 30
; AccumOffset: 32
; Occupancy: 8
; WaveLimiterHint : 0
; COMPUTE_PGM_RSRC2:SCRATCH_EN: 0
; COMPUTE_PGM_RSRC2:USER_SGPR: 6
; COMPUTE_PGM_RSRC2:TRAP_HANDLER: 0
; COMPUTE_PGM_RSRC2:TGID_X_EN: 1
; COMPUTE_PGM_RSRC2:TGID_Y_EN: 0
; COMPUTE_PGM_RSRC2:TGID_Z_EN: 0
; COMPUTE_PGM_RSRC2:TIDIG_COMP_CNT: 0
; COMPUTE_PGM_RSRC3_GFX90A:ACCUM_OFFSET: 7
; COMPUTE_PGM_RSRC3_GFX90A:TG_SPLIT: 0
	.section	.text._ZN2at6native12_GLOBAL__N_122cunn_SoftMaxForwardRegIdddNS1_25LogSoftMaxForwardEpilogueElLi3EEEvPT1_PKT_T3_,"axG",@progbits,_ZN2at6native12_GLOBAL__N_122cunn_SoftMaxForwardRegIdddNS1_25LogSoftMaxForwardEpilogueElLi3EEEvPT1_PKT_T3_,comdat
	.globl	_ZN2at6native12_GLOBAL__N_122cunn_SoftMaxForwardRegIdddNS1_25LogSoftMaxForwardEpilogueElLi3EEEvPT1_PKT_T3_ ; -- Begin function _ZN2at6native12_GLOBAL__N_122cunn_SoftMaxForwardRegIdddNS1_25LogSoftMaxForwardEpilogueElLi3EEEvPT1_PKT_T3_
	.p2align	8
	.type	_ZN2at6native12_GLOBAL__N_122cunn_SoftMaxForwardRegIdddNS1_25LogSoftMaxForwardEpilogueElLi3EEEvPT1_PKT_T3_,@function
_ZN2at6native12_GLOBAL__N_122cunn_SoftMaxForwardRegIdddNS1_25LogSoftMaxForwardEpilogueElLi3EEEvPT1_PKT_T3_: ; @_ZN2at6native12_GLOBAL__N_122cunn_SoftMaxForwardRegIdddNS1_25LogSoftMaxForwardEpilogueElLi3EEEvPT1_PKT_T3_
; %bb.0:
	s_load_dwordx2 s[14:15], s[4:5], 0x10
	s_load_dwordx4 s[16:19], s[4:5], 0x0
	s_load_dword s8, s[4:5], 0x24
	v_mov_b32_e32 v11, 0
	v_mov_b32_e32 v1, v11
	s_waitcnt lgkmcnt(0)
	s_mul_i32 s0, s6, s15
	s_mul_hi_u32 s1, s6, s14
	s_add_i32 s1, s1, s0
	s_mul_i32 s0, s6, s14
	s_lshl_b64 s[20:21], s[0:1], 3
	s_add_u32 s2, s18, s20
	s_addc_u32 s3, s19, s21
	s_mov_b32 s0, -1
	s_add_u32 s4, s4, 24
	s_mov_b32 s1, 0xffefffff
	s_addc_u32 s5, s5, 0
	v_cmp_gt_i64_e32 vcc, s[14:15], v[0:1]
	v_pk_mov_b32 v[8:9], s[0:1], s[0:1] op_sel:[0,1]
	v_lshlrev_b32_e32 v16, 3, v0
                                        ; implicit-def: $vgpr2_vgpr3_vgpr4_vgpr5_vgpr6_vgpr7
	s_and_saveexec_b64 s[6:7], vcc
	s_cbranch_execz .LBB26_2
; %bb.1:
	global_load_dwordx2 v[2:3], v16, s[2:3]
	s_waitcnt vmcnt(0)
	v_max_f64 v[4:5], v[2:3], v[2:3]
	v_max_f64 v[8:9], v[4:5], s[0:1]
.LBB26_2:
	s_or_b64 exec, exec, s[6:7]
	s_and_b32 s8, 0xffff, s8
	v_add_u32_e32 v10, s8, v0
	v_cmp_gt_i64_e64 s[0:1], s[14:15], v[10:11]
	s_and_saveexec_b64 s[6:7], s[0:1]
	s_cbranch_execz .LBB26_4
; %bb.3:
	v_lshlrev_b32_e32 v1, 3, v10
	global_load_dwordx2 v[4:5], v1, s[2:3]
	v_max_f64 v[8:9], v[8:9], v[8:9]
	s_waitcnt vmcnt(0)
	v_max_f64 v[12:13], v[4:5], v[4:5]
	v_max_f64 v[8:9], v[8:9], v[12:13]
.LBB26_4:
	s_or_b64 exec, exec, s[6:7]
	v_add_u32_e32 v10, s8, v10
	v_mov_b32_e32 v11, 0
	v_cmp_gt_i64_e64 s[0:1], s[14:15], v[10:11]
	s_and_saveexec_b64 s[6:7], s[0:1]
	s_cbranch_execz .LBB26_6
; %bb.5:
	v_lshlrev_b32_e32 v1, 3, v10
	global_load_dwordx2 v[6:7], v1, s[2:3]
	v_max_f64 v[8:9], v[8:9], v[8:9]
	s_waitcnt vmcnt(0)
	v_max_f64 v[10:11], v[6:7], v[6:7]
	v_max_f64 v[8:9], v[8:9], v[10:11]
.LBB26_6:
	s_or_b64 exec, exec, s[6:7]
	v_mbcnt_lo_u32_b32 v1, -1, 0
	v_mbcnt_hi_u32_b32 v12, -1, v1
	v_and_b32_e32 v13, 63, v12
	v_cmp_gt_u32_e64 s[0:1], 32, v13
	v_cndmask_b32_e64 v1, 0, 1, s[0:1]
	v_lshlrev_b32_e32 v1, 5, v1
	v_add_lshl_u32 v17, v1, v12, 2
	ds_bpermute_b32 v10, v17, v8
	ds_bpermute_b32 v11, v17, v9
	s_mov_b32 s6, -1
	v_lshrrev_b32_e32 v23, 3, v0
	s_waitcnt lgkmcnt(0)
	s_barrier
	v_cmp_lt_f64_e64 s[0:1], v[8:9], v[10:11]
	v_cndmask_b32_e64 v9, v9, v11, s[0:1]
	v_cndmask_b32_e64 v8, v8, v10, s[0:1]
	v_cmp_gt_u32_e64 s[0:1], 48, v13
	v_cndmask_b32_e64 v1, 0, 1, s[0:1]
	v_lshlrev_b32_e32 v1, 4, v1
	v_add_lshl_u32 v18, v1, v12, 2
	ds_bpermute_b32 v11, v18, v9
	ds_bpermute_b32 v10, v18, v8
	s_waitcnt lgkmcnt(0)
	v_cmp_lt_f64_e64 s[0:1], v[8:9], v[10:11]
	v_cndmask_b32_e64 v9, v9, v11, s[0:1]
	v_cndmask_b32_e64 v8, v8, v10, s[0:1]
	v_cmp_gt_u32_e64 s[0:1], 56, v13
	v_cndmask_b32_e64 v1, 0, 1, s[0:1]
	v_lshlrev_b32_e32 v1, 3, v1
	v_add_lshl_u32 v19, v1, v12, 2
	ds_bpermute_b32 v10, v19, v8
	ds_bpermute_b32 v11, v19, v9
	s_waitcnt lgkmcnt(0)
	v_cmp_lt_f64_e64 s[0:1], v[8:9], v[10:11]
	v_cndmask_b32_e64 v9, v9, v11, s[0:1]
	v_cndmask_b32_e64 v8, v8, v10, s[0:1]
	v_cmp_gt_u32_e64 s[0:1], 60, v13
	v_cndmask_b32_e64 v1, 0, 1, s[0:1]
	v_lshlrev_b32_e32 v1, 2, v1
	v_add_lshl_u32 v20, v1, v12, 2
	ds_bpermute_b32 v10, v20, v8
	ds_bpermute_b32 v11, v20, v9
	s_waitcnt lgkmcnt(0)
	v_cmp_lt_f64_e64 s[0:1], v[8:9], v[10:11]
	v_cndmask_b32_e64 v9, v9, v11, s[0:1]
	v_cndmask_b32_e64 v8, v8, v10, s[0:1]
	v_cmp_gt_u32_e64 s[0:1], 62, v13
	v_cndmask_b32_e64 v1, 0, 1, s[0:1]
	v_lshlrev_b32_e32 v1, 1, v1
	v_add_lshl_u32 v21, v1, v12, 2
	ds_bpermute_b32 v10, v21, v8
	ds_bpermute_b32 v11, v21, v9
	v_and_b32_e32 v1, 63, v0
	v_cmp_eq_u32_e64 s[2:3], 0, v1
	s_waitcnt lgkmcnt(0)
	v_cmp_lt_f64_e64 s[0:1], v[8:9], v[10:11]
	v_cndmask_b32_e64 v9, v9, v11, s[0:1]
	v_cndmask_b32_e64 v8, v8, v10, s[0:1]
	v_cmp_ne_u32_e64 s[0:1], 63, v13
	v_addc_co_u32_e64 v10, s[0:1], 0, v12, s[0:1]
	v_lshlrev_b32_e32 v22, 2, v10
	ds_bpermute_b32 v10, v22, v8
	ds_bpermute_b32 v11, v22, v9
	s_and_saveexec_b64 s[0:1], s[2:3]
	s_xor_b64 s[8:9], exec, s[0:1]
	s_cbranch_execz .LBB26_8
; %bb.7:
	s_waitcnt lgkmcnt(0)
	v_cmp_lt_f64_e64 s[0:1], v[8:9], v[10:11]
	v_add_u32_e32 v12, 0, v23
	v_cndmask_b32_e64 v9, v9, v11, s[0:1]
	v_cndmask_b32_e64 v8, v8, v10, s[0:1]
	ds_write_b64 v12, v[8:9]
.LBB26_8:
	s_or_b64 exec, exec, s[8:9]
	s_waitcnt lgkmcnt(0)
	s_barrier
	s_load_dword s10, s[4:5], 0xc
	s_mov_b32 s7, 0xffefffff
	v_pk_mov_b32 v[8:9], s[6:7], s[6:7] op_sel:[0,1]
	v_lshl_add_u32 v24, v1, 3, 0
	s_waitcnt lgkmcnt(0)
	s_bfe_u32 s0, s10, 0xa0006
	v_cmp_gt_u32_e64 s[4:5], s0, v0
	s_and_saveexec_b64 s[0:1], s[4:5]
	s_cbranch_execnz .LBB26_28
; %bb.9:
	s_or_b64 exec, exec, s[0:1]
	v_cmp_gt_u32_e64 s[6:7], 64, v0
	s_and_saveexec_b64 s[8:9], s[6:7]
	s_cbranch_execnz .LBB26_29
.LBB26_10:
	s_or_b64 exec, exec, s[8:9]
	v_cmp_eq_u32_e64 s[8:9], 0, v0
	s_and_saveexec_b64 s[0:1], s[8:9]
	s_cbranch_execz .LBB26_12
.LBB26_11:
	v_mov_b32_e32 v1, 0
	s_waitcnt lgkmcnt(0)
	ds_write_b64 v1, v[8:9]
.LBB26_12:
	s_or_b64 exec, exec, s[0:1]
	v_mov_b32_e32 v1, 0
	s_waitcnt lgkmcnt(0)
	s_barrier
	ds_read_b64 v[8:9], v1
	s_and_b32 s22, s10, 0xffff
	v_pk_mov_b32 v[12:13], 0, 0
	s_and_saveexec_b64 s[12:13], vcc
	s_cbranch_execz .LBB26_14
; %bb.13:
	s_mov_b32 s0, 0x652b82fe
	s_waitcnt lgkmcnt(0)
	v_add_f64 v[10:11], v[2:3], -v[8:9]
	s_mov_b32 s1, 0x3ff71547
	v_mul_f64 v[12:13], v[10:11], s[0:1]
	s_mov_b32 s0, 0xfefa39ef
	v_rndne_f64_e32 v[12:13], v[12:13]
	s_mov_b32 s1, 0xbfe62e42
	v_fma_f64 v[14:15], s[0:1], v[12:13], v[10:11]
	s_mov_b32 s0, 0x3b39803f
	s_mov_b32 s1, 0xbc7abc9e
	v_fmac_f64_e32 v[14:15], s[0:1], v[12:13]
	s_mov_b32 s0, 0x6a5dcb37
	v_mov_b32_e32 v26, 0xfca7ab0c
	v_mov_b32_e32 v27, 0x3e928af3
	s_mov_b32 s1, 0x3e5ade15
	v_fmac_f64_e32 v[26:27], s[0:1], v[14:15]
	v_mov_b32_e32 v28, 0x623fde64
	v_mov_b32_e32 v29, 0x3ec71dee
	v_fmac_f64_e32 v[28:29], v[14:15], v[26:27]
	v_mov_b32_e32 v26, 0x7c89e6b0
	v_mov_b32_e32 v27, 0x3efa0199
	;; [unrolled: 3-line block ×8, first 2 shown]
	v_fmac_f64_e32 v[26:27], v[14:15], v[28:29]
	v_fma_f64 v[26:27], v[14:15], v[26:27], 1.0
	v_fma_f64 v[14:15], v[14:15], v[26:27], 1.0
	v_cvt_i32_f64_e32 v12, v[12:13]
	s_mov_b32 s0, 0
	s_mov_b32 s10, 0
	v_ldexp_f64 v[12:13], v[14:15], v12
	s_mov_b32 s1, 0x40900000
	s_mov_b32 s11, 0xc090cc00
	v_add_f64 v[12:13], v[12:13], 0
	v_mov_b32_e32 v14, 0x7ff00000
	v_cmp_nlt_f64_e64 s[0:1], s[0:1], v[10:11]
	v_cmp_ngt_f64_e64 s[10:11], s[10:11], v[10:11]
	v_cndmask_b32_e64 v13, v14, v13, s[0:1]
	s_and_b64 s[0:1], s[10:11], s[0:1]
	v_cndmask_b32_e64 v13, 0, v13, s[10:11]
	v_cndmask_b32_e64 v12, 0, v12, s[0:1]
.LBB26_14:
	s_or_b64 exec, exec, s[12:13]
	v_add_u32_e32 v0, s22, v0
	v_cmp_gt_i64_e64 s[0:1], s[14:15], v[0:1]
	s_and_saveexec_b64 s[18:19], s[0:1]
	s_cbranch_execz .LBB26_16
; %bb.15:
	s_mov_b32 s10, 0x652b82fe
	s_waitcnt lgkmcnt(0)
	v_add_f64 v[10:11], v[4:5], -v[8:9]
	s_mov_b32 s11, 0x3ff71547
	v_mul_f64 v[14:15], v[10:11], s[10:11]
	s_mov_b32 s10, 0xfefa39ef
	v_rndne_f64_e32 v[14:15], v[14:15]
	s_mov_b32 s11, 0xbfe62e42
	v_fma_f64 v[26:27], s[10:11], v[14:15], v[10:11]
	s_mov_b32 s10, 0x3b39803f
	s_mov_b32 s11, 0xbc7abc9e
	v_fmac_f64_e32 v[26:27], s[10:11], v[14:15]
	s_mov_b32 s10, 0x6a5dcb37
	v_mov_b32_e32 v28, 0xfca7ab0c
	v_mov_b32_e32 v29, 0x3e928af3
	s_mov_b32 s11, 0x3e5ade15
	v_fmac_f64_e32 v[28:29], s[10:11], v[26:27]
	v_mov_b32_e32 v30, 0x623fde64
	v_mov_b32_e32 v31, 0x3ec71dee
	v_fmac_f64_e32 v[30:31], v[26:27], v[28:29]
	v_mov_b32_e32 v28, 0x7c89e6b0
	v_mov_b32_e32 v29, 0x3efa0199
	;; [unrolled: 3-line block ×8, first 2 shown]
	v_fmac_f64_e32 v[28:29], v[26:27], v[30:31]
	v_fma_f64 v[28:29], v[26:27], v[28:29], 1.0
	s_mov_b32 s10, 0
	s_mov_b32 s12, 0
	v_fma_f64 v[26:27], v[26:27], v[28:29], 1.0
	v_cvt_i32_f64_e32 v14, v[14:15]
	s_mov_b32 s11, 0x40900000
	s_mov_b32 s13, 0xc090cc00
	v_ldexp_f64 v[14:15], v[26:27], v14
	v_mov_b32_e32 v25, 0x7ff00000
	v_cmp_nlt_f64_e64 s[10:11], s[10:11], v[10:11]
	v_cmp_ngt_f64_e64 s[12:13], s[12:13], v[10:11]
	v_cndmask_b32_e64 v15, v25, v15, s[10:11]
	s_and_b64 s[10:11], s[12:13], s[10:11]
	v_cndmask_b32_e64 v11, 0, v15, s[12:13]
	v_cndmask_b32_e64 v10, 0, v14, s[10:11]
	v_add_f64 v[12:13], v[12:13], v[10:11]
.LBB26_16:
	s_or_b64 exec, exec, s[18:19]
	v_add_u32_e32 v10, s22, v0
	v_mov_b32_e32 v11, v1
	v_cmp_gt_i64_e64 s[10:11], s[14:15], v[10:11]
	s_and_saveexec_b64 s[18:19], s[10:11]
	s_cbranch_execz .LBB26_18
; %bb.17:
	s_mov_b32 s12, 0x652b82fe
	s_waitcnt lgkmcnt(0)
	v_add_f64 v[14:15], v[6:7], -v[8:9]
	s_mov_b32 s13, 0x3ff71547
	v_mul_f64 v[26:27], v[14:15], s[12:13]
	s_mov_b32 s12, 0xfefa39ef
	v_rndne_f64_e32 v[26:27], v[26:27]
	s_mov_b32 s13, 0xbfe62e42
	v_fma_f64 v[28:29], s[12:13], v[26:27], v[14:15]
	s_mov_b32 s12, 0x3b39803f
	s_mov_b32 s13, 0xbc7abc9e
	v_fmac_f64_e32 v[28:29], s[12:13], v[26:27]
	s_mov_b32 s12, 0x6a5dcb37
	v_mov_b32_e32 v30, 0xfca7ab0c
	v_mov_b32_e32 v31, 0x3e928af3
	s_mov_b32 s13, 0x3e5ade15
	v_fmac_f64_e32 v[30:31], s[12:13], v[28:29]
	v_mov_b32_e32 v32, 0x623fde64
	v_mov_b32_e32 v33, 0x3ec71dee
	v_fmac_f64_e32 v[32:33], v[28:29], v[30:31]
	v_mov_b32_e32 v30, 0x7c89e6b0
	v_mov_b32_e32 v31, 0x3efa0199
	;; [unrolled: 3-line block ×8, first 2 shown]
	v_fmac_f64_e32 v[30:31], v[28:29], v[32:33]
	v_fma_f64 v[30:31], v[28:29], v[30:31], 1.0
	s_mov_b32 s12, 0
	s_mov_b32 s14, 0
	v_fma_f64 v[28:29], v[28:29], v[30:31], 1.0
	v_cvt_i32_f64_e32 v1, v[26:27]
	s_mov_b32 s13, 0x40900000
	s_mov_b32 s15, 0xc090cc00
	v_ldexp_f64 v[26:27], v[28:29], v1
	v_mov_b32_e32 v1, 0x7ff00000
	v_cmp_nlt_f64_e64 s[12:13], s[12:13], v[14:15]
	v_cmp_ngt_f64_e64 s[14:15], s[14:15], v[14:15]
	v_cndmask_b32_e64 v1, v1, v27, s[12:13]
	s_and_b64 s[12:13], s[14:15], s[12:13]
	v_cndmask_b32_e64 v15, 0, v1, s[14:15]
	v_cndmask_b32_e64 v14, 0, v26, s[12:13]
	v_add_f64 v[12:13], v[12:13], v[14:15]
.LBB26_18:
	s_or_b64 exec, exec, s[18:19]
	ds_bpermute_b32 v14, v17, v12
	ds_bpermute_b32 v15, v17, v13
	s_waitcnt lgkmcnt(0)
	s_barrier
	v_add_f64 v[12:13], v[12:13], v[14:15]
	ds_bpermute_b32 v14, v18, v12
	ds_bpermute_b32 v15, v18, v13
	s_waitcnt lgkmcnt(0)
	v_add_f64 v[12:13], v[12:13], v[14:15]
	ds_bpermute_b32 v14, v19, v12
	ds_bpermute_b32 v15, v19, v13
	s_waitcnt lgkmcnt(0)
	;; [unrolled: 4-line block ×4, first 2 shown]
	v_add_f64 v[12:13], v[12:13], v[14:15]
	ds_bpermute_b32 v14, v22, v12
	ds_bpermute_b32 v15, v22, v13
	s_and_saveexec_b64 s[12:13], s[2:3]
	s_xor_b64 s[2:3], exec, s[12:13]
	s_cbranch_execz .LBB26_20
; %bb.19:
	v_add_u32_e32 v1, 0, v23
	s_waitcnt lgkmcnt(0)
	v_add_f64 v[12:13], v[12:13], v[14:15]
	ds_write_b64 v1, v[12:13]
.LBB26_20:
	s_or_b64 exec, exec, s[2:3]
	v_pk_mov_b32 v[12:13], 0, 0
	s_waitcnt lgkmcnt(0)
	s_barrier
	s_and_saveexec_b64 s[2:3], s[4:5]
	s_cbranch_execnz .LBB26_30
; %bb.21:
	s_or_b64 exec, exec, s[2:3]
	s_and_saveexec_b64 s[2:3], s[6:7]
	s_cbranch_execnz .LBB26_31
.LBB26_22:
	s_or_b64 exec, exec, s[2:3]
	s_and_saveexec_b64 s[2:3], s[8:9]
	s_cbranch_execz .LBB26_24
.LBB26_23:
	v_mov_b32_e32 v1, 0
	s_waitcnt lgkmcnt(0)
	ds_write_b64 v1, v[12:13]
.LBB26_24:
	s_or_b64 exec, exec, s[2:3]
	v_mov_b32_e32 v1, 0
	s_waitcnt lgkmcnt(0)
	s_barrier
	ds_read_b64 v[12:13], v1
	s_mov_b32 s2, 0x55555555
	s_add_u32 s6, s16, s20
	s_mov_b32 s3, 0x3fe55555
	s_addc_u32 s7, s17, s21
	s_waitcnt lgkmcnt(0)
	v_frexp_mant_f64_e32 v[14:15], v[12:13]
	v_frexp_exp_i32_f64_e32 v1, v[12:13]
	v_cmp_gt_f64_e64 s[2:3], s[2:3], v[14:15]
	v_subbrev_co_u32_e64 v1, s[4:5], 0, v1, s[2:3]
	s_and_b64 s[2:3], s[2:3], exec
	s_mov_b32 s8, 0
	s_cselect_b32 s9, 2.0, 0x3ff00000
	v_mul_f64 v[14:15], v[14:15], s[8:9]
	v_add_f64 v[18:19], v[14:15], 1.0
	v_rcp_f64_e32 v[20:21], v[18:19]
	v_add_f64 v[24:25], v[18:19], -1.0
	v_add_f64 v[22:23], v[14:15], -1.0
	v_add_f64 v[14:15], v[14:15], -v[24:25]
	v_fma_f64 v[24:25], -v[18:19], v[20:21], 1.0
	v_fmac_f64_e32 v[20:21], v[24:25], v[20:21]
	v_fma_f64 v[24:25], -v[18:19], v[20:21], 1.0
	v_fmac_f64_e32 v[20:21], v[24:25], v[20:21]
	v_mul_f64 v[24:25], v[22:23], v[20:21]
	v_mul_f64 v[26:27], v[18:19], v[24:25]
	v_fma_f64 v[18:19], v[24:25], v[18:19], -v[26:27]
	v_fmac_f64_e32 v[18:19], v[24:25], v[14:15]
	v_add_f64 v[14:15], v[26:27], v[18:19]
	v_add_f64 v[28:29], v[22:23], -v[14:15]
	v_add_f64 v[26:27], v[14:15], -v[26:27]
	;; [unrolled: 1-line block ×5, first 2 shown]
	v_add_f64 v[14:15], v[18:19], v[14:15]
	v_add_f64 v[14:15], v[28:29], v[14:15]
	v_mul_f64 v[14:15], v[20:21], v[14:15]
	v_add_f64 v[18:19], v[24:25], v[14:15]
	v_add_f64 v[20:21], v[18:19], -v[24:25]
	s_mov_b32 s2, 0xbf559e2b
	v_add_f64 v[14:15], v[14:15], -v[20:21]
	v_mul_f64 v[20:21], v[18:19], v[18:19]
	v_mov_b32_e32 v22, 0x6b47b09a
	v_mov_b32_e32 v23, 0x3fc38538
	s_mov_b32 s3, 0x3fc3ab76
	v_fmac_f64_e32 v[22:23], s[2:3], v[20:21]
	v_mov_b32_e32 v24, 0xd7f4df2e
	v_mov_b32_e32 v25, 0x3fc7474d
	v_fmac_f64_e32 v[24:25], v[20:21], v[22:23]
	v_mov_b32_e32 v22, 0x16291751
	v_mov_b32_e32 v23, 0x3fcc71c0
	v_fmac_f64_e32 v[22:23], v[20:21], v[24:25]
	v_mov_b32_e32 v24, 0x9b27acf1
	v_mov_b32_e32 v25, 0x3fd24924
	v_fmac_f64_e32 v[24:25], v[20:21], v[22:23]
	v_mov_b32_e32 v22, 0x998ef7b6
	v_mov_b32_e32 v23, 0x3fd99999
	v_fmac_f64_e32 v[22:23], v[20:21], v[24:25]
	v_mov_b32_e32 v24, 0x55555780
	v_mov_b32_e32 v25, 0x3fe55555
	v_fmac_f64_e32 v[24:25], v[20:21], v[22:23]
	v_ldexp_f64 v[22:23], v[18:19], 1
	v_mul_f64 v[18:19], v[18:19], v[20:21]
	v_mul_f64 v[18:19], v[18:19], v[24:25]
	v_add_f64 v[20:21], v[22:23], v[18:19]
	v_add_f64 v[22:23], v[20:21], -v[22:23]
	v_ldexp_f64 v[14:15], v[14:15], 1
	v_add_f64 v[18:19], v[18:19], -v[22:23]
	v_add_f64 v[14:15], v[14:15], v[18:19]
	v_add_f64 v[18:19], v[20:21], v[14:15]
	v_add_f64 v[20:21], v[18:19], -v[20:21]
	s_mov_b32 s2, 0xfefa39ef
	v_add_f64 v[14:15], v[14:15], -v[20:21]
	v_cvt_f64_i32_e32 v[20:21], v1
	s_mov_b32 s3, 0x3fe62e42
	v_mul_f64 v[22:23], v[20:21], s[2:3]
	v_fma_f64 v[24:25], v[20:21], s[2:3], -v[22:23]
	s_mov_b32 s2, 0x3b39803f
	s_mov_b32 s3, 0x3c7abc9e
	v_fmac_f64_e32 v[24:25], s[2:3], v[20:21]
	v_add_f64 v[20:21], v[22:23], v[24:25]
	v_add_f64 v[22:23], v[20:21], -v[22:23]
	v_add_f64 v[22:23], v[24:25], -v[22:23]
	v_add_f64 v[24:25], v[20:21], v[18:19]
	v_add_f64 v[26:27], v[24:25], -v[20:21]
	v_add_f64 v[28:29], v[24:25], -v[26:27]
	;; [unrolled: 1-line block ×4, first 2 shown]
	v_add_f64 v[18:19], v[18:19], v[20:21]
	v_add_f64 v[20:21], v[22:23], v[14:15]
	v_add_f64 v[26:27], v[20:21], -v[22:23]
	v_add_f64 v[28:29], v[20:21], -v[26:27]
	v_add_f64 v[18:19], v[20:21], v[18:19]
	v_add_f64 v[22:23], v[22:23], -v[28:29]
	v_add_f64 v[14:15], v[14:15], -v[26:27]
	v_add_f64 v[20:21], v[24:25], v[18:19]
	v_add_f64 v[14:15], v[14:15], v[22:23]
	v_add_f64 v[22:23], v[20:21], -v[24:25]
	v_add_f64 v[18:19], v[18:19], -v[22:23]
	v_add_f64 v[14:15], v[14:15], v[18:19]
	s_movk_i32 s2, 0x204
	v_add_f64 v[14:15], v[20:21], v[14:15]
	v_cmp_class_f64_e64 s[2:3], v[12:13], s2
	v_cndmask_b32_e64 v1, v14, v12, s[2:3]
	v_cndmask_b32_e64 v11, v15, v13, s[2:3]
	v_mov_b32_e32 v14, 0x7ff80000
	v_cmp_ngt_f64_e64 s[2:3], 0, v[12:13]
	v_cndmask_b32_e64 v11, v14, v11, s[2:3]
	v_cmp_nge_f64_e64 s[2:3], 0, v[12:13]
	v_cndmask_b32_e64 v14, 0, v1, s[2:3]
	v_mov_b32_e32 v1, 0xfff00000
	v_cmp_neq_f64_e64 s[2:3], 0, v[12:13]
	v_cndmask_b32_e64 v15, v1, v11, s[2:3]
	s_and_saveexec_b64 s[2:3], vcc
	s_cbranch_execnz .LBB26_32
; %bb.25:
	s_or_b64 exec, exec, s[2:3]
	s_and_saveexec_b64 s[2:3], s[0:1]
	s_cbranch_execnz .LBB26_33
.LBB26_26:
	s_or_b64 exec, exec, s[2:3]
	s_and_saveexec_b64 s[0:1], s[10:11]
	s_cbranch_execnz .LBB26_34
.LBB26_27:
	s_endpgm
.LBB26_28:
	ds_read_b64 v[8:9], v24
	s_or_b64 exec, exec, s[0:1]
	v_cmp_gt_u32_e64 s[6:7], 64, v0
	s_and_saveexec_b64 s[8:9], s[6:7]
	s_cbranch_execz .LBB26_10
.LBB26_29:
	s_waitcnt lgkmcnt(0)
	ds_bpermute_b32 v10, v17, v8
	ds_bpermute_b32 v11, v17, v9
	s_waitcnt lgkmcnt(0)
	v_cmp_lt_f64_e64 s[0:1], v[8:9], v[10:11]
	v_cndmask_b32_e64 v9, v9, v11, s[0:1]
	v_cndmask_b32_e64 v8, v8, v10, s[0:1]
	ds_bpermute_b32 v11, v18, v9
	ds_bpermute_b32 v10, v18, v8
	s_waitcnt lgkmcnt(0)
	v_cmp_lt_f64_e64 s[0:1], v[8:9], v[10:11]
	v_cndmask_b32_e64 v9, v9, v11, s[0:1]
	v_cndmask_b32_e64 v8, v8, v10, s[0:1]
	;; [unrolled: 6-line block ×6, first 2 shown]
	s_or_b64 exec, exec, s[8:9]
	v_cmp_eq_u32_e64 s[8:9], 0, v0
	s_and_saveexec_b64 s[0:1], s[8:9]
	s_cbranch_execnz .LBB26_11
	s_branch .LBB26_12
.LBB26_30:
	ds_read_b64 v[12:13], v24
	s_or_b64 exec, exec, s[2:3]
	s_and_saveexec_b64 s[2:3], s[6:7]
	s_cbranch_execz .LBB26_22
.LBB26_31:
	s_waitcnt lgkmcnt(0)
	ds_bpermute_b32 v14, v17, v12
	ds_bpermute_b32 v15, v17, v13
	s_waitcnt lgkmcnt(0)
	v_add_f64 v[12:13], v[12:13], v[14:15]
	ds_bpermute_b32 v14, v18, v12
	ds_bpermute_b32 v15, v18, v13
	s_waitcnt lgkmcnt(0)
	v_add_f64 v[12:13], v[12:13], v[14:15]
	ds_bpermute_b32 v14, v19, v12
	ds_bpermute_b32 v15, v19, v13
	s_waitcnt lgkmcnt(0)
	v_add_f64 v[12:13], v[12:13], v[14:15]
	ds_bpermute_b32 v14, v20, v12
	ds_bpermute_b32 v15, v20, v13
	s_waitcnt lgkmcnt(0)
	v_add_f64 v[12:13], v[12:13], v[14:15]
	ds_bpermute_b32 v14, v21, v12
	ds_bpermute_b32 v15, v21, v13
	s_waitcnt lgkmcnt(0)
	v_add_f64 v[12:13], v[12:13], v[14:15]
	ds_bpermute_b32 v14, v22, v12
	ds_bpermute_b32 v15, v22, v13
	s_waitcnt lgkmcnt(0)
	v_add_f64 v[12:13], v[12:13], v[14:15]
	s_or_b64 exec, exec, s[2:3]
	s_and_saveexec_b64 s[2:3], s[8:9]
	s_cbranch_execnz .LBB26_23
	s_branch .LBB26_24
.LBB26_32:
	v_add_f64 v[2:3], v[2:3], -v[8:9]
	v_add_f64 v[2:3], v[2:3], -v[14:15]
	global_store_dwordx2 v16, v[2:3], s[6:7]
	s_or_b64 exec, exec, s[2:3]
	s_and_saveexec_b64 s[2:3], s[0:1]
	s_cbranch_execz .LBB26_26
.LBB26_33:
	v_lshlrev_b32_e32 v2, 3, v0
	v_add_f64 v[0:1], v[4:5], -v[8:9]
	v_add_f64 v[0:1], v[0:1], -v[14:15]
	global_store_dwordx2 v2, v[0:1], s[6:7]
	s_or_b64 exec, exec, s[2:3]
	s_and_saveexec_b64 s[0:1], s[10:11]
	s_cbranch_execz .LBB26_27
.LBB26_34:
	v_add_f64 v[0:1], v[6:7], -v[8:9]
	v_lshlrev_b32_e32 v2, 3, v10
	v_add_f64 v[0:1], v[0:1], -v[14:15]
	global_store_dwordx2 v2, v[0:1], s[6:7]
	s_endpgm
	.section	.rodata,"a",@progbits
	.p2align	6, 0x0
	.amdhsa_kernel _ZN2at6native12_GLOBAL__N_122cunn_SoftMaxForwardRegIdddNS1_25LogSoftMaxForwardEpilogueElLi3EEEvPT1_PKT_T3_
		.amdhsa_group_segment_fixed_size 0
		.amdhsa_private_segment_fixed_size 0
		.amdhsa_kernarg_size 280
		.amdhsa_user_sgpr_count 6
		.amdhsa_user_sgpr_private_segment_buffer 1
		.amdhsa_user_sgpr_dispatch_ptr 0
		.amdhsa_user_sgpr_queue_ptr 0
		.amdhsa_user_sgpr_kernarg_segment_ptr 1
		.amdhsa_user_sgpr_dispatch_id 0
		.amdhsa_user_sgpr_flat_scratch_init 0
		.amdhsa_user_sgpr_kernarg_preload_length 0
		.amdhsa_user_sgpr_kernarg_preload_offset 0
		.amdhsa_user_sgpr_private_segment_size 0
		.amdhsa_uses_dynamic_stack 0
		.amdhsa_system_sgpr_private_segment_wavefront_offset 0
		.amdhsa_system_sgpr_workgroup_id_x 1
		.amdhsa_system_sgpr_workgroup_id_y 0
		.amdhsa_system_sgpr_workgroup_id_z 0
		.amdhsa_system_sgpr_workgroup_info 0
		.amdhsa_system_vgpr_workitem_id 0
		.amdhsa_next_free_vgpr 34
		.amdhsa_next_free_sgpr 23
		.amdhsa_accum_offset 36
		.amdhsa_reserve_vcc 1
		.amdhsa_reserve_flat_scratch 0
		.amdhsa_float_round_mode_32 0
		.amdhsa_float_round_mode_16_64 0
		.amdhsa_float_denorm_mode_32 3
		.amdhsa_float_denorm_mode_16_64 3
		.amdhsa_dx10_clamp 1
		.amdhsa_ieee_mode 1
		.amdhsa_fp16_overflow 0
		.amdhsa_tg_split 0
		.amdhsa_exception_fp_ieee_invalid_op 0
		.amdhsa_exception_fp_denorm_src 0
		.amdhsa_exception_fp_ieee_div_zero 0
		.amdhsa_exception_fp_ieee_overflow 0
		.amdhsa_exception_fp_ieee_underflow 0
		.amdhsa_exception_fp_ieee_inexact 0
		.amdhsa_exception_int_div_zero 0
	.end_amdhsa_kernel
	.section	.text._ZN2at6native12_GLOBAL__N_122cunn_SoftMaxForwardRegIdddNS1_25LogSoftMaxForwardEpilogueElLi3EEEvPT1_PKT_T3_,"axG",@progbits,_ZN2at6native12_GLOBAL__N_122cunn_SoftMaxForwardRegIdddNS1_25LogSoftMaxForwardEpilogueElLi3EEEvPT1_PKT_T3_,comdat
.Lfunc_end26:
	.size	_ZN2at6native12_GLOBAL__N_122cunn_SoftMaxForwardRegIdddNS1_25LogSoftMaxForwardEpilogueElLi3EEEvPT1_PKT_T3_, .Lfunc_end26-_ZN2at6native12_GLOBAL__N_122cunn_SoftMaxForwardRegIdddNS1_25LogSoftMaxForwardEpilogueElLi3EEEvPT1_PKT_T3_
                                        ; -- End function
	.section	.AMDGPU.csdata,"",@progbits
; Kernel info:
; codeLenInByte = 3936
; NumSgprs: 27
; NumVgprs: 34
; NumAgprs: 0
; TotalNumVgprs: 34
; ScratchSize: 0
; MemoryBound: 0
; FloatMode: 240
; IeeeMode: 1
; LDSByteSize: 0 bytes/workgroup (compile time only)
; SGPRBlocks: 3
; VGPRBlocks: 4
; NumSGPRsForWavesPerEU: 27
; NumVGPRsForWavesPerEU: 34
; AccumOffset: 36
; Occupancy: 8
; WaveLimiterHint : 0
; COMPUTE_PGM_RSRC2:SCRATCH_EN: 0
; COMPUTE_PGM_RSRC2:USER_SGPR: 6
; COMPUTE_PGM_RSRC2:TRAP_HANDLER: 0
; COMPUTE_PGM_RSRC2:TGID_X_EN: 1
; COMPUTE_PGM_RSRC2:TGID_Y_EN: 0
; COMPUTE_PGM_RSRC2:TGID_Z_EN: 0
; COMPUTE_PGM_RSRC2:TIDIG_COMP_CNT: 0
; COMPUTE_PGM_RSRC3_GFX90A:ACCUM_OFFSET: 8
; COMPUTE_PGM_RSRC3_GFX90A:TG_SPLIT: 0
	.section	.text._ZN2at6native12_GLOBAL__N_122cunn_SoftMaxForwardRegIdddNS1_25LogSoftMaxForwardEpilogueElLi4EEEvPT1_PKT_T3_,"axG",@progbits,_ZN2at6native12_GLOBAL__N_122cunn_SoftMaxForwardRegIdddNS1_25LogSoftMaxForwardEpilogueElLi4EEEvPT1_PKT_T3_,comdat
	.globl	_ZN2at6native12_GLOBAL__N_122cunn_SoftMaxForwardRegIdddNS1_25LogSoftMaxForwardEpilogueElLi4EEEvPT1_PKT_T3_ ; -- Begin function _ZN2at6native12_GLOBAL__N_122cunn_SoftMaxForwardRegIdddNS1_25LogSoftMaxForwardEpilogueElLi4EEEvPT1_PKT_T3_
	.p2align	8
	.type	_ZN2at6native12_GLOBAL__N_122cunn_SoftMaxForwardRegIdddNS1_25LogSoftMaxForwardEpilogueElLi4EEEvPT1_PKT_T3_,@function
_ZN2at6native12_GLOBAL__N_122cunn_SoftMaxForwardRegIdddNS1_25LogSoftMaxForwardEpilogueElLi4EEEvPT1_PKT_T3_: ; @_ZN2at6native12_GLOBAL__N_122cunn_SoftMaxForwardRegIdddNS1_25LogSoftMaxForwardEpilogueElLi4EEEvPT1_PKT_T3_
; %bb.0:
	s_load_dwordx2 s[16:17], s[4:5], 0x10
	s_load_dwordx4 s[20:23], s[4:5], 0x0
	s_load_dword s8, s[4:5], 0x24
	v_mov_b32_e32 v13, 0
	v_mov_b32_e32 v1, v13
	s_waitcnt lgkmcnt(0)
	s_mul_i32 s0, s6, s17
	s_mul_hi_u32 s1, s6, s16
	s_add_i32 s1, s1, s0
	s_mul_i32 s0, s6, s16
	s_lshl_b64 s[18:19], s[0:1], 3
	s_add_u32 s2, s22, s18
	s_addc_u32 s3, s23, s19
	s_mov_b32 s0, -1
	s_add_u32 s4, s4, 24
	s_mov_b32 s1, 0xffefffff
	s_addc_u32 s5, s5, 0
	v_cmp_gt_i64_e32 vcc, s[16:17], v[0:1]
	v_pk_mov_b32 v[10:11], s[0:1], s[0:1] op_sel:[0,1]
	v_lshlrev_b32_e32 v20, 3, v0
                                        ; implicit-def: $vgpr2_vgpr3_vgpr4_vgpr5_vgpr6_vgpr7_vgpr8_vgpr9
	s_and_saveexec_b64 s[6:7], vcc
	s_cbranch_execz .LBB27_2
; %bb.1:
	global_load_dwordx2 v[2:3], v20, s[2:3]
	s_waitcnt vmcnt(0)
	v_max_f64 v[4:5], v[2:3], v[2:3]
	v_max_f64 v[10:11], v[4:5], s[0:1]
.LBB27_2:
	s_or_b64 exec, exec, s[6:7]
	s_and_b32 s8, 0xffff, s8
	v_add_u32_e32 v12, s8, v0
	v_cmp_gt_i64_e64 s[0:1], s[16:17], v[12:13]
	s_and_saveexec_b64 s[6:7], s[0:1]
	s_cbranch_execz .LBB27_4
; %bb.3:
	v_lshlrev_b32_e32 v1, 3, v12
	global_load_dwordx2 v[4:5], v1, s[2:3]
	v_max_f64 v[10:11], v[10:11], v[10:11]
	s_waitcnt vmcnt(0)
	v_max_f64 v[14:15], v[4:5], v[4:5]
	v_max_f64 v[10:11], v[10:11], v[14:15]
.LBB27_4:
	s_or_b64 exec, exec, s[6:7]
	v_add_u32_e32 v12, s8, v12
	v_mov_b32_e32 v13, 0
	v_cmp_gt_i64_e64 s[0:1], s[16:17], v[12:13]
	s_and_saveexec_b64 s[6:7], s[0:1]
	s_cbranch_execz .LBB27_6
; %bb.5:
	v_lshlrev_b32_e32 v1, 3, v12
	global_load_dwordx2 v[6:7], v1, s[2:3]
	v_max_f64 v[10:11], v[10:11], v[10:11]
	s_waitcnt vmcnt(0)
	v_max_f64 v[14:15], v[6:7], v[6:7]
	v_max_f64 v[10:11], v[10:11], v[14:15]
.LBB27_6:
	s_or_b64 exec, exec, s[6:7]
	v_add_u32_e32 v12, s8, v12
	v_cmp_gt_i64_e64 s[0:1], s[16:17], v[12:13]
	s_and_saveexec_b64 s[6:7], s[0:1]
	s_cbranch_execz .LBB27_8
; %bb.7:
	v_lshlrev_b32_e32 v1, 3, v12
	global_load_dwordx2 v[8:9], v1, s[2:3]
	v_max_f64 v[10:11], v[10:11], v[10:11]
	s_waitcnt vmcnt(0)
	v_max_f64 v[12:13], v[8:9], v[8:9]
	v_max_f64 v[10:11], v[10:11], v[12:13]
.LBB27_8:
	s_or_b64 exec, exec, s[6:7]
	v_mbcnt_lo_u32_b32 v1, -1, 0
	v_mbcnt_hi_u32_b32 v14, -1, v1
	v_and_b32_e32 v15, 63, v14
	v_cmp_gt_u32_e64 s[0:1], 32, v15
	v_cndmask_b32_e64 v1, 0, 1, s[0:1]
	v_lshlrev_b32_e32 v1, 5, v1
	v_add_lshl_u32 v21, v1, v14, 2
	ds_bpermute_b32 v12, v21, v10
	ds_bpermute_b32 v13, v21, v11
	s_mov_b32 s6, -1
	v_lshrrev_b32_e32 v27, 3, v0
	s_waitcnt lgkmcnt(0)
	s_barrier
	v_cmp_lt_f64_e64 s[0:1], v[10:11], v[12:13]
	v_cndmask_b32_e64 v11, v11, v13, s[0:1]
	v_cndmask_b32_e64 v10, v10, v12, s[0:1]
	v_cmp_gt_u32_e64 s[0:1], 48, v15
	v_cndmask_b32_e64 v1, 0, 1, s[0:1]
	v_lshlrev_b32_e32 v1, 4, v1
	v_add_lshl_u32 v22, v1, v14, 2
	ds_bpermute_b32 v13, v22, v11
	ds_bpermute_b32 v12, v22, v10
	s_waitcnt lgkmcnt(0)
	v_cmp_lt_f64_e64 s[0:1], v[10:11], v[12:13]
	v_cndmask_b32_e64 v11, v11, v13, s[0:1]
	v_cndmask_b32_e64 v10, v10, v12, s[0:1]
	v_cmp_gt_u32_e64 s[0:1], 56, v15
	v_cndmask_b32_e64 v1, 0, 1, s[0:1]
	v_lshlrev_b32_e32 v1, 3, v1
	v_add_lshl_u32 v23, v1, v14, 2
	ds_bpermute_b32 v12, v23, v10
	ds_bpermute_b32 v13, v23, v11
	s_waitcnt lgkmcnt(0)
	;; [unrolled: 10-line block ×3, first 2 shown]
	v_cmp_lt_f64_e64 s[0:1], v[10:11], v[12:13]
	v_cndmask_b32_e64 v11, v11, v13, s[0:1]
	v_cndmask_b32_e64 v10, v10, v12, s[0:1]
	v_cmp_gt_u32_e64 s[0:1], 62, v15
	v_cndmask_b32_e64 v1, 0, 1, s[0:1]
	v_lshlrev_b32_e32 v1, 1, v1
	v_add_lshl_u32 v25, v1, v14, 2
	ds_bpermute_b32 v12, v25, v10
	ds_bpermute_b32 v13, v25, v11
	v_and_b32_e32 v1, 63, v0
	v_cmp_eq_u32_e64 s[2:3], 0, v1
	s_waitcnt lgkmcnt(0)
	v_cmp_lt_f64_e64 s[0:1], v[10:11], v[12:13]
	v_cndmask_b32_e64 v11, v11, v13, s[0:1]
	v_cndmask_b32_e64 v10, v10, v12, s[0:1]
	v_cmp_ne_u32_e64 s[0:1], 63, v15
	v_addc_co_u32_e64 v12, s[0:1], 0, v14, s[0:1]
	v_lshlrev_b32_e32 v26, 2, v12
	ds_bpermute_b32 v12, v26, v10
	ds_bpermute_b32 v13, v26, v11
	s_and_saveexec_b64 s[0:1], s[2:3]
	s_xor_b64 s[8:9], exec, s[0:1]
	s_cbranch_execz .LBB27_10
; %bb.9:
	s_waitcnt lgkmcnt(0)
	v_cmp_lt_f64_e64 s[0:1], v[10:11], v[12:13]
	v_add_u32_e32 v14, 0, v27
	v_cndmask_b32_e64 v11, v11, v13, s[0:1]
	v_cndmask_b32_e64 v10, v10, v12, s[0:1]
	ds_write_b64 v14, v[10:11]
.LBB27_10:
	s_or_b64 exec, exec, s[8:9]
	s_waitcnt lgkmcnt(0)
	s_barrier
	s_load_dword s10, s[4:5], 0xc
	s_mov_b32 s7, 0xffefffff
	v_pk_mov_b32 v[10:11], s[6:7], s[6:7] op_sel:[0,1]
	v_lshl_add_u32 v28, v1, 3, 0
	s_waitcnt lgkmcnt(0)
	s_bfe_u32 s0, s10, 0xa0006
	v_cmp_gt_u32_e64 s[4:5], s0, v0
	s_and_saveexec_b64 s[0:1], s[4:5]
	s_cbranch_execnz .LBB27_33
; %bb.11:
	s_or_b64 exec, exec, s[0:1]
	v_cmp_gt_u32_e64 s[6:7], 64, v0
	s_and_saveexec_b64 s[8:9], s[6:7]
	s_cbranch_execnz .LBB27_34
.LBB27_12:
	s_or_b64 exec, exec, s[8:9]
	v_cmp_eq_u32_e64 s[8:9], 0, v0
	s_and_saveexec_b64 s[0:1], s[8:9]
	s_cbranch_execz .LBB27_14
.LBB27_13:
	v_mov_b32_e32 v1, 0
	s_waitcnt lgkmcnt(0)
	ds_write_b64 v1, v[10:11]
.LBB27_14:
	s_or_b64 exec, exec, s[0:1]
	v_mov_b32_e32 v1, 0
	s_waitcnt lgkmcnt(0)
	s_barrier
	ds_read_b64 v[10:11], v1
	s_and_b32 s24, s10, 0xffff
	v_pk_mov_b32 v[16:17], 0, 0
	s_and_saveexec_b64 s[12:13], vcc
	s_cbranch_execz .LBB27_16
; %bb.15:
	s_mov_b32 s0, 0x652b82fe
	s_waitcnt lgkmcnt(0)
	v_add_f64 v[12:13], v[2:3], -v[10:11]
	s_mov_b32 s1, 0x3ff71547
	v_mul_f64 v[14:15], v[12:13], s[0:1]
	s_mov_b32 s0, 0xfefa39ef
	v_rndne_f64_e32 v[14:15], v[14:15]
	s_mov_b32 s1, 0xbfe62e42
	v_fma_f64 v[16:17], s[0:1], v[14:15], v[12:13]
	s_mov_b32 s0, 0x3b39803f
	s_mov_b32 s1, 0xbc7abc9e
	v_fmac_f64_e32 v[16:17], s[0:1], v[14:15]
	s_mov_b32 s0, 0x6a5dcb37
	v_mov_b32_e32 v18, 0xfca7ab0c
	v_mov_b32_e32 v19, 0x3e928af3
	s_mov_b32 s1, 0x3e5ade15
	v_fmac_f64_e32 v[18:19], s[0:1], v[16:17]
	v_mov_b32_e32 v30, 0x623fde64
	v_mov_b32_e32 v31, 0x3ec71dee
	v_fmac_f64_e32 v[30:31], v[16:17], v[18:19]
	v_mov_b32_e32 v18, 0x7c89e6b0
	v_mov_b32_e32 v19, 0x3efa0199
	;; [unrolled: 3-line block ×8, first 2 shown]
	v_fmac_f64_e32 v[18:19], v[16:17], v[30:31]
	v_fma_f64 v[18:19], v[16:17], v[18:19], 1.0
	v_fma_f64 v[16:17], v[16:17], v[18:19], 1.0
	v_cvt_i32_f64_e32 v14, v[14:15]
	s_mov_b32 s0, 0
	s_mov_b32 s10, 0
	v_ldexp_f64 v[14:15], v[16:17], v14
	s_mov_b32 s1, 0x40900000
	s_mov_b32 s11, 0xc090cc00
	v_add_f64 v[14:15], v[14:15], 0
	v_mov_b32_e32 v16, 0x7ff00000
	v_cmp_nlt_f64_e64 s[0:1], s[0:1], v[12:13]
	v_cmp_ngt_f64_e64 s[10:11], s[10:11], v[12:13]
	v_cndmask_b32_e64 v15, v16, v15, s[0:1]
	s_and_b64 s[0:1], s[10:11], s[0:1]
	v_cndmask_b32_e64 v17, 0, v15, s[10:11]
	v_cndmask_b32_e64 v16, 0, v14, s[0:1]
.LBB27_16:
	s_or_b64 exec, exec, s[12:13]
	v_add_u32_e32 v0, s24, v0
	v_cmp_gt_i64_e64 s[0:1], s[16:17], v[0:1]
	s_and_saveexec_b64 s[14:15], s[0:1]
	s_cbranch_execz .LBB27_18
; %bb.17:
	s_mov_b32 s10, 0x652b82fe
	s_waitcnt lgkmcnt(0)
	v_add_f64 v[12:13], v[4:5], -v[10:11]
	s_mov_b32 s11, 0x3ff71547
	v_mul_f64 v[14:15], v[12:13], s[10:11]
	s_mov_b32 s10, 0xfefa39ef
	v_rndne_f64_e32 v[14:15], v[14:15]
	s_mov_b32 s11, 0xbfe62e42
	v_fma_f64 v[18:19], s[10:11], v[14:15], v[12:13]
	s_mov_b32 s10, 0x3b39803f
	s_mov_b32 s11, 0xbc7abc9e
	v_fmac_f64_e32 v[18:19], s[10:11], v[14:15]
	s_mov_b32 s10, 0x6a5dcb37
	v_mov_b32_e32 v30, 0xfca7ab0c
	v_mov_b32_e32 v31, 0x3e928af3
	s_mov_b32 s11, 0x3e5ade15
	v_fmac_f64_e32 v[30:31], s[10:11], v[18:19]
	v_mov_b32_e32 v32, 0x623fde64
	v_mov_b32_e32 v33, 0x3ec71dee
	v_fmac_f64_e32 v[32:33], v[18:19], v[30:31]
	v_mov_b32_e32 v30, 0x7c89e6b0
	v_mov_b32_e32 v31, 0x3efa0199
	;; [unrolled: 3-line block ×8, first 2 shown]
	v_fmac_f64_e32 v[30:31], v[18:19], v[32:33]
	v_fma_f64 v[30:31], v[18:19], v[30:31], 1.0
	s_mov_b32 s10, 0
	s_mov_b32 s12, 0
	v_fma_f64 v[18:19], v[18:19], v[30:31], 1.0
	v_cvt_i32_f64_e32 v14, v[14:15]
	s_mov_b32 s11, 0x40900000
	s_mov_b32 s13, 0xc090cc00
	v_ldexp_f64 v[14:15], v[18:19], v14
	v_mov_b32_e32 v18, 0x7ff00000
	v_cmp_nlt_f64_e64 s[10:11], s[10:11], v[12:13]
	v_cmp_ngt_f64_e64 s[12:13], s[12:13], v[12:13]
	v_cndmask_b32_e64 v15, v18, v15, s[10:11]
	s_and_b64 s[10:11], s[12:13], s[10:11]
	v_cndmask_b32_e64 v13, 0, v15, s[12:13]
	v_cndmask_b32_e64 v12, 0, v14, s[10:11]
	v_add_f64 v[16:17], v[16:17], v[12:13]
.LBB27_18:
	s_or_b64 exec, exec, s[14:15]
	v_add_u32_e32 v12, s24, v0
	v_mov_b32_e32 v13, v1
	v_cmp_gt_i64_e64 s[10:11], s[16:17], v[12:13]
	s_and_saveexec_b64 s[22:23], s[10:11]
	s_cbranch_execz .LBB27_20
; %bb.19:
	s_mov_b32 s12, 0x652b82fe
	s_waitcnt lgkmcnt(0)
	v_add_f64 v[14:15], v[6:7], -v[10:11]
	s_mov_b32 s13, 0x3ff71547
	v_mul_f64 v[18:19], v[14:15], s[12:13]
	s_mov_b32 s12, 0xfefa39ef
	v_rndne_f64_e32 v[18:19], v[18:19]
	s_mov_b32 s13, 0xbfe62e42
	v_fma_f64 v[30:31], s[12:13], v[18:19], v[14:15]
	s_mov_b32 s12, 0x3b39803f
	s_mov_b32 s13, 0xbc7abc9e
	v_fmac_f64_e32 v[30:31], s[12:13], v[18:19]
	s_mov_b32 s12, 0x6a5dcb37
	v_mov_b32_e32 v32, 0xfca7ab0c
	v_mov_b32_e32 v33, 0x3e928af3
	s_mov_b32 s13, 0x3e5ade15
	v_fmac_f64_e32 v[32:33], s[12:13], v[30:31]
	v_mov_b32_e32 v34, 0x623fde64
	v_mov_b32_e32 v35, 0x3ec71dee
	v_fmac_f64_e32 v[34:35], v[30:31], v[32:33]
	v_mov_b32_e32 v32, 0x7c89e6b0
	v_mov_b32_e32 v33, 0x3efa0199
	;; [unrolled: 3-line block ×8, first 2 shown]
	v_fmac_f64_e32 v[32:33], v[30:31], v[34:35]
	v_fma_f64 v[32:33], v[30:31], v[32:33], 1.0
	s_mov_b32 s12, 0
	s_mov_b32 s14, 0
	v_fma_f64 v[30:31], v[30:31], v[32:33], 1.0
	v_cvt_i32_f64_e32 v1, v[18:19]
	s_mov_b32 s13, 0x40900000
	s_mov_b32 s15, 0xc090cc00
	v_ldexp_f64 v[18:19], v[30:31], v1
	v_mov_b32_e32 v1, 0x7ff00000
	v_cmp_nlt_f64_e64 s[12:13], s[12:13], v[14:15]
	v_cmp_ngt_f64_e64 s[14:15], s[14:15], v[14:15]
	v_cndmask_b32_e64 v1, v1, v19, s[12:13]
	s_and_b64 s[12:13], s[14:15], s[12:13]
	v_cndmask_b32_e64 v15, 0, v1, s[14:15]
	v_cndmask_b32_e64 v14, 0, v18, s[12:13]
	v_add_f64 v[16:17], v[16:17], v[14:15]
.LBB27_20:
	s_or_b64 exec, exec, s[22:23]
	v_add_u32_e32 v14, s24, v12
	v_mov_b32_e32 v15, 0
	v_cmp_gt_i64_e64 s[12:13], s[16:17], v[14:15]
	s_and_saveexec_b64 s[22:23], s[12:13]
	s_cbranch_execz .LBB27_22
; %bb.21:
	s_mov_b32 s14, 0x652b82fe
	s_waitcnt lgkmcnt(0)
	v_add_f64 v[18:19], v[8:9], -v[10:11]
	s_mov_b32 s15, 0x3ff71547
	v_mul_f64 v[30:31], v[18:19], s[14:15]
	s_mov_b32 s14, 0xfefa39ef
	v_rndne_f64_e32 v[30:31], v[30:31]
	s_mov_b32 s15, 0xbfe62e42
	v_fma_f64 v[32:33], s[14:15], v[30:31], v[18:19]
	s_mov_b32 s14, 0x3b39803f
	s_mov_b32 s15, 0xbc7abc9e
	v_fmac_f64_e32 v[32:33], s[14:15], v[30:31]
	s_mov_b32 s14, 0x6a5dcb37
	v_mov_b32_e32 v34, 0xfca7ab0c
	v_mov_b32_e32 v35, 0x3e928af3
	s_mov_b32 s15, 0x3e5ade15
	v_fmac_f64_e32 v[34:35], s[14:15], v[32:33]
	v_mov_b32_e32 v36, 0x623fde64
	v_mov_b32_e32 v37, 0x3ec71dee
	v_fmac_f64_e32 v[36:37], v[32:33], v[34:35]
	v_mov_b32_e32 v34, 0x7c89e6b0
	v_mov_b32_e32 v35, 0x3efa0199
	;; [unrolled: 3-line block ×8, first 2 shown]
	v_fmac_f64_e32 v[34:35], v[32:33], v[36:37]
	v_fma_f64 v[34:35], v[32:33], v[34:35], 1.0
	s_mov_b32 s14, 0
	s_mov_b32 s16, 0
	v_fma_f64 v[32:33], v[32:33], v[34:35], 1.0
	v_cvt_i32_f64_e32 v1, v[30:31]
	s_mov_b32 s15, 0x40900000
	s_mov_b32 s17, 0xc090cc00
	v_ldexp_f64 v[30:31], v[32:33], v1
	v_mov_b32_e32 v1, 0x7ff00000
	v_cmp_nlt_f64_e64 s[14:15], s[14:15], v[18:19]
	v_cmp_ngt_f64_e64 s[16:17], s[16:17], v[18:19]
	v_cndmask_b32_e64 v1, v1, v31, s[14:15]
	s_and_b64 s[14:15], s[16:17], s[14:15]
	v_cndmask_b32_e64 v19, 0, v1, s[16:17]
	v_cndmask_b32_e64 v18, 0, v30, s[14:15]
	v_add_f64 v[16:17], v[16:17], v[18:19]
.LBB27_22:
	s_or_b64 exec, exec, s[22:23]
	ds_bpermute_b32 v18, v21, v16
	ds_bpermute_b32 v19, v21, v17
	s_waitcnt lgkmcnt(0)
	s_barrier
	v_add_f64 v[16:17], v[16:17], v[18:19]
	ds_bpermute_b32 v18, v22, v16
	ds_bpermute_b32 v19, v22, v17
	s_waitcnt lgkmcnt(0)
	v_add_f64 v[16:17], v[16:17], v[18:19]
	ds_bpermute_b32 v18, v23, v16
	ds_bpermute_b32 v19, v23, v17
	s_waitcnt lgkmcnt(0)
	v_add_f64 v[16:17], v[16:17], v[18:19]
	ds_bpermute_b32 v18, v24, v16
	ds_bpermute_b32 v19, v24, v17
	s_waitcnt lgkmcnt(0)
	v_add_f64 v[16:17], v[16:17], v[18:19]
	ds_bpermute_b32 v18, v25, v16
	ds_bpermute_b32 v19, v25, v17
	s_waitcnt lgkmcnt(0)
	v_add_f64 v[16:17], v[16:17], v[18:19]
	ds_bpermute_b32 v18, v26, v16
	ds_bpermute_b32 v19, v26, v17
	s_and_saveexec_b64 s[14:15], s[2:3]
	s_xor_b64 s[2:3], exec, s[14:15]
	s_cbranch_execz .LBB27_24
; %bb.23:
	v_add_u32_e32 v1, 0, v27
	s_waitcnt lgkmcnt(0)
	v_add_f64 v[16:17], v[16:17], v[18:19]
	ds_write_b64 v1, v[16:17]
.LBB27_24:
	s_or_b64 exec, exec, s[2:3]
	v_pk_mov_b32 v[16:17], 0, 0
	s_waitcnt lgkmcnt(0)
	s_barrier
	s_and_saveexec_b64 s[2:3], s[4:5]
	s_cbranch_execnz .LBB27_35
; %bb.25:
	s_or_b64 exec, exec, s[2:3]
	s_and_saveexec_b64 s[2:3], s[6:7]
	s_cbranch_execnz .LBB27_36
.LBB27_26:
	s_or_b64 exec, exec, s[2:3]
	s_and_saveexec_b64 s[2:3], s[8:9]
	s_cbranch_execz .LBB27_28
.LBB27_27:
	v_mov_b32_e32 v1, 0
	s_waitcnt lgkmcnt(0)
	ds_write_b64 v1, v[16:17]
.LBB27_28:
	s_or_b64 exec, exec, s[2:3]
	v_mov_b32_e32 v1, 0
	s_waitcnt lgkmcnt(0)
	s_barrier
	ds_read_b64 v[16:17], v1
	s_mov_b32 s2, 0x55555555
	s_add_u32 s6, s20, s18
	s_mov_b32 s3, 0x3fe55555
	s_addc_u32 s7, s21, s19
	s_waitcnt lgkmcnt(0)
	v_frexp_mant_f64_e32 v[18:19], v[16:17]
	v_frexp_exp_i32_f64_e32 v1, v[16:17]
	v_cmp_gt_f64_e64 s[2:3], s[2:3], v[18:19]
	v_subbrev_co_u32_e64 v1, s[4:5], 0, v1, s[2:3]
	s_and_b64 s[2:3], s[2:3], exec
	s_mov_b32 s8, 0
	s_cselect_b32 s9, 2.0, 0x3ff00000
	v_mul_f64 v[18:19], v[18:19], s[8:9]
	v_add_f64 v[22:23], v[18:19], 1.0
	v_rcp_f64_e32 v[24:25], v[22:23]
	v_add_f64 v[28:29], v[22:23], -1.0
	v_add_f64 v[26:27], v[18:19], -1.0
	v_add_f64 v[18:19], v[18:19], -v[28:29]
	v_fma_f64 v[28:29], -v[22:23], v[24:25], 1.0
	v_fmac_f64_e32 v[24:25], v[28:29], v[24:25]
	v_fma_f64 v[28:29], -v[22:23], v[24:25], 1.0
	v_fmac_f64_e32 v[24:25], v[28:29], v[24:25]
	v_mul_f64 v[28:29], v[26:27], v[24:25]
	v_mul_f64 v[30:31], v[22:23], v[28:29]
	v_fma_f64 v[22:23], v[28:29], v[22:23], -v[30:31]
	v_fmac_f64_e32 v[22:23], v[28:29], v[18:19]
	v_add_f64 v[18:19], v[30:31], v[22:23]
	v_add_f64 v[32:33], v[26:27], -v[18:19]
	v_add_f64 v[30:31], v[18:19], -v[30:31]
	;; [unrolled: 1-line block ×5, first 2 shown]
	v_add_f64 v[18:19], v[22:23], v[18:19]
	v_add_f64 v[18:19], v[32:33], v[18:19]
	v_mul_f64 v[18:19], v[24:25], v[18:19]
	v_add_f64 v[22:23], v[28:29], v[18:19]
	v_add_f64 v[24:25], v[22:23], -v[28:29]
	s_mov_b32 s2, 0xbf559e2b
	v_add_f64 v[18:19], v[18:19], -v[24:25]
	v_mul_f64 v[24:25], v[22:23], v[22:23]
	v_mov_b32_e32 v26, 0x6b47b09a
	v_mov_b32_e32 v27, 0x3fc38538
	s_mov_b32 s3, 0x3fc3ab76
	v_fmac_f64_e32 v[26:27], s[2:3], v[24:25]
	v_mov_b32_e32 v28, 0xd7f4df2e
	v_mov_b32_e32 v29, 0x3fc7474d
	v_fmac_f64_e32 v[28:29], v[24:25], v[26:27]
	v_mov_b32_e32 v26, 0x16291751
	v_mov_b32_e32 v27, 0x3fcc71c0
	;; [unrolled: 3-line block ×5, first 2 shown]
	v_fmac_f64_e32 v[28:29], v[24:25], v[26:27]
	v_ldexp_f64 v[26:27], v[22:23], 1
	v_mul_f64 v[22:23], v[22:23], v[24:25]
	v_mul_f64 v[22:23], v[22:23], v[28:29]
	v_add_f64 v[24:25], v[26:27], v[22:23]
	v_add_f64 v[26:27], v[24:25], -v[26:27]
	v_ldexp_f64 v[18:19], v[18:19], 1
	v_add_f64 v[22:23], v[22:23], -v[26:27]
	v_add_f64 v[18:19], v[18:19], v[22:23]
	v_add_f64 v[22:23], v[24:25], v[18:19]
	v_add_f64 v[24:25], v[22:23], -v[24:25]
	s_mov_b32 s2, 0xfefa39ef
	v_add_f64 v[18:19], v[18:19], -v[24:25]
	v_cvt_f64_i32_e32 v[24:25], v1
	s_mov_b32 s3, 0x3fe62e42
	v_mul_f64 v[26:27], v[24:25], s[2:3]
	v_fma_f64 v[28:29], v[24:25], s[2:3], -v[26:27]
	s_mov_b32 s2, 0x3b39803f
	s_mov_b32 s3, 0x3c7abc9e
	v_fmac_f64_e32 v[28:29], s[2:3], v[24:25]
	v_add_f64 v[24:25], v[26:27], v[28:29]
	v_add_f64 v[26:27], v[24:25], -v[26:27]
	v_add_f64 v[26:27], v[28:29], -v[26:27]
	v_add_f64 v[28:29], v[24:25], v[22:23]
	v_add_f64 v[30:31], v[28:29], -v[24:25]
	v_add_f64 v[32:33], v[28:29], -v[30:31]
	;; [unrolled: 1-line block ×4, first 2 shown]
	v_add_f64 v[22:23], v[22:23], v[24:25]
	v_add_f64 v[24:25], v[26:27], v[18:19]
	v_add_f64 v[30:31], v[24:25], -v[26:27]
	v_add_f64 v[32:33], v[24:25], -v[30:31]
	v_add_f64 v[22:23], v[24:25], v[22:23]
	v_add_f64 v[26:27], v[26:27], -v[32:33]
	v_add_f64 v[18:19], v[18:19], -v[30:31]
	v_add_f64 v[24:25], v[28:29], v[22:23]
	v_add_f64 v[18:19], v[18:19], v[26:27]
	v_add_f64 v[26:27], v[24:25], -v[28:29]
	v_add_f64 v[22:23], v[22:23], -v[26:27]
	v_add_f64 v[18:19], v[18:19], v[22:23]
	s_movk_i32 s2, 0x204
	v_add_f64 v[18:19], v[24:25], v[18:19]
	v_cmp_class_f64_e64 s[2:3], v[16:17], s2
	v_cndmask_b32_e64 v1, v18, v16, s[2:3]
	v_cndmask_b32_e64 v13, v19, v17, s[2:3]
	v_mov_b32_e32 v15, 0x7ff80000
	v_cmp_ngt_f64_e64 s[2:3], 0, v[16:17]
	v_cndmask_b32_e64 v13, v15, v13, s[2:3]
	v_cmp_nge_f64_e64 s[2:3], 0, v[16:17]
	v_cndmask_b32_e64 v18, 0, v1, s[2:3]
	v_mov_b32_e32 v1, 0xfff00000
	v_cmp_neq_f64_e64 s[2:3], 0, v[16:17]
	v_cndmask_b32_e64 v19, v1, v13, s[2:3]
	s_and_saveexec_b64 s[2:3], vcc
	s_cbranch_execnz .LBB27_37
; %bb.29:
	s_or_b64 exec, exec, s[2:3]
	s_and_saveexec_b64 s[2:3], s[0:1]
	s_cbranch_execnz .LBB27_38
.LBB27_30:
	s_or_b64 exec, exec, s[2:3]
	s_and_saveexec_b64 s[0:1], s[10:11]
	s_cbranch_execnz .LBB27_39
.LBB27_31:
	s_or_b64 exec, exec, s[0:1]
	s_and_saveexec_b64 s[0:1], s[12:13]
	s_cbranch_execnz .LBB27_40
.LBB27_32:
	s_endpgm
.LBB27_33:
	ds_read_b64 v[10:11], v28
	s_or_b64 exec, exec, s[0:1]
	v_cmp_gt_u32_e64 s[6:7], 64, v0
	s_and_saveexec_b64 s[8:9], s[6:7]
	s_cbranch_execz .LBB27_12
.LBB27_34:
	s_waitcnt lgkmcnt(0)
	ds_bpermute_b32 v12, v21, v10
	ds_bpermute_b32 v13, v21, v11
	s_waitcnt lgkmcnt(0)
	v_cmp_lt_f64_e64 s[0:1], v[10:11], v[12:13]
	v_cndmask_b32_e64 v11, v11, v13, s[0:1]
	v_cndmask_b32_e64 v10, v10, v12, s[0:1]
	ds_bpermute_b32 v13, v22, v11
	ds_bpermute_b32 v12, v22, v10
	s_waitcnt lgkmcnt(0)
	v_cmp_lt_f64_e64 s[0:1], v[10:11], v[12:13]
	v_cndmask_b32_e64 v11, v11, v13, s[0:1]
	v_cndmask_b32_e64 v10, v10, v12, s[0:1]
	;; [unrolled: 6-line block ×6, first 2 shown]
	s_or_b64 exec, exec, s[8:9]
	v_cmp_eq_u32_e64 s[8:9], 0, v0
	s_and_saveexec_b64 s[0:1], s[8:9]
	s_cbranch_execnz .LBB27_13
	s_branch .LBB27_14
.LBB27_35:
	ds_read_b64 v[16:17], v28
	s_or_b64 exec, exec, s[2:3]
	s_and_saveexec_b64 s[2:3], s[6:7]
	s_cbranch_execz .LBB27_26
.LBB27_36:
	s_waitcnt lgkmcnt(0)
	ds_bpermute_b32 v18, v21, v16
	ds_bpermute_b32 v19, v21, v17
	s_waitcnt lgkmcnt(0)
	v_add_f64 v[16:17], v[16:17], v[18:19]
	ds_bpermute_b32 v18, v22, v16
	ds_bpermute_b32 v19, v22, v17
	s_waitcnt lgkmcnt(0)
	v_add_f64 v[16:17], v[16:17], v[18:19]
	;; [unrolled: 4-line block ×6, first 2 shown]
	s_or_b64 exec, exec, s[2:3]
	s_and_saveexec_b64 s[2:3], s[8:9]
	s_cbranch_execnz .LBB27_27
	s_branch .LBB27_28
.LBB27_37:
	v_add_f64 v[2:3], v[2:3], -v[10:11]
	v_add_f64 v[2:3], v[2:3], -v[18:19]
	global_store_dwordx2 v20, v[2:3], s[6:7]
	s_or_b64 exec, exec, s[2:3]
	s_and_saveexec_b64 s[2:3], s[0:1]
	s_cbranch_execz .LBB27_30
.LBB27_38:
	v_lshlrev_b32_e32 v2, 3, v0
	v_add_f64 v[0:1], v[4:5], -v[10:11]
	v_add_f64 v[0:1], v[0:1], -v[18:19]
	global_store_dwordx2 v2, v[0:1], s[6:7]
	s_or_b64 exec, exec, s[2:3]
	s_and_saveexec_b64 s[0:1], s[10:11]
	s_cbranch_execz .LBB27_31
.LBB27_39:
	v_add_f64 v[0:1], v[6:7], -v[10:11]
	v_lshlrev_b32_e32 v2, 3, v12
	v_add_f64 v[0:1], v[0:1], -v[18:19]
	global_store_dwordx2 v2, v[0:1], s[6:7]
	s_or_b64 exec, exec, s[0:1]
	s_and_saveexec_b64 s[0:1], s[12:13]
	s_cbranch_execz .LBB27_32
.LBB27_40:
	v_add_f64 v[0:1], v[8:9], -v[10:11]
	v_lshlrev_b32_e32 v2, 3, v14
	v_add_f64 v[0:1], v[0:1], -v[18:19]
	global_store_dwordx2 v2, v[0:1], s[6:7]
	s_endpgm
	.section	.rodata,"a",@progbits
	.p2align	6, 0x0
	.amdhsa_kernel _ZN2at6native12_GLOBAL__N_122cunn_SoftMaxForwardRegIdddNS1_25LogSoftMaxForwardEpilogueElLi4EEEvPT1_PKT_T3_
		.amdhsa_group_segment_fixed_size 0
		.amdhsa_private_segment_fixed_size 0
		.amdhsa_kernarg_size 280
		.amdhsa_user_sgpr_count 6
		.amdhsa_user_sgpr_private_segment_buffer 1
		.amdhsa_user_sgpr_dispatch_ptr 0
		.amdhsa_user_sgpr_queue_ptr 0
		.amdhsa_user_sgpr_kernarg_segment_ptr 1
		.amdhsa_user_sgpr_dispatch_id 0
		.amdhsa_user_sgpr_flat_scratch_init 0
		.amdhsa_user_sgpr_kernarg_preload_length 0
		.amdhsa_user_sgpr_kernarg_preload_offset 0
		.amdhsa_user_sgpr_private_segment_size 0
		.amdhsa_uses_dynamic_stack 0
		.amdhsa_system_sgpr_private_segment_wavefront_offset 0
		.amdhsa_system_sgpr_workgroup_id_x 1
		.amdhsa_system_sgpr_workgroup_id_y 0
		.amdhsa_system_sgpr_workgroup_id_z 0
		.amdhsa_system_sgpr_workgroup_info 0
		.amdhsa_system_vgpr_workitem_id 0
		.amdhsa_next_free_vgpr 38
		.amdhsa_next_free_sgpr 25
		.amdhsa_accum_offset 40
		.amdhsa_reserve_vcc 1
		.amdhsa_reserve_flat_scratch 0
		.amdhsa_float_round_mode_32 0
		.amdhsa_float_round_mode_16_64 0
		.amdhsa_float_denorm_mode_32 3
		.amdhsa_float_denorm_mode_16_64 3
		.amdhsa_dx10_clamp 1
		.amdhsa_ieee_mode 1
		.amdhsa_fp16_overflow 0
		.amdhsa_tg_split 0
		.amdhsa_exception_fp_ieee_invalid_op 0
		.amdhsa_exception_fp_denorm_src 0
		.amdhsa_exception_fp_ieee_div_zero 0
		.amdhsa_exception_fp_ieee_overflow 0
		.amdhsa_exception_fp_ieee_underflow 0
		.amdhsa_exception_fp_ieee_inexact 0
		.amdhsa_exception_int_div_zero 0
	.end_amdhsa_kernel
	.section	.text._ZN2at6native12_GLOBAL__N_122cunn_SoftMaxForwardRegIdddNS1_25LogSoftMaxForwardEpilogueElLi4EEEvPT1_PKT_T3_,"axG",@progbits,_ZN2at6native12_GLOBAL__N_122cunn_SoftMaxForwardRegIdddNS1_25LogSoftMaxForwardEpilogueElLi4EEEvPT1_PKT_T3_,comdat
.Lfunc_end27:
	.size	_ZN2at6native12_GLOBAL__N_122cunn_SoftMaxForwardRegIdddNS1_25LogSoftMaxForwardEpilogueElLi4EEEvPT1_PKT_T3_, .Lfunc_end27-_ZN2at6native12_GLOBAL__N_122cunn_SoftMaxForwardRegIdddNS1_25LogSoftMaxForwardEpilogueElLi4EEEvPT1_PKT_T3_
                                        ; -- End function
	.section	.AMDGPU.csdata,"",@progbits
; Kernel info:
; codeLenInByte = 4468
; NumSgprs: 29
; NumVgprs: 38
; NumAgprs: 0
; TotalNumVgprs: 38
; ScratchSize: 0
; MemoryBound: 0
; FloatMode: 240
; IeeeMode: 1
; LDSByteSize: 0 bytes/workgroup (compile time only)
; SGPRBlocks: 3
; VGPRBlocks: 4
; NumSGPRsForWavesPerEU: 29
; NumVGPRsForWavesPerEU: 38
; AccumOffset: 40
; Occupancy: 8
; WaveLimiterHint : 0
; COMPUTE_PGM_RSRC2:SCRATCH_EN: 0
; COMPUTE_PGM_RSRC2:USER_SGPR: 6
; COMPUTE_PGM_RSRC2:TRAP_HANDLER: 0
; COMPUTE_PGM_RSRC2:TGID_X_EN: 1
; COMPUTE_PGM_RSRC2:TGID_Y_EN: 0
; COMPUTE_PGM_RSRC2:TGID_Z_EN: 0
; COMPUTE_PGM_RSRC2:TIDIG_COMP_CNT: 0
; COMPUTE_PGM_RSRC3_GFX90A:ACCUM_OFFSET: 9
; COMPUTE_PGM_RSRC3_GFX90A:TG_SPLIT: 0
	.section	.text._ZN2at6native12_GLOBAL__N_122cunn_SoftMaxForwardRegIdddNS1_25LogSoftMaxForwardEpilogueElLi5EEEvPT1_PKT_T3_,"axG",@progbits,_ZN2at6native12_GLOBAL__N_122cunn_SoftMaxForwardRegIdddNS1_25LogSoftMaxForwardEpilogueElLi5EEEvPT1_PKT_T3_,comdat
	.globl	_ZN2at6native12_GLOBAL__N_122cunn_SoftMaxForwardRegIdddNS1_25LogSoftMaxForwardEpilogueElLi5EEEvPT1_PKT_T3_ ; -- Begin function _ZN2at6native12_GLOBAL__N_122cunn_SoftMaxForwardRegIdddNS1_25LogSoftMaxForwardEpilogueElLi5EEEvPT1_PKT_T3_
	.p2align	8
	.type	_ZN2at6native12_GLOBAL__N_122cunn_SoftMaxForwardRegIdddNS1_25LogSoftMaxForwardEpilogueElLi5EEEvPT1_PKT_T3_,@function
_ZN2at6native12_GLOBAL__N_122cunn_SoftMaxForwardRegIdddNS1_25LogSoftMaxForwardEpilogueElLi5EEEvPT1_PKT_T3_: ; @_ZN2at6native12_GLOBAL__N_122cunn_SoftMaxForwardRegIdddNS1_25LogSoftMaxForwardEpilogueElLi5EEEvPT1_PKT_T3_
; %bb.0:
	s_load_dwordx2 s[18:19], s[4:5], 0x10
	s_load_dwordx4 s[20:23], s[4:5], 0x0
	s_load_dword s8, s[4:5], 0x24
	v_mov_b32_e32 v21, 0
	v_mov_b32_e32 v1, v21
	s_waitcnt lgkmcnt(0)
	s_mul_i32 s0, s6, s19
	s_mul_hi_u32 s1, s6, s18
	s_add_i32 s1, s1, s0
	s_mul_i32 s0, s6, s18
	s_lshl_b64 s[24:25], s[0:1], 3
	s_add_u32 s2, s22, s24
	s_addc_u32 s3, s23, s25
	s_mov_b32 s0, -1
	s_add_u32 s4, s4, 24
	s_mov_b32 s1, 0xffefffff
	s_addc_u32 s5, s5, 0
	v_cmp_gt_i64_e32 vcc, s[18:19], v[0:1]
	v_pk_mov_b32 v[18:19], s[0:1], s[0:1] op_sel:[0,1]
	v_lshlrev_b32_e32 v24, 3, v0
                                        ; implicit-def: $vgpr2_vgpr3_vgpr4_vgpr5_vgpr6_vgpr7_vgpr8_vgpr9_vgpr10_vgpr11_vgpr12_vgpr13_vgpr14_vgpr15_vgpr16_vgpr17
	s_and_saveexec_b64 s[6:7], vcc
	s_cbranch_execz .LBB28_2
; %bb.1:
	global_load_dwordx2 v[2:3], v24, s[2:3]
	s_waitcnt vmcnt(0)
	v_max_f64 v[4:5], v[2:3], v[2:3]
	v_max_f64 v[18:19], v[4:5], s[0:1]
.LBB28_2:
	s_or_b64 exec, exec, s[6:7]
	s_and_b32 s8, 0xffff, s8
	v_add_u32_e32 v20, s8, v0
	v_cmp_gt_i64_e64 s[0:1], s[18:19], v[20:21]
	s_and_saveexec_b64 s[6:7], s[0:1]
	s_cbranch_execz .LBB28_4
; %bb.3:
	v_lshlrev_b32_e32 v1, 3, v20
	global_load_dwordx2 v[4:5], v1, s[2:3]
	v_max_f64 v[14:15], v[18:19], v[18:19]
	s_waitcnt vmcnt(0)
	v_max_f64 v[12:13], v[4:5], v[4:5]
	v_max_f64 v[18:19], v[14:15], v[12:13]
.LBB28_4:
	s_or_b64 exec, exec, s[6:7]
	v_add_u32_e32 v12, s8, v20
	v_mov_b32_e32 v13, 0
	v_cmp_gt_i64_e64 s[0:1], s[18:19], v[12:13]
	s_and_saveexec_b64 s[6:7], s[0:1]
	s_cbranch_execz .LBB28_6
; %bb.5:
	v_lshlrev_b32_e32 v1, 3, v12
	global_load_dwordx2 v[6:7], v1, s[2:3]
	v_max_f64 v[16:17], v[18:19], v[18:19]
	s_waitcnt vmcnt(0)
	v_max_f64 v[14:15], v[6:7], v[6:7]
	v_max_f64 v[18:19], v[16:17], v[14:15]
.LBB28_6:
	s_or_b64 exec, exec, s[6:7]
	v_add_u32_e32 v12, s8, v12
	v_cmp_gt_i64_e64 s[0:1], s[18:19], v[12:13]
	s_and_saveexec_b64 s[6:7], s[0:1]
	s_cbranch_execz .LBB28_8
; %bb.7:
	v_lshlrev_b32_e32 v1, 3, v12
	global_load_dwordx2 v[8:9], v1, s[2:3]
	v_max_f64 v[16:17], v[18:19], v[18:19]
	s_waitcnt vmcnt(0)
	v_max_f64 v[14:15], v[8:9], v[8:9]
	v_max_f64 v[18:19], v[16:17], v[14:15]
.LBB28_8:
	s_or_b64 exec, exec, s[6:7]
	v_add_u32_e32 v12, s8, v12
	v_mov_b32_e32 v13, 0
	v_cmp_gt_i64_e64 s[0:1], s[18:19], v[12:13]
	s_and_saveexec_b64 s[6:7], s[0:1]
	s_cbranch_execz .LBB28_10
; %bb.9:
	v_lshlrev_b32_e32 v1, 3, v12
	global_load_dwordx2 v[10:11], v1, s[2:3]
	v_max_f64 v[14:15], v[18:19], v[18:19]
	s_waitcnt vmcnt(0)
	v_max_f64 v[12:13], v[10:11], v[10:11]
	v_max_f64 v[18:19], v[14:15], v[12:13]
.LBB28_10:
	s_or_b64 exec, exec, s[6:7]
	v_mbcnt_lo_u32_b32 v1, -1, 0
	v_mbcnt_hi_u32_b32 v16, -1, v1
	v_and_b32_e32 v17, 63, v16
	v_cmp_gt_u32_e64 s[0:1], 32, v17
	v_cndmask_b32_e64 v1, 0, 1, s[0:1]
	v_lshlrev_b32_e32 v1, 5, v1
	v_add_lshl_u32 v25, v1, v16, 2
	ds_bpermute_b32 v12, v25, v18
	ds_bpermute_b32 v13, v25, v19
	s_mov_b32 s6, -1
	v_lshrrev_b32_e32 v31, 3, v0
	s_waitcnt lgkmcnt(0)
	s_barrier
	v_cmp_lt_f64_e64 s[0:1], v[18:19], v[12:13]
	v_cndmask_b32_e64 v13, v19, v13, s[0:1]
	v_cndmask_b32_e64 v12, v18, v12, s[0:1]
	v_cmp_gt_u32_e64 s[0:1], 48, v17
	v_cndmask_b32_e64 v1, 0, 1, s[0:1]
	v_lshlrev_b32_e32 v1, 4, v1
	v_add_lshl_u32 v26, v1, v16, 2
	ds_bpermute_b32 v15, v26, v13
	ds_bpermute_b32 v14, v26, v12
	s_waitcnt lgkmcnt(0)
	v_cmp_lt_f64_e64 s[0:1], v[12:13], v[14:15]
	v_cndmask_b32_e64 v13, v13, v15, s[0:1]
	v_cndmask_b32_e64 v12, v12, v14, s[0:1]
	v_cmp_gt_u32_e64 s[0:1], 56, v17
	v_cndmask_b32_e64 v1, 0, 1, s[0:1]
	v_lshlrev_b32_e32 v1, 3, v1
	v_add_lshl_u32 v27, v1, v16, 2
	ds_bpermute_b32 v14, v27, v12
	ds_bpermute_b32 v15, v27, v13
	s_waitcnt lgkmcnt(0)
	;; [unrolled: 10-line block ×3, first 2 shown]
	v_cmp_lt_f64_e64 s[0:1], v[12:13], v[14:15]
	v_cndmask_b32_e64 v13, v13, v15, s[0:1]
	v_cndmask_b32_e64 v12, v12, v14, s[0:1]
	v_cmp_gt_u32_e64 s[0:1], 62, v17
	v_cndmask_b32_e64 v1, 0, 1, s[0:1]
	v_lshlrev_b32_e32 v1, 1, v1
	v_add_lshl_u32 v29, v1, v16, 2
	ds_bpermute_b32 v14, v29, v12
	ds_bpermute_b32 v15, v29, v13
	v_and_b32_e32 v1, 63, v0
	v_cmp_eq_u32_e64 s[2:3], 0, v1
	s_waitcnt lgkmcnt(0)
	v_cmp_lt_f64_e64 s[0:1], v[12:13], v[14:15]
	v_cndmask_b32_e64 v13, v13, v15, s[0:1]
	v_cndmask_b32_e64 v12, v12, v14, s[0:1]
	v_cmp_ne_u32_e64 s[0:1], 63, v17
	v_addc_co_u32_e64 v14, s[0:1], 0, v16, s[0:1]
	v_lshlrev_b32_e32 v30, 2, v14
	ds_bpermute_b32 v14, v30, v12
	ds_bpermute_b32 v15, v30, v13
	s_and_saveexec_b64 s[0:1], s[2:3]
	s_xor_b64 s[8:9], exec, s[0:1]
	s_cbranch_execz .LBB28_12
; %bb.11:
	s_waitcnt lgkmcnt(0)
	v_cmp_lt_f64_e64 s[0:1], v[12:13], v[14:15]
	v_add_u32_e32 v16, 0, v31
	v_cndmask_b32_e64 v13, v13, v15, s[0:1]
	v_cndmask_b32_e64 v12, v12, v14, s[0:1]
	ds_write_b64 v16, v[12:13]
.LBB28_12:
	s_or_b64 exec, exec, s[8:9]
	s_waitcnt lgkmcnt(0)
	s_barrier
	s_load_dword s10, s[4:5], 0xc
	s_mov_b32 s7, 0xffefffff
	v_pk_mov_b32 v[12:13], s[6:7], s[6:7] op_sel:[0,1]
	v_lshl_add_u32 v32, v1, 3, 0
	s_waitcnt lgkmcnt(0)
	s_bfe_u32 s0, s10, 0xa0006
	v_cmp_gt_u32_e64 s[4:5], s0, v0
	s_and_saveexec_b64 s[0:1], s[4:5]
	s_cbranch_execnz .LBB28_38
; %bb.13:
	s_or_b64 exec, exec, s[0:1]
	v_cmp_gt_u32_e64 s[6:7], 64, v0
	s_and_saveexec_b64 s[8:9], s[6:7]
	s_cbranch_execnz .LBB28_39
.LBB28_14:
	s_or_b64 exec, exec, s[8:9]
	v_cmp_eq_u32_e64 s[8:9], 0, v0
	s_and_saveexec_b64 s[0:1], s[8:9]
	s_cbranch_execz .LBB28_16
.LBB28_15:
	v_mov_b32_e32 v1, 0
	s_waitcnt lgkmcnt(0)
	ds_write_b64 v1, v[12:13]
.LBB28_16:
	s_or_b64 exec, exec, s[0:1]
	v_mov_b32_e32 v1, 0
	s_waitcnt lgkmcnt(0)
	s_barrier
	ds_read_b64 v[12:13], v1
	s_and_b32 s26, s10, 0xffff
	v_pk_mov_b32 v[18:19], 0, 0
	s_and_saveexec_b64 s[12:13], vcc
	s_cbranch_execz .LBB28_18
; %bb.17:
	s_mov_b32 s0, 0x652b82fe
	s_waitcnt lgkmcnt(0)
	v_add_f64 v[14:15], v[2:3], -v[12:13]
	s_mov_b32 s1, 0x3ff71547
	v_mul_f64 v[16:17], v[14:15], s[0:1]
	s_mov_b32 s0, 0xfefa39ef
	v_rndne_f64_e32 v[16:17], v[16:17]
	s_mov_b32 s1, 0xbfe62e42
	v_fma_f64 v[18:19], s[0:1], v[16:17], v[14:15]
	s_mov_b32 s0, 0x3b39803f
	s_mov_b32 s1, 0xbc7abc9e
	v_fmac_f64_e32 v[18:19], s[0:1], v[16:17]
	s_mov_b32 s0, 0x6a5dcb37
	v_mov_b32_e32 v20, 0xfca7ab0c
	v_mov_b32_e32 v21, 0x3e928af3
	s_mov_b32 s1, 0x3e5ade15
	v_fmac_f64_e32 v[20:21], s[0:1], v[18:19]
	v_mov_b32_e32 v22, 0x623fde64
	v_mov_b32_e32 v23, 0x3ec71dee
	v_fmac_f64_e32 v[22:23], v[18:19], v[20:21]
	v_mov_b32_e32 v20, 0x7c89e6b0
	v_mov_b32_e32 v21, 0x3efa0199
	;; [unrolled: 3-line block ×8, first 2 shown]
	v_fmac_f64_e32 v[20:21], v[18:19], v[22:23]
	v_fma_f64 v[20:21], v[18:19], v[20:21], 1.0
	v_fma_f64 v[18:19], v[18:19], v[20:21], 1.0
	v_cvt_i32_f64_e32 v16, v[16:17]
	s_mov_b32 s0, 0
	s_mov_b32 s10, 0
	v_ldexp_f64 v[16:17], v[18:19], v16
	s_mov_b32 s1, 0x40900000
	s_mov_b32 s11, 0xc090cc00
	v_add_f64 v[16:17], v[16:17], 0
	v_mov_b32_e32 v18, 0x7ff00000
	v_cmp_nlt_f64_e64 s[0:1], s[0:1], v[14:15]
	v_cmp_ngt_f64_e64 s[10:11], s[10:11], v[14:15]
	v_cndmask_b32_e64 v17, v18, v17, s[0:1]
	s_and_b64 s[0:1], s[10:11], s[0:1]
	v_cndmask_b32_e64 v19, 0, v17, s[10:11]
	v_cndmask_b32_e64 v18, 0, v16, s[0:1]
.LBB28_18:
	s_or_b64 exec, exec, s[12:13]
	v_add_u32_e32 v0, s26, v0
	v_cmp_gt_i64_e64 s[0:1], s[18:19], v[0:1]
	s_and_saveexec_b64 s[14:15], s[0:1]
	s_cbranch_execz .LBB28_20
; %bb.19:
	s_mov_b32 s10, 0x652b82fe
	s_waitcnt lgkmcnt(0)
	v_add_f64 v[14:15], v[4:5], -v[12:13]
	s_mov_b32 s11, 0x3ff71547
	v_mul_f64 v[16:17], v[14:15], s[10:11]
	s_mov_b32 s10, 0xfefa39ef
	v_rndne_f64_e32 v[16:17], v[16:17]
	s_mov_b32 s11, 0xbfe62e42
	v_fma_f64 v[20:21], s[10:11], v[16:17], v[14:15]
	s_mov_b32 s10, 0x3b39803f
	s_mov_b32 s11, 0xbc7abc9e
	v_fmac_f64_e32 v[20:21], s[10:11], v[16:17]
	s_mov_b32 s10, 0x6a5dcb37
	v_mov_b32_e32 v22, 0xfca7ab0c
	v_mov_b32_e32 v23, 0x3e928af3
	s_mov_b32 s11, 0x3e5ade15
	v_fmac_f64_e32 v[22:23], s[10:11], v[20:21]
	v_mov_b32_e32 v34, 0x623fde64
	v_mov_b32_e32 v35, 0x3ec71dee
	v_fmac_f64_e32 v[34:35], v[20:21], v[22:23]
	v_mov_b32_e32 v22, 0x7c89e6b0
	v_mov_b32_e32 v23, 0x3efa0199
	;; [unrolled: 3-line block ×8, first 2 shown]
	v_fmac_f64_e32 v[22:23], v[20:21], v[34:35]
	v_fma_f64 v[22:23], v[20:21], v[22:23], 1.0
	s_mov_b32 s10, 0
	s_mov_b32 s12, 0
	v_fma_f64 v[20:21], v[20:21], v[22:23], 1.0
	v_cvt_i32_f64_e32 v16, v[16:17]
	s_mov_b32 s11, 0x40900000
	s_mov_b32 s13, 0xc090cc00
	v_ldexp_f64 v[16:17], v[20:21], v16
	v_mov_b32_e32 v20, 0x7ff00000
	v_cmp_nlt_f64_e64 s[10:11], s[10:11], v[14:15]
	v_cmp_ngt_f64_e64 s[12:13], s[12:13], v[14:15]
	v_cndmask_b32_e64 v17, v20, v17, s[10:11]
	s_and_b64 s[10:11], s[12:13], s[10:11]
	v_cndmask_b32_e64 v15, 0, v17, s[12:13]
	v_cndmask_b32_e64 v14, 0, v16, s[10:11]
	v_add_f64 v[18:19], v[18:19], v[14:15]
.LBB28_20:
	s_or_b64 exec, exec, s[14:15]
	v_add_u32_e32 v14, s26, v0
	v_mov_b32_e32 v15, v1
	v_cmp_gt_i64_e64 s[10:11], s[18:19], v[14:15]
	s_and_saveexec_b64 s[16:17], s[10:11]
	s_cbranch_execz .LBB28_22
; %bb.21:
	s_mov_b32 s12, 0x652b82fe
	s_waitcnt lgkmcnt(0)
	v_add_f64 v[16:17], v[6:7], -v[12:13]
	s_mov_b32 s13, 0x3ff71547
	v_mul_f64 v[20:21], v[16:17], s[12:13]
	s_mov_b32 s12, 0xfefa39ef
	v_rndne_f64_e32 v[20:21], v[20:21]
	s_mov_b32 s13, 0xbfe62e42
	v_fma_f64 v[22:23], s[12:13], v[20:21], v[16:17]
	s_mov_b32 s12, 0x3b39803f
	s_mov_b32 s13, 0xbc7abc9e
	v_fmac_f64_e32 v[22:23], s[12:13], v[20:21]
	s_mov_b32 s12, 0x6a5dcb37
	v_mov_b32_e32 v34, 0xfca7ab0c
	v_mov_b32_e32 v35, 0x3e928af3
	s_mov_b32 s13, 0x3e5ade15
	v_fmac_f64_e32 v[34:35], s[12:13], v[22:23]
	v_mov_b32_e32 v36, 0x623fde64
	v_mov_b32_e32 v37, 0x3ec71dee
	v_fmac_f64_e32 v[36:37], v[22:23], v[34:35]
	v_mov_b32_e32 v34, 0x7c89e6b0
	v_mov_b32_e32 v35, 0x3efa0199
	v_fmac_f64_e32 v[34:35], v[22:23], v[36:37]
	v_mov_b32_e32 v36, 0x14761f6e
	v_mov_b32_e32 v37, 0x3f2a01a0
	v_fmac_f64_e32 v[36:37], v[22:23], v[34:35]
	v_mov_b32_e32 v34, 0x1852b7b0
	v_mov_b32_e32 v35, 0x3f56c16c
	v_fmac_f64_e32 v[34:35], v[22:23], v[36:37]
	v_mov_b32_e32 v36, 0x11122322
	v_mov_b32_e32 v37, 0x3f811111
	v_fmac_f64_e32 v[36:37], v[22:23], v[34:35]
	v_mov_b32_e32 v34, 0x555502a1
	v_mov_b32_e32 v35, 0x3fa55555
	v_fmac_f64_e32 v[34:35], v[22:23], v[36:37]
	v_mov_b32_e32 v36, 0x55555511
	v_mov_b32_e32 v37, 0x3fc55555
	v_fmac_f64_e32 v[36:37], v[22:23], v[34:35]
	v_mov_b32_e32 v34, 11
	v_mov_b32_e32 v35, 0x3fe00000
	v_fmac_f64_e32 v[34:35], v[22:23], v[36:37]
	v_fma_f64 v[34:35], v[22:23], v[34:35], 1.0
	s_mov_b32 s12, 0
	s_mov_b32 s14, 0
	v_fma_f64 v[22:23], v[22:23], v[34:35], 1.0
	v_cvt_i32_f64_e32 v1, v[20:21]
	s_mov_b32 s13, 0x40900000
	s_mov_b32 s15, 0xc090cc00
	v_ldexp_f64 v[20:21], v[22:23], v1
	v_mov_b32_e32 v1, 0x7ff00000
	v_cmp_nlt_f64_e64 s[12:13], s[12:13], v[16:17]
	v_cmp_ngt_f64_e64 s[14:15], s[14:15], v[16:17]
	v_cndmask_b32_e64 v1, v1, v21, s[12:13]
	s_and_b64 s[12:13], s[14:15], s[12:13]
	v_cndmask_b32_e64 v17, 0, v1, s[14:15]
	v_cndmask_b32_e64 v16, 0, v20, s[12:13]
	v_add_f64 v[18:19], v[18:19], v[16:17]
.LBB28_22:
	s_or_b64 exec, exec, s[16:17]
	v_add_u32_e32 v16, s26, v14
	v_mov_b32_e32 v17, 0
	v_cmp_gt_i64_e64 s[12:13], s[18:19], v[16:17]
	s_and_saveexec_b64 s[22:23], s[12:13]
	s_cbranch_execz .LBB28_24
; %bb.23:
	s_mov_b32 s14, 0x652b82fe
	s_waitcnt lgkmcnt(0)
	v_add_f64 v[20:21], v[8:9], -v[12:13]
	s_mov_b32 s15, 0x3ff71547
	v_mul_f64 v[22:23], v[20:21], s[14:15]
	s_mov_b32 s14, 0xfefa39ef
	v_rndne_f64_e32 v[22:23], v[22:23]
	s_mov_b32 s15, 0xbfe62e42
	v_fma_f64 v[34:35], s[14:15], v[22:23], v[20:21]
	s_mov_b32 s14, 0x3b39803f
	s_mov_b32 s15, 0xbc7abc9e
	v_fmac_f64_e32 v[34:35], s[14:15], v[22:23]
	s_mov_b32 s14, 0x6a5dcb37
	v_mov_b32_e32 v36, 0xfca7ab0c
	v_mov_b32_e32 v37, 0x3e928af3
	s_mov_b32 s15, 0x3e5ade15
	v_fmac_f64_e32 v[36:37], s[14:15], v[34:35]
	v_mov_b32_e32 v38, 0x623fde64
	v_mov_b32_e32 v39, 0x3ec71dee
	v_fmac_f64_e32 v[38:39], v[34:35], v[36:37]
	v_mov_b32_e32 v36, 0x7c89e6b0
	v_mov_b32_e32 v37, 0x3efa0199
	;; [unrolled: 3-line block ×8, first 2 shown]
	v_fmac_f64_e32 v[36:37], v[34:35], v[38:39]
	v_fma_f64 v[36:37], v[34:35], v[36:37], 1.0
	s_mov_b32 s14, 0
	s_mov_b32 s16, 0
	v_fma_f64 v[34:35], v[34:35], v[36:37], 1.0
	v_cvt_i32_f64_e32 v1, v[22:23]
	s_mov_b32 s15, 0x40900000
	s_mov_b32 s17, 0xc090cc00
	v_ldexp_f64 v[22:23], v[34:35], v1
	v_mov_b32_e32 v1, 0x7ff00000
	v_cmp_nlt_f64_e64 s[14:15], s[14:15], v[20:21]
	v_cmp_ngt_f64_e64 s[16:17], s[16:17], v[20:21]
	v_cndmask_b32_e64 v1, v1, v23, s[14:15]
	s_and_b64 s[14:15], s[16:17], s[14:15]
	v_cndmask_b32_e64 v21, 0, v1, s[16:17]
	v_cndmask_b32_e64 v20, 0, v22, s[14:15]
	v_add_f64 v[18:19], v[18:19], v[20:21]
.LBB28_24:
	s_or_b64 exec, exec, s[22:23]
	v_add_u32_e32 v20, s26, v16
	v_mov_b32_e32 v21, v17
	v_cmp_gt_i64_e64 s[14:15], s[18:19], v[20:21]
	s_and_saveexec_b64 s[22:23], s[14:15]
	s_cbranch_execz .LBB28_26
; %bb.25:
	s_mov_b32 s16, 0x652b82fe
	s_waitcnt lgkmcnt(0)
	v_add_f64 v[22:23], v[10:11], -v[12:13]
	s_mov_b32 s17, 0x3ff71547
	v_mul_f64 v[34:35], v[22:23], s[16:17]
	s_mov_b32 s16, 0xfefa39ef
	v_rndne_f64_e32 v[34:35], v[34:35]
	s_mov_b32 s17, 0xbfe62e42
	v_fma_f64 v[36:37], s[16:17], v[34:35], v[22:23]
	s_mov_b32 s16, 0x3b39803f
	s_mov_b32 s17, 0xbc7abc9e
	v_fmac_f64_e32 v[36:37], s[16:17], v[34:35]
	s_mov_b32 s16, 0x6a5dcb37
	v_mov_b32_e32 v38, 0xfca7ab0c
	v_mov_b32_e32 v39, 0x3e928af3
	s_mov_b32 s17, 0x3e5ade15
	v_fmac_f64_e32 v[38:39], s[16:17], v[36:37]
	v_mov_b32_e32 v40, 0x623fde64
	v_mov_b32_e32 v41, 0x3ec71dee
	v_fmac_f64_e32 v[40:41], v[36:37], v[38:39]
	v_mov_b32_e32 v38, 0x7c89e6b0
	v_mov_b32_e32 v39, 0x3efa0199
	;; [unrolled: 3-line block ×8, first 2 shown]
	v_fmac_f64_e32 v[38:39], v[36:37], v[40:41]
	v_fma_f64 v[38:39], v[36:37], v[38:39], 1.0
	s_mov_b32 s16, 0
	s_mov_b32 s18, 0
	v_fma_f64 v[36:37], v[36:37], v[38:39], 1.0
	v_cvt_i32_f64_e32 v1, v[34:35]
	s_mov_b32 s17, 0x40900000
	s_mov_b32 s19, 0xc090cc00
	v_ldexp_f64 v[34:35], v[36:37], v1
	v_mov_b32_e32 v1, 0x7ff00000
	v_cmp_nlt_f64_e64 s[16:17], s[16:17], v[22:23]
	v_cmp_ngt_f64_e64 s[18:19], s[18:19], v[22:23]
	v_cndmask_b32_e64 v1, v1, v35, s[16:17]
	s_and_b64 s[16:17], s[18:19], s[16:17]
	v_cndmask_b32_e64 v23, 0, v1, s[18:19]
	v_cndmask_b32_e64 v22, 0, v34, s[16:17]
	v_add_f64 v[18:19], v[18:19], v[22:23]
.LBB28_26:
	s_or_b64 exec, exec, s[22:23]
	ds_bpermute_b32 v22, v25, v18
	ds_bpermute_b32 v23, v25, v19
	s_waitcnt lgkmcnt(0)
	s_barrier
	v_add_f64 v[18:19], v[18:19], v[22:23]
	ds_bpermute_b32 v22, v26, v18
	ds_bpermute_b32 v23, v26, v19
	s_waitcnt lgkmcnt(0)
	v_add_f64 v[18:19], v[18:19], v[22:23]
	ds_bpermute_b32 v22, v27, v18
	ds_bpermute_b32 v23, v27, v19
	s_waitcnt lgkmcnt(0)
	;; [unrolled: 4-line block ×4, first 2 shown]
	v_add_f64 v[18:19], v[18:19], v[22:23]
	ds_bpermute_b32 v22, v30, v18
	ds_bpermute_b32 v23, v30, v19
	s_and_saveexec_b64 s[16:17], s[2:3]
	s_xor_b64 s[2:3], exec, s[16:17]
	s_cbranch_execz .LBB28_28
; %bb.27:
	v_add_u32_e32 v1, 0, v31
	s_waitcnt lgkmcnt(0)
	v_add_f64 v[18:19], v[18:19], v[22:23]
	ds_write_b64 v1, v[18:19]
.LBB28_28:
	s_or_b64 exec, exec, s[2:3]
	v_pk_mov_b32 v[18:19], 0, 0
	s_waitcnt lgkmcnt(0)
	s_barrier
	s_and_saveexec_b64 s[2:3], s[4:5]
	s_cbranch_execnz .LBB28_40
; %bb.29:
	s_or_b64 exec, exec, s[2:3]
	s_and_saveexec_b64 s[2:3], s[6:7]
	s_cbranch_execnz .LBB28_41
.LBB28_30:
	s_or_b64 exec, exec, s[2:3]
	s_and_saveexec_b64 s[2:3], s[8:9]
	s_cbranch_execz .LBB28_32
.LBB28_31:
	v_mov_b32_e32 v1, 0
	s_waitcnt lgkmcnt(0)
	ds_write_b64 v1, v[18:19]
.LBB28_32:
	s_or_b64 exec, exec, s[2:3]
	v_mov_b32_e32 v1, 0
	s_waitcnt lgkmcnt(0)
	s_barrier
	ds_read_b64 v[18:19], v1
	s_mov_b32 s2, 0x55555555
	s_add_u32 s6, s20, s24
	s_mov_b32 s3, 0x3fe55555
	s_addc_u32 s7, s21, s25
	s_waitcnt lgkmcnt(0)
	v_frexp_mant_f64_e32 v[22:23], v[18:19]
	v_frexp_exp_i32_f64_e32 v1, v[18:19]
	v_cmp_gt_f64_e64 s[2:3], s[2:3], v[22:23]
	v_subbrev_co_u32_e64 v1, s[4:5], 0, v1, s[2:3]
	s_and_b64 s[2:3], s[2:3], exec
	s_mov_b32 s8, 0
	s_cselect_b32 s9, 2.0, 0x3ff00000
	v_mul_f64 v[22:23], v[22:23], s[8:9]
	v_add_f64 v[26:27], v[22:23], 1.0
	v_rcp_f64_e32 v[28:29], v[26:27]
	v_add_f64 v[32:33], v[26:27], -1.0
	v_add_f64 v[30:31], v[22:23], -1.0
	v_add_f64 v[22:23], v[22:23], -v[32:33]
	v_fma_f64 v[32:33], -v[26:27], v[28:29], 1.0
	v_fmac_f64_e32 v[28:29], v[32:33], v[28:29]
	v_fma_f64 v[32:33], -v[26:27], v[28:29], 1.0
	v_fmac_f64_e32 v[28:29], v[32:33], v[28:29]
	v_mul_f64 v[32:33], v[30:31], v[28:29]
	v_mul_f64 v[34:35], v[26:27], v[32:33]
	v_fma_f64 v[26:27], v[32:33], v[26:27], -v[34:35]
	v_fmac_f64_e32 v[26:27], v[32:33], v[22:23]
	v_add_f64 v[22:23], v[34:35], v[26:27]
	v_add_f64 v[36:37], v[30:31], -v[22:23]
	v_add_f64 v[34:35], v[22:23], -v[34:35]
	;; [unrolled: 1-line block ×5, first 2 shown]
	v_add_f64 v[22:23], v[26:27], v[22:23]
	v_add_f64 v[22:23], v[36:37], v[22:23]
	v_mul_f64 v[22:23], v[28:29], v[22:23]
	v_add_f64 v[26:27], v[32:33], v[22:23]
	v_add_f64 v[28:29], v[26:27], -v[32:33]
	s_mov_b32 s2, 0xbf559e2b
	v_add_f64 v[22:23], v[22:23], -v[28:29]
	v_mul_f64 v[28:29], v[26:27], v[26:27]
	v_mov_b32_e32 v30, 0x6b47b09a
	v_mov_b32_e32 v31, 0x3fc38538
	s_mov_b32 s3, 0x3fc3ab76
	v_fmac_f64_e32 v[30:31], s[2:3], v[28:29]
	v_mov_b32_e32 v32, 0xd7f4df2e
	v_mov_b32_e32 v33, 0x3fc7474d
	v_fmac_f64_e32 v[32:33], v[28:29], v[30:31]
	v_mov_b32_e32 v30, 0x16291751
	v_mov_b32_e32 v31, 0x3fcc71c0
	;; [unrolled: 3-line block ×5, first 2 shown]
	v_fmac_f64_e32 v[32:33], v[28:29], v[30:31]
	v_ldexp_f64 v[30:31], v[26:27], 1
	v_mul_f64 v[26:27], v[26:27], v[28:29]
	v_mul_f64 v[26:27], v[26:27], v[32:33]
	v_add_f64 v[28:29], v[30:31], v[26:27]
	v_add_f64 v[30:31], v[28:29], -v[30:31]
	v_ldexp_f64 v[22:23], v[22:23], 1
	v_add_f64 v[26:27], v[26:27], -v[30:31]
	v_add_f64 v[22:23], v[22:23], v[26:27]
	v_add_f64 v[26:27], v[28:29], v[22:23]
	v_add_f64 v[28:29], v[26:27], -v[28:29]
	s_mov_b32 s2, 0xfefa39ef
	v_add_f64 v[22:23], v[22:23], -v[28:29]
	v_cvt_f64_i32_e32 v[28:29], v1
	s_mov_b32 s3, 0x3fe62e42
	v_mul_f64 v[30:31], v[28:29], s[2:3]
	v_fma_f64 v[32:33], v[28:29], s[2:3], -v[30:31]
	s_mov_b32 s2, 0x3b39803f
	s_mov_b32 s3, 0x3c7abc9e
	v_fmac_f64_e32 v[32:33], s[2:3], v[28:29]
	v_add_f64 v[28:29], v[30:31], v[32:33]
	v_add_f64 v[30:31], v[28:29], -v[30:31]
	v_add_f64 v[30:31], v[32:33], -v[30:31]
	v_add_f64 v[32:33], v[28:29], v[26:27]
	v_add_f64 v[34:35], v[32:33], -v[28:29]
	v_add_f64 v[36:37], v[32:33], -v[34:35]
	v_add_f64 v[28:29], v[28:29], -v[36:37]
	v_add_f64 v[26:27], v[26:27], -v[34:35]
	v_add_f64 v[26:27], v[26:27], v[28:29]
	v_add_f64 v[28:29], v[30:31], v[22:23]
	v_add_f64 v[34:35], v[28:29], -v[30:31]
	v_add_f64 v[36:37], v[28:29], -v[34:35]
	v_add_f64 v[26:27], v[28:29], v[26:27]
	v_add_f64 v[30:31], v[30:31], -v[36:37]
	v_add_f64 v[22:23], v[22:23], -v[34:35]
	v_add_f64 v[28:29], v[32:33], v[26:27]
	v_add_f64 v[22:23], v[22:23], v[30:31]
	v_add_f64 v[30:31], v[28:29], -v[32:33]
	v_add_f64 v[26:27], v[26:27], -v[30:31]
	v_add_f64 v[22:23], v[22:23], v[26:27]
	s_movk_i32 s2, 0x204
	v_add_f64 v[22:23], v[28:29], v[22:23]
	v_cmp_class_f64_e64 s[2:3], v[18:19], s2
	v_cndmask_b32_e64 v1, v22, v18, s[2:3]
	v_cndmask_b32_e64 v15, v23, v19, s[2:3]
	v_mov_b32_e32 v17, 0x7ff80000
	v_cmp_ngt_f64_e64 s[2:3], 0, v[18:19]
	v_cndmask_b32_e64 v15, v17, v15, s[2:3]
	v_cmp_nge_f64_e64 s[2:3], 0, v[18:19]
	v_cndmask_b32_e64 v22, 0, v1, s[2:3]
	v_mov_b32_e32 v1, 0xfff00000
	v_cmp_neq_f64_e64 s[2:3], 0, v[18:19]
	v_cndmask_b32_e64 v23, v1, v15, s[2:3]
	s_and_saveexec_b64 s[2:3], vcc
	s_cbranch_execnz .LBB28_42
; %bb.33:
	s_or_b64 exec, exec, s[2:3]
	s_and_saveexec_b64 s[2:3], s[0:1]
	s_cbranch_execnz .LBB28_43
.LBB28_34:
	s_or_b64 exec, exec, s[2:3]
	s_and_saveexec_b64 s[0:1], s[10:11]
	s_cbranch_execnz .LBB28_44
.LBB28_35:
	s_or_b64 exec, exec, s[0:1]
	s_and_saveexec_b64 s[0:1], s[12:13]
	s_cbranch_execnz .LBB28_45
.LBB28_36:
	s_or_b64 exec, exec, s[0:1]
	s_and_saveexec_b64 s[0:1], s[14:15]
	s_cbranch_execnz .LBB28_46
.LBB28_37:
	s_endpgm
.LBB28_38:
	ds_read_b64 v[12:13], v32
	s_or_b64 exec, exec, s[0:1]
	v_cmp_gt_u32_e64 s[6:7], 64, v0
	s_and_saveexec_b64 s[8:9], s[6:7]
	s_cbranch_execz .LBB28_14
.LBB28_39:
	s_waitcnt lgkmcnt(0)
	ds_bpermute_b32 v14, v25, v12
	ds_bpermute_b32 v15, v25, v13
	s_waitcnt lgkmcnt(0)
	v_cmp_lt_f64_e64 s[0:1], v[12:13], v[14:15]
	v_cndmask_b32_e64 v13, v13, v15, s[0:1]
	v_cndmask_b32_e64 v12, v12, v14, s[0:1]
	ds_bpermute_b32 v15, v26, v13
	ds_bpermute_b32 v14, v26, v12
	s_waitcnt lgkmcnt(0)
	v_cmp_lt_f64_e64 s[0:1], v[12:13], v[14:15]
	v_cndmask_b32_e64 v13, v13, v15, s[0:1]
	v_cndmask_b32_e64 v12, v12, v14, s[0:1]
	;; [unrolled: 6-line block ×6, first 2 shown]
	s_or_b64 exec, exec, s[8:9]
	v_cmp_eq_u32_e64 s[8:9], 0, v0
	s_and_saveexec_b64 s[0:1], s[8:9]
	s_cbranch_execnz .LBB28_15
	s_branch .LBB28_16
.LBB28_40:
	ds_read_b64 v[18:19], v32
	s_or_b64 exec, exec, s[2:3]
	s_and_saveexec_b64 s[2:3], s[6:7]
	s_cbranch_execz .LBB28_30
.LBB28_41:
	s_waitcnt lgkmcnt(0)
	ds_bpermute_b32 v22, v25, v18
	ds_bpermute_b32 v23, v25, v19
	s_waitcnt lgkmcnt(0)
	v_add_f64 v[18:19], v[18:19], v[22:23]
	ds_bpermute_b32 v22, v26, v18
	ds_bpermute_b32 v23, v26, v19
	s_waitcnt lgkmcnt(0)
	v_add_f64 v[18:19], v[18:19], v[22:23]
	;; [unrolled: 4-line block ×6, first 2 shown]
	s_or_b64 exec, exec, s[2:3]
	s_and_saveexec_b64 s[2:3], s[8:9]
	s_cbranch_execnz .LBB28_31
	s_branch .LBB28_32
.LBB28_42:
	v_add_f64 v[2:3], v[2:3], -v[12:13]
	v_add_f64 v[2:3], v[2:3], -v[22:23]
	global_store_dwordx2 v24, v[2:3], s[6:7]
	s_or_b64 exec, exec, s[2:3]
	s_and_saveexec_b64 s[2:3], s[0:1]
	s_cbranch_execz .LBB28_34
.LBB28_43:
	v_lshlrev_b32_e32 v2, 3, v0
	v_add_f64 v[0:1], v[4:5], -v[12:13]
	v_add_f64 v[0:1], v[0:1], -v[22:23]
	global_store_dwordx2 v2, v[0:1], s[6:7]
	s_or_b64 exec, exec, s[2:3]
	s_and_saveexec_b64 s[0:1], s[10:11]
	s_cbranch_execz .LBB28_35
.LBB28_44:
	v_add_f64 v[0:1], v[6:7], -v[12:13]
	v_lshlrev_b32_e32 v2, 3, v14
	v_add_f64 v[0:1], v[0:1], -v[22:23]
	global_store_dwordx2 v2, v[0:1], s[6:7]
	s_or_b64 exec, exec, s[0:1]
	s_and_saveexec_b64 s[0:1], s[12:13]
	s_cbranch_execz .LBB28_36
.LBB28_45:
	v_add_f64 v[0:1], v[8:9], -v[12:13]
	v_lshlrev_b32_e32 v2, 3, v16
	v_add_f64 v[0:1], v[0:1], -v[22:23]
	global_store_dwordx2 v2, v[0:1], s[6:7]
	s_or_b64 exec, exec, s[0:1]
	s_and_saveexec_b64 s[0:1], s[14:15]
	s_cbranch_execz .LBB28_37
.LBB28_46:
	v_add_f64 v[0:1], v[10:11], -v[12:13]
	v_lshlrev_b32_e32 v2, 3, v20
	v_add_f64 v[0:1], v[0:1], -v[22:23]
	global_store_dwordx2 v2, v[0:1], s[6:7]
	s_endpgm
	.section	.rodata,"a",@progbits
	.p2align	6, 0x0
	.amdhsa_kernel _ZN2at6native12_GLOBAL__N_122cunn_SoftMaxForwardRegIdddNS1_25LogSoftMaxForwardEpilogueElLi5EEEvPT1_PKT_T3_
		.amdhsa_group_segment_fixed_size 0
		.amdhsa_private_segment_fixed_size 0
		.amdhsa_kernarg_size 280
		.amdhsa_user_sgpr_count 6
		.amdhsa_user_sgpr_private_segment_buffer 1
		.amdhsa_user_sgpr_dispatch_ptr 0
		.amdhsa_user_sgpr_queue_ptr 0
		.amdhsa_user_sgpr_kernarg_segment_ptr 1
		.amdhsa_user_sgpr_dispatch_id 0
		.amdhsa_user_sgpr_flat_scratch_init 0
		.amdhsa_user_sgpr_kernarg_preload_length 0
		.amdhsa_user_sgpr_kernarg_preload_offset 0
		.amdhsa_user_sgpr_private_segment_size 0
		.amdhsa_uses_dynamic_stack 0
		.amdhsa_system_sgpr_private_segment_wavefront_offset 0
		.amdhsa_system_sgpr_workgroup_id_x 1
		.amdhsa_system_sgpr_workgroup_id_y 0
		.amdhsa_system_sgpr_workgroup_id_z 0
		.amdhsa_system_sgpr_workgroup_info 0
		.amdhsa_system_vgpr_workitem_id 0
		.amdhsa_next_free_vgpr 42
		.amdhsa_next_free_sgpr 27
		.amdhsa_accum_offset 44
		.amdhsa_reserve_vcc 1
		.amdhsa_reserve_flat_scratch 0
		.amdhsa_float_round_mode_32 0
		.amdhsa_float_round_mode_16_64 0
		.amdhsa_float_denorm_mode_32 3
		.amdhsa_float_denorm_mode_16_64 3
		.amdhsa_dx10_clamp 1
		.amdhsa_ieee_mode 1
		.amdhsa_fp16_overflow 0
		.amdhsa_tg_split 0
		.amdhsa_exception_fp_ieee_invalid_op 0
		.amdhsa_exception_fp_denorm_src 0
		.amdhsa_exception_fp_ieee_div_zero 0
		.amdhsa_exception_fp_ieee_overflow 0
		.amdhsa_exception_fp_ieee_underflow 0
		.amdhsa_exception_fp_ieee_inexact 0
		.amdhsa_exception_int_div_zero 0
	.end_amdhsa_kernel
	.section	.text._ZN2at6native12_GLOBAL__N_122cunn_SoftMaxForwardRegIdddNS1_25LogSoftMaxForwardEpilogueElLi5EEEvPT1_PKT_T3_,"axG",@progbits,_ZN2at6native12_GLOBAL__N_122cunn_SoftMaxForwardRegIdddNS1_25LogSoftMaxForwardEpilogueElLi5EEEvPT1_PKT_T3_,comdat
.Lfunc_end28:
	.size	_ZN2at6native12_GLOBAL__N_122cunn_SoftMaxForwardRegIdddNS1_25LogSoftMaxForwardEpilogueElLi5EEEvPT1_PKT_T3_, .Lfunc_end28-_ZN2at6native12_GLOBAL__N_122cunn_SoftMaxForwardRegIdddNS1_25LogSoftMaxForwardEpilogueElLi5EEEvPT1_PKT_T3_
                                        ; -- End function
	.section	.AMDGPU.csdata,"",@progbits
; Kernel info:
; codeLenInByte = 5004
; NumSgprs: 31
; NumVgprs: 42
; NumAgprs: 0
; TotalNumVgprs: 42
; ScratchSize: 0
; MemoryBound: 0
; FloatMode: 240
; IeeeMode: 1
; LDSByteSize: 0 bytes/workgroup (compile time only)
; SGPRBlocks: 3
; VGPRBlocks: 5
; NumSGPRsForWavesPerEU: 31
; NumVGPRsForWavesPerEU: 42
; AccumOffset: 44
; Occupancy: 8
; WaveLimiterHint : 0
; COMPUTE_PGM_RSRC2:SCRATCH_EN: 0
; COMPUTE_PGM_RSRC2:USER_SGPR: 6
; COMPUTE_PGM_RSRC2:TRAP_HANDLER: 0
; COMPUTE_PGM_RSRC2:TGID_X_EN: 1
; COMPUTE_PGM_RSRC2:TGID_Y_EN: 0
; COMPUTE_PGM_RSRC2:TGID_Z_EN: 0
; COMPUTE_PGM_RSRC2:TIDIG_COMP_CNT: 0
; COMPUTE_PGM_RSRC3_GFX90A:ACCUM_OFFSET: 10
; COMPUTE_PGM_RSRC3_GFX90A:TG_SPLIT: 0
	.section	.text._ZN2at6native12_GLOBAL__N_122cunn_SoftMaxForwardRegIdddNS1_25LogSoftMaxForwardEpilogueElLi6EEEvPT1_PKT_T3_,"axG",@progbits,_ZN2at6native12_GLOBAL__N_122cunn_SoftMaxForwardRegIdddNS1_25LogSoftMaxForwardEpilogueElLi6EEEvPT1_PKT_T3_,comdat
	.globl	_ZN2at6native12_GLOBAL__N_122cunn_SoftMaxForwardRegIdddNS1_25LogSoftMaxForwardEpilogueElLi6EEEvPT1_PKT_T3_ ; -- Begin function _ZN2at6native12_GLOBAL__N_122cunn_SoftMaxForwardRegIdddNS1_25LogSoftMaxForwardEpilogueElLi6EEEvPT1_PKT_T3_
	.p2align	8
	.type	_ZN2at6native12_GLOBAL__N_122cunn_SoftMaxForwardRegIdddNS1_25LogSoftMaxForwardEpilogueElLi6EEEvPT1_PKT_T3_,@function
_ZN2at6native12_GLOBAL__N_122cunn_SoftMaxForwardRegIdddNS1_25LogSoftMaxForwardEpilogueElLi6EEEvPT1_PKT_T3_: ; @_ZN2at6native12_GLOBAL__N_122cunn_SoftMaxForwardRegIdddNS1_25LogSoftMaxForwardEpilogueElLi6EEEvPT1_PKT_T3_
; %bb.0:
	s_load_dwordx2 s[20:21], s[4:5], 0x10
	s_load_dwordx4 s[24:27], s[4:5], 0x0
	s_load_dword s8, s[4:5], 0x24
	v_mov_b32_e32 v21, 0
	v_mov_b32_e32 v1, v21
	s_waitcnt lgkmcnt(0)
	s_mul_i32 s0, s6, s21
	s_mul_hi_u32 s1, s6, s20
	s_add_i32 s1, s1, s0
	s_mul_i32 s0, s6, s20
	s_lshl_b64 s[22:23], s[0:1], 3
	s_add_u32 s2, s26, s22
	s_addc_u32 s3, s27, s23
	s_mov_b32 s0, -1
	s_add_u32 s4, s4, 24
	s_mov_b32 s1, 0xffefffff
	s_addc_u32 s5, s5, 0
	v_cmp_gt_i64_e32 vcc, s[20:21], v[0:1]
	v_pk_mov_b32 v[18:19], s[0:1], s[0:1] op_sel:[0,1]
	v_lshlrev_b32_e32 v28, 3, v0
                                        ; implicit-def: $vgpr2_vgpr3_vgpr4_vgpr5_vgpr6_vgpr7_vgpr8_vgpr9_vgpr10_vgpr11_vgpr12_vgpr13_vgpr14_vgpr15_vgpr16_vgpr17
	s_and_saveexec_b64 s[6:7], vcc
	s_cbranch_execz .LBB29_2
; %bb.1:
	global_load_dwordx2 v[2:3], v28, s[2:3]
	s_waitcnt vmcnt(0)
	v_max_f64 v[4:5], v[2:3], v[2:3]
	v_max_f64 v[18:19], v[4:5], s[0:1]
.LBB29_2:
	s_or_b64 exec, exec, s[6:7]
	s_and_b32 s8, 0xffff, s8
	v_add_u32_e32 v20, s8, v0
	v_cmp_gt_i64_e64 s[0:1], s[20:21], v[20:21]
	s_and_saveexec_b64 s[6:7], s[0:1]
	s_cbranch_execz .LBB29_4
; %bb.3:
	v_lshlrev_b32_e32 v1, 3, v20
	global_load_dwordx2 v[4:5], v1, s[2:3]
	v_max_f64 v[16:17], v[18:19], v[18:19]
	s_waitcnt vmcnt(0)
	v_max_f64 v[14:15], v[4:5], v[4:5]
	v_max_f64 v[18:19], v[16:17], v[14:15]
.LBB29_4:
	s_or_b64 exec, exec, s[6:7]
	v_add_u32_e32 v14, s8, v20
	v_mov_b32_e32 v15, 0
	v_cmp_gt_i64_e64 s[0:1], s[20:21], v[14:15]
	s_and_saveexec_b64 s[6:7], s[0:1]
	s_cbranch_execz .LBB29_6
; %bb.5:
	v_lshlrev_b32_e32 v1, 3, v14
	global_load_dwordx2 v[6:7], v1, s[2:3]
	v_max_f64 v[18:19], v[18:19], v[18:19]
	s_waitcnt vmcnt(0)
	v_max_f64 v[16:17], v[6:7], v[6:7]
	v_max_f64 v[18:19], v[18:19], v[16:17]
.LBB29_6:
	s_or_b64 exec, exec, s[6:7]
	v_add_u32_e32 v14, s8, v14
	v_cmp_gt_i64_e64 s[0:1], s[20:21], v[14:15]
	s_and_saveexec_b64 s[6:7], s[0:1]
	s_cbranch_execz .LBB29_8
; %bb.7:
	v_lshlrev_b32_e32 v1, 3, v14
	global_load_dwordx2 v[8:9], v1, s[2:3]
	v_max_f64 v[18:19], v[18:19], v[18:19]
	s_waitcnt vmcnt(0)
	v_max_f64 v[16:17], v[8:9], v[8:9]
	v_max_f64 v[18:19], v[18:19], v[16:17]
.LBB29_8:
	s_or_b64 exec, exec, s[6:7]
	v_add_u32_e32 v14, s8, v14
	v_mov_b32_e32 v15, 0
	v_cmp_gt_i64_e64 s[0:1], s[20:21], v[14:15]
	s_and_saveexec_b64 s[6:7], s[0:1]
	s_cbranch_execz .LBB29_10
; %bb.9:
	v_lshlrev_b32_e32 v1, 3, v14
	global_load_dwordx2 v[10:11], v1, s[2:3]
	v_max_f64 v[18:19], v[18:19], v[18:19]
	s_waitcnt vmcnt(0)
	v_max_f64 v[16:17], v[10:11], v[10:11]
	v_max_f64 v[18:19], v[18:19], v[16:17]
.LBB29_10:
	s_or_b64 exec, exec, s[6:7]
	v_add_u32_e32 v14, s8, v14
	v_cmp_gt_i64_e64 s[0:1], s[20:21], v[14:15]
	s_and_saveexec_b64 s[6:7], s[0:1]
	s_cbranch_execz .LBB29_12
; %bb.11:
	v_lshlrev_b32_e32 v1, 3, v14
	global_load_dwordx2 v[12:13], v1, s[2:3]
	v_max_f64 v[16:17], v[18:19], v[18:19]
	s_waitcnt vmcnt(0)
	v_max_f64 v[14:15], v[12:13], v[12:13]
	v_max_f64 v[18:19], v[16:17], v[14:15]
.LBB29_12:
	s_or_b64 exec, exec, s[6:7]
	v_mbcnt_lo_u32_b32 v1, -1, 0
	v_mbcnt_hi_u32_b32 v20, -1, v1
	v_and_b32_e32 v21, 63, v20
	v_cmp_gt_u32_e64 s[0:1], 32, v21
	v_cndmask_b32_e64 v1, 0, 1, s[0:1]
	v_lshlrev_b32_e32 v1, 5, v1
	v_add_lshl_u32 v29, v1, v20, 2
	ds_bpermute_b32 v14, v29, v18
	ds_bpermute_b32 v15, v29, v19
	s_mov_b32 s6, -1
	v_lshrrev_b32_e32 v35, 3, v0
	s_waitcnt lgkmcnt(0)
	s_barrier
	v_cmp_lt_f64_e64 s[0:1], v[18:19], v[14:15]
	v_cndmask_b32_e64 v15, v19, v15, s[0:1]
	v_cndmask_b32_e64 v14, v18, v14, s[0:1]
	v_cmp_gt_u32_e64 s[0:1], 48, v21
	v_cndmask_b32_e64 v1, 0, 1, s[0:1]
	v_lshlrev_b32_e32 v1, 4, v1
	v_add_lshl_u32 v30, v1, v20, 2
	ds_bpermute_b32 v17, v30, v15
	ds_bpermute_b32 v16, v30, v14
	s_waitcnt lgkmcnt(0)
	v_cmp_lt_f64_e64 s[0:1], v[14:15], v[16:17]
	v_cndmask_b32_e64 v15, v15, v17, s[0:1]
	v_cndmask_b32_e64 v14, v14, v16, s[0:1]
	v_cmp_gt_u32_e64 s[0:1], 56, v21
	v_cndmask_b32_e64 v1, 0, 1, s[0:1]
	v_lshlrev_b32_e32 v1, 3, v1
	v_add_lshl_u32 v31, v1, v20, 2
	ds_bpermute_b32 v16, v31, v14
	ds_bpermute_b32 v17, v31, v15
	s_waitcnt lgkmcnt(0)
	;; [unrolled: 10-line block ×3, first 2 shown]
	v_cmp_lt_f64_e64 s[0:1], v[14:15], v[16:17]
	v_cndmask_b32_e64 v15, v15, v17, s[0:1]
	v_cndmask_b32_e64 v14, v14, v16, s[0:1]
	v_cmp_gt_u32_e64 s[0:1], 62, v21
	v_cndmask_b32_e64 v1, 0, 1, s[0:1]
	v_lshlrev_b32_e32 v1, 1, v1
	v_add_lshl_u32 v33, v1, v20, 2
	ds_bpermute_b32 v16, v33, v14
	ds_bpermute_b32 v17, v33, v15
	v_and_b32_e32 v1, 63, v0
	v_cmp_eq_u32_e64 s[2:3], 0, v1
	s_waitcnt lgkmcnt(0)
	v_cmp_lt_f64_e64 s[0:1], v[14:15], v[16:17]
	v_cndmask_b32_e64 v15, v15, v17, s[0:1]
	v_cndmask_b32_e64 v14, v14, v16, s[0:1]
	v_cmp_ne_u32_e64 s[0:1], 63, v21
	v_addc_co_u32_e64 v16, s[0:1], 0, v20, s[0:1]
	v_lshlrev_b32_e32 v34, 2, v16
	ds_bpermute_b32 v16, v34, v14
	ds_bpermute_b32 v17, v34, v15
	s_and_saveexec_b64 s[0:1], s[2:3]
	s_xor_b64 s[8:9], exec, s[0:1]
	s_cbranch_execz .LBB29_14
; %bb.13:
	s_waitcnt lgkmcnt(0)
	v_cmp_lt_f64_e64 s[0:1], v[14:15], v[16:17]
	v_add_u32_e32 v18, 0, v35
	v_cndmask_b32_e64 v15, v15, v17, s[0:1]
	v_cndmask_b32_e64 v14, v14, v16, s[0:1]
	ds_write_b64 v18, v[14:15]
.LBB29_14:
	s_or_b64 exec, exec, s[8:9]
	s_waitcnt lgkmcnt(0)
	s_barrier
	s_load_dword s10, s[4:5], 0xc
	s_mov_b32 s7, 0xffefffff
	v_pk_mov_b32 v[14:15], s[6:7], s[6:7] op_sel:[0,1]
	v_lshl_add_u32 v36, v1, 3, 0
	s_waitcnt lgkmcnt(0)
	s_bfe_u32 s0, s10, 0xa0006
	v_cmp_gt_u32_e64 s[4:5], s0, v0
	s_and_saveexec_b64 s[0:1], s[4:5]
	s_cbranch_execnz .LBB29_43
; %bb.15:
	s_or_b64 exec, exec, s[0:1]
	v_cmp_gt_u32_e64 s[6:7], 64, v0
	s_and_saveexec_b64 s[8:9], s[6:7]
	s_cbranch_execnz .LBB29_44
.LBB29_16:
	s_or_b64 exec, exec, s[8:9]
	v_cmp_eq_u32_e64 s[8:9], 0, v0
	s_and_saveexec_b64 s[0:1], s[8:9]
	s_cbranch_execz .LBB29_18
.LBB29_17:
	v_mov_b32_e32 v1, 0
	s_waitcnt lgkmcnt(0)
	ds_write_b64 v1, v[14:15]
.LBB29_18:
	s_or_b64 exec, exec, s[0:1]
	v_mov_b32_e32 v1, 0
	s_waitcnt lgkmcnt(0)
	s_barrier
	ds_read_b64 v[14:15], v1
	s_and_b32 s28, s10, 0xffff
	v_pk_mov_b32 v[20:21], 0, 0
	s_and_saveexec_b64 s[12:13], vcc
	s_cbranch_execz .LBB29_20
; %bb.19:
	s_mov_b32 s0, 0x652b82fe
	s_waitcnt lgkmcnt(0)
	v_add_f64 v[16:17], v[2:3], -v[14:15]
	s_mov_b32 s1, 0x3ff71547
	v_mul_f64 v[18:19], v[16:17], s[0:1]
	s_mov_b32 s0, 0xfefa39ef
	v_rndne_f64_e32 v[18:19], v[18:19]
	s_mov_b32 s1, 0xbfe62e42
	v_fma_f64 v[20:21], s[0:1], v[18:19], v[16:17]
	s_mov_b32 s0, 0x3b39803f
	s_mov_b32 s1, 0xbc7abc9e
	v_fmac_f64_e32 v[20:21], s[0:1], v[18:19]
	s_mov_b32 s0, 0x6a5dcb37
	v_mov_b32_e32 v22, 0xfca7ab0c
	v_mov_b32_e32 v23, 0x3e928af3
	s_mov_b32 s1, 0x3e5ade15
	v_fmac_f64_e32 v[22:23], s[0:1], v[20:21]
	v_mov_b32_e32 v24, 0x623fde64
	v_mov_b32_e32 v25, 0x3ec71dee
	v_fmac_f64_e32 v[24:25], v[20:21], v[22:23]
	v_mov_b32_e32 v22, 0x7c89e6b0
	v_mov_b32_e32 v23, 0x3efa0199
	;; [unrolled: 3-line block ×8, first 2 shown]
	v_fmac_f64_e32 v[22:23], v[20:21], v[24:25]
	v_fma_f64 v[22:23], v[20:21], v[22:23], 1.0
	v_fma_f64 v[20:21], v[20:21], v[22:23], 1.0
	v_cvt_i32_f64_e32 v18, v[18:19]
	s_mov_b32 s0, 0
	s_mov_b32 s10, 0
	v_ldexp_f64 v[18:19], v[20:21], v18
	s_mov_b32 s1, 0x40900000
	s_mov_b32 s11, 0xc090cc00
	v_add_f64 v[18:19], v[18:19], 0
	v_mov_b32_e32 v20, 0x7ff00000
	v_cmp_nlt_f64_e64 s[0:1], s[0:1], v[16:17]
	v_cmp_ngt_f64_e64 s[10:11], s[10:11], v[16:17]
	v_cndmask_b32_e64 v19, v20, v19, s[0:1]
	s_and_b64 s[0:1], s[10:11], s[0:1]
	v_cndmask_b32_e64 v21, 0, v19, s[10:11]
	v_cndmask_b32_e64 v20, 0, v18, s[0:1]
.LBB29_20:
	s_or_b64 exec, exec, s[12:13]
	v_add_u32_e32 v0, s28, v0
	v_cmp_gt_i64_e64 s[0:1], s[20:21], v[0:1]
	s_and_saveexec_b64 s[14:15], s[0:1]
	s_cbranch_execz .LBB29_22
; %bb.21:
	s_mov_b32 s10, 0x652b82fe
	s_waitcnt lgkmcnt(0)
	v_add_f64 v[16:17], v[4:5], -v[14:15]
	s_mov_b32 s11, 0x3ff71547
	v_mul_f64 v[18:19], v[16:17], s[10:11]
	s_mov_b32 s10, 0xfefa39ef
	v_rndne_f64_e32 v[18:19], v[18:19]
	s_mov_b32 s11, 0xbfe62e42
	v_fma_f64 v[22:23], s[10:11], v[18:19], v[16:17]
	s_mov_b32 s10, 0x3b39803f
	s_mov_b32 s11, 0xbc7abc9e
	v_fmac_f64_e32 v[22:23], s[10:11], v[18:19]
	s_mov_b32 s10, 0x6a5dcb37
	v_mov_b32_e32 v24, 0xfca7ab0c
	v_mov_b32_e32 v25, 0x3e928af3
	s_mov_b32 s11, 0x3e5ade15
	v_fmac_f64_e32 v[24:25], s[10:11], v[22:23]
	v_mov_b32_e32 v26, 0x623fde64
	v_mov_b32_e32 v27, 0x3ec71dee
	v_fmac_f64_e32 v[26:27], v[22:23], v[24:25]
	v_mov_b32_e32 v24, 0x7c89e6b0
	v_mov_b32_e32 v25, 0x3efa0199
	;; [unrolled: 3-line block ×8, first 2 shown]
	v_fmac_f64_e32 v[24:25], v[22:23], v[26:27]
	v_fma_f64 v[24:25], v[22:23], v[24:25], 1.0
	s_mov_b32 s10, 0
	s_mov_b32 s12, 0
	v_fma_f64 v[22:23], v[22:23], v[24:25], 1.0
	v_cvt_i32_f64_e32 v18, v[18:19]
	s_mov_b32 s11, 0x40900000
	s_mov_b32 s13, 0xc090cc00
	v_ldexp_f64 v[18:19], v[22:23], v18
	v_mov_b32_e32 v22, 0x7ff00000
	v_cmp_nlt_f64_e64 s[10:11], s[10:11], v[16:17]
	v_cmp_ngt_f64_e64 s[12:13], s[12:13], v[16:17]
	v_cndmask_b32_e64 v19, v22, v19, s[10:11]
	s_and_b64 s[10:11], s[12:13], s[10:11]
	v_cndmask_b32_e64 v17, 0, v19, s[12:13]
	v_cndmask_b32_e64 v16, 0, v18, s[10:11]
	v_add_f64 v[20:21], v[20:21], v[16:17]
.LBB29_22:
	s_or_b64 exec, exec, s[14:15]
	v_add_u32_e32 v16, s28, v0
	v_mov_b32_e32 v17, v1
	v_cmp_gt_i64_e64 s[10:11], s[20:21], v[16:17]
	s_and_saveexec_b64 s[16:17], s[10:11]
	s_cbranch_execz .LBB29_24
; %bb.23:
	s_mov_b32 s12, 0x652b82fe
	s_waitcnt lgkmcnt(0)
	v_add_f64 v[18:19], v[6:7], -v[14:15]
	s_mov_b32 s13, 0x3ff71547
	v_mul_f64 v[22:23], v[18:19], s[12:13]
	s_mov_b32 s12, 0xfefa39ef
	v_rndne_f64_e32 v[22:23], v[22:23]
	s_mov_b32 s13, 0xbfe62e42
	v_fma_f64 v[24:25], s[12:13], v[22:23], v[18:19]
	s_mov_b32 s12, 0x3b39803f
	s_mov_b32 s13, 0xbc7abc9e
	v_fmac_f64_e32 v[24:25], s[12:13], v[22:23]
	s_mov_b32 s12, 0x6a5dcb37
	v_mov_b32_e32 v26, 0xfca7ab0c
	v_mov_b32_e32 v27, 0x3e928af3
	s_mov_b32 s13, 0x3e5ade15
	v_fmac_f64_e32 v[26:27], s[12:13], v[24:25]
	v_mov_b32_e32 v38, 0x623fde64
	v_mov_b32_e32 v39, 0x3ec71dee
	v_fmac_f64_e32 v[38:39], v[24:25], v[26:27]
	v_mov_b32_e32 v26, 0x7c89e6b0
	v_mov_b32_e32 v27, 0x3efa0199
	;; [unrolled: 3-line block ×8, first 2 shown]
	v_fmac_f64_e32 v[26:27], v[24:25], v[38:39]
	v_fma_f64 v[26:27], v[24:25], v[26:27], 1.0
	s_mov_b32 s12, 0
	s_mov_b32 s14, 0
	v_fma_f64 v[24:25], v[24:25], v[26:27], 1.0
	v_cvt_i32_f64_e32 v1, v[22:23]
	s_mov_b32 s13, 0x40900000
	s_mov_b32 s15, 0xc090cc00
	v_ldexp_f64 v[22:23], v[24:25], v1
	v_mov_b32_e32 v1, 0x7ff00000
	v_cmp_nlt_f64_e64 s[12:13], s[12:13], v[18:19]
	v_cmp_ngt_f64_e64 s[14:15], s[14:15], v[18:19]
	v_cndmask_b32_e64 v1, v1, v23, s[12:13]
	s_and_b64 s[12:13], s[14:15], s[12:13]
	v_cndmask_b32_e64 v19, 0, v1, s[14:15]
	v_cndmask_b32_e64 v18, 0, v22, s[12:13]
	v_add_f64 v[20:21], v[20:21], v[18:19]
.LBB29_24:
	s_or_b64 exec, exec, s[16:17]
	v_add_u32_e32 v18, s28, v16
	v_mov_b32_e32 v19, 0
	v_cmp_gt_i64_e64 s[12:13], s[20:21], v[18:19]
	s_and_saveexec_b64 s[18:19], s[12:13]
	s_cbranch_execz .LBB29_26
; %bb.25:
	s_mov_b32 s14, 0x652b82fe
	s_waitcnt lgkmcnt(0)
	v_add_f64 v[22:23], v[8:9], -v[14:15]
	s_mov_b32 s15, 0x3ff71547
	v_mul_f64 v[24:25], v[22:23], s[14:15]
	s_mov_b32 s14, 0xfefa39ef
	v_rndne_f64_e32 v[24:25], v[24:25]
	s_mov_b32 s15, 0xbfe62e42
	v_fma_f64 v[26:27], s[14:15], v[24:25], v[22:23]
	s_mov_b32 s14, 0x3b39803f
	s_mov_b32 s15, 0xbc7abc9e
	v_fmac_f64_e32 v[26:27], s[14:15], v[24:25]
	s_mov_b32 s14, 0x6a5dcb37
	v_mov_b32_e32 v38, 0xfca7ab0c
	v_mov_b32_e32 v39, 0x3e928af3
	s_mov_b32 s15, 0x3e5ade15
	v_fmac_f64_e32 v[38:39], s[14:15], v[26:27]
	v_mov_b32_e32 v40, 0x623fde64
	v_mov_b32_e32 v41, 0x3ec71dee
	v_fmac_f64_e32 v[40:41], v[26:27], v[38:39]
	v_mov_b32_e32 v38, 0x7c89e6b0
	v_mov_b32_e32 v39, 0x3efa0199
	;; [unrolled: 3-line block ×8, first 2 shown]
	v_fmac_f64_e32 v[38:39], v[26:27], v[40:41]
	v_fma_f64 v[38:39], v[26:27], v[38:39], 1.0
	s_mov_b32 s14, 0
	s_mov_b32 s16, 0
	v_fma_f64 v[26:27], v[26:27], v[38:39], 1.0
	v_cvt_i32_f64_e32 v1, v[24:25]
	s_mov_b32 s15, 0x40900000
	s_mov_b32 s17, 0xc090cc00
	v_ldexp_f64 v[24:25], v[26:27], v1
	v_mov_b32_e32 v1, 0x7ff00000
	v_cmp_nlt_f64_e64 s[14:15], s[14:15], v[22:23]
	v_cmp_ngt_f64_e64 s[16:17], s[16:17], v[22:23]
	v_cndmask_b32_e64 v1, v1, v25, s[14:15]
	s_and_b64 s[14:15], s[16:17], s[14:15]
	v_cndmask_b32_e64 v23, 0, v1, s[16:17]
	v_cndmask_b32_e64 v22, 0, v24, s[14:15]
	v_add_f64 v[20:21], v[20:21], v[22:23]
.LBB29_26:
	s_or_b64 exec, exec, s[18:19]
	v_add_u32_e32 v22, s28, v18
	v_mov_b32_e32 v23, v19
	v_cmp_gt_i64_e64 s[14:15], s[20:21], v[22:23]
	s_and_saveexec_b64 s[26:27], s[14:15]
	s_cbranch_execz .LBB29_28
; %bb.27:
	s_mov_b32 s16, 0x652b82fe
	s_waitcnt lgkmcnt(0)
	v_add_f64 v[24:25], v[10:11], -v[14:15]
	s_mov_b32 s17, 0x3ff71547
	v_mul_f64 v[26:27], v[24:25], s[16:17]
	s_mov_b32 s16, 0xfefa39ef
	v_rndne_f64_e32 v[26:27], v[26:27]
	s_mov_b32 s17, 0xbfe62e42
	v_fma_f64 v[38:39], s[16:17], v[26:27], v[24:25]
	s_mov_b32 s16, 0x3b39803f
	s_mov_b32 s17, 0xbc7abc9e
	v_fmac_f64_e32 v[38:39], s[16:17], v[26:27]
	s_mov_b32 s16, 0x6a5dcb37
	v_mov_b32_e32 v40, 0xfca7ab0c
	v_mov_b32_e32 v41, 0x3e928af3
	s_mov_b32 s17, 0x3e5ade15
	v_fmac_f64_e32 v[40:41], s[16:17], v[38:39]
	v_mov_b32_e32 v42, 0x623fde64
	v_mov_b32_e32 v43, 0x3ec71dee
	v_fmac_f64_e32 v[42:43], v[38:39], v[40:41]
	v_mov_b32_e32 v40, 0x7c89e6b0
	v_mov_b32_e32 v41, 0x3efa0199
	;; [unrolled: 3-line block ×8, first 2 shown]
	v_fmac_f64_e32 v[40:41], v[38:39], v[42:43]
	v_fma_f64 v[40:41], v[38:39], v[40:41], 1.0
	s_mov_b32 s16, 0
	s_mov_b32 s18, 0
	v_fma_f64 v[38:39], v[38:39], v[40:41], 1.0
	v_cvt_i32_f64_e32 v1, v[26:27]
	s_mov_b32 s17, 0x40900000
	s_mov_b32 s19, 0xc090cc00
	v_ldexp_f64 v[26:27], v[38:39], v1
	v_mov_b32_e32 v1, 0x7ff00000
	v_cmp_nlt_f64_e64 s[16:17], s[16:17], v[24:25]
	v_cmp_ngt_f64_e64 s[18:19], s[18:19], v[24:25]
	v_cndmask_b32_e64 v1, v1, v27, s[16:17]
	s_and_b64 s[16:17], s[18:19], s[16:17]
	v_cndmask_b32_e64 v25, 0, v1, s[18:19]
	v_cndmask_b32_e64 v24, 0, v26, s[16:17]
	v_add_f64 v[20:21], v[20:21], v[24:25]
.LBB29_28:
	s_or_b64 exec, exec, s[26:27]
	v_add_u32_e32 v24, s28, v22
	v_mov_b32_e32 v25, 0
	v_cmp_gt_i64_e64 s[16:17], s[20:21], v[24:25]
	s_and_saveexec_b64 s[26:27], s[16:17]
	s_cbranch_execz .LBB29_30
; %bb.29:
	s_mov_b32 s18, 0x652b82fe
	s_waitcnt lgkmcnt(0)
	v_add_f64 v[26:27], v[12:13], -v[14:15]
	s_mov_b32 s19, 0x3ff71547
	v_mul_f64 v[38:39], v[26:27], s[18:19]
	s_mov_b32 s18, 0xfefa39ef
	v_rndne_f64_e32 v[38:39], v[38:39]
	s_mov_b32 s19, 0xbfe62e42
	v_fma_f64 v[40:41], s[18:19], v[38:39], v[26:27]
	s_mov_b32 s18, 0x3b39803f
	s_mov_b32 s19, 0xbc7abc9e
	v_fmac_f64_e32 v[40:41], s[18:19], v[38:39]
	s_mov_b32 s18, 0x6a5dcb37
	v_mov_b32_e32 v42, 0xfca7ab0c
	v_mov_b32_e32 v43, 0x3e928af3
	s_mov_b32 s19, 0x3e5ade15
	v_fmac_f64_e32 v[42:43], s[18:19], v[40:41]
	v_mov_b32_e32 v44, 0x623fde64
	v_mov_b32_e32 v45, 0x3ec71dee
	v_fmac_f64_e32 v[44:45], v[40:41], v[42:43]
	v_mov_b32_e32 v42, 0x7c89e6b0
	v_mov_b32_e32 v43, 0x3efa0199
	v_fmac_f64_e32 v[42:43], v[40:41], v[44:45]
	v_mov_b32_e32 v44, 0x14761f6e
	v_mov_b32_e32 v45, 0x3f2a01a0
	v_fmac_f64_e32 v[44:45], v[40:41], v[42:43]
	v_mov_b32_e32 v42, 0x1852b7b0
	v_mov_b32_e32 v43, 0x3f56c16c
	v_fmac_f64_e32 v[42:43], v[40:41], v[44:45]
	v_mov_b32_e32 v44, 0x11122322
	v_mov_b32_e32 v45, 0x3f811111
	v_fmac_f64_e32 v[44:45], v[40:41], v[42:43]
	v_mov_b32_e32 v42, 0x555502a1
	v_mov_b32_e32 v43, 0x3fa55555
	v_fmac_f64_e32 v[42:43], v[40:41], v[44:45]
	v_mov_b32_e32 v44, 0x55555511
	v_mov_b32_e32 v45, 0x3fc55555
	v_fmac_f64_e32 v[44:45], v[40:41], v[42:43]
	v_mov_b32_e32 v42, 11
	v_mov_b32_e32 v43, 0x3fe00000
	v_fmac_f64_e32 v[42:43], v[40:41], v[44:45]
	v_fma_f64 v[42:43], v[40:41], v[42:43], 1.0
	s_mov_b32 s18, 0
	s_mov_b32 s20, 0
	v_fma_f64 v[40:41], v[40:41], v[42:43], 1.0
	v_cvt_i32_f64_e32 v1, v[38:39]
	s_mov_b32 s19, 0x40900000
	s_mov_b32 s21, 0xc090cc00
	v_ldexp_f64 v[38:39], v[40:41], v1
	v_mov_b32_e32 v1, 0x7ff00000
	v_cmp_nlt_f64_e64 s[18:19], s[18:19], v[26:27]
	v_cmp_ngt_f64_e64 s[20:21], s[20:21], v[26:27]
	v_cndmask_b32_e64 v1, v1, v39, s[18:19]
	s_and_b64 s[18:19], s[20:21], s[18:19]
	v_cndmask_b32_e64 v27, 0, v1, s[20:21]
	v_cndmask_b32_e64 v26, 0, v38, s[18:19]
	v_add_f64 v[20:21], v[20:21], v[26:27]
.LBB29_30:
	s_or_b64 exec, exec, s[26:27]
	ds_bpermute_b32 v26, v29, v20
	ds_bpermute_b32 v27, v29, v21
	s_waitcnt lgkmcnt(0)
	s_barrier
	v_add_f64 v[20:21], v[20:21], v[26:27]
	ds_bpermute_b32 v26, v30, v20
	ds_bpermute_b32 v27, v30, v21
	s_waitcnt lgkmcnt(0)
	v_add_f64 v[20:21], v[20:21], v[26:27]
	ds_bpermute_b32 v26, v31, v20
	ds_bpermute_b32 v27, v31, v21
	s_waitcnt lgkmcnt(0)
	v_add_f64 v[20:21], v[20:21], v[26:27]
	ds_bpermute_b32 v26, v32, v20
	ds_bpermute_b32 v27, v32, v21
	s_waitcnt lgkmcnt(0)
	v_add_f64 v[20:21], v[20:21], v[26:27]
	ds_bpermute_b32 v26, v33, v20
	ds_bpermute_b32 v27, v33, v21
	s_waitcnt lgkmcnt(0)
	v_add_f64 v[20:21], v[20:21], v[26:27]
	ds_bpermute_b32 v26, v34, v20
	ds_bpermute_b32 v27, v34, v21
	s_and_saveexec_b64 s[18:19], s[2:3]
	s_xor_b64 s[2:3], exec, s[18:19]
	s_cbranch_execz .LBB29_32
; %bb.31:
	v_add_u32_e32 v1, 0, v35
	s_waitcnt lgkmcnt(0)
	v_add_f64 v[20:21], v[20:21], v[26:27]
	ds_write_b64 v1, v[20:21]
.LBB29_32:
	s_or_b64 exec, exec, s[2:3]
	v_pk_mov_b32 v[20:21], 0, 0
	s_waitcnt lgkmcnt(0)
	s_barrier
	s_and_saveexec_b64 s[2:3], s[4:5]
	s_cbranch_execnz .LBB29_45
; %bb.33:
	s_or_b64 exec, exec, s[2:3]
	s_and_saveexec_b64 s[2:3], s[6:7]
	s_cbranch_execnz .LBB29_46
.LBB29_34:
	s_or_b64 exec, exec, s[2:3]
	s_and_saveexec_b64 s[2:3], s[8:9]
	s_cbranch_execz .LBB29_36
.LBB29_35:
	v_mov_b32_e32 v1, 0
	s_waitcnt lgkmcnt(0)
	ds_write_b64 v1, v[20:21]
.LBB29_36:
	s_or_b64 exec, exec, s[2:3]
	v_mov_b32_e32 v1, 0
	s_waitcnt lgkmcnt(0)
	s_barrier
	ds_read_b64 v[20:21], v1
	s_mov_b32 s2, 0x55555555
	s_add_u32 s6, s24, s22
	s_mov_b32 s3, 0x3fe55555
	s_addc_u32 s7, s25, s23
	s_waitcnt lgkmcnt(0)
	v_frexp_mant_f64_e32 v[26:27], v[20:21]
	v_frexp_exp_i32_f64_e32 v1, v[20:21]
	v_cmp_gt_f64_e64 s[2:3], s[2:3], v[26:27]
	v_subbrev_co_u32_e64 v1, s[4:5], 0, v1, s[2:3]
	s_and_b64 s[2:3], s[2:3], exec
	s_mov_b32 s8, 0
	s_cselect_b32 s9, 2.0, 0x3ff00000
	v_mul_f64 v[26:27], v[26:27], s[8:9]
	v_add_f64 v[30:31], v[26:27], 1.0
	v_rcp_f64_e32 v[32:33], v[30:31]
	v_add_f64 v[36:37], v[30:31], -1.0
	v_add_f64 v[34:35], v[26:27], -1.0
	v_add_f64 v[26:27], v[26:27], -v[36:37]
	v_fma_f64 v[36:37], -v[30:31], v[32:33], 1.0
	v_fmac_f64_e32 v[32:33], v[36:37], v[32:33]
	v_fma_f64 v[36:37], -v[30:31], v[32:33], 1.0
	v_fmac_f64_e32 v[32:33], v[36:37], v[32:33]
	v_mul_f64 v[36:37], v[34:35], v[32:33]
	v_mul_f64 v[38:39], v[30:31], v[36:37]
	v_fma_f64 v[30:31], v[36:37], v[30:31], -v[38:39]
	v_fmac_f64_e32 v[30:31], v[36:37], v[26:27]
	v_add_f64 v[26:27], v[38:39], v[30:31]
	v_add_f64 v[40:41], v[34:35], -v[26:27]
	v_add_f64 v[38:39], v[26:27], -v[38:39]
	;; [unrolled: 1-line block ×5, first 2 shown]
	v_add_f64 v[26:27], v[30:31], v[26:27]
	v_add_f64 v[26:27], v[40:41], v[26:27]
	v_mul_f64 v[26:27], v[32:33], v[26:27]
	v_add_f64 v[30:31], v[36:37], v[26:27]
	v_add_f64 v[32:33], v[30:31], -v[36:37]
	s_mov_b32 s2, 0xbf559e2b
	v_add_f64 v[26:27], v[26:27], -v[32:33]
	v_mul_f64 v[32:33], v[30:31], v[30:31]
	v_mov_b32_e32 v34, 0x6b47b09a
	v_mov_b32_e32 v35, 0x3fc38538
	s_mov_b32 s3, 0x3fc3ab76
	v_fmac_f64_e32 v[34:35], s[2:3], v[32:33]
	v_mov_b32_e32 v36, 0xd7f4df2e
	v_mov_b32_e32 v37, 0x3fc7474d
	v_fmac_f64_e32 v[36:37], v[32:33], v[34:35]
	v_mov_b32_e32 v34, 0x16291751
	v_mov_b32_e32 v35, 0x3fcc71c0
	;; [unrolled: 3-line block ×5, first 2 shown]
	v_fmac_f64_e32 v[36:37], v[32:33], v[34:35]
	v_ldexp_f64 v[34:35], v[30:31], 1
	v_mul_f64 v[30:31], v[30:31], v[32:33]
	v_mul_f64 v[30:31], v[30:31], v[36:37]
	v_add_f64 v[32:33], v[34:35], v[30:31]
	v_add_f64 v[34:35], v[32:33], -v[34:35]
	v_ldexp_f64 v[26:27], v[26:27], 1
	v_add_f64 v[30:31], v[30:31], -v[34:35]
	v_add_f64 v[26:27], v[26:27], v[30:31]
	v_add_f64 v[30:31], v[32:33], v[26:27]
	v_add_f64 v[32:33], v[30:31], -v[32:33]
	s_mov_b32 s2, 0xfefa39ef
	v_add_f64 v[26:27], v[26:27], -v[32:33]
	v_cvt_f64_i32_e32 v[32:33], v1
	s_mov_b32 s3, 0x3fe62e42
	v_mul_f64 v[34:35], v[32:33], s[2:3]
	v_fma_f64 v[36:37], v[32:33], s[2:3], -v[34:35]
	s_mov_b32 s2, 0x3b39803f
	s_mov_b32 s3, 0x3c7abc9e
	v_fmac_f64_e32 v[36:37], s[2:3], v[32:33]
	v_add_f64 v[32:33], v[34:35], v[36:37]
	v_add_f64 v[34:35], v[32:33], -v[34:35]
	v_add_f64 v[34:35], v[36:37], -v[34:35]
	v_add_f64 v[36:37], v[32:33], v[30:31]
	v_add_f64 v[38:39], v[36:37], -v[32:33]
	v_add_f64 v[40:41], v[36:37], -v[38:39]
	;; [unrolled: 1-line block ×4, first 2 shown]
	v_add_f64 v[30:31], v[30:31], v[32:33]
	v_add_f64 v[32:33], v[34:35], v[26:27]
	v_add_f64 v[38:39], v[32:33], -v[34:35]
	v_add_f64 v[40:41], v[32:33], -v[38:39]
	v_add_f64 v[30:31], v[32:33], v[30:31]
	v_add_f64 v[34:35], v[34:35], -v[40:41]
	v_add_f64 v[26:27], v[26:27], -v[38:39]
	v_add_f64 v[32:33], v[36:37], v[30:31]
	v_add_f64 v[26:27], v[26:27], v[34:35]
	v_add_f64 v[34:35], v[32:33], -v[36:37]
	v_add_f64 v[30:31], v[30:31], -v[34:35]
	v_add_f64 v[26:27], v[26:27], v[30:31]
	s_movk_i32 s2, 0x204
	v_add_f64 v[26:27], v[32:33], v[26:27]
	v_cmp_class_f64_e64 s[2:3], v[20:21], s2
	v_cndmask_b32_e64 v1, v26, v20, s[2:3]
	v_cndmask_b32_e64 v17, v27, v21, s[2:3]
	v_mov_b32_e32 v19, 0x7ff80000
	v_cmp_ngt_f64_e64 s[2:3], 0, v[20:21]
	v_cndmask_b32_e64 v17, v19, v17, s[2:3]
	v_cmp_nge_f64_e64 s[2:3], 0, v[20:21]
	v_cndmask_b32_e64 v26, 0, v1, s[2:3]
	v_mov_b32_e32 v1, 0xfff00000
	v_cmp_neq_f64_e64 s[2:3], 0, v[20:21]
	v_cndmask_b32_e64 v27, v1, v17, s[2:3]
	s_and_saveexec_b64 s[2:3], vcc
	s_cbranch_execnz .LBB29_47
; %bb.37:
	s_or_b64 exec, exec, s[2:3]
	s_and_saveexec_b64 s[2:3], s[0:1]
	s_cbranch_execnz .LBB29_48
.LBB29_38:
	s_or_b64 exec, exec, s[2:3]
	s_and_saveexec_b64 s[0:1], s[10:11]
	s_cbranch_execnz .LBB29_49
.LBB29_39:
	s_or_b64 exec, exec, s[0:1]
	s_and_saveexec_b64 s[0:1], s[12:13]
	s_cbranch_execnz .LBB29_50
.LBB29_40:
	s_or_b64 exec, exec, s[0:1]
	s_and_saveexec_b64 s[0:1], s[14:15]
	s_cbranch_execnz .LBB29_51
.LBB29_41:
	s_or_b64 exec, exec, s[0:1]
	s_and_saveexec_b64 s[0:1], s[16:17]
	s_cbranch_execnz .LBB29_52
.LBB29_42:
	s_endpgm
.LBB29_43:
	ds_read_b64 v[14:15], v36
	s_or_b64 exec, exec, s[0:1]
	v_cmp_gt_u32_e64 s[6:7], 64, v0
	s_and_saveexec_b64 s[8:9], s[6:7]
	s_cbranch_execz .LBB29_16
.LBB29_44:
	s_waitcnt lgkmcnt(0)
	ds_bpermute_b32 v16, v29, v14
	ds_bpermute_b32 v17, v29, v15
	s_waitcnt lgkmcnt(0)
	v_cmp_lt_f64_e64 s[0:1], v[14:15], v[16:17]
	v_cndmask_b32_e64 v15, v15, v17, s[0:1]
	v_cndmask_b32_e64 v14, v14, v16, s[0:1]
	ds_bpermute_b32 v17, v30, v15
	ds_bpermute_b32 v16, v30, v14
	s_waitcnt lgkmcnt(0)
	v_cmp_lt_f64_e64 s[0:1], v[14:15], v[16:17]
	v_cndmask_b32_e64 v15, v15, v17, s[0:1]
	v_cndmask_b32_e64 v14, v14, v16, s[0:1]
	;; [unrolled: 6-line block ×6, first 2 shown]
	s_or_b64 exec, exec, s[8:9]
	v_cmp_eq_u32_e64 s[8:9], 0, v0
	s_and_saveexec_b64 s[0:1], s[8:9]
	s_cbranch_execnz .LBB29_17
	s_branch .LBB29_18
.LBB29_45:
	ds_read_b64 v[20:21], v36
	s_or_b64 exec, exec, s[2:3]
	s_and_saveexec_b64 s[2:3], s[6:7]
	s_cbranch_execz .LBB29_34
.LBB29_46:
	s_waitcnt lgkmcnt(0)
	ds_bpermute_b32 v26, v29, v20
	ds_bpermute_b32 v27, v29, v21
	s_waitcnt lgkmcnt(0)
	v_add_f64 v[20:21], v[20:21], v[26:27]
	ds_bpermute_b32 v26, v30, v20
	ds_bpermute_b32 v27, v30, v21
	s_waitcnt lgkmcnt(0)
	v_add_f64 v[20:21], v[20:21], v[26:27]
	;; [unrolled: 4-line block ×6, first 2 shown]
	s_or_b64 exec, exec, s[2:3]
	s_and_saveexec_b64 s[2:3], s[8:9]
	s_cbranch_execnz .LBB29_35
	s_branch .LBB29_36
.LBB29_47:
	v_add_f64 v[2:3], v[2:3], -v[14:15]
	v_add_f64 v[2:3], v[2:3], -v[26:27]
	global_store_dwordx2 v28, v[2:3], s[6:7]
	s_or_b64 exec, exec, s[2:3]
	s_and_saveexec_b64 s[2:3], s[0:1]
	s_cbranch_execz .LBB29_38
.LBB29_48:
	v_lshlrev_b32_e32 v2, 3, v0
	v_add_f64 v[0:1], v[4:5], -v[14:15]
	v_add_f64 v[0:1], v[0:1], -v[26:27]
	global_store_dwordx2 v2, v[0:1], s[6:7]
	s_or_b64 exec, exec, s[2:3]
	s_and_saveexec_b64 s[0:1], s[10:11]
	s_cbranch_execz .LBB29_39
.LBB29_49:
	v_add_f64 v[0:1], v[6:7], -v[14:15]
	v_lshlrev_b32_e32 v2, 3, v16
	v_add_f64 v[0:1], v[0:1], -v[26:27]
	global_store_dwordx2 v2, v[0:1], s[6:7]
	s_or_b64 exec, exec, s[0:1]
	s_and_saveexec_b64 s[0:1], s[12:13]
	s_cbranch_execz .LBB29_40
.LBB29_50:
	v_add_f64 v[0:1], v[8:9], -v[14:15]
	v_lshlrev_b32_e32 v2, 3, v18
	v_add_f64 v[0:1], v[0:1], -v[26:27]
	global_store_dwordx2 v2, v[0:1], s[6:7]
	s_or_b64 exec, exec, s[0:1]
	s_and_saveexec_b64 s[0:1], s[14:15]
	s_cbranch_execz .LBB29_41
.LBB29_51:
	v_add_f64 v[0:1], v[10:11], -v[14:15]
	v_lshlrev_b32_e32 v2, 3, v22
	v_add_f64 v[0:1], v[0:1], -v[26:27]
	global_store_dwordx2 v2, v[0:1], s[6:7]
	s_or_b64 exec, exec, s[0:1]
	s_and_saveexec_b64 s[0:1], s[16:17]
	s_cbranch_execz .LBB29_42
.LBB29_52:
	v_add_f64 v[0:1], v[12:13], -v[14:15]
	v_lshlrev_b32_e32 v2, 3, v24
	v_add_f64 v[0:1], v[0:1], -v[26:27]
	global_store_dwordx2 v2, v[0:1], s[6:7]
	s_endpgm
	.section	.rodata,"a",@progbits
	.p2align	6, 0x0
	.amdhsa_kernel _ZN2at6native12_GLOBAL__N_122cunn_SoftMaxForwardRegIdddNS1_25LogSoftMaxForwardEpilogueElLi6EEEvPT1_PKT_T3_
		.amdhsa_group_segment_fixed_size 0
		.amdhsa_private_segment_fixed_size 0
		.amdhsa_kernarg_size 280
		.amdhsa_user_sgpr_count 6
		.amdhsa_user_sgpr_private_segment_buffer 1
		.amdhsa_user_sgpr_dispatch_ptr 0
		.amdhsa_user_sgpr_queue_ptr 0
		.amdhsa_user_sgpr_kernarg_segment_ptr 1
		.amdhsa_user_sgpr_dispatch_id 0
		.amdhsa_user_sgpr_flat_scratch_init 0
		.amdhsa_user_sgpr_kernarg_preload_length 0
		.amdhsa_user_sgpr_kernarg_preload_offset 0
		.amdhsa_user_sgpr_private_segment_size 0
		.amdhsa_uses_dynamic_stack 0
		.amdhsa_system_sgpr_private_segment_wavefront_offset 0
		.amdhsa_system_sgpr_workgroup_id_x 1
		.amdhsa_system_sgpr_workgroup_id_y 0
		.amdhsa_system_sgpr_workgroup_id_z 0
		.amdhsa_system_sgpr_workgroup_info 0
		.amdhsa_system_vgpr_workitem_id 0
		.amdhsa_next_free_vgpr 46
		.amdhsa_next_free_sgpr 29
		.amdhsa_accum_offset 48
		.amdhsa_reserve_vcc 1
		.amdhsa_reserve_flat_scratch 0
		.amdhsa_float_round_mode_32 0
		.amdhsa_float_round_mode_16_64 0
		.amdhsa_float_denorm_mode_32 3
		.amdhsa_float_denorm_mode_16_64 3
		.amdhsa_dx10_clamp 1
		.amdhsa_ieee_mode 1
		.amdhsa_fp16_overflow 0
		.amdhsa_tg_split 0
		.amdhsa_exception_fp_ieee_invalid_op 0
		.amdhsa_exception_fp_denorm_src 0
		.amdhsa_exception_fp_ieee_div_zero 0
		.amdhsa_exception_fp_ieee_overflow 0
		.amdhsa_exception_fp_ieee_underflow 0
		.amdhsa_exception_fp_ieee_inexact 0
		.amdhsa_exception_int_div_zero 0
	.end_amdhsa_kernel
	.section	.text._ZN2at6native12_GLOBAL__N_122cunn_SoftMaxForwardRegIdddNS1_25LogSoftMaxForwardEpilogueElLi6EEEvPT1_PKT_T3_,"axG",@progbits,_ZN2at6native12_GLOBAL__N_122cunn_SoftMaxForwardRegIdddNS1_25LogSoftMaxForwardEpilogueElLi6EEEvPT1_PKT_T3_,comdat
.Lfunc_end29:
	.size	_ZN2at6native12_GLOBAL__N_122cunn_SoftMaxForwardRegIdddNS1_25LogSoftMaxForwardEpilogueElLi6EEEvPT1_PKT_T3_, .Lfunc_end29-_ZN2at6native12_GLOBAL__N_122cunn_SoftMaxForwardRegIdddNS1_25LogSoftMaxForwardEpilogueElLi6EEEvPT1_PKT_T3_
                                        ; -- End function
	.section	.AMDGPU.csdata,"",@progbits
; Kernel info:
; codeLenInByte = 5536
; NumSgprs: 33
; NumVgprs: 46
; NumAgprs: 0
; TotalNumVgprs: 46
; ScratchSize: 0
; MemoryBound: 0
; FloatMode: 240
; IeeeMode: 1
; LDSByteSize: 0 bytes/workgroup (compile time only)
; SGPRBlocks: 4
; VGPRBlocks: 5
; NumSGPRsForWavesPerEU: 33
; NumVGPRsForWavesPerEU: 46
; AccumOffset: 48
; Occupancy: 8
; WaveLimiterHint : 0
; COMPUTE_PGM_RSRC2:SCRATCH_EN: 0
; COMPUTE_PGM_RSRC2:USER_SGPR: 6
; COMPUTE_PGM_RSRC2:TRAP_HANDLER: 0
; COMPUTE_PGM_RSRC2:TGID_X_EN: 1
; COMPUTE_PGM_RSRC2:TGID_Y_EN: 0
; COMPUTE_PGM_RSRC2:TGID_Z_EN: 0
; COMPUTE_PGM_RSRC2:TIDIG_COMP_CNT: 0
; COMPUTE_PGM_RSRC3_GFX90A:ACCUM_OFFSET: 11
; COMPUTE_PGM_RSRC3_GFX90A:TG_SPLIT: 0
	.section	.text._ZN2at6native12_GLOBAL__N_122cunn_SoftMaxForwardRegIdddNS1_25LogSoftMaxForwardEpilogueElLi7EEEvPT1_PKT_T3_,"axG",@progbits,_ZN2at6native12_GLOBAL__N_122cunn_SoftMaxForwardRegIdddNS1_25LogSoftMaxForwardEpilogueElLi7EEEvPT1_PKT_T3_,comdat
	.globl	_ZN2at6native12_GLOBAL__N_122cunn_SoftMaxForwardRegIdddNS1_25LogSoftMaxForwardEpilogueElLi7EEEvPT1_PKT_T3_ ; -- Begin function _ZN2at6native12_GLOBAL__N_122cunn_SoftMaxForwardRegIdddNS1_25LogSoftMaxForwardEpilogueElLi7EEEvPT1_PKT_T3_
	.p2align	8
	.type	_ZN2at6native12_GLOBAL__N_122cunn_SoftMaxForwardRegIdddNS1_25LogSoftMaxForwardEpilogueElLi7EEEvPT1_PKT_T3_,@function
_ZN2at6native12_GLOBAL__N_122cunn_SoftMaxForwardRegIdddNS1_25LogSoftMaxForwardEpilogueElLi7EEEvPT1_PKT_T3_: ; @_ZN2at6native12_GLOBAL__N_122cunn_SoftMaxForwardRegIdddNS1_25LogSoftMaxForwardEpilogueElLi7EEEvPT1_PKT_T3_
; %bb.0:
	s_load_dwordx2 s[22:23], s[4:5], 0x10
	s_load_dwordx4 s[24:27], s[4:5], 0x0
	s_load_dword s8, s[4:5], 0x24
	v_mov_b32_e32 v21, 0
	v_mov_b32_e32 v1, v21
	s_waitcnt lgkmcnt(0)
	s_mul_i32 s0, s6, s23
	s_mul_hi_u32 s1, s6, s22
	s_add_i32 s1, s1, s0
	s_mul_i32 s0, s6, s22
	s_lshl_b64 s[28:29], s[0:1], 3
	s_add_u32 s2, s26, s28
	s_addc_u32 s3, s27, s29
	s_mov_b32 s0, -1
	s_add_u32 s4, s4, 24
	s_mov_b32 s1, 0xffefffff
	s_addc_u32 s5, s5, 0
	v_cmp_gt_i64_e32 vcc, s[22:23], v[0:1]
	v_pk_mov_b32 v[18:19], s[0:1], s[0:1] op_sel:[0,1]
	v_lshlrev_b32_e32 v32, 3, v0
                                        ; implicit-def: $vgpr2_vgpr3_vgpr4_vgpr5_vgpr6_vgpr7_vgpr8_vgpr9_vgpr10_vgpr11_vgpr12_vgpr13_vgpr14_vgpr15_vgpr16_vgpr17
	s_and_saveexec_b64 s[6:7], vcc
	s_cbranch_execz .LBB30_2
; %bb.1:
	global_load_dwordx2 v[2:3], v32, s[2:3]
	s_waitcnt vmcnt(0)
	v_max_f64 v[4:5], v[2:3], v[2:3]
	v_max_f64 v[18:19], v[4:5], s[0:1]
.LBB30_2:
	s_or_b64 exec, exec, s[6:7]
	s_and_b32 s8, 0xffff, s8
	v_add_u32_e32 v20, s8, v0
	v_cmp_gt_i64_e64 s[0:1], s[22:23], v[20:21]
	s_and_saveexec_b64 s[6:7], s[0:1]
	s_cbranch_execz .LBB30_4
; %bb.3:
	v_lshlrev_b32_e32 v1, 3, v20
	global_load_dwordx2 v[4:5], v1, s[2:3]
	v_max_f64 v[18:19], v[18:19], v[18:19]
	s_waitcnt vmcnt(0)
	v_max_f64 v[16:17], v[4:5], v[4:5]
	v_max_f64 v[18:19], v[18:19], v[16:17]
.LBB30_4:
	s_or_b64 exec, exec, s[6:7]
	v_add_u32_e32 v16, s8, v20
	v_mov_b32_e32 v17, 0
	v_cmp_gt_i64_e64 s[0:1], s[22:23], v[16:17]
	s_and_saveexec_b64 s[6:7], s[0:1]
	s_cbranch_execz .LBB30_6
; %bb.5:
	v_lshlrev_b32_e32 v1, 3, v16
	global_load_dwordx2 v[6:7], v1, s[2:3]
	v_max_f64 v[18:19], v[18:19], v[18:19]
	s_waitcnt vmcnt(0)
	v_max_f64 v[20:21], v[6:7], v[6:7]
	v_max_f64 v[18:19], v[18:19], v[20:21]
.LBB30_6:
	s_or_b64 exec, exec, s[6:7]
	v_add_u32_e32 v16, s8, v16
	v_cmp_gt_i64_e64 s[0:1], s[22:23], v[16:17]
	s_and_saveexec_b64 s[6:7], s[0:1]
	s_cbranch_execz .LBB30_8
; %bb.7:
	v_lshlrev_b32_e32 v1, 3, v16
	global_load_dwordx2 v[8:9], v1, s[2:3]
	v_max_f64 v[18:19], v[18:19], v[18:19]
	s_waitcnt vmcnt(0)
	v_max_f64 v[20:21], v[8:9], v[8:9]
	v_max_f64 v[18:19], v[18:19], v[20:21]
.LBB30_8:
	s_or_b64 exec, exec, s[6:7]
	v_add_u32_e32 v16, s8, v16
	v_mov_b32_e32 v17, 0
	v_cmp_gt_i64_e64 s[0:1], s[22:23], v[16:17]
	s_and_saveexec_b64 s[6:7], s[0:1]
	s_cbranch_execz .LBB30_10
; %bb.9:
	v_lshlrev_b32_e32 v1, 3, v16
	global_load_dwordx2 v[10:11], v1, s[2:3]
	v_max_f64 v[18:19], v[18:19], v[18:19]
	s_waitcnt vmcnt(0)
	v_max_f64 v[20:21], v[10:11], v[10:11]
	v_max_f64 v[18:19], v[18:19], v[20:21]
.LBB30_10:
	s_or_b64 exec, exec, s[6:7]
	;; [unrolled: 27-line block ×3, first 2 shown]
	v_mbcnt_lo_u32_b32 v1, -1, 0
	v_mbcnt_hi_u32_b32 v20, -1, v1
	v_and_b32_e32 v21, 63, v20
	v_cmp_gt_u32_e64 s[0:1], 32, v21
	v_cndmask_b32_e64 v1, 0, 1, s[0:1]
	v_lshlrev_b32_e32 v1, 5, v1
	v_add_lshl_u32 v33, v1, v20, 2
	ds_bpermute_b32 v16, v33, v18
	ds_bpermute_b32 v17, v33, v19
	s_mov_b32 s6, -1
	v_lshrrev_b32_e32 v39, 3, v0
	s_waitcnt lgkmcnt(0)
	s_barrier
	v_cmp_lt_f64_e64 s[0:1], v[18:19], v[16:17]
	v_cndmask_b32_e64 v17, v19, v17, s[0:1]
	v_cndmask_b32_e64 v16, v18, v16, s[0:1]
	v_cmp_gt_u32_e64 s[0:1], 48, v21
	v_cndmask_b32_e64 v1, 0, 1, s[0:1]
	v_lshlrev_b32_e32 v1, 4, v1
	v_add_lshl_u32 v34, v1, v20, 2
	ds_bpermute_b32 v19, v34, v17
	ds_bpermute_b32 v18, v34, v16
	s_waitcnt lgkmcnt(0)
	v_cmp_lt_f64_e64 s[0:1], v[16:17], v[18:19]
	v_cndmask_b32_e64 v17, v17, v19, s[0:1]
	v_cndmask_b32_e64 v16, v16, v18, s[0:1]
	v_cmp_gt_u32_e64 s[0:1], 56, v21
	v_cndmask_b32_e64 v1, 0, 1, s[0:1]
	v_lshlrev_b32_e32 v1, 3, v1
	v_add_lshl_u32 v35, v1, v20, 2
	ds_bpermute_b32 v18, v35, v16
	ds_bpermute_b32 v19, v35, v17
	s_waitcnt lgkmcnt(0)
	;; [unrolled: 10-line block ×3, first 2 shown]
	v_cmp_lt_f64_e64 s[0:1], v[16:17], v[18:19]
	v_cndmask_b32_e64 v17, v17, v19, s[0:1]
	v_cndmask_b32_e64 v16, v16, v18, s[0:1]
	v_cmp_gt_u32_e64 s[0:1], 62, v21
	v_cndmask_b32_e64 v1, 0, 1, s[0:1]
	v_lshlrev_b32_e32 v1, 1, v1
	v_add_lshl_u32 v37, v1, v20, 2
	ds_bpermute_b32 v18, v37, v16
	ds_bpermute_b32 v19, v37, v17
	v_and_b32_e32 v1, 63, v0
	v_cmp_eq_u32_e64 s[2:3], 0, v1
	s_waitcnt lgkmcnt(0)
	v_cmp_lt_f64_e64 s[0:1], v[16:17], v[18:19]
	v_cndmask_b32_e64 v17, v17, v19, s[0:1]
	v_cndmask_b32_e64 v16, v16, v18, s[0:1]
	v_cmp_ne_u32_e64 s[0:1], 63, v21
	v_addc_co_u32_e64 v18, s[0:1], 0, v20, s[0:1]
	v_lshlrev_b32_e32 v38, 2, v18
	ds_bpermute_b32 v18, v38, v16
	ds_bpermute_b32 v19, v38, v17
	s_and_saveexec_b64 s[0:1], s[2:3]
	s_xor_b64 s[8:9], exec, s[0:1]
	s_cbranch_execz .LBB30_16
; %bb.15:
	s_waitcnt lgkmcnt(0)
	v_cmp_lt_f64_e64 s[0:1], v[16:17], v[18:19]
	v_add_u32_e32 v20, 0, v39
	v_cndmask_b32_e64 v17, v17, v19, s[0:1]
	v_cndmask_b32_e64 v16, v16, v18, s[0:1]
	ds_write_b64 v20, v[16:17]
.LBB30_16:
	s_or_b64 exec, exec, s[8:9]
	s_waitcnt lgkmcnt(0)
	s_barrier
	s_load_dword s10, s[4:5], 0xc
	s_mov_b32 s7, 0xffefffff
	v_pk_mov_b32 v[16:17], s[6:7], s[6:7] op_sel:[0,1]
	v_lshl_add_u32 v40, v1, 3, 0
	s_waitcnt lgkmcnt(0)
	s_bfe_u32 s0, s10, 0xa0006
	v_cmp_gt_u32_e64 s[4:5], s0, v0
	s_and_saveexec_b64 s[0:1], s[4:5]
	s_cbranch_execnz .LBB30_48
; %bb.17:
	s_or_b64 exec, exec, s[0:1]
	v_cmp_gt_u32_e64 s[6:7], 64, v0
	s_and_saveexec_b64 s[8:9], s[6:7]
	s_cbranch_execnz .LBB30_49
.LBB30_18:
	s_or_b64 exec, exec, s[8:9]
	v_cmp_eq_u32_e64 s[8:9], 0, v0
	s_and_saveexec_b64 s[0:1], s[8:9]
	s_cbranch_execz .LBB30_20
.LBB30_19:
	v_mov_b32_e32 v1, 0
	s_waitcnt lgkmcnt(0)
	ds_write_b64 v1, v[16:17]
.LBB30_20:
	s_or_b64 exec, exec, s[0:1]
	v_mov_b32_e32 v1, 0
	s_waitcnt lgkmcnt(0)
	s_barrier
	ds_read_b64 v[16:17], v1
	s_and_b32 s30, s10, 0xffff
	v_pk_mov_b32 v[22:23], 0, 0
	s_and_saveexec_b64 s[12:13], vcc
	s_cbranch_execz .LBB30_22
; %bb.21:
	s_mov_b32 s0, 0x652b82fe
	s_waitcnt lgkmcnt(0)
	v_add_f64 v[18:19], v[2:3], -v[16:17]
	s_mov_b32 s1, 0x3ff71547
	v_mul_f64 v[20:21], v[18:19], s[0:1]
	s_mov_b32 s0, 0xfefa39ef
	v_rndne_f64_e32 v[20:21], v[20:21]
	s_mov_b32 s1, 0xbfe62e42
	v_fma_f64 v[22:23], s[0:1], v[20:21], v[18:19]
	s_mov_b32 s0, 0x3b39803f
	s_mov_b32 s1, 0xbc7abc9e
	v_fmac_f64_e32 v[22:23], s[0:1], v[20:21]
	s_mov_b32 s0, 0x6a5dcb37
	v_mov_b32_e32 v24, 0xfca7ab0c
	v_mov_b32_e32 v25, 0x3e928af3
	s_mov_b32 s1, 0x3e5ade15
	v_fmac_f64_e32 v[24:25], s[0:1], v[22:23]
	v_mov_b32_e32 v26, 0x623fde64
	v_mov_b32_e32 v27, 0x3ec71dee
	v_fmac_f64_e32 v[26:27], v[22:23], v[24:25]
	v_mov_b32_e32 v24, 0x7c89e6b0
	v_mov_b32_e32 v25, 0x3efa0199
	;; [unrolled: 3-line block ×8, first 2 shown]
	v_fmac_f64_e32 v[24:25], v[22:23], v[26:27]
	v_fma_f64 v[24:25], v[22:23], v[24:25], 1.0
	v_fma_f64 v[22:23], v[22:23], v[24:25], 1.0
	v_cvt_i32_f64_e32 v20, v[20:21]
	s_mov_b32 s0, 0
	s_mov_b32 s10, 0
	v_ldexp_f64 v[20:21], v[22:23], v20
	s_mov_b32 s1, 0x40900000
	s_mov_b32 s11, 0xc090cc00
	v_add_f64 v[20:21], v[20:21], 0
	v_mov_b32_e32 v22, 0x7ff00000
	v_cmp_nlt_f64_e64 s[0:1], s[0:1], v[18:19]
	v_cmp_ngt_f64_e64 s[10:11], s[10:11], v[18:19]
	v_cndmask_b32_e64 v21, v22, v21, s[0:1]
	s_and_b64 s[0:1], s[10:11], s[0:1]
	v_cndmask_b32_e64 v23, 0, v21, s[10:11]
	v_cndmask_b32_e64 v22, 0, v20, s[0:1]
.LBB30_22:
	s_or_b64 exec, exec, s[12:13]
	v_add_u32_e32 v0, s30, v0
	v_cmp_gt_i64_e64 s[0:1], s[22:23], v[0:1]
	s_and_saveexec_b64 s[14:15], s[0:1]
	s_cbranch_execz .LBB30_24
; %bb.23:
	s_mov_b32 s10, 0x652b82fe
	s_waitcnt lgkmcnt(0)
	v_add_f64 v[18:19], v[4:5], -v[16:17]
	s_mov_b32 s11, 0x3ff71547
	v_mul_f64 v[20:21], v[18:19], s[10:11]
	s_mov_b32 s10, 0xfefa39ef
	v_rndne_f64_e32 v[20:21], v[20:21]
	s_mov_b32 s11, 0xbfe62e42
	v_fma_f64 v[24:25], s[10:11], v[20:21], v[18:19]
	s_mov_b32 s10, 0x3b39803f
	s_mov_b32 s11, 0xbc7abc9e
	v_fmac_f64_e32 v[24:25], s[10:11], v[20:21]
	s_mov_b32 s10, 0x6a5dcb37
	v_mov_b32_e32 v26, 0xfca7ab0c
	v_mov_b32_e32 v27, 0x3e928af3
	s_mov_b32 s11, 0x3e5ade15
	v_fmac_f64_e32 v[26:27], s[10:11], v[24:25]
	v_mov_b32_e32 v28, 0x623fde64
	v_mov_b32_e32 v29, 0x3ec71dee
	v_fmac_f64_e32 v[28:29], v[24:25], v[26:27]
	v_mov_b32_e32 v26, 0x7c89e6b0
	v_mov_b32_e32 v27, 0x3efa0199
	;; [unrolled: 3-line block ×8, first 2 shown]
	v_fmac_f64_e32 v[26:27], v[24:25], v[28:29]
	v_fma_f64 v[26:27], v[24:25], v[26:27], 1.0
	s_mov_b32 s10, 0
	s_mov_b32 s12, 0
	v_fma_f64 v[24:25], v[24:25], v[26:27], 1.0
	v_cvt_i32_f64_e32 v20, v[20:21]
	s_mov_b32 s11, 0x40900000
	s_mov_b32 s13, 0xc090cc00
	v_ldexp_f64 v[20:21], v[24:25], v20
	v_mov_b32_e32 v24, 0x7ff00000
	v_cmp_nlt_f64_e64 s[10:11], s[10:11], v[18:19]
	v_cmp_ngt_f64_e64 s[12:13], s[12:13], v[18:19]
	v_cndmask_b32_e64 v21, v24, v21, s[10:11]
	s_and_b64 s[10:11], s[12:13], s[10:11]
	v_cndmask_b32_e64 v19, 0, v21, s[12:13]
	v_cndmask_b32_e64 v18, 0, v20, s[10:11]
	v_add_f64 v[22:23], v[22:23], v[18:19]
.LBB30_24:
	s_or_b64 exec, exec, s[14:15]
	v_add_u32_e32 v18, s30, v0
	v_mov_b32_e32 v19, v1
	v_cmp_gt_i64_e64 s[10:11], s[22:23], v[18:19]
	s_and_saveexec_b64 s[16:17], s[10:11]
	s_cbranch_execz .LBB30_26
; %bb.25:
	s_mov_b32 s12, 0x652b82fe
	s_waitcnt lgkmcnt(0)
	v_add_f64 v[20:21], v[6:7], -v[16:17]
	s_mov_b32 s13, 0x3ff71547
	v_mul_f64 v[24:25], v[20:21], s[12:13]
	s_mov_b32 s12, 0xfefa39ef
	v_rndne_f64_e32 v[24:25], v[24:25]
	s_mov_b32 s13, 0xbfe62e42
	v_fma_f64 v[26:27], s[12:13], v[24:25], v[20:21]
	s_mov_b32 s12, 0x3b39803f
	s_mov_b32 s13, 0xbc7abc9e
	v_fmac_f64_e32 v[26:27], s[12:13], v[24:25]
	s_mov_b32 s12, 0x6a5dcb37
	v_mov_b32_e32 v28, 0xfca7ab0c
	v_mov_b32_e32 v29, 0x3e928af3
	s_mov_b32 s13, 0x3e5ade15
	v_fmac_f64_e32 v[28:29], s[12:13], v[26:27]
	v_mov_b32_e32 v30, 0x623fde64
	v_mov_b32_e32 v31, 0x3ec71dee
	v_fmac_f64_e32 v[30:31], v[26:27], v[28:29]
	v_mov_b32_e32 v28, 0x7c89e6b0
	v_mov_b32_e32 v29, 0x3efa0199
	v_fmac_f64_e32 v[28:29], v[26:27], v[30:31]
	v_mov_b32_e32 v30, 0x14761f6e
	v_mov_b32_e32 v31, 0x3f2a01a0
	v_fmac_f64_e32 v[30:31], v[26:27], v[28:29]
	v_mov_b32_e32 v28, 0x1852b7b0
	v_mov_b32_e32 v29, 0x3f56c16c
	v_fmac_f64_e32 v[28:29], v[26:27], v[30:31]
	v_mov_b32_e32 v30, 0x11122322
	v_mov_b32_e32 v31, 0x3f811111
	v_fmac_f64_e32 v[30:31], v[26:27], v[28:29]
	v_mov_b32_e32 v28, 0x555502a1
	v_mov_b32_e32 v29, 0x3fa55555
	v_fmac_f64_e32 v[28:29], v[26:27], v[30:31]
	v_mov_b32_e32 v30, 0x55555511
	v_mov_b32_e32 v31, 0x3fc55555
	v_fmac_f64_e32 v[30:31], v[26:27], v[28:29]
	v_mov_b32_e32 v28, 11
	v_mov_b32_e32 v29, 0x3fe00000
	v_fmac_f64_e32 v[28:29], v[26:27], v[30:31]
	v_fma_f64 v[28:29], v[26:27], v[28:29], 1.0
	s_mov_b32 s12, 0
	s_mov_b32 s14, 0
	v_fma_f64 v[26:27], v[26:27], v[28:29], 1.0
	v_cvt_i32_f64_e32 v1, v[24:25]
	s_mov_b32 s13, 0x40900000
	s_mov_b32 s15, 0xc090cc00
	v_ldexp_f64 v[24:25], v[26:27], v1
	v_mov_b32_e32 v1, 0x7ff00000
	v_cmp_nlt_f64_e64 s[12:13], s[12:13], v[20:21]
	v_cmp_ngt_f64_e64 s[14:15], s[14:15], v[20:21]
	v_cndmask_b32_e64 v1, v1, v25, s[12:13]
	s_and_b64 s[12:13], s[14:15], s[12:13]
	v_cndmask_b32_e64 v21, 0, v1, s[14:15]
	v_cndmask_b32_e64 v20, 0, v24, s[12:13]
	v_add_f64 v[22:23], v[22:23], v[20:21]
.LBB30_26:
	s_or_b64 exec, exec, s[16:17]
	v_add_u32_e32 v20, s30, v18
	v_mov_b32_e32 v21, 0
	v_cmp_gt_i64_e64 s[12:13], s[22:23], v[20:21]
	s_and_saveexec_b64 s[18:19], s[12:13]
	s_cbranch_execz .LBB30_28
; %bb.27:
	s_mov_b32 s14, 0x652b82fe
	s_waitcnt lgkmcnt(0)
	v_add_f64 v[24:25], v[8:9], -v[16:17]
	s_mov_b32 s15, 0x3ff71547
	v_mul_f64 v[26:27], v[24:25], s[14:15]
	s_mov_b32 s14, 0xfefa39ef
	v_rndne_f64_e32 v[26:27], v[26:27]
	s_mov_b32 s15, 0xbfe62e42
	v_fma_f64 v[28:29], s[14:15], v[26:27], v[24:25]
	s_mov_b32 s14, 0x3b39803f
	s_mov_b32 s15, 0xbc7abc9e
	v_fmac_f64_e32 v[28:29], s[14:15], v[26:27]
	s_mov_b32 s14, 0x6a5dcb37
	v_mov_b32_e32 v30, 0xfca7ab0c
	v_mov_b32_e32 v31, 0x3e928af3
	s_mov_b32 s15, 0x3e5ade15
	v_fmac_f64_e32 v[30:31], s[14:15], v[28:29]
	v_mov_b32_e32 v42, 0x623fde64
	v_mov_b32_e32 v43, 0x3ec71dee
	v_fmac_f64_e32 v[42:43], v[28:29], v[30:31]
	v_mov_b32_e32 v30, 0x7c89e6b0
	v_mov_b32_e32 v31, 0x3efa0199
	;; [unrolled: 3-line block ×8, first 2 shown]
	v_fmac_f64_e32 v[30:31], v[28:29], v[42:43]
	v_fma_f64 v[30:31], v[28:29], v[30:31], 1.0
	s_mov_b32 s14, 0
	s_mov_b32 s16, 0
	v_fma_f64 v[28:29], v[28:29], v[30:31], 1.0
	v_cvt_i32_f64_e32 v1, v[26:27]
	s_mov_b32 s15, 0x40900000
	s_mov_b32 s17, 0xc090cc00
	v_ldexp_f64 v[26:27], v[28:29], v1
	v_mov_b32_e32 v1, 0x7ff00000
	v_cmp_nlt_f64_e64 s[14:15], s[14:15], v[24:25]
	v_cmp_ngt_f64_e64 s[16:17], s[16:17], v[24:25]
	v_cndmask_b32_e64 v1, v1, v27, s[14:15]
	s_and_b64 s[14:15], s[16:17], s[14:15]
	v_cndmask_b32_e64 v25, 0, v1, s[16:17]
	v_cndmask_b32_e64 v24, 0, v26, s[14:15]
	v_add_f64 v[22:23], v[22:23], v[24:25]
.LBB30_28:
	s_or_b64 exec, exec, s[18:19]
	v_add_u32_e32 v24, s30, v20
	v_mov_b32_e32 v25, v21
	v_cmp_gt_i64_e64 s[14:15], s[22:23], v[24:25]
	s_and_saveexec_b64 s[20:21], s[14:15]
	s_cbranch_execz .LBB30_30
; %bb.29:
	s_mov_b32 s16, 0x652b82fe
	s_waitcnt lgkmcnt(0)
	v_add_f64 v[26:27], v[10:11], -v[16:17]
	s_mov_b32 s17, 0x3ff71547
	v_mul_f64 v[28:29], v[26:27], s[16:17]
	s_mov_b32 s16, 0xfefa39ef
	v_rndne_f64_e32 v[28:29], v[28:29]
	s_mov_b32 s17, 0xbfe62e42
	v_fma_f64 v[30:31], s[16:17], v[28:29], v[26:27]
	s_mov_b32 s16, 0x3b39803f
	s_mov_b32 s17, 0xbc7abc9e
	v_fmac_f64_e32 v[30:31], s[16:17], v[28:29]
	s_mov_b32 s16, 0x6a5dcb37
	v_mov_b32_e32 v42, 0xfca7ab0c
	v_mov_b32_e32 v43, 0x3e928af3
	s_mov_b32 s17, 0x3e5ade15
	v_fmac_f64_e32 v[42:43], s[16:17], v[30:31]
	v_mov_b32_e32 v44, 0x623fde64
	v_mov_b32_e32 v45, 0x3ec71dee
	v_fmac_f64_e32 v[44:45], v[30:31], v[42:43]
	v_mov_b32_e32 v42, 0x7c89e6b0
	v_mov_b32_e32 v43, 0x3efa0199
	;; [unrolled: 3-line block ×8, first 2 shown]
	v_fmac_f64_e32 v[42:43], v[30:31], v[44:45]
	v_fma_f64 v[42:43], v[30:31], v[42:43], 1.0
	s_mov_b32 s16, 0
	s_mov_b32 s18, 0
	v_fma_f64 v[30:31], v[30:31], v[42:43], 1.0
	v_cvt_i32_f64_e32 v1, v[28:29]
	s_mov_b32 s17, 0x40900000
	s_mov_b32 s19, 0xc090cc00
	v_ldexp_f64 v[28:29], v[30:31], v1
	v_mov_b32_e32 v1, 0x7ff00000
	v_cmp_nlt_f64_e64 s[16:17], s[16:17], v[26:27]
	v_cmp_ngt_f64_e64 s[18:19], s[18:19], v[26:27]
	v_cndmask_b32_e64 v1, v1, v29, s[16:17]
	s_and_b64 s[16:17], s[18:19], s[16:17]
	v_cndmask_b32_e64 v27, 0, v1, s[18:19]
	v_cndmask_b32_e64 v26, 0, v28, s[16:17]
	v_add_f64 v[22:23], v[22:23], v[26:27]
.LBB30_30:
	s_or_b64 exec, exec, s[20:21]
	v_add_u32_e32 v26, s30, v24
	v_mov_b32_e32 v27, 0
	v_cmp_gt_i64_e64 s[16:17], s[22:23], v[26:27]
	s_and_saveexec_b64 s[26:27], s[16:17]
	s_cbranch_execz .LBB30_32
; %bb.31:
	s_mov_b32 s18, 0x652b82fe
	s_waitcnt lgkmcnt(0)
	v_add_f64 v[28:29], v[12:13], -v[16:17]
	s_mov_b32 s19, 0x3ff71547
	v_mul_f64 v[30:31], v[28:29], s[18:19]
	s_mov_b32 s18, 0xfefa39ef
	v_rndne_f64_e32 v[30:31], v[30:31]
	s_mov_b32 s19, 0xbfe62e42
	v_fma_f64 v[42:43], s[18:19], v[30:31], v[28:29]
	s_mov_b32 s18, 0x3b39803f
	s_mov_b32 s19, 0xbc7abc9e
	v_fmac_f64_e32 v[42:43], s[18:19], v[30:31]
	s_mov_b32 s18, 0x6a5dcb37
	v_mov_b32_e32 v44, 0xfca7ab0c
	v_mov_b32_e32 v45, 0x3e928af3
	s_mov_b32 s19, 0x3e5ade15
	v_fmac_f64_e32 v[44:45], s[18:19], v[42:43]
	v_mov_b32_e32 v46, 0x623fde64
	v_mov_b32_e32 v47, 0x3ec71dee
	v_fmac_f64_e32 v[46:47], v[42:43], v[44:45]
	v_mov_b32_e32 v44, 0x7c89e6b0
	v_mov_b32_e32 v45, 0x3efa0199
	;; [unrolled: 3-line block ×8, first 2 shown]
	v_fmac_f64_e32 v[44:45], v[42:43], v[46:47]
	v_fma_f64 v[44:45], v[42:43], v[44:45], 1.0
	s_mov_b32 s18, 0
	s_mov_b32 s20, 0
	v_fma_f64 v[42:43], v[42:43], v[44:45], 1.0
	v_cvt_i32_f64_e32 v1, v[30:31]
	s_mov_b32 s19, 0x40900000
	s_mov_b32 s21, 0xc090cc00
	v_ldexp_f64 v[30:31], v[42:43], v1
	v_mov_b32_e32 v1, 0x7ff00000
	v_cmp_nlt_f64_e64 s[18:19], s[18:19], v[28:29]
	v_cmp_ngt_f64_e64 s[20:21], s[20:21], v[28:29]
	v_cndmask_b32_e64 v1, v1, v31, s[18:19]
	s_and_b64 s[18:19], s[20:21], s[18:19]
	v_cndmask_b32_e64 v29, 0, v1, s[20:21]
	v_cndmask_b32_e64 v28, 0, v30, s[18:19]
	v_add_f64 v[22:23], v[22:23], v[28:29]
.LBB30_32:
	s_or_b64 exec, exec, s[26:27]
	v_add_u32_e32 v28, s30, v26
	v_mov_b32_e32 v29, v27
	v_cmp_gt_i64_e64 s[18:19], s[22:23], v[28:29]
	s_and_saveexec_b64 s[26:27], s[18:19]
	s_cbranch_execz .LBB30_34
; %bb.33:
	s_mov_b32 s20, 0x652b82fe
	s_waitcnt lgkmcnt(0)
	v_add_f64 v[30:31], v[14:15], -v[16:17]
	s_mov_b32 s21, 0x3ff71547
	v_mul_f64 v[42:43], v[30:31], s[20:21]
	s_mov_b32 s20, 0xfefa39ef
	v_rndne_f64_e32 v[42:43], v[42:43]
	s_mov_b32 s21, 0xbfe62e42
	v_fma_f64 v[44:45], s[20:21], v[42:43], v[30:31]
	s_mov_b32 s20, 0x3b39803f
	s_mov_b32 s21, 0xbc7abc9e
	v_fmac_f64_e32 v[44:45], s[20:21], v[42:43]
	s_mov_b32 s20, 0x6a5dcb37
	v_mov_b32_e32 v46, 0xfca7ab0c
	v_mov_b32_e32 v47, 0x3e928af3
	s_mov_b32 s21, 0x3e5ade15
	v_fmac_f64_e32 v[46:47], s[20:21], v[44:45]
	v_mov_b32_e32 v48, 0x623fde64
	v_mov_b32_e32 v49, 0x3ec71dee
	v_fmac_f64_e32 v[48:49], v[44:45], v[46:47]
	v_mov_b32_e32 v46, 0x7c89e6b0
	v_mov_b32_e32 v47, 0x3efa0199
	v_fmac_f64_e32 v[46:47], v[44:45], v[48:49]
	v_mov_b32_e32 v48, 0x14761f6e
	v_mov_b32_e32 v49, 0x3f2a01a0
	v_fmac_f64_e32 v[48:49], v[44:45], v[46:47]
	v_mov_b32_e32 v46, 0x1852b7b0
	v_mov_b32_e32 v47, 0x3f56c16c
	v_fmac_f64_e32 v[46:47], v[44:45], v[48:49]
	v_mov_b32_e32 v48, 0x11122322
	v_mov_b32_e32 v49, 0x3f811111
	v_fmac_f64_e32 v[48:49], v[44:45], v[46:47]
	v_mov_b32_e32 v46, 0x555502a1
	v_mov_b32_e32 v47, 0x3fa55555
	v_fmac_f64_e32 v[46:47], v[44:45], v[48:49]
	v_mov_b32_e32 v48, 0x55555511
	v_mov_b32_e32 v49, 0x3fc55555
	v_fmac_f64_e32 v[48:49], v[44:45], v[46:47]
	v_mov_b32_e32 v46, 11
	v_mov_b32_e32 v47, 0x3fe00000
	v_fmac_f64_e32 v[46:47], v[44:45], v[48:49]
	v_fma_f64 v[46:47], v[44:45], v[46:47], 1.0
	s_mov_b32 s20, 0
	s_mov_b32 s22, 0
	v_fma_f64 v[44:45], v[44:45], v[46:47], 1.0
	v_cvt_i32_f64_e32 v1, v[42:43]
	s_mov_b32 s21, 0x40900000
	s_mov_b32 s23, 0xc090cc00
	v_ldexp_f64 v[42:43], v[44:45], v1
	v_mov_b32_e32 v1, 0x7ff00000
	v_cmp_nlt_f64_e64 s[20:21], s[20:21], v[30:31]
	v_cmp_ngt_f64_e64 s[22:23], s[22:23], v[30:31]
	v_cndmask_b32_e64 v1, v1, v43, s[20:21]
	s_and_b64 s[20:21], s[22:23], s[20:21]
	v_cndmask_b32_e64 v31, 0, v1, s[22:23]
	v_cndmask_b32_e64 v30, 0, v42, s[20:21]
	v_add_f64 v[22:23], v[22:23], v[30:31]
.LBB30_34:
	s_or_b64 exec, exec, s[26:27]
	ds_bpermute_b32 v30, v33, v22
	ds_bpermute_b32 v31, v33, v23
	s_waitcnt lgkmcnt(0)
	s_barrier
	v_add_f64 v[22:23], v[22:23], v[30:31]
	ds_bpermute_b32 v30, v34, v22
	ds_bpermute_b32 v31, v34, v23
	s_waitcnt lgkmcnt(0)
	v_add_f64 v[22:23], v[22:23], v[30:31]
	ds_bpermute_b32 v30, v35, v22
	ds_bpermute_b32 v31, v35, v23
	s_waitcnt lgkmcnt(0)
	;; [unrolled: 4-line block ×4, first 2 shown]
	v_add_f64 v[22:23], v[22:23], v[30:31]
	ds_bpermute_b32 v30, v38, v22
	ds_bpermute_b32 v31, v38, v23
	s_and_saveexec_b64 s[20:21], s[2:3]
	s_xor_b64 s[2:3], exec, s[20:21]
	s_cbranch_execz .LBB30_36
; %bb.35:
	v_add_u32_e32 v1, 0, v39
	s_waitcnt lgkmcnt(0)
	v_add_f64 v[22:23], v[22:23], v[30:31]
	ds_write_b64 v1, v[22:23]
.LBB30_36:
	s_or_b64 exec, exec, s[2:3]
	v_pk_mov_b32 v[22:23], 0, 0
	s_waitcnt lgkmcnt(0)
	s_barrier
	s_and_saveexec_b64 s[2:3], s[4:5]
	s_cbranch_execnz .LBB30_50
; %bb.37:
	s_or_b64 exec, exec, s[2:3]
	s_and_saveexec_b64 s[2:3], s[6:7]
	s_cbranch_execnz .LBB30_51
.LBB30_38:
	s_or_b64 exec, exec, s[2:3]
	s_and_saveexec_b64 s[2:3], s[8:9]
	s_cbranch_execz .LBB30_40
.LBB30_39:
	v_mov_b32_e32 v1, 0
	s_waitcnt lgkmcnt(0)
	ds_write_b64 v1, v[22:23]
.LBB30_40:
	s_or_b64 exec, exec, s[2:3]
	v_mov_b32_e32 v1, 0
	s_waitcnt lgkmcnt(0)
	s_barrier
	ds_read_b64 v[22:23], v1
	s_mov_b32 s2, 0x55555555
	s_add_u32 s6, s24, s28
	s_mov_b32 s3, 0x3fe55555
	s_addc_u32 s7, s25, s29
	s_waitcnt lgkmcnt(0)
	v_frexp_mant_f64_e32 v[30:31], v[22:23]
	v_frexp_exp_i32_f64_e32 v1, v[22:23]
	v_cmp_gt_f64_e64 s[2:3], s[2:3], v[30:31]
	v_subbrev_co_u32_e64 v1, s[4:5], 0, v1, s[2:3]
	s_and_b64 s[2:3], s[2:3], exec
	s_mov_b32 s8, 0
	s_cselect_b32 s9, 2.0, 0x3ff00000
	v_mul_f64 v[30:31], v[30:31], s[8:9]
	v_add_f64 v[34:35], v[30:31], 1.0
	v_rcp_f64_e32 v[36:37], v[34:35]
	v_add_f64 v[40:41], v[34:35], -1.0
	v_add_f64 v[38:39], v[30:31], -1.0
	v_add_f64 v[30:31], v[30:31], -v[40:41]
	v_fma_f64 v[40:41], -v[34:35], v[36:37], 1.0
	v_fmac_f64_e32 v[36:37], v[40:41], v[36:37]
	v_fma_f64 v[40:41], -v[34:35], v[36:37], 1.0
	v_fmac_f64_e32 v[36:37], v[40:41], v[36:37]
	v_mul_f64 v[40:41], v[38:39], v[36:37]
	v_mul_f64 v[42:43], v[34:35], v[40:41]
	v_fma_f64 v[34:35], v[40:41], v[34:35], -v[42:43]
	v_fmac_f64_e32 v[34:35], v[40:41], v[30:31]
	v_add_f64 v[30:31], v[42:43], v[34:35]
	v_add_f64 v[44:45], v[38:39], -v[30:31]
	v_add_f64 v[42:43], v[30:31], -v[42:43]
	;; [unrolled: 1-line block ×5, first 2 shown]
	v_add_f64 v[30:31], v[34:35], v[30:31]
	v_add_f64 v[30:31], v[44:45], v[30:31]
	v_mul_f64 v[30:31], v[36:37], v[30:31]
	v_add_f64 v[34:35], v[40:41], v[30:31]
	v_add_f64 v[36:37], v[34:35], -v[40:41]
	s_mov_b32 s2, 0xbf559e2b
	v_add_f64 v[30:31], v[30:31], -v[36:37]
	v_mul_f64 v[36:37], v[34:35], v[34:35]
	v_mov_b32_e32 v38, 0x6b47b09a
	v_mov_b32_e32 v39, 0x3fc38538
	s_mov_b32 s3, 0x3fc3ab76
	v_fmac_f64_e32 v[38:39], s[2:3], v[36:37]
	v_mov_b32_e32 v40, 0xd7f4df2e
	v_mov_b32_e32 v41, 0x3fc7474d
	v_fmac_f64_e32 v[40:41], v[36:37], v[38:39]
	v_mov_b32_e32 v38, 0x16291751
	v_mov_b32_e32 v39, 0x3fcc71c0
	;; [unrolled: 3-line block ×5, first 2 shown]
	v_fmac_f64_e32 v[40:41], v[36:37], v[38:39]
	v_ldexp_f64 v[38:39], v[34:35], 1
	v_mul_f64 v[34:35], v[34:35], v[36:37]
	v_mul_f64 v[34:35], v[34:35], v[40:41]
	v_add_f64 v[36:37], v[38:39], v[34:35]
	v_add_f64 v[38:39], v[36:37], -v[38:39]
	v_ldexp_f64 v[30:31], v[30:31], 1
	v_add_f64 v[34:35], v[34:35], -v[38:39]
	v_add_f64 v[30:31], v[30:31], v[34:35]
	v_add_f64 v[34:35], v[36:37], v[30:31]
	v_add_f64 v[36:37], v[34:35], -v[36:37]
	s_mov_b32 s2, 0xfefa39ef
	v_add_f64 v[30:31], v[30:31], -v[36:37]
	v_cvt_f64_i32_e32 v[36:37], v1
	s_mov_b32 s3, 0x3fe62e42
	v_mul_f64 v[38:39], v[36:37], s[2:3]
	v_fma_f64 v[40:41], v[36:37], s[2:3], -v[38:39]
	s_mov_b32 s2, 0x3b39803f
	s_mov_b32 s3, 0x3c7abc9e
	v_fmac_f64_e32 v[40:41], s[2:3], v[36:37]
	v_add_f64 v[36:37], v[38:39], v[40:41]
	v_add_f64 v[38:39], v[36:37], -v[38:39]
	v_add_f64 v[38:39], v[40:41], -v[38:39]
	v_add_f64 v[40:41], v[36:37], v[34:35]
	v_add_f64 v[42:43], v[40:41], -v[36:37]
	v_add_f64 v[44:45], v[40:41], -v[42:43]
	;; [unrolled: 1-line block ×4, first 2 shown]
	v_add_f64 v[34:35], v[34:35], v[36:37]
	v_add_f64 v[36:37], v[38:39], v[30:31]
	v_add_f64 v[42:43], v[36:37], -v[38:39]
	v_add_f64 v[44:45], v[36:37], -v[42:43]
	v_add_f64 v[34:35], v[36:37], v[34:35]
	v_add_f64 v[38:39], v[38:39], -v[44:45]
	v_add_f64 v[30:31], v[30:31], -v[42:43]
	v_add_f64 v[36:37], v[40:41], v[34:35]
	v_add_f64 v[30:31], v[30:31], v[38:39]
	v_add_f64 v[38:39], v[36:37], -v[40:41]
	v_add_f64 v[34:35], v[34:35], -v[38:39]
	v_add_f64 v[30:31], v[30:31], v[34:35]
	s_movk_i32 s2, 0x204
	v_add_f64 v[30:31], v[36:37], v[30:31]
	v_cmp_class_f64_e64 s[2:3], v[22:23], s2
	v_cndmask_b32_e64 v1, v30, v22, s[2:3]
	v_cndmask_b32_e64 v19, v31, v23, s[2:3]
	v_mov_b32_e32 v21, 0x7ff80000
	v_cmp_ngt_f64_e64 s[2:3], 0, v[22:23]
	v_cndmask_b32_e64 v19, v21, v19, s[2:3]
	v_cmp_nge_f64_e64 s[2:3], 0, v[22:23]
	v_cndmask_b32_e64 v30, 0, v1, s[2:3]
	v_mov_b32_e32 v1, 0xfff00000
	v_cmp_neq_f64_e64 s[2:3], 0, v[22:23]
	v_cndmask_b32_e64 v31, v1, v19, s[2:3]
	s_and_saveexec_b64 s[2:3], vcc
	s_cbranch_execnz .LBB30_52
; %bb.41:
	s_or_b64 exec, exec, s[2:3]
	s_and_saveexec_b64 s[2:3], s[0:1]
	s_cbranch_execnz .LBB30_53
.LBB30_42:
	s_or_b64 exec, exec, s[2:3]
	s_and_saveexec_b64 s[0:1], s[10:11]
	s_cbranch_execnz .LBB30_54
.LBB30_43:
	s_or_b64 exec, exec, s[0:1]
	s_and_saveexec_b64 s[0:1], s[12:13]
	s_cbranch_execnz .LBB30_55
.LBB30_44:
	s_or_b64 exec, exec, s[0:1]
	s_and_saveexec_b64 s[0:1], s[14:15]
	s_cbranch_execnz .LBB30_56
.LBB30_45:
	s_or_b64 exec, exec, s[0:1]
	s_and_saveexec_b64 s[0:1], s[16:17]
	s_cbranch_execnz .LBB30_57
.LBB30_46:
	s_or_b64 exec, exec, s[0:1]
	s_and_saveexec_b64 s[0:1], s[18:19]
	s_cbranch_execnz .LBB30_58
.LBB30_47:
	s_endpgm
.LBB30_48:
	ds_read_b64 v[16:17], v40
	s_or_b64 exec, exec, s[0:1]
	v_cmp_gt_u32_e64 s[6:7], 64, v0
	s_and_saveexec_b64 s[8:9], s[6:7]
	s_cbranch_execz .LBB30_18
.LBB30_49:
	s_waitcnt lgkmcnt(0)
	ds_bpermute_b32 v18, v33, v16
	ds_bpermute_b32 v19, v33, v17
	s_waitcnt lgkmcnt(0)
	v_cmp_lt_f64_e64 s[0:1], v[16:17], v[18:19]
	v_cndmask_b32_e64 v17, v17, v19, s[0:1]
	v_cndmask_b32_e64 v16, v16, v18, s[0:1]
	ds_bpermute_b32 v19, v34, v17
	ds_bpermute_b32 v18, v34, v16
	s_waitcnt lgkmcnt(0)
	v_cmp_lt_f64_e64 s[0:1], v[16:17], v[18:19]
	v_cndmask_b32_e64 v17, v17, v19, s[0:1]
	v_cndmask_b32_e64 v16, v16, v18, s[0:1]
	;; [unrolled: 6-line block ×6, first 2 shown]
	s_or_b64 exec, exec, s[8:9]
	v_cmp_eq_u32_e64 s[8:9], 0, v0
	s_and_saveexec_b64 s[0:1], s[8:9]
	s_cbranch_execnz .LBB30_19
	s_branch .LBB30_20
.LBB30_50:
	ds_read_b64 v[22:23], v40
	s_or_b64 exec, exec, s[2:3]
	s_and_saveexec_b64 s[2:3], s[6:7]
	s_cbranch_execz .LBB30_38
.LBB30_51:
	s_waitcnt lgkmcnt(0)
	ds_bpermute_b32 v30, v33, v22
	ds_bpermute_b32 v31, v33, v23
	s_waitcnt lgkmcnt(0)
	v_add_f64 v[22:23], v[22:23], v[30:31]
	ds_bpermute_b32 v30, v34, v22
	ds_bpermute_b32 v31, v34, v23
	s_waitcnt lgkmcnt(0)
	v_add_f64 v[22:23], v[22:23], v[30:31]
	;; [unrolled: 4-line block ×6, first 2 shown]
	s_or_b64 exec, exec, s[2:3]
	s_and_saveexec_b64 s[2:3], s[8:9]
	s_cbranch_execnz .LBB30_39
	s_branch .LBB30_40
.LBB30_52:
	v_add_f64 v[2:3], v[2:3], -v[16:17]
	v_add_f64 v[2:3], v[2:3], -v[30:31]
	global_store_dwordx2 v32, v[2:3], s[6:7]
	s_or_b64 exec, exec, s[2:3]
	s_and_saveexec_b64 s[2:3], s[0:1]
	s_cbranch_execz .LBB30_42
.LBB30_53:
	v_lshlrev_b32_e32 v2, 3, v0
	v_add_f64 v[0:1], v[4:5], -v[16:17]
	v_add_f64 v[0:1], v[0:1], -v[30:31]
	global_store_dwordx2 v2, v[0:1], s[6:7]
	s_or_b64 exec, exec, s[2:3]
	s_and_saveexec_b64 s[0:1], s[10:11]
	s_cbranch_execz .LBB30_43
.LBB30_54:
	v_add_f64 v[0:1], v[6:7], -v[16:17]
	v_lshlrev_b32_e32 v2, 3, v18
	v_add_f64 v[0:1], v[0:1], -v[30:31]
	global_store_dwordx2 v2, v[0:1], s[6:7]
	s_or_b64 exec, exec, s[0:1]
	s_and_saveexec_b64 s[0:1], s[12:13]
	s_cbranch_execz .LBB30_44
.LBB30_55:
	v_add_f64 v[0:1], v[8:9], -v[16:17]
	v_lshlrev_b32_e32 v2, 3, v20
	v_add_f64 v[0:1], v[0:1], -v[30:31]
	global_store_dwordx2 v2, v[0:1], s[6:7]
	s_or_b64 exec, exec, s[0:1]
	s_and_saveexec_b64 s[0:1], s[14:15]
	s_cbranch_execz .LBB30_45
.LBB30_56:
	v_add_f64 v[0:1], v[10:11], -v[16:17]
	v_lshlrev_b32_e32 v2, 3, v24
	v_add_f64 v[0:1], v[0:1], -v[30:31]
	global_store_dwordx2 v2, v[0:1], s[6:7]
	s_or_b64 exec, exec, s[0:1]
	s_and_saveexec_b64 s[0:1], s[16:17]
	s_cbranch_execz .LBB30_46
.LBB30_57:
	v_add_f64 v[0:1], v[12:13], -v[16:17]
	v_lshlrev_b32_e32 v2, 3, v26
	v_add_f64 v[0:1], v[0:1], -v[30:31]
	global_store_dwordx2 v2, v[0:1], s[6:7]
	s_or_b64 exec, exec, s[0:1]
	s_and_saveexec_b64 s[0:1], s[18:19]
	s_cbranch_execz .LBB30_47
.LBB30_58:
	v_add_f64 v[0:1], v[14:15], -v[16:17]
	v_lshlrev_b32_e32 v2, 3, v28
	v_add_f64 v[0:1], v[0:1], -v[30:31]
	global_store_dwordx2 v2, v[0:1], s[6:7]
	s_endpgm
	.section	.rodata,"a",@progbits
	.p2align	6, 0x0
	.amdhsa_kernel _ZN2at6native12_GLOBAL__N_122cunn_SoftMaxForwardRegIdddNS1_25LogSoftMaxForwardEpilogueElLi7EEEvPT1_PKT_T3_
		.amdhsa_group_segment_fixed_size 0
		.amdhsa_private_segment_fixed_size 0
		.amdhsa_kernarg_size 280
		.amdhsa_user_sgpr_count 6
		.amdhsa_user_sgpr_private_segment_buffer 1
		.amdhsa_user_sgpr_dispatch_ptr 0
		.amdhsa_user_sgpr_queue_ptr 0
		.amdhsa_user_sgpr_kernarg_segment_ptr 1
		.amdhsa_user_sgpr_dispatch_id 0
		.amdhsa_user_sgpr_flat_scratch_init 0
		.amdhsa_user_sgpr_kernarg_preload_length 0
		.amdhsa_user_sgpr_kernarg_preload_offset 0
		.amdhsa_user_sgpr_private_segment_size 0
		.amdhsa_uses_dynamic_stack 0
		.amdhsa_system_sgpr_private_segment_wavefront_offset 0
		.amdhsa_system_sgpr_workgroup_id_x 1
		.amdhsa_system_sgpr_workgroup_id_y 0
		.amdhsa_system_sgpr_workgroup_id_z 0
		.amdhsa_system_sgpr_workgroup_info 0
		.amdhsa_system_vgpr_workitem_id 0
		.amdhsa_next_free_vgpr 50
		.amdhsa_next_free_sgpr 31
		.amdhsa_accum_offset 52
		.amdhsa_reserve_vcc 1
		.amdhsa_reserve_flat_scratch 0
		.amdhsa_float_round_mode_32 0
		.amdhsa_float_round_mode_16_64 0
		.amdhsa_float_denorm_mode_32 3
		.amdhsa_float_denorm_mode_16_64 3
		.amdhsa_dx10_clamp 1
		.amdhsa_ieee_mode 1
		.amdhsa_fp16_overflow 0
		.amdhsa_tg_split 0
		.amdhsa_exception_fp_ieee_invalid_op 0
		.amdhsa_exception_fp_denorm_src 0
		.amdhsa_exception_fp_ieee_div_zero 0
		.amdhsa_exception_fp_ieee_overflow 0
		.amdhsa_exception_fp_ieee_underflow 0
		.amdhsa_exception_fp_ieee_inexact 0
		.amdhsa_exception_int_div_zero 0
	.end_amdhsa_kernel
	.section	.text._ZN2at6native12_GLOBAL__N_122cunn_SoftMaxForwardRegIdddNS1_25LogSoftMaxForwardEpilogueElLi7EEEvPT1_PKT_T3_,"axG",@progbits,_ZN2at6native12_GLOBAL__N_122cunn_SoftMaxForwardRegIdddNS1_25LogSoftMaxForwardEpilogueElLi7EEEvPT1_PKT_T3_,comdat
.Lfunc_end30:
	.size	_ZN2at6native12_GLOBAL__N_122cunn_SoftMaxForwardRegIdddNS1_25LogSoftMaxForwardEpilogueElLi7EEEvPT1_PKT_T3_, .Lfunc_end30-_ZN2at6native12_GLOBAL__N_122cunn_SoftMaxForwardRegIdddNS1_25LogSoftMaxForwardEpilogueElLi7EEEvPT1_PKT_T3_
                                        ; -- End function
	.section	.AMDGPU.csdata,"",@progbits
; Kernel info:
; codeLenInByte = 6072
; NumSgprs: 35
; NumVgprs: 50
; NumAgprs: 0
; TotalNumVgprs: 50
; ScratchSize: 0
; MemoryBound: 0
; FloatMode: 240
; IeeeMode: 1
; LDSByteSize: 0 bytes/workgroup (compile time only)
; SGPRBlocks: 4
; VGPRBlocks: 6
; NumSGPRsForWavesPerEU: 35
; NumVGPRsForWavesPerEU: 50
; AccumOffset: 52
; Occupancy: 8
; WaveLimiterHint : 0
; COMPUTE_PGM_RSRC2:SCRATCH_EN: 0
; COMPUTE_PGM_RSRC2:USER_SGPR: 6
; COMPUTE_PGM_RSRC2:TRAP_HANDLER: 0
; COMPUTE_PGM_RSRC2:TGID_X_EN: 1
; COMPUTE_PGM_RSRC2:TGID_Y_EN: 0
; COMPUTE_PGM_RSRC2:TGID_Z_EN: 0
; COMPUTE_PGM_RSRC2:TIDIG_COMP_CNT: 0
; COMPUTE_PGM_RSRC3_GFX90A:ACCUM_OFFSET: 12
; COMPUTE_PGM_RSRC3_GFX90A:TG_SPLIT: 0
	.section	.text._ZN2at6native12_GLOBAL__N_122cunn_SoftMaxForwardRegIdddNS1_25LogSoftMaxForwardEpilogueElLi8EEEvPT1_PKT_T3_,"axG",@progbits,_ZN2at6native12_GLOBAL__N_122cunn_SoftMaxForwardRegIdddNS1_25LogSoftMaxForwardEpilogueElLi8EEEvPT1_PKT_T3_,comdat
	.globl	_ZN2at6native12_GLOBAL__N_122cunn_SoftMaxForwardRegIdddNS1_25LogSoftMaxForwardEpilogueElLi8EEEvPT1_PKT_T3_ ; -- Begin function _ZN2at6native12_GLOBAL__N_122cunn_SoftMaxForwardRegIdddNS1_25LogSoftMaxForwardEpilogueElLi8EEEvPT1_PKT_T3_
	.p2align	8
	.type	_ZN2at6native12_GLOBAL__N_122cunn_SoftMaxForwardRegIdddNS1_25LogSoftMaxForwardEpilogueElLi8EEEvPT1_PKT_T3_,@function
_ZN2at6native12_GLOBAL__N_122cunn_SoftMaxForwardRegIdddNS1_25LogSoftMaxForwardEpilogueElLi8EEEvPT1_PKT_T3_: ; @_ZN2at6native12_GLOBAL__N_122cunn_SoftMaxForwardRegIdddNS1_25LogSoftMaxForwardEpilogueElLi8EEEvPT1_PKT_T3_
; %bb.0:
	s_load_dwordx2 s[24:25], s[4:5], 0x10
	s_load_dwordx4 s[28:31], s[4:5], 0x0
	s_load_dword s8, s[4:5], 0x24
	v_mov_b32_e32 v21, 0
	v_mov_b32_e32 v1, v21
	s_waitcnt lgkmcnt(0)
	s_mul_i32 s0, s6, s25
	s_mul_hi_u32 s1, s6, s24
	s_add_i32 s1, s1, s0
	s_mul_i32 s0, s6, s24
	s_lshl_b64 s[26:27], s[0:1], 3
	s_add_u32 s2, s30, s26
	s_addc_u32 s3, s31, s27
	s_mov_b32 s0, -1
	s_add_u32 s4, s4, 24
	s_mov_b32 s1, 0xffefffff
	s_addc_u32 s5, s5, 0
	v_cmp_gt_i64_e32 vcc, s[24:25], v[0:1]
	v_pk_mov_b32 v[18:19], s[0:1], s[0:1] op_sel:[0,1]
	v_lshlrev_b32_e32 v36, 3, v0
                                        ; implicit-def: $vgpr2_vgpr3_vgpr4_vgpr5_vgpr6_vgpr7_vgpr8_vgpr9_vgpr10_vgpr11_vgpr12_vgpr13_vgpr14_vgpr15_vgpr16_vgpr17
	s_and_saveexec_b64 s[6:7], vcc
	s_cbranch_execz .LBB31_2
; %bb.1:
	global_load_dwordx2 v[2:3], v36, s[2:3]
	s_waitcnt vmcnt(0)
	v_max_f64 v[4:5], v[2:3], v[2:3]
	v_max_f64 v[18:19], v[4:5], s[0:1]
.LBB31_2:
	s_or_b64 exec, exec, s[6:7]
	s_and_b32 s8, 0xffff, s8
	v_add_u32_e32 v20, s8, v0
	v_cmp_gt_i64_e64 s[0:1], s[24:25], v[20:21]
	s_and_saveexec_b64 s[6:7], s[0:1]
	s_cbranch_execz .LBB31_4
; %bb.3:
	v_lshlrev_b32_e32 v1, 3, v20
	global_load_dwordx2 v[4:5], v1, s[2:3]
	v_max_f64 v[18:19], v[18:19], v[18:19]
	s_waitcnt vmcnt(0)
	v_max_f64 v[22:23], v[4:5], v[4:5]
	v_max_f64 v[18:19], v[18:19], v[22:23]
.LBB31_4:
	s_or_b64 exec, exec, s[6:7]
	v_add_u32_e32 v20, s8, v20
	v_mov_b32_e32 v21, 0
	v_cmp_gt_i64_e64 s[0:1], s[24:25], v[20:21]
	s_and_saveexec_b64 s[6:7], s[0:1]
	s_cbranch_execz .LBB31_6
; %bb.5:
	v_lshlrev_b32_e32 v1, 3, v20
	global_load_dwordx2 v[6:7], v1, s[2:3]
	v_max_f64 v[18:19], v[18:19], v[18:19]
	s_waitcnt vmcnt(0)
	v_max_f64 v[22:23], v[6:7], v[6:7]
	v_max_f64 v[18:19], v[18:19], v[22:23]
.LBB31_6:
	s_or_b64 exec, exec, s[6:7]
	v_add_u32_e32 v20, s8, v20
	v_cmp_gt_i64_e64 s[0:1], s[24:25], v[20:21]
	s_and_saveexec_b64 s[6:7], s[0:1]
	s_cbranch_execz .LBB31_8
; %bb.7:
	v_lshlrev_b32_e32 v1, 3, v20
	global_load_dwordx2 v[8:9], v1, s[2:3]
	v_max_f64 v[18:19], v[18:19], v[18:19]
	s_waitcnt vmcnt(0)
	v_max_f64 v[22:23], v[8:9], v[8:9]
	v_max_f64 v[18:19], v[18:19], v[22:23]
.LBB31_8:
	s_or_b64 exec, exec, s[6:7]
	v_add_u32_e32 v20, s8, v20
	v_mov_b32_e32 v21, 0
	v_cmp_gt_i64_e64 s[0:1], s[24:25], v[20:21]
	s_and_saveexec_b64 s[6:7], s[0:1]
	s_cbranch_execz .LBB31_10
; %bb.9:
	v_lshlrev_b32_e32 v1, 3, v20
	global_load_dwordx2 v[10:11], v1, s[2:3]
	v_max_f64 v[18:19], v[18:19], v[18:19]
	s_waitcnt vmcnt(0)
	v_max_f64 v[22:23], v[10:11], v[10:11]
	v_max_f64 v[18:19], v[18:19], v[22:23]
.LBB31_10:
	s_or_b64 exec, exec, s[6:7]
	;; [unrolled: 27-line block ×3, first 2 shown]
	v_add_u32_e32 v20, s8, v20
	v_cmp_gt_i64_e64 s[0:1], s[24:25], v[20:21]
	s_and_saveexec_b64 s[6:7], s[0:1]
	s_cbranch_execz .LBB31_16
; %bb.15:
	v_lshlrev_b32_e32 v1, 3, v20
	global_load_dwordx2 v[16:17], v1, s[2:3]
	v_max_f64 v[18:19], v[18:19], v[18:19]
	s_waitcnt vmcnt(0)
	v_max_f64 v[20:21], v[16:17], v[16:17]
	v_max_f64 v[18:19], v[18:19], v[20:21]
.LBB31_16:
	s_or_b64 exec, exec, s[6:7]
	v_mbcnt_lo_u32_b32 v1, -1, 0
	v_mbcnt_hi_u32_b32 v22, -1, v1
	v_and_b32_e32 v23, 63, v22
	v_cmp_gt_u32_e64 s[0:1], 32, v23
	v_cndmask_b32_e64 v1, 0, 1, s[0:1]
	v_lshlrev_b32_e32 v1, 5, v1
	v_add_lshl_u32 v37, v1, v22, 2
	ds_bpermute_b32 v20, v37, v18
	ds_bpermute_b32 v21, v37, v19
	s_mov_b32 s6, -1
	v_lshrrev_b32_e32 v43, 3, v0
	s_waitcnt lgkmcnt(0)
	s_barrier
	v_cmp_lt_f64_e64 s[0:1], v[18:19], v[20:21]
	v_cndmask_b32_e64 v19, v19, v21, s[0:1]
	v_cndmask_b32_e64 v18, v18, v20, s[0:1]
	v_cmp_gt_u32_e64 s[0:1], 48, v23
	v_cndmask_b32_e64 v1, 0, 1, s[0:1]
	v_lshlrev_b32_e32 v1, 4, v1
	v_add_lshl_u32 v38, v1, v22, 2
	ds_bpermute_b32 v21, v38, v19
	ds_bpermute_b32 v20, v38, v18
	s_waitcnt lgkmcnt(0)
	v_cmp_lt_f64_e64 s[0:1], v[18:19], v[20:21]
	v_cndmask_b32_e64 v19, v19, v21, s[0:1]
	v_cndmask_b32_e64 v18, v18, v20, s[0:1]
	v_cmp_gt_u32_e64 s[0:1], 56, v23
	v_cndmask_b32_e64 v1, 0, 1, s[0:1]
	v_lshlrev_b32_e32 v1, 3, v1
	v_add_lshl_u32 v39, v1, v22, 2
	ds_bpermute_b32 v20, v39, v18
	ds_bpermute_b32 v21, v39, v19
	s_waitcnt lgkmcnt(0)
	;; [unrolled: 10-line block ×3, first 2 shown]
	v_cmp_lt_f64_e64 s[0:1], v[18:19], v[20:21]
	v_cndmask_b32_e64 v19, v19, v21, s[0:1]
	v_cndmask_b32_e64 v18, v18, v20, s[0:1]
	v_cmp_gt_u32_e64 s[0:1], 62, v23
	v_cndmask_b32_e64 v1, 0, 1, s[0:1]
	v_lshlrev_b32_e32 v1, 1, v1
	v_add_lshl_u32 v41, v1, v22, 2
	ds_bpermute_b32 v20, v41, v18
	ds_bpermute_b32 v21, v41, v19
	v_and_b32_e32 v1, 63, v0
	v_cmp_eq_u32_e64 s[2:3], 0, v1
	s_waitcnt lgkmcnt(0)
	v_cmp_lt_f64_e64 s[0:1], v[18:19], v[20:21]
	v_cndmask_b32_e64 v19, v19, v21, s[0:1]
	v_cndmask_b32_e64 v18, v18, v20, s[0:1]
	v_cmp_ne_u32_e64 s[0:1], 63, v23
	v_addc_co_u32_e64 v20, s[0:1], 0, v22, s[0:1]
	v_lshlrev_b32_e32 v42, 2, v20
	ds_bpermute_b32 v20, v42, v18
	ds_bpermute_b32 v21, v42, v19
	s_and_saveexec_b64 s[0:1], s[2:3]
	s_xor_b64 s[8:9], exec, s[0:1]
	s_cbranch_execz .LBB31_18
; %bb.17:
	s_waitcnt lgkmcnt(0)
	v_cmp_lt_f64_e64 s[0:1], v[18:19], v[20:21]
	v_add_u32_e32 v22, 0, v43
	v_cndmask_b32_e64 v19, v19, v21, s[0:1]
	v_cndmask_b32_e64 v18, v18, v20, s[0:1]
	ds_write_b64 v22, v[18:19]
.LBB31_18:
	s_or_b64 exec, exec, s[8:9]
	s_waitcnt lgkmcnt(0)
	s_barrier
	s_load_dword s10, s[4:5], 0xc
	s_mov_b32 s7, 0xffefffff
	v_pk_mov_b32 v[18:19], s[6:7], s[6:7] op_sel:[0,1]
	v_lshl_add_u32 v44, v1, 3, 0
	s_waitcnt lgkmcnt(0)
	s_bfe_u32 s0, s10, 0xa0006
	v_cmp_gt_u32_e64 s[4:5], s0, v0
	s_and_saveexec_b64 s[0:1], s[4:5]
	s_cbranch_execnz .LBB31_53
; %bb.19:
	s_or_b64 exec, exec, s[0:1]
	v_cmp_gt_u32_e64 s[6:7], 64, v0
	s_and_saveexec_b64 s[8:9], s[6:7]
	s_cbranch_execnz .LBB31_54
.LBB31_20:
	s_or_b64 exec, exec, s[8:9]
	v_cmp_eq_u32_e64 s[8:9], 0, v0
	s_and_saveexec_b64 s[0:1], s[8:9]
	s_cbranch_execz .LBB31_22
.LBB31_21:
	v_mov_b32_e32 v1, 0
	s_waitcnt lgkmcnt(0)
	ds_write_b64 v1, v[18:19]
.LBB31_22:
	s_or_b64 exec, exec, s[0:1]
	v_mov_b32_e32 v1, 0
	s_waitcnt lgkmcnt(0)
	s_barrier
	ds_read_b64 v[18:19], v1
	s_and_b32 s33, s10, 0xffff
	v_pk_mov_b32 v[24:25], 0, 0
	s_and_saveexec_b64 s[12:13], vcc
	s_cbranch_execz .LBB31_24
; %bb.23:
	s_mov_b32 s0, 0x652b82fe
	s_waitcnt lgkmcnt(0)
	v_add_f64 v[20:21], v[2:3], -v[18:19]
	s_mov_b32 s1, 0x3ff71547
	v_mul_f64 v[22:23], v[20:21], s[0:1]
	s_mov_b32 s0, 0xfefa39ef
	v_rndne_f64_e32 v[22:23], v[22:23]
	s_mov_b32 s1, 0xbfe62e42
	v_fma_f64 v[24:25], s[0:1], v[22:23], v[20:21]
	s_mov_b32 s0, 0x3b39803f
	s_mov_b32 s1, 0xbc7abc9e
	v_fmac_f64_e32 v[24:25], s[0:1], v[22:23]
	s_mov_b32 s0, 0x6a5dcb37
	v_mov_b32_e32 v26, 0xfca7ab0c
	v_mov_b32_e32 v27, 0x3e928af3
	s_mov_b32 s1, 0x3e5ade15
	v_fmac_f64_e32 v[26:27], s[0:1], v[24:25]
	v_mov_b32_e32 v28, 0x623fde64
	v_mov_b32_e32 v29, 0x3ec71dee
	v_fmac_f64_e32 v[28:29], v[24:25], v[26:27]
	v_mov_b32_e32 v26, 0x7c89e6b0
	v_mov_b32_e32 v27, 0x3efa0199
	;; [unrolled: 3-line block ×8, first 2 shown]
	v_fmac_f64_e32 v[26:27], v[24:25], v[28:29]
	v_fma_f64 v[26:27], v[24:25], v[26:27], 1.0
	v_fma_f64 v[24:25], v[24:25], v[26:27], 1.0
	v_cvt_i32_f64_e32 v22, v[22:23]
	s_mov_b32 s0, 0
	s_mov_b32 s10, 0
	v_ldexp_f64 v[22:23], v[24:25], v22
	s_mov_b32 s1, 0x40900000
	s_mov_b32 s11, 0xc090cc00
	v_add_f64 v[22:23], v[22:23], 0
	v_mov_b32_e32 v24, 0x7ff00000
	v_cmp_nlt_f64_e64 s[0:1], s[0:1], v[20:21]
	v_cmp_ngt_f64_e64 s[10:11], s[10:11], v[20:21]
	v_cndmask_b32_e64 v23, v24, v23, s[0:1]
	s_and_b64 s[0:1], s[10:11], s[0:1]
	v_cndmask_b32_e64 v25, 0, v23, s[10:11]
	v_cndmask_b32_e64 v24, 0, v22, s[0:1]
.LBB31_24:
	s_or_b64 exec, exec, s[12:13]
	v_add_u32_e32 v0, s33, v0
	v_cmp_gt_i64_e64 s[0:1], s[24:25], v[0:1]
	s_and_saveexec_b64 s[14:15], s[0:1]
	s_cbranch_execz .LBB31_26
; %bb.25:
	s_mov_b32 s10, 0x652b82fe
	s_waitcnt lgkmcnt(0)
	v_add_f64 v[20:21], v[4:5], -v[18:19]
	s_mov_b32 s11, 0x3ff71547
	v_mul_f64 v[22:23], v[20:21], s[10:11]
	s_mov_b32 s10, 0xfefa39ef
	v_rndne_f64_e32 v[22:23], v[22:23]
	s_mov_b32 s11, 0xbfe62e42
	v_fma_f64 v[26:27], s[10:11], v[22:23], v[20:21]
	s_mov_b32 s10, 0x3b39803f
	s_mov_b32 s11, 0xbc7abc9e
	v_fmac_f64_e32 v[26:27], s[10:11], v[22:23]
	s_mov_b32 s10, 0x6a5dcb37
	v_mov_b32_e32 v28, 0xfca7ab0c
	v_mov_b32_e32 v29, 0x3e928af3
	s_mov_b32 s11, 0x3e5ade15
	v_fmac_f64_e32 v[28:29], s[10:11], v[26:27]
	v_mov_b32_e32 v30, 0x623fde64
	v_mov_b32_e32 v31, 0x3ec71dee
	v_fmac_f64_e32 v[30:31], v[26:27], v[28:29]
	v_mov_b32_e32 v28, 0x7c89e6b0
	v_mov_b32_e32 v29, 0x3efa0199
	;; [unrolled: 3-line block ×8, first 2 shown]
	v_fmac_f64_e32 v[28:29], v[26:27], v[30:31]
	v_fma_f64 v[28:29], v[26:27], v[28:29], 1.0
	s_mov_b32 s10, 0
	s_mov_b32 s12, 0
	v_fma_f64 v[26:27], v[26:27], v[28:29], 1.0
	v_cvt_i32_f64_e32 v22, v[22:23]
	s_mov_b32 s11, 0x40900000
	s_mov_b32 s13, 0xc090cc00
	v_ldexp_f64 v[22:23], v[26:27], v22
	v_mov_b32_e32 v26, 0x7ff00000
	v_cmp_nlt_f64_e64 s[10:11], s[10:11], v[20:21]
	v_cmp_ngt_f64_e64 s[12:13], s[12:13], v[20:21]
	v_cndmask_b32_e64 v23, v26, v23, s[10:11]
	s_and_b64 s[10:11], s[12:13], s[10:11]
	v_cndmask_b32_e64 v21, 0, v23, s[12:13]
	v_cndmask_b32_e64 v20, 0, v22, s[10:11]
	v_add_f64 v[24:25], v[24:25], v[20:21]
.LBB31_26:
	s_or_b64 exec, exec, s[14:15]
	v_add_u32_e32 v20, s33, v0
	v_mov_b32_e32 v21, v1
	v_cmp_gt_i64_e64 s[10:11], s[24:25], v[20:21]
	s_and_saveexec_b64 s[16:17], s[10:11]
	s_cbranch_execz .LBB31_28
; %bb.27:
	s_mov_b32 s12, 0x652b82fe
	s_waitcnt lgkmcnt(0)
	v_add_f64 v[22:23], v[6:7], -v[18:19]
	s_mov_b32 s13, 0x3ff71547
	v_mul_f64 v[26:27], v[22:23], s[12:13]
	s_mov_b32 s12, 0xfefa39ef
	v_rndne_f64_e32 v[26:27], v[26:27]
	s_mov_b32 s13, 0xbfe62e42
	v_fma_f64 v[28:29], s[12:13], v[26:27], v[22:23]
	s_mov_b32 s12, 0x3b39803f
	s_mov_b32 s13, 0xbc7abc9e
	v_fmac_f64_e32 v[28:29], s[12:13], v[26:27]
	s_mov_b32 s12, 0x6a5dcb37
	v_mov_b32_e32 v30, 0xfca7ab0c
	v_mov_b32_e32 v31, 0x3e928af3
	s_mov_b32 s13, 0x3e5ade15
	v_fmac_f64_e32 v[30:31], s[12:13], v[28:29]
	v_mov_b32_e32 v32, 0x623fde64
	v_mov_b32_e32 v33, 0x3ec71dee
	v_fmac_f64_e32 v[32:33], v[28:29], v[30:31]
	v_mov_b32_e32 v30, 0x7c89e6b0
	v_mov_b32_e32 v31, 0x3efa0199
	;; [unrolled: 3-line block ×8, first 2 shown]
	v_fmac_f64_e32 v[30:31], v[28:29], v[32:33]
	v_fma_f64 v[30:31], v[28:29], v[30:31], 1.0
	s_mov_b32 s12, 0
	s_mov_b32 s14, 0
	v_fma_f64 v[28:29], v[28:29], v[30:31], 1.0
	v_cvt_i32_f64_e32 v1, v[26:27]
	s_mov_b32 s13, 0x40900000
	s_mov_b32 s15, 0xc090cc00
	v_ldexp_f64 v[26:27], v[28:29], v1
	v_mov_b32_e32 v1, 0x7ff00000
	v_cmp_nlt_f64_e64 s[12:13], s[12:13], v[22:23]
	v_cmp_ngt_f64_e64 s[14:15], s[14:15], v[22:23]
	v_cndmask_b32_e64 v1, v1, v27, s[12:13]
	s_and_b64 s[12:13], s[14:15], s[12:13]
	v_cndmask_b32_e64 v23, 0, v1, s[14:15]
	v_cndmask_b32_e64 v22, 0, v26, s[12:13]
	v_add_f64 v[24:25], v[24:25], v[22:23]
.LBB31_28:
	s_or_b64 exec, exec, s[16:17]
	v_add_u32_e32 v22, s33, v20
	v_mov_b32_e32 v23, 0
	v_cmp_gt_i64_e64 s[12:13], s[24:25], v[22:23]
	s_and_saveexec_b64 s[18:19], s[12:13]
	s_cbranch_execz .LBB31_30
; %bb.29:
	s_mov_b32 s14, 0x652b82fe
	s_waitcnt lgkmcnt(0)
	v_add_f64 v[26:27], v[8:9], -v[18:19]
	s_mov_b32 s15, 0x3ff71547
	v_mul_f64 v[28:29], v[26:27], s[14:15]
	s_mov_b32 s14, 0xfefa39ef
	v_rndne_f64_e32 v[28:29], v[28:29]
	s_mov_b32 s15, 0xbfe62e42
	v_fma_f64 v[30:31], s[14:15], v[28:29], v[26:27]
	s_mov_b32 s14, 0x3b39803f
	s_mov_b32 s15, 0xbc7abc9e
	v_fmac_f64_e32 v[30:31], s[14:15], v[28:29]
	s_mov_b32 s14, 0x6a5dcb37
	v_mov_b32_e32 v32, 0xfca7ab0c
	v_mov_b32_e32 v33, 0x3e928af3
	s_mov_b32 s15, 0x3e5ade15
	v_fmac_f64_e32 v[32:33], s[14:15], v[30:31]
	v_mov_b32_e32 v34, 0x623fde64
	v_mov_b32_e32 v35, 0x3ec71dee
	v_fmac_f64_e32 v[34:35], v[30:31], v[32:33]
	v_mov_b32_e32 v32, 0x7c89e6b0
	v_mov_b32_e32 v33, 0x3efa0199
	;; [unrolled: 3-line block ×8, first 2 shown]
	v_fmac_f64_e32 v[32:33], v[30:31], v[34:35]
	v_fma_f64 v[32:33], v[30:31], v[32:33], 1.0
	s_mov_b32 s14, 0
	s_mov_b32 s16, 0
	v_fma_f64 v[30:31], v[30:31], v[32:33], 1.0
	v_cvt_i32_f64_e32 v1, v[28:29]
	s_mov_b32 s15, 0x40900000
	s_mov_b32 s17, 0xc090cc00
	v_ldexp_f64 v[28:29], v[30:31], v1
	v_mov_b32_e32 v1, 0x7ff00000
	v_cmp_nlt_f64_e64 s[14:15], s[14:15], v[26:27]
	v_cmp_ngt_f64_e64 s[16:17], s[16:17], v[26:27]
	v_cndmask_b32_e64 v1, v1, v29, s[14:15]
	s_and_b64 s[14:15], s[16:17], s[14:15]
	v_cndmask_b32_e64 v27, 0, v1, s[16:17]
	v_cndmask_b32_e64 v26, 0, v28, s[14:15]
	v_add_f64 v[24:25], v[24:25], v[26:27]
.LBB31_30:
	s_or_b64 exec, exec, s[18:19]
	v_add_u32_e32 v26, s33, v22
	v_mov_b32_e32 v27, v23
	v_cmp_gt_i64_e64 s[14:15], s[24:25], v[26:27]
	s_and_saveexec_b64 s[20:21], s[14:15]
	s_cbranch_execz .LBB31_32
; %bb.31:
	s_mov_b32 s16, 0x652b82fe
	s_waitcnt lgkmcnt(0)
	v_add_f64 v[28:29], v[10:11], -v[18:19]
	s_mov_b32 s17, 0x3ff71547
	v_mul_f64 v[30:31], v[28:29], s[16:17]
	s_mov_b32 s16, 0xfefa39ef
	v_rndne_f64_e32 v[30:31], v[30:31]
	s_mov_b32 s17, 0xbfe62e42
	v_fma_f64 v[32:33], s[16:17], v[30:31], v[28:29]
	s_mov_b32 s16, 0x3b39803f
	s_mov_b32 s17, 0xbc7abc9e
	v_fmac_f64_e32 v[32:33], s[16:17], v[30:31]
	s_mov_b32 s16, 0x6a5dcb37
	v_mov_b32_e32 v34, 0xfca7ab0c
	v_mov_b32_e32 v35, 0x3e928af3
	s_mov_b32 s17, 0x3e5ade15
	v_fmac_f64_e32 v[34:35], s[16:17], v[32:33]
	v_mov_b32_e32 v46, 0x623fde64
	v_mov_b32_e32 v47, 0x3ec71dee
	v_fmac_f64_e32 v[46:47], v[32:33], v[34:35]
	v_mov_b32_e32 v34, 0x7c89e6b0
	v_mov_b32_e32 v35, 0x3efa0199
	;; [unrolled: 3-line block ×8, first 2 shown]
	v_fmac_f64_e32 v[34:35], v[32:33], v[46:47]
	v_fma_f64 v[34:35], v[32:33], v[34:35], 1.0
	s_mov_b32 s16, 0
	s_mov_b32 s18, 0
	v_fma_f64 v[32:33], v[32:33], v[34:35], 1.0
	v_cvt_i32_f64_e32 v1, v[30:31]
	s_mov_b32 s17, 0x40900000
	s_mov_b32 s19, 0xc090cc00
	v_ldexp_f64 v[30:31], v[32:33], v1
	v_mov_b32_e32 v1, 0x7ff00000
	v_cmp_nlt_f64_e64 s[16:17], s[16:17], v[28:29]
	v_cmp_ngt_f64_e64 s[18:19], s[18:19], v[28:29]
	v_cndmask_b32_e64 v1, v1, v31, s[16:17]
	s_and_b64 s[16:17], s[18:19], s[16:17]
	v_cndmask_b32_e64 v29, 0, v1, s[18:19]
	v_cndmask_b32_e64 v28, 0, v30, s[16:17]
	v_add_f64 v[24:25], v[24:25], v[28:29]
.LBB31_32:
	s_or_b64 exec, exec, s[20:21]
	v_add_u32_e32 v28, s33, v26
	v_mov_b32_e32 v29, 0
	v_cmp_gt_i64_e64 s[16:17], s[24:25], v[28:29]
	s_and_saveexec_b64 s[22:23], s[16:17]
	s_cbranch_execz .LBB31_34
; %bb.33:
	s_mov_b32 s18, 0x652b82fe
	s_waitcnt lgkmcnt(0)
	v_add_f64 v[30:31], v[12:13], -v[18:19]
	s_mov_b32 s19, 0x3ff71547
	v_mul_f64 v[32:33], v[30:31], s[18:19]
	s_mov_b32 s18, 0xfefa39ef
	v_rndne_f64_e32 v[32:33], v[32:33]
	s_mov_b32 s19, 0xbfe62e42
	v_fma_f64 v[34:35], s[18:19], v[32:33], v[30:31]
	s_mov_b32 s18, 0x3b39803f
	s_mov_b32 s19, 0xbc7abc9e
	v_fmac_f64_e32 v[34:35], s[18:19], v[32:33]
	s_mov_b32 s18, 0x6a5dcb37
	v_mov_b32_e32 v46, 0xfca7ab0c
	v_mov_b32_e32 v47, 0x3e928af3
	s_mov_b32 s19, 0x3e5ade15
	v_fmac_f64_e32 v[46:47], s[18:19], v[34:35]
	v_mov_b32_e32 v48, 0x623fde64
	v_mov_b32_e32 v49, 0x3ec71dee
	v_fmac_f64_e32 v[48:49], v[34:35], v[46:47]
	v_mov_b32_e32 v46, 0x7c89e6b0
	v_mov_b32_e32 v47, 0x3efa0199
	;; [unrolled: 3-line block ×8, first 2 shown]
	v_fmac_f64_e32 v[46:47], v[34:35], v[48:49]
	v_fma_f64 v[46:47], v[34:35], v[46:47], 1.0
	s_mov_b32 s18, 0
	s_mov_b32 s20, 0
	v_fma_f64 v[34:35], v[34:35], v[46:47], 1.0
	v_cvt_i32_f64_e32 v1, v[32:33]
	s_mov_b32 s19, 0x40900000
	s_mov_b32 s21, 0xc090cc00
	v_ldexp_f64 v[32:33], v[34:35], v1
	v_mov_b32_e32 v1, 0x7ff00000
	v_cmp_nlt_f64_e64 s[18:19], s[18:19], v[30:31]
	v_cmp_ngt_f64_e64 s[20:21], s[20:21], v[30:31]
	v_cndmask_b32_e64 v1, v1, v33, s[18:19]
	s_and_b64 s[18:19], s[20:21], s[18:19]
	v_cndmask_b32_e64 v31, 0, v1, s[20:21]
	v_cndmask_b32_e64 v30, 0, v32, s[18:19]
	v_add_f64 v[24:25], v[24:25], v[30:31]
.LBB31_34:
	s_or_b64 exec, exec, s[22:23]
	v_add_u32_e32 v30, s33, v28
	v_mov_b32_e32 v31, v29
	v_cmp_gt_i64_e64 s[18:19], s[24:25], v[30:31]
	s_and_saveexec_b64 s[30:31], s[18:19]
	s_cbranch_execz .LBB31_36
; %bb.35:
	s_mov_b32 s20, 0x652b82fe
	s_waitcnt lgkmcnt(0)
	v_add_f64 v[32:33], v[14:15], -v[18:19]
	s_mov_b32 s21, 0x3ff71547
	v_mul_f64 v[34:35], v[32:33], s[20:21]
	s_mov_b32 s20, 0xfefa39ef
	v_rndne_f64_e32 v[34:35], v[34:35]
	s_mov_b32 s21, 0xbfe62e42
	v_fma_f64 v[46:47], s[20:21], v[34:35], v[32:33]
	s_mov_b32 s20, 0x3b39803f
	s_mov_b32 s21, 0xbc7abc9e
	v_fmac_f64_e32 v[46:47], s[20:21], v[34:35]
	s_mov_b32 s20, 0x6a5dcb37
	v_mov_b32_e32 v48, 0xfca7ab0c
	v_mov_b32_e32 v49, 0x3e928af3
	s_mov_b32 s21, 0x3e5ade15
	v_fmac_f64_e32 v[48:49], s[20:21], v[46:47]
	v_mov_b32_e32 v50, 0x623fde64
	v_mov_b32_e32 v51, 0x3ec71dee
	v_fmac_f64_e32 v[50:51], v[46:47], v[48:49]
	v_mov_b32_e32 v48, 0x7c89e6b0
	v_mov_b32_e32 v49, 0x3efa0199
	;; [unrolled: 3-line block ×8, first 2 shown]
	v_fmac_f64_e32 v[48:49], v[46:47], v[50:51]
	v_fma_f64 v[48:49], v[46:47], v[48:49], 1.0
	s_mov_b32 s20, 0
	s_mov_b32 s22, 0
	v_fma_f64 v[46:47], v[46:47], v[48:49], 1.0
	v_cvt_i32_f64_e32 v1, v[34:35]
	s_mov_b32 s21, 0x40900000
	s_mov_b32 s23, 0xc090cc00
	v_ldexp_f64 v[34:35], v[46:47], v1
	v_mov_b32_e32 v1, 0x7ff00000
	v_cmp_nlt_f64_e64 s[20:21], s[20:21], v[32:33]
	v_cmp_ngt_f64_e64 s[22:23], s[22:23], v[32:33]
	v_cndmask_b32_e64 v1, v1, v35, s[20:21]
	s_and_b64 s[20:21], s[22:23], s[20:21]
	v_cndmask_b32_e64 v33, 0, v1, s[22:23]
	v_cndmask_b32_e64 v32, 0, v34, s[20:21]
	v_add_f64 v[24:25], v[24:25], v[32:33]
.LBB31_36:
	s_or_b64 exec, exec, s[30:31]
	v_add_u32_e32 v32, s33, v30
	v_mov_b32_e32 v33, 0
	v_cmp_gt_i64_e64 s[20:21], s[24:25], v[32:33]
	s_and_saveexec_b64 s[30:31], s[20:21]
	s_cbranch_execz .LBB31_38
; %bb.37:
	s_mov_b32 s22, 0x652b82fe
	s_waitcnt lgkmcnt(0)
	v_add_f64 v[34:35], v[16:17], -v[18:19]
	s_mov_b32 s23, 0x3ff71547
	v_mul_f64 v[46:47], v[34:35], s[22:23]
	s_mov_b32 s22, 0xfefa39ef
	v_rndne_f64_e32 v[46:47], v[46:47]
	s_mov_b32 s23, 0xbfe62e42
	v_fma_f64 v[48:49], s[22:23], v[46:47], v[34:35]
	s_mov_b32 s22, 0x3b39803f
	s_mov_b32 s23, 0xbc7abc9e
	v_fmac_f64_e32 v[48:49], s[22:23], v[46:47]
	s_mov_b32 s22, 0x6a5dcb37
	v_mov_b32_e32 v50, 0xfca7ab0c
	v_mov_b32_e32 v51, 0x3e928af3
	s_mov_b32 s23, 0x3e5ade15
	v_fmac_f64_e32 v[50:51], s[22:23], v[48:49]
	v_mov_b32_e32 v52, 0x623fde64
	v_mov_b32_e32 v53, 0x3ec71dee
	v_fmac_f64_e32 v[52:53], v[48:49], v[50:51]
	v_mov_b32_e32 v50, 0x7c89e6b0
	v_mov_b32_e32 v51, 0x3efa0199
	;; [unrolled: 3-line block ×8, first 2 shown]
	v_fmac_f64_e32 v[50:51], v[48:49], v[52:53]
	v_fma_f64 v[50:51], v[48:49], v[50:51], 1.0
	s_mov_b32 s22, 0
	s_mov_b32 s24, 0
	v_fma_f64 v[48:49], v[48:49], v[50:51], 1.0
	v_cvt_i32_f64_e32 v1, v[46:47]
	s_mov_b32 s23, 0x40900000
	s_mov_b32 s25, 0xc090cc00
	v_ldexp_f64 v[46:47], v[48:49], v1
	v_mov_b32_e32 v1, 0x7ff00000
	v_cmp_nlt_f64_e64 s[22:23], s[22:23], v[34:35]
	v_cmp_ngt_f64_e64 s[24:25], s[24:25], v[34:35]
	v_cndmask_b32_e64 v1, v1, v47, s[22:23]
	s_and_b64 s[22:23], s[24:25], s[22:23]
	v_cndmask_b32_e64 v35, 0, v1, s[24:25]
	v_cndmask_b32_e64 v34, 0, v46, s[22:23]
	v_add_f64 v[24:25], v[24:25], v[34:35]
.LBB31_38:
	s_or_b64 exec, exec, s[30:31]
	ds_bpermute_b32 v34, v37, v24
	ds_bpermute_b32 v35, v37, v25
	s_waitcnt lgkmcnt(0)
	s_barrier
	v_add_f64 v[24:25], v[24:25], v[34:35]
	ds_bpermute_b32 v34, v38, v24
	ds_bpermute_b32 v35, v38, v25
	s_waitcnt lgkmcnt(0)
	v_add_f64 v[24:25], v[24:25], v[34:35]
	ds_bpermute_b32 v34, v39, v24
	ds_bpermute_b32 v35, v39, v25
	s_waitcnt lgkmcnt(0)
	;; [unrolled: 4-line block ×4, first 2 shown]
	v_add_f64 v[24:25], v[24:25], v[34:35]
	ds_bpermute_b32 v34, v42, v24
	ds_bpermute_b32 v35, v42, v25
	s_and_saveexec_b64 s[22:23], s[2:3]
	s_xor_b64 s[2:3], exec, s[22:23]
	s_cbranch_execz .LBB31_40
; %bb.39:
	v_add_u32_e32 v1, 0, v43
	s_waitcnt lgkmcnt(0)
	v_add_f64 v[24:25], v[24:25], v[34:35]
	ds_write_b64 v1, v[24:25]
.LBB31_40:
	s_or_b64 exec, exec, s[2:3]
	v_pk_mov_b32 v[24:25], 0, 0
	s_waitcnt lgkmcnt(0)
	s_barrier
	s_and_saveexec_b64 s[2:3], s[4:5]
	s_cbranch_execnz .LBB31_55
; %bb.41:
	s_or_b64 exec, exec, s[2:3]
	s_and_saveexec_b64 s[2:3], s[6:7]
	s_cbranch_execnz .LBB31_56
.LBB31_42:
	s_or_b64 exec, exec, s[2:3]
	s_and_saveexec_b64 s[2:3], s[8:9]
	s_cbranch_execz .LBB31_44
.LBB31_43:
	v_mov_b32_e32 v1, 0
	s_waitcnt lgkmcnt(0)
	ds_write_b64 v1, v[24:25]
.LBB31_44:
	s_or_b64 exec, exec, s[2:3]
	v_mov_b32_e32 v1, 0
	s_waitcnt lgkmcnt(0)
	s_barrier
	ds_read_b64 v[24:25], v1
	s_mov_b32 s2, 0x55555555
	s_add_u32 s6, s28, s26
	s_mov_b32 s3, 0x3fe55555
	s_addc_u32 s7, s29, s27
	s_waitcnt lgkmcnt(0)
	v_frexp_mant_f64_e32 v[34:35], v[24:25]
	v_frexp_exp_i32_f64_e32 v1, v[24:25]
	v_cmp_gt_f64_e64 s[2:3], s[2:3], v[34:35]
	v_subbrev_co_u32_e64 v1, s[4:5], 0, v1, s[2:3]
	s_and_b64 s[2:3], s[2:3], exec
	s_mov_b32 s8, 0
	s_cselect_b32 s9, 2.0, 0x3ff00000
	v_mul_f64 v[34:35], v[34:35], s[8:9]
	v_add_f64 v[38:39], v[34:35], 1.0
	v_rcp_f64_e32 v[40:41], v[38:39]
	v_add_f64 v[44:45], v[38:39], -1.0
	v_add_f64 v[42:43], v[34:35], -1.0
	v_add_f64 v[34:35], v[34:35], -v[44:45]
	v_fma_f64 v[44:45], -v[38:39], v[40:41], 1.0
	v_fmac_f64_e32 v[40:41], v[44:45], v[40:41]
	v_fma_f64 v[44:45], -v[38:39], v[40:41], 1.0
	v_fmac_f64_e32 v[40:41], v[44:45], v[40:41]
	v_mul_f64 v[44:45], v[42:43], v[40:41]
	v_mul_f64 v[46:47], v[38:39], v[44:45]
	v_fma_f64 v[38:39], v[44:45], v[38:39], -v[46:47]
	v_fmac_f64_e32 v[38:39], v[44:45], v[34:35]
	v_add_f64 v[34:35], v[46:47], v[38:39]
	v_add_f64 v[48:49], v[42:43], -v[34:35]
	v_add_f64 v[46:47], v[34:35], -v[46:47]
	v_add_f64 v[42:43], v[42:43], -v[48:49]
	v_add_f64 v[34:35], v[42:43], -v[34:35]
	v_add_f64 v[38:39], v[46:47], -v[38:39]
	v_add_f64 v[34:35], v[38:39], v[34:35]
	v_add_f64 v[34:35], v[48:49], v[34:35]
	v_mul_f64 v[34:35], v[40:41], v[34:35]
	v_add_f64 v[38:39], v[44:45], v[34:35]
	v_add_f64 v[40:41], v[38:39], -v[44:45]
	s_mov_b32 s2, 0xbf559e2b
	v_add_f64 v[34:35], v[34:35], -v[40:41]
	v_mul_f64 v[40:41], v[38:39], v[38:39]
	v_mov_b32_e32 v42, 0x6b47b09a
	v_mov_b32_e32 v43, 0x3fc38538
	s_mov_b32 s3, 0x3fc3ab76
	v_fmac_f64_e32 v[42:43], s[2:3], v[40:41]
	v_mov_b32_e32 v44, 0xd7f4df2e
	v_mov_b32_e32 v45, 0x3fc7474d
	v_fmac_f64_e32 v[44:45], v[40:41], v[42:43]
	v_mov_b32_e32 v42, 0x16291751
	v_mov_b32_e32 v43, 0x3fcc71c0
	v_fmac_f64_e32 v[42:43], v[40:41], v[44:45]
	v_mov_b32_e32 v44, 0x9b27acf1
	v_mov_b32_e32 v45, 0x3fd24924
	v_fmac_f64_e32 v[44:45], v[40:41], v[42:43]
	v_mov_b32_e32 v42, 0x998ef7b6
	v_mov_b32_e32 v43, 0x3fd99999
	v_fmac_f64_e32 v[42:43], v[40:41], v[44:45]
	v_mov_b32_e32 v44, 0x55555780
	v_mov_b32_e32 v45, 0x3fe55555
	v_fmac_f64_e32 v[44:45], v[40:41], v[42:43]
	v_ldexp_f64 v[42:43], v[38:39], 1
	v_mul_f64 v[38:39], v[38:39], v[40:41]
	v_mul_f64 v[38:39], v[38:39], v[44:45]
	v_add_f64 v[40:41], v[42:43], v[38:39]
	v_add_f64 v[42:43], v[40:41], -v[42:43]
	v_ldexp_f64 v[34:35], v[34:35], 1
	v_add_f64 v[38:39], v[38:39], -v[42:43]
	v_add_f64 v[34:35], v[34:35], v[38:39]
	v_add_f64 v[38:39], v[40:41], v[34:35]
	v_add_f64 v[40:41], v[38:39], -v[40:41]
	s_mov_b32 s2, 0xfefa39ef
	v_add_f64 v[34:35], v[34:35], -v[40:41]
	v_cvt_f64_i32_e32 v[40:41], v1
	s_mov_b32 s3, 0x3fe62e42
	v_mul_f64 v[42:43], v[40:41], s[2:3]
	v_fma_f64 v[44:45], v[40:41], s[2:3], -v[42:43]
	s_mov_b32 s2, 0x3b39803f
	s_mov_b32 s3, 0x3c7abc9e
	v_fmac_f64_e32 v[44:45], s[2:3], v[40:41]
	v_add_f64 v[40:41], v[42:43], v[44:45]
	v_add_f64 v[42:43], v[40:41], -v[42:43]
	v_add_f64 v[42:43], v[44:45], -v[42:43]
	v_add_f64 v[44:45], v[40:41], v[38:39]
	v_add_f64 v[46:47], v[44:45], -v[40:41]
	v_add_f64 v[48:49], v[44:45], -v[46:47]
	;; [unrolled: 1-line block ×4, first 2 shown]
	v_add_f64 v[38:39], v[38:39], v[40:41]
	v_add_f64 v[40:41], v[42:43], v[34:35]
	v_add_f64 v[46:47], v[40:41], -v[42:43]
	v_add_f64 v[48:49], v[40:41], -v[46:47]
	v_add_f64 v[38:39], v[40:41], v[38:39]
	v_add_f64 v[42:43], v[42:43], -v[48:49]
	v_add_f64 v[34:35], v[34:35], -v[46:47]
	v_add_f64 v[40:41], v[44:45], v[38:39]
	v_add_f64 v[34:35], v[34:35], v[42:43]
	v_add_f64 v[42:43], v[40:41], -v[44:45]
	v_add_f64 v[38:39], v[38:39], -v[42:43]
	v_add_f64 v[34:35], v[34:35], v[38:39]
	s_movk_i32 s2, 0x204
	v_add_f64 v[34:35], v[40:41], v[34:35]
	v_cmp_class_f64_e64 s[2:3], v[24:25], s2
	v_cndmask_b32_e64 v1, v34, v24, s[2:3]
	v_cndmask_b32_e64 v21, v35, v25, s[2:3]
	v_mov_b32_e32 v23, 0x7ff80000
	v_cmp_ngt_f64_e64 s[2:3], 0, v[24:25]
	v_cndmask_b32_e64 v21, v23, v21, s[2:3]
	v_cmp_nge_f64_e64 s[2:3], 0, v[24:25]
	v_cndmask_b32_e64 v34, 0, v1, s[2:3]
	v_mov_b32_e32 v1, 0xfff00000
	v_cmp_neq_f64_e64 s[2:3], 0, v[24:25]
	v_cndmask_b32_e64 v35, v1, v21, s[2:3]
	s_and_saveexec_b64 s[2:3], vcc
	s_cbranch_execnz .LBB31_57
; %bb.45:
	s_or_b64 exec, exec, s[2:3]
	s_and_saveexec_b64 s[2:3], s[0:1]
	s_cbranch_execnz .LBB31_58
.LBB31_46:
	s_or_b64 exec, exec, s[2:3]
	s_and_saveexec_b64 s[0:1], s[10:11]
	s_cbranch_execnz .LBB31_59
.LBB31_47:
	s_or_b64 exec, exec, s[0:1]
	s_and_saveexec_b64 s[0:1], s[12:13]
	s_cbranch_execnz .LBB31_60
.LBB31_48:
	s_or_b64 exec, exec, s[0:1]
	s_and_saveexec_b64 s[0:1], s[14:15]
	s_cbranch_execnz .LBB31_61
.LBB31_49:
	s_or_b64 exec, exec, s[0:1]
	s_and_saveexec_b64 s[0:1], s[16:17]
	s_cbranch_execnz .LBB31_62
.LBB31_50:
	s_or_b64 exec, exec, s[0:1]
	s_and_saveexec_b64 s[0:1], s[18:19]
	s_cbranch_execnz .LBB31_63
.LBB31_51:
	s_or_b64 exec, exec, s[0:1]
	s_and_saveexec_b64 s[0:1], s[20:21]
	s_cbranch_execnz .LBB31_64
.LBB31_52:
	s_endpgm
.LBB31_53:
	ds_read_b64 v[18:19], v44
	s_or_b64 exec, exec, s[0:1]
	v_cmp_gt_u32_e64 s[6:7], 64, v0
	s_and_saveexec_b64 s[8:9], s[6:7]
	s_cbranch_execz .LBB31_20
.LBB31_54:
	s_waitcnt lgkmcnt(0)
	ds_bpermute_b32 v20, v37, v18
	ds_bpermute_b32 v21, v37, v19
	s_waitcnt lgkmcnt(0)
	v_cmp_lt_f64_e64 s[0:1], v[18:19], v[20:21]
	v_cndmask_b32_e64 v19, v19, v21, s[0:1]
	v_cndmask_b32_e64 v18, v18, v20, s[0:1]
	ds_bpermute_b32 v21, v38, v19
	ds_bpermute_b32 v20, v38, v18
	s_waitcnt lgkmcnt(0)
	v_cmp_lt_f64_e64 s[0:1], v[18:19], v[20:21]
	v_cndmask_b32_e64 v19, v19, v21, s[0:1]
	v_cndmask_b32_e64 v18, v18, v20, s[0:1]
	;; [unrolled: 6-line block ×6, first 2 shown]
	s_or_b64 exec, exec, s[8:9]
	v_cmp_eq_u32_e64 s[8:9], 0, v0
	s_and_saveexec_b64 s[0:1], s[8:9]
	s_cbranch_execnz .LBB31_21
	s_branch .LBB31_22
.LBB31_55:
	ds_read_b64 v[24:25], v44
	s_or_b64 exec, exec, s[2:3]
	s_and_saveexec_b64 s[2:3], s[6:7]
	s_cbranch_execz .LBB31_42
.LBB31_56:
	s_waitcnt lgkmcnt(0)
	ds_bpermute_b32 v34, v37, v24
	ds_bpermute_b32 v35, v37, v25
	s_waitcnt lgkmcnt(0)
	v_add_f64 v[24:25], v[24:25], v[34:35]
	ds_bpermute_b32 v34, v38, v24
	ds_bpermute_b32 v35, v38, v25
	s_waitcnt lgkmcnt(0)
	v_add_f64 v[24:25], v[24:25], v[34:35]
	;; [unrolled: 4-line block ×6, first 2 shown]
	s_or_b64 exec, exec, s[2:3]
	s_and_saveexec_b64 s[2:3], s[8:9]
	s_cbranch_execnz .LBB31_43
	s_branch .LBB31_44
.LBB31_57:
	v_add_f64 v[2:3], v[2:3], -v[18:19]
	v_add_f64 v[2:3], v[2:3], -v[34:35]
	global_store_dwordx2 v36, v[2:3], s[6:7]
	s_or_b64 exec, exec, s[2:3]
	s_and_saveexec_b64 s[2:3], s[0:1]
	s_cbranch_execz .LBB31_46
.LBB31_58:
	v_lshlrev_b32_e32 v2, 3, v0
	v_add_f64 v[0:1], v[4:5], -v[18:19]
	v_add_f64 v[0:1], v[0:1], -v[34:35]
	global_store_dwordx2 v2, v[0:1], s[6:7]
	s_or_b64 exec, exec, s[2:3]
	s_and_saveexec_b64 s[0:1], s[10:11]
	s_cbranch_execz .LBB31_47
.LBB31_59:
	v_add_f64 v[0:1], v[6:7], -v[18:19]
	v_lshlrev_b32_e32 v2, 3, v20
	v_add_f64 v[0:1], v[0:1], -v[34:35]
	global_store_dwordx2 v2, v[0:1], s[6:7]
	s_or_b64 exec, exec, s[0:1]
	s_and_saveexec_b64 s[0:1], s[12:13]
	s_cbranch_execz .LBB31_48
.LBB31_60:
	v_add_f64 v[0:1], v[8:9], -v[18:19]
	v_lshlrev_b32_e32 v2, 3, v22
	v_add_f64 v[0:1], v[0:1], -v[34:35]
	global_store_dwordx2 v2, v[0:1], s[6:7]
	s_or_b64 exec, exec, s[0:1]
	s_and_saveexec_b64 s[0:1], s[14:15]
	s_cbranch_execz .LBB31_49
.LBB31_61:
	v_add_f64 v[0:1], v[10:11], -v[18:19]
	v_lshlrev_b32_e32 v2, 3, v26
	v_add_f64 v[0:1], v[0:1], -v[34:35]
	global_store_dwordx2 v2, v[0:1], s[6:7]
	s_or_b64 exec, exec, s[0:1]
	s_and_saveexec_b64 s[0:1], s[16:17]
	s_cbranch_execz .LBB31_50
.LBB31_62:
	v_add_f64 v[0:1], v[12:13], -v[18:19]
	v_lshlrev_b32_e32 v2, 3, v28
	v_add_f64 v[0:1], v[0:1], -v[34:35]
	global_store_dwordx2 v2, v[0:1], s[6:7]
	s_or_b64 exec, exec, s[0:1]
	s_and_saveexec_b64 s[0:1], s[18:19]
	s_cbranch_execz .LBB31_51
.LBB31_63:
	v_add_f64 v[0:1], v[14:15], -v[18:19]
	v_lshlrev_b32_e32 v2, 3, v30
	v_add_f64 v[0:1], v[0:1], -v[34:35]
	global_store_dwordx2 v2, v[0:1], s[6:7]
	s_or_b64 exec, exec, s[0:1]
	s_and_saveexec_b64 s[0:1], s[20:21]
	s_cbranch_execz .LBB31_52
.LBB31_64:
	v_add_f64 v[0:1], v[16:17], -v[18:19]
	v_lshlrev_b32_e32 v2, 3, v32
	v_add_f64 v[0:1], v[0:1], -v[34:35]
	global_store_dwordx2 v2, v[0:1], s[6:7]
	s_endpgm
	.section	.rodata,"a",@progbits
	.p2align	6, 0x0
	.amdhsa_kernel _ZN2at6native12_GLOBAL__N_122cunn_SoftMaxForwardRegIdddNS1_25LogSoftMaxForwardEpilogueElLi8EEEvPT1_PKT_T3_
		.amdhsa_group_segment_fixed_size 0
		.amdhsa_private_segment_fixed_size 0
		.amdhsa_kernarg_size 280
		.amdhsa_user_sgpr_count 6
		.amdhsa_user_sgpr_private_segment_buffer 1
		.amdhsa_user_sgpr_dispatch_ptr 0
		.amdhsa_user_sgpr_queue_ptr 0
		.amdhsa_user_sgpr_kernarg_segment_ptr 1
		.amdhsa_user_sgpr_dispatch_id 0
		.amdhsa_user_sgpr_flat_scratch_init 0
		.amdhsa_user_sgpr_kernarg_preload_length 0
		.amdhsa_user_sgpr_kernarg_preload_offset 0
		.amdhsa_user_sgpr_private_segment_size 0
		.amdhsa_uses_dynamic_stack 0
		.amdhsa_system_sgpr_private_segment_wavefront_offset 0
		.amdhsa_system_sgpr_workgroup_id_x 1
		.amdhsa_system_sgpr_workgroup_id_y 0
		.amdhsa_system_sgpr_workgroup_id_z 0
		.amdhsa_system_sgpr_workgroup_info 0
		.amdhsa_system_vgpr_workitem_id 0
		.amdhsa_next_free_vgpr 54
		.amdhsa_next_free_sgpr 34
		.amdhsa_accum_offset 56
		.amdhsa_reserve_vcc 1
		.amdhsa_reserve_flat_scratch 0
		.amdhsa_float_round_mode_32 0
		.amdhsa_float_round_mode_16_64 0
		.amdhsa_float_denorm_mode_32 3
		.amdhsa_float_denorm_mode_16_64 3
		.amdhsa_dx10_clamp 1
		.amdhsa_ieee_mode 1
		.amdhsa_fp16_overflow 0
		.amdhsa_tg_split 0
		.amdhsa_exception_fp_ieee_invalid_op 0
		.amdhsa_exception_fp_denorm_src 0
		.amdhsa_exception_fp_ieee_div_zero 0
		.amdhsa_exception_fp_ieee_overflow 0
		.amdhsa_exception_fp_ieee_underflow 0
		.amdhsa_exception_fp_ieee_inexact 0
		.amdhsa_exception_int_div_zero 0
	.end_amdhsa_kernel
	.section	.text._ZN2at6native12_GLOBAL__N_122cunn_SoftMaxForwardRegIdddNS1_25LogSoftMaxForwardEpilogueElLi8EEEvPT1_PKT_T3_,"axG",@progbits,_ZN2at6native12_GLOBAL__N_122cunn_SoftMaxForwardRegIdddNS1_25LogSoftMaxForwardEpilogueElLi8EEEvPT1_PKT_T3_,comdat
.Lfunc_end31:
	.size	_ZN2at6native12_GLOBAL__N_122cunn_SoftMaxForwardRegIdddNS1_25LogSoftMaxForwardEpilogueElLi8EEEvPT1_PKT_T3_, .Lfunc_end31-_ZN2at6native12_GLOBAL__N_122cunn_SoftMaxForwardRegIdddNS1_25LogSoftMaxForwardEpilogueElLi8EEEvPT1_PKT_T3_
                                        ; -- End function
	.section	.AMDGPU.csdata,"",@progbits
; Kernel info:
; codeLenInByte = 6604
; NumSgprs: 38
; NumVgprs: 54
; NumAgprs: 0
; TotalNumVgprs: 54
; ScratchSize: 0
; MemoryBound: 0
; FloatMode: 240
; IeeeMode: 1
; LDSByteSize: 0 bytes/workgroup (compile time only)
; SGPRBlocks: 4
; VGPRBlocks: 6
; NumSGPRsForWavesPerEU: 38
; NumVGPRsForWavesPerEU: 54
; AccumOffset: 56
; Occupancy: 8
; WaveLimiterHint : 0
; COMPUTE_PGM_RSRC2:SCRATCH_EN: 0
; COMPUTE_PGM_RSRC2:USER_SGPR: 6
; COMPUTE_PGM_RSRC2:TRAP_HANDLER: 0
; COMPUTE_PGM_RSRC2:TGID_X_EN: 1
; COMPUTE_PGM_RSRC2:TGID_Y_EN: 0
; COMPUTE_PGM_RSRC2:TGID_Z_EN: 0
; COMPUTE_PGM_RSRC2:TIDIG_COMP_CNT: 0
; COMPUTE_PGM_RSRC3_GFX90A:ACCUM_OFFSET: 13
; COMPUTE_PGM_RSRC3_GFX90A:TG_SPLIT: 0
	.section	.text._ZN2at6native12_GLOBAL__N_122cunn_SoftMaxForwardRegIdddNS1_25LogSoftMaxForwardEpilogueElLi9EEEvPT1_PKT_T3_,"axG",@progbits,_ZN2at6native12_GLOBAL__N_122cunn_SoftMaxForwardRegIdddNS1_25LogSoftMaxForwardEpilogueElLi9EEEvPT1_PKT_T3_,comdat
	.globl	_ZN2at6native12_GLOBAL__N_122cunn_SoftMaxForwardRegIdddNS1_25LogSoftMaxForwardEpilogueElLi9EEEvPT1_PKT_T3_ ; -- Begin function _ZN2at6native12_GLOBAL__N_122cunn_SoftMaxForwardRegIdddNS1_25LogSoftMaxForwardEpilogueElLi9EEEvPT1_PKT_T3_
	.p2align	8
	.type	_ZN2at6native12_GLOBAL__N_122cunn_SoftMaxForwardRegIdddNS1_25LogSoftMaxForwardEpilogueElLi9EEEvPT1_PKT_T3_,@function
_ZN2at6native12_GLOBAL__N_122cunn_SoftMaxForwardRegIdddNS1_25LogSoftMaxForwardEpilogueElLi9EEEvPT1_PKT_T3_: ; @_ZN2at6native12_GLOBAL__N_122cunn_SoftMaxForwardRegIdddNS1_25LogSoftMaxForwardEpilogueElLi9EEEvPT1_PKT_T3_
; %bb.0:
	s_load_dwordx2 s[26:27], s[4:5], 0x10
	s_load_dwordx4 s[28:31], s[4:5], 0x0
	s_load_dword s8, s[4:5], 0x24
	v_mov_b32_e32 v37, 0
	v_mov_b32_e32 v1, v37
	s_waitcnt lgkmcnt(0)
	s_mul_i32 s0, s6, s27
	s_mul_hi_u32 s1, s6, s26
	s_add_i32 s1, s1, s0
	s_mul_i32 s0, s6, s26
	s_lshl_b64 s[34:35], s[0:1], 3
	s_add_u32 s2, s30, s34
	s_addc_u32 s3, s31, s35
	s_mov_b32 s0, -1
	s_add_u32 s4, s4, 24
	s_mov_b32 s1, 0xffefffff
	s_addc_u32 s5, s5, 0
	v_cmp_gt_i64_e32 vcc, s[26:27], v[0:1]
	v_pk_mov_b32 v[34:35], s[0:1], s[0:1] op_sel:[0,1]
	v_lshlrev_b32_e32 v40, 3, v0
                                        ; implicit-def: $vgpr2_vgpr3_vgpr4_vgpr5_vgpr6_vgpr7_vgpr8_vgpr9_vgpr10_vgpr11_vgpr12_vgpr13_vgpr14_vgpr15_vgpr16_vgpr17_vgpr18_vgpr19_vgpr20_vgpr21_vgpr22_vgpr23_vgpr24_vgpr25_vgpr26_vgpr27_vgpr28_vgpr29_vgpr30_vgpr31_vgpr32_vgpr33
	s_and_saveexec_b64 s[6:7], vcc
	s_cbranch_execz .LBB32_2
; %bb.1:
	global_load_dwordx2 v[2:3], v40, s[2:3]
	s_waitcnt vmcnt(0)
	v_max_f64 v[4:5], v[2:3], v[2:3]
	v_max_f64 v[34:35], v[4:5], s[0:1]
.LBB32_2:
	s_or_b64 exec, exec, s[6:7]
	s_and_b32 s8, 0xffff, s8
	v_add_u32_e32 v36, s8, v0
	v_cmp_gt_i64_e64 s[0:1], s[26:27], v[36:37]
	s_and_saveexec_b64 s[6:7], s[0:1]
	s_cbranch_execz .LBB32_4
; %bb.3:
	v_lshlrev_b32_e32 v1, 3, v36
	global_load_dwordx2 v[4:5], v1, s[2:3]
	v_max_f64 v[22:23], v[34:35], v[34:35]
	s_waitcnt vmcnt(0)
	v_max_f64 v[20:21], v[4:5], v[4:5]
	v_max_f64 v[34:35], v[22:23], v[20:21]
.LBB32_4:
	s_or_b64 exec, exec, s[6:7]
	v_add_u32_e32 v20, s8, v36
	v_mov_b32_e32 v21, 0
	v_cmp_gt_i64_e64 s[0:1], s[26:27], v[20:21]
	s_and_saveexec_b64 s[6:7], s[0:1]
	s_cbranch_execz .LBB32_6
; %bb.5:
	v_lshlrev_b32_e32 v1, 3, v20
	global_load_dwordx2 v[6:7], v1, s[2:3]
	v_max_f64 v[24:25], v[34:35], v[34:35]
	s_waitcnt vmcnt(0)
	v_max_f64 v[22:23], v[6:7], v[6:7]
	v_max_f64 v[34:35], v[24:25], v[22:23]
.LBB32_6:
	s_or_b64 exec, exec, s[6:7]
	v_add_u32_e32 v20, s8, v20
	v_cmp_gt_i64_e64 s[0:1], s[26:27], v[20:21]
	s_and_saveexec_b64 s[6:7], s[0:1]
	s_cbranch_execz .LBB32_8
; %bb.7:
	v_lshlrev_b32_e32 v1, 3, v20
	global_load_dwordx2 v[8:9], v1, s[2:3]
	v_max_f64 v[24:25], v[34:35], v[34:35]
	s_waitcnt vmcnt(0)
	v_max_f64 v[22:23], v[8:9], v[8:9]
	v_max_f64 v[34:35], v[24:25], v[22:23]
.LBB32_8:
	s_or_b64 exec, exec, s[6:7]
	v_add_u32_e32 v20, s8, v20
	v_mov_b32_e32 v21, 0
	v_cmp_gt_i64_e64 s[0:1], s[26:27], v[20:21]
	s_and_saveexec_b64 s[6:7], s[0:1]
	s_cbranch_execz .LBB32_10
; %bb.9:
	v_lshlrev_b32_e32 v1, 3, v20
	global_load_dwordx2 v[10:11], v1, s[2:3]
	v_max_f64 v[24:25], v[34:35], v[34:35]
	s_waitcnt vmcnt(0)
	v_max_f64 v[22:23], v[10:11], v[10:11]
	v_max_f64 v[34:35], v[24:25], v[22:23]
.LBB32_10:
	s_or_b64 exec, exec, s[6:7]
	;; [unrolled: 27-line block ×4, first 2 shown]
	v_mbcnt_lo_u32_b32 v1, -1, 0
	v_mbcnt_hi_u32_b32 v24, -1, v1
	v_and_b32_e32 v25, 63, v24
	v_cmp_gt_u32_e64 s[0:1], 32, v25
	v_cndmask_b32_e64 v1, 0, 1, s[0:1]
	v_lshlrev_b32_e32 v1, 5, v1
	v_add_lshl_u32 v41, v1, v24, 2
	ds_bpermute_b32 v20, v41, v34
	ds_bpermute_b32 v21, v41, v35
	s_mov_b32 s6, -1
	v_lshrrev_b32_e32 v47, 3, v0
	s_waitcnt lgkmcnt(0)
	s_barrier
	v_cmp_lt_f64_e64 s[0:1], v[34:35], v[20:21]
	v_cndmask_b32_e64 v21, v35, v21, s[0:1]
	v_cndmask_b32_e64 v20, v34, v20, s[0:1]
	v_cmp_gt_u32_e64 s[0:1], 48, v25
	v_cndmask_b32_e64 v1, 0, 1, s[0:1]
	v_lshlrev_b32_e32 v1, 4, v1
	v_add_lshl_u32 v42, v1, v24, 2
	ds_bpermute_b32 v23, v42, v21
	ds_bpermute_b32 v22, v42, v20
	s_waitcnt lgkmcnt(0)
	v_cmp_lt_f64_e64 s[0:1], v[20:21], v[22:23]
	v_cndmask_b32_e64 v21, v21, v23, s[0:1]
	v_cndmask_b32_e64 v20, v20, v22, s[0:1]
	v_cmp_gt_u32_e64 s[0:1], 56, v25
	v_cndmask_b32_e64 v1, 0, 1, s[0:1]
	v_lshlrev_b32_e32 v1, 3, v1
	v_add_lshl_u32 v43, v1, v24, 2
	ds_bpermute_b32 v22, v43, v20
	ds_bpermute_b32 v23, v43, v21
	s_waitcnt lgkmcnt(0)
	;; [unrolled: 10-line block ×3, first 2 shown]
	v_cmp_lt_f64_e64 s[0:1], v[20:21], v[22:23]
	v_cndmask_b32_e64 v21, v21, v23, s[0:1]
	v_cndmask_b32_e64 v20, v20, v22, s[0:1]
	v_cmp_gt_u32_e64 s[0:1], 62, v25
	v_cndmask_b32_e64 v1, 0, 1, s[0:1]
	v_lshlrev_b32_e32 v1, 1, v1
	v_add_lshl_u32 v45, v1, v24, 2
	ds_bpermute_b32 v22, v45, v20
	ds_bpermute_b32 v23, v45, v21
	v_and_b32_e32 v1, 63, v0
	v_cmp_eq_u32_e64 s[2:3], 0, v1
	s_waitcnt lgkmcnt(0)
	v_cmp_lt_f64_e64 s[0:1], v[20:21], v[22:23]
	v_cndmask_b32_e64 v21, v21, v23, s[0:1]
	v_cndmask_b32_e64 v20, v20, v22, s[0:1]
	v_cmp_ne_u32_e64 s[0:1], 63, v25
	v_addc_co_u32_e64 v22, s[0:1], 0, v24, s[0:1]
	v_lshlrev_b32_e32 v46, 2, v22
	ds_bpermute_b32 v22, v46, v20
	ds_bpermute_b32 v23, v46, v21
	s_and_saveexec_b64 s[0:1], s[2:3]
	s_xor_b64 s[8:9], exec, s[0:1]
	s_cbranch_execz .LBB32_20
; %bb.19:
	s_waitcnt lgkmcnt(0)
	v_cmp_lt_f64_e64 s[0:1], v[20:21], v[22:23]
	v_add_u32_e32 v24, 0, v47
	v_cndmask_b32_e64 v21, v21, v23, s[0:1]
	v_cndmask_b32_e64 v20, v20, v22, s[0:1]
	ds_write_b64 v24, v[20:21]
.LBB32_20:
	s_or_b64 exec, exec, s[8:9]
	s_waitcnt lgkmcnt(0)
	s_barrier
	s_load_dword s10, s[4:5], 0xc
	s_mov_b32 s7, 0xffefffff
	v_pk_mov_b32 v[20:21], s[6:7], s[6:7] op_sel:[0,1]
	v_lshl_add_u32 v48, v1, 3, 0
	s_waitcnt lgkmcnt(0)
	s_bfe_u32 s0, s10, 0xa0006
	v_cmp_gt_u32_e64 s[4:5], s0, v0
	s_and_saveexec_b64 s[0:1], s[4:5]
	s_cbranch_execnz .LBB32_58
; %bb.21:
	s_or_b64 exec, exec, s[0:1]
	v_cmp_gt_u32_e64 s[6:7], 64, v0
	s_and_saveexec_b64 s[8:9], s[6:7]
	s_cbranch_execnz .LBB32_59
.LBB32_22:
	s_or_b64 exec, exec, s[8:9]
	v_cmp_eq_u32_e64 s[8:9], 0, v0
	s_and_saveexec_b64 s[0:1], s[8:9]
	s_cbranch_execz .LBB32_24
.LBB32_23:
	v_mov_b32_e32 v1, 0
	s_waitcnt lgkmcnt(0)
	ds_write_b64 v1, v[20:21]
.LBB32_24:
	s_or_b64 exec, exec, s[0:1]
	v_mov_b32_e32 v1, 0
	s_waitcnt lgkmcnt(0)
	s_barrier
	ds_read_b64 v[20:21], v1
	s_and_b32 s33, s10, 0xffff
	v_pk_mov_b32 v[26:27], 0, 0
	s_and_saveexec_b64 s[12:13], vcc
	s_cbranch_execz .LBB32_26
; %bb.25:
	s_mov_b32 s0, 0x652b82fe
	s_waitcnt lgkmcnt(0)
	v_add_f64 v[22:23], v[2:3], -v[20:21]
	s_mov_b32 s1, 0x3ff71547
	v_mul_f64 v[24:25], v[22:23], s[0:1]
	s_mov_b32 s0, 0xfefa39ef
	v_rndne_f64_e32 v[24:25], v[24:25]
	s_mov_b32 s1, 0xbfe62e42
	v_fma_f64 v[26:27], s[0:1], v[24:25], v[22:23]
	s_mov_b32 s0, 0x3b39803f
	s_mov_b32 s1, 0xbc7abc9e
	v_fmac_f64_e32 v[26:27], s[0:1], v[24:25]
	s_mov_b32 s0, 0x6a5dcb37
	v_mov_b32_e32 v28, 0xfca7ab0c
	v_mov_b32_e32 v29, 0x3e928af3
	s_mov_b32 s1, 0x3e5ade15
	v_fmac_f64_e32 v[28:29], s[0:1], v[26:27]
	v_mov_b32_e32 v30, 0x623fde64
	v_mov_b32_e32 v31, 0x3ec71dee
	v_fmac_f64_e32 v[30:31], v[26:27], v[28:29]
	v_mov_b32_e32 v28, 0x7c89e6b0
	v_mov_b32_e32 v29, 0x3efa0199
	;; [unrolled: 3-line block ×8, first 2 shown]
	v_fmac_f64_e32 v[28:29], v[26:27], v[30:31]
	v_fma_f64 v[28:29], v[26:27], v[28:29], 1.0
	v_fma_f64 v[26:27], v[26:27], v[28:29], 1.0
	v_cvt_i32_f64_e32 v24, v[24:25]
	s_mov_b32 s0, 0
	s_mov_b32 s10, 0
	v_ldexp_f64 v[24:25], v[26:27], v24
	s_mov_b32 s1, 0x40900000
	s_mov_b32 s11, 0xc090cc00
	v_add_f64 v[24:25], v[24:25], 0
	v_mov_b32_e32 v26, 0x7ff00000
	v_cmp_nlt_f64_e64 s[0:1], s[0:1], v[22:23]
	v_cmp_ngt_f64_e64 s[10:11], s[10:11], v[22:23]
	v_cndmask_b32_e64 v25, v26, v25, s[0:1]
	s_and_b64 s[0:1], s[10:11], s[0:1]
	v_cndmask_b32_e64 v27, 0, v25, s[10:11]
	v_cndmask_b32_e64 v26, 0, v24, s[0:1]
.LBB32_26:
	s_or_b64 exec, exec, s[12:13]
	v_add_u32_e32 v0, s33, v0
	v_cmp_gt_i64_e64 s[0:1], s[26:27], v[0:1]
	s_and_saveexec_b64 s[14:15], s[0:1]
	s_cbranch_execz .LBB32_28
; %bb.27:
	s_mov_b32 s10, 0x652b82fe
	s_waitcnt lgkmcnt(0)
	v_add_f64 v[22:23], v[4:5], -v[20:21]
	s_mov_b32 s11, 0x3ff71547
	v_mul_f64 v[24:25], v[22:23], s[10:11]
	s_mov_b32 s10, 0xfefa39ef
	v_rndne_f64_e32 v[24:25], v[24:25]
	s_mov_b32 s11, 0xbfe62e42
	v_fma_f64 v[28:29], s[10:11], v[24:25], v[22:23]
	s_mov_b32 s10, 0x3b39803f
	s_mov_b32 s11, 0xbc7abc9e
	v_fmac_f64_e32 v[28:29], s[10:11], v[24:25]
	s_mov_b32 s10, 0x6a5dcb37
	v_mov_b32_e32 v30, 0xfca7ab0c
	v_mov_b32_e32 v31, 0x3e928af3
	s_mov_b32 s11, 0x3e5ade15
	v_fmac_f64_e32 v[30:31], s[10:11], v[28:29]
	v_mov_b32_e32 v32, 0x623fde64
	v_mov_b32_e32 v33, 0x3ec71dee
	v_fmac_f64_e32 v[32:33], v[28:29], v[30:31]
	v_mov_b32_e32 v30, 0x7c89e6b0
	v_mov_b32_e32 v31, 0x3efa0199
	;; [unrolled: 3-line block ×8, first 2 shown]
	v_fmac_f64_e32 v[30:31], v[28:29], v[32:33]
	v_fma_f64 v[30:31], v[28:29], v[30:31], 1.0
	s_mov_b32 s10, 0
	s_mov_b32 s12, 0
	v_fma_f64 v[28:29], v[28:29], v[30:31], 1.0
	v_cvt_i32_f64_e32 v24, v[24:25]
	s_mov_b32 s11, 0x40900000
	s_mov_b32 s13, 0xc090cc00
	v_ldexp_f64 v[24:25], v[28:29], v24
	v_mov_b32_e32 v28, 0x7ff00000
	v_cmp_nlt_f64_e64 s[10:11], s[10:11], v[22:23]
	v_cmp_ngt_f64_e64 s[12:13], s[12:13], v[22:23]
	v_cndmask_b32_e64 v25, v28, v25, s[10:11]
	s_and_b64 s[10:11], s[12:13], s[10:11]
	v_cndmask_b32_e64 v23, 0, v25, s[12:13]
	v_cndmask_b32_e64 v22, 0, v24, s[10:11]
	v_add_f64 v[26:27], v[26:27], v[22:23]
.LBB32_28:
	s_or_b64 exec, exec, s[14:15]
	v_add_u32_e32 v22, s33, v0
	v_mov_b32_e32 v23, v1
	v_cmp_gt_i64_e64 s[10:11], s[26:27], v[22:23]
	s_and_saveexec_b64 s[16:17], s[10:11]
	s_cbranch_execz .LBB32_30
; %bb.29:
	s_mov_b32 s12, 0x652b82fe
	s_waitcnt lgkmcnt(0)
	v_add_f64 v[24:25], v[6:7], -v[20:21]
	s_mov_b32 s13, 0x3ff71547
	v_mul_f64 v[28:29], v[24:25], s[12:13]
	s_mov_b32 s12, 0xfefa39ef
	v_rndne_f64_e32 v[28:29], v[28:29]
	s_mov_b32 s13, 0xbfe62e42
	v_fma_f64 v[30:31], s[12:13], v[28:29], v[24:25]
	s_mov_b32 s12, 0x3b39803f
	s_mov_b32 s13, 0xbc7abc9e
	v_fmac_f64_e32 v[30:31], s[12:13], v[28:29]
	s_mov_b32 s12, 0x6a5dcb37
	v_mov_b32_e32 v32, 0xfca7ab0c
	v_mov_b32_e32 v33, 0x3e928af3
	s_mov_b32 s13, 0x3e5ade15
	v_fmac_f64_e32 v[32:33], s[12:13], v[30:31]
	v_mov_b32_e32 v34, 0x623fde64
	v_mov_b32_e32 v35, 0x3ec71dee
	v_fmac_f64_e32 v[34:35], v[30:31], v[32:33]
	v_mov_b32_e32 v32, 0x7c89e6b0
	v_mov_b32_e32 v33, 0x3efa0199
	;; [unrolled: 3-line block ×8, first 2 shown]
	v_fmac_f64_e32 v[32:33], v[30:31], v[34:35]
	v_fma_f64 v[32:33], v[30:31], v[32:33], 1.0
	s_mov_b32 s12, 0
	s_mov_b32 s14, 0
	v_fma_f64 v[30:31], v[30:31], v[32:33], 1.0
	v_cvt_i32_f64_e32 v1, v[28:29]
	s_mov_b32 s13, 0x40900000
	s_mov_b32 s15, 0xc090cc00
	v_ldexp_f64 v[28:29], v[30:31], v1
	v_mov_b32_e32 v1, 0x7ff00000
	v_cmp_nlt_f64_e64 s[12:13], s[12:13], v[24:25]
	v_cmp_ngt_f64_e64 s[14:15], s[14:15], v[24:25]
	v_cndmask_b32_e64 v1, v1, v29, s[12:13]
	s_and_b64 s[12:13], s[14:15], s[12:13]
	v_cndmask_b32_e64 v25, 0, v1, s[14:15]
	v_cndmask_b32_e64 v24, 0, v28, s[12:13]
	v_add_f64 v[26:27], v[26:27], v[24:25]
.LBB32_30:
	s_or_b64 exec, exec, s[16:17]
	v_add_u32_e32 v24, s33, v22
	v_mov_b32_e32 v25, 0
	v_cmp_gt_i64_e64 s[12:13], s[26:27], v[24:25]
	s_and_saveexec_b64 s[18:19], s[12:13]
	s_cbranch_execz .LBB32_32
; %bb.31:
	s_mov_b32 s14, 0x652b82fe
	s_waitcnt lgkmcnt(0)
	v_add_f64 v[28:29], v[8:9], -v[20:21]
	s_mov_b32 s15, 0x3ff71547
	v_mul_f64 v[30:31], v[28:29], s[14:15]
	s_mov_b32 s14, 0xfefa39ef
	v_rndne_f64_e32 v[30:31], v[30:31]
	s_mov_b32 s15, 0xbfe62e42
	v_fma_f64 v[32:33], s[14:15], v[30:31], v[28:29]
	s_mov_b32 s14, 0x3b39803f
	s_mov_b32 s15, 0xbc7abc9e
	v_fmac_f64_e32 v[32:33], s[14:15], v[30:31]
	s_mov_b32 s14, 0x6a5dcb37
	v_mov_b32_e32 v34, 0xfca7ab0c
	v_mov_b32_e32 v35, 0x3e928af3
	s_mov_b32 s15, 0x3e5ade15
	v_fmac_f64_e32 v[34:35], s[14:15], v[32:33]
	v_mov_b32_e32 v36, 0x623fde64
	v_mov_b32_e32 v37, 0x3ec71dee
	v_fmac_f64_e32 v[36:37], v[32:33], v[34:35]
	v_mov_b32_e32 v34, 0x7c89e6b0
	v_mov_b32_e32 v35, 0x3efa0199
	;; [unrolled: 3-line block ×8, first 2 shown]
	v_fmac_f64_e32 v[34:35], v[32:33], v[36:37]
	v_fma_f64 v[34:35], v[32:33], v[34:35], 1.0
	s_mov_b32 s14, 0
	s_mov_b32 s16, 0
	v_fma_f64 v[32:33], v[32:33], v[34:35], 1.0
	v_cvt_i32_f64_e32 v1, v[30:31]
	s_mov_b32 s15, 0x40900000
	s_mov_b32 s17, 0xc090cc00
	v_ldexp_f64 v[30:31], v[32:33], v1
	v_mov_b32_e32 v1, 0x7ff00000
	v_cmp_nlt_f64_e64 s[14:15], s[14:15], v[28:29]
	v_cmp_ngt_f64_e64 s[16:17], s[16:17], v[28:29]
	v_cndmask_b32_e64 v1, v1, v31, s[14:15]
	s_and_b64 s[14:15], s[16:17], s[14:15]
	v_cndmask_b32_e64 v29, 0, v1, s[16:17]
	v_cndmask_b32_e64 v28, 0, v30, s[14:15]
	v_add_f64 v[26:27], v[26:27], v[28:29]
.LBB32_32:
	s_or_b64 exec, exec, s[18:19]
	v_add_u32_e32 v28, s33, v24
	v_mov_b32_e32 v29, v25
	v_cmp_gt_i64_e64 s[14:15], s[26:27], v[28:29]
	s_and_saveexec_b64 s[20:21], s[14:15]
	s_cbranch_execz .LBB32_34
; %bb.33:
	s_mov_b32 s16, 0x652b82fe
	s_waitcnt lgkmcnt(0)
	v_add_f64 v[30:31], v[10:11], -v[20:21]
	s_mov_b32 s17, 0x3ff71547
	v_mul_f64 v[32:33], v[30:31], s[16:17]
	s_mov_b32 s16, 0xfefa39ef
	v_rndne_f64_e32 v[32:33], v[32:33]
	s_mov_b32 s17, 0xbfe62e42
	v_fma_f64 v[34:35], s[16:17], v[32:33], v[30:31]
	s_mov_b32 s16, 0x3b39803f
	s_mov_b32 s17, 0xbc7abc9e
	v_fmac_f64_e32 v[34:35], s[16:17], v[32:33]
	s_mov_b32 s16, 0x6a5dcb37
	v_mov_b32_e32 v36, 0xfca7ab0c
	v_mov_b32_e32 v37, 0x3e928af3
	s_mov_b32 s17, 0x3e5ade15
	v_fmac_f64_e32 v[36:37], s[16:17], v[34:35]
	v_mov_b32_e32 v38, 0x623fde64
	v_mov_b32_e32 v39, 0x3ec71dee
	v_fmac_f64_e32 v[38:39], v[34:35], v[36:37]
	v_mov_b32_e32 v36, 0x7c89e6b0
	v_mov_b32_e32 v37, 0x3efa0199
	;; [unrolled: 3-line block ×8, first 2 shown]
	v_fmac_f64_e32 v[36:37], v[34:35], v[38:39]
	v_fma_f64 v[36:37], v[34:35], v[36:37], 1.0
	s_mov_b32 s16, 0
	s_mov_b32 s18, 0
	v_fma_f64 v[34:35], v[34:35], v[36:37], 1.0
	v_cvt_i32_f64_e32 v1, v[32:33]
	s_mov_b32 s17, 0x40900000
	s_mov_b32 s19, 0xc090cc00
	v_ldexp_f64 v[32:33], v[34:35], v1
	v_mov_b32_e32 v1, 0x7ff00000
	v_cmp_nlt_f64_e64 s[16:17], s[16:17], v[30:31]
	v_cmp_ngt_f64_e64 s[18:19], s[18:19], v[30:31]
	v_cndmask_b32_e64 v1, v1, v33, s[16:17]
	s_and_b64 s[16:17], s[18:19], s[16:17]
	v_cndmask_b32_e64 v31, 0, v1, s[18:19]
	v_cndmask_b32_e64 v30, 0, v32, s[16:17]
	v_add_f64 v[26:27], v[26:27], v[30:31]
.LBB32_34:
	s_or_b64 exec, exec, s[20:21]
	v_add_u32_e32 v30, s33, v28
	v_mov_b32_e32 v31, 0
	v_cmp_gt_i64_e64 s[16:17], s[26:27], v[30:31]
	s_and_saveexec_b64 s[22:23], s[16:17]
	s_cbranch_execz .LBB32_36
; %bb.35:
	s_mov_b32 s18, 0x652b82fe
	s_waitcnt lgkmcnt(0)
	v_add_f64 v[32:33], v[12:13], -v[20:21]
	s_mov_b32 s19, 0x3ff71547
	v_mul_f64 v[34:35], v[32:33], s[18:19]
	s_mov_b32 s18, 0xfefa39ef
	v_rndne_f64_e32 v[34:35], v[34:35]
	s_mov_b32 s19, 0xbfe62e42
	v_fma_f64 v[36:37], s[18:19], v[34:35], v[32:33]
	s_mov_b32 s18, 0x3b39803f
	s_mov_b32 s19, 0xbc7abc9e
	v_fmac_f64_e32 v[36:37], s[18:19], v[34:35]
	s_mov_b32 s18, 0x6a5dcb37
	v_mov_b32_e32 v38, 0xfca7ab0c
	v_mov_b32_e32 v39, 0x3e928af3
	s_mov_b32 s19, 0x3e5ade15
	v_fmac_f64_e32 v[38:39], s[18:19], v[36:37]
	v_mov_b32_e32 v50, 0x623fde64
	v_mov_b32_e32 v51, 0x3ec71dee
	v_fmac_f64_e32 v[50:51], v[36:37], v[38:39]
	v_mov_b32_e32 v38, 0x7c89e6b0
	v_mov_b32_e32 v39, 0x3efa0199
	;; [unrolled: 3-line block ×8, first 2 shown]
	v_fmac_f64_e32 v[38:39], v[36:37], v[50:51]
	v_fma_f64 v[38:39], v[36:37], v[38:39], 1.0
	s_mov_b32 s18, 0
	s_mov_b32 s20, 0
	v_fma_f64 v[36:37], v[36:37], v[38:39], 1.0
	v_cvt_i32_f64_e32 v1, v[34:35]
	s_mov_b32 s19, 0x40900000
	s_mov_b32 s21, 0xc090cc00
	v_ldexp_f64 v[34:35], v[36:37], v1
	v_mov_b32_e32 v1, 0x7ff00000
	v_cmp_nlt_f64_e64 s[18:19], s[18:19], v[32:33]
	v_cmp_ngt_f64_e64 s[20:21], s[20:21], v[32:33]
	v_cndmask_b32_e64 v1, v1, v35, s[18:19]
	s_and_b64 s[18:19], s[20:21], s[18:19]
	v_cndmask_b32_e64 v33, 0, v1, s[20:21]
	v_cndmask_b32_e64 v32, 0, v34, s[18:19]
	v_add_f64 v[26:27], v[26:27], v[32:33]
.LBB32_36:
	s_or_b64 exec, exec, s[22:23]
	v_add_u32_e32 v32, s33, v30
	v_mov_b32_e32 v33, v31
	v_cmp_gt_i64_e64 s[18:19], s[26:27], v[32:33]
	s_and_saveexec_b64 s[24:25], s[18:19]
	s_cbranch_execz .LBB32_38
; %bb.37:
	s_mov_b32 s20, 0x652b82fe
	s_waitcnt lgkmcnt(0)
	v_add_f64 v[34:35], v[14:15], -v[20:21]
	s_mov_b32 s21, 0x3ff71547
	v_mul_f64 v[36:37], v[34:35], s[20:21]
	s_mov_b32 s20, 0xfefa39ef
	v_rndne_f64_e32 v[36:37], v[36:37]
	s_mov_b32 s21, 0xbfe62e42
	v_fma_f64 v[38:39], s[20:21], v[36:37], v[34:35]
	s_mov_b32 s20, 0x3b39803f
	s_mov_b32 s21, 0xbc7abc9e
	v_fmac_f64_e32 v[38:39], s[20:21], v[36:37]
	s_mov_b32 s20, 0x6a5dcb37
	v_mov_b32_e32 v50, 0xfca7ab0c
	v_mov_b32_e32 v51, 0x3e928af3
	s_mov_b32 s21, 0x3e5ade15
	v_fmac_f64_e32 v[50:51], s[20:21], v[38:39]
	v_mov_b32_e32 v52, 0x623fde64
	v_mov_b32_e32 v53, 0x3ec71dee
	v_fmac_f64_e32 v[52:53], v[38:39], v[50:51]
	v_mov_b32_e32 v50, 0x7c89e6b0
	v_mov_b32_e32 v51, 0x3efa0199
	;; [unrolled: 3-line block ×8, first 2 shown]
	v_fmac_f64_e32 v[50:51], v[38:39], v[52:53]
	v_fma_f64 v[50:51], v[38:39], v[50:51], 1.0
	s_mov_b32 s20, 0
	s_mov_b32 s22, 0
	v_fma_f64 v[38:39], v[38:39], v[50:51], 1.0
	v_cvt_i32_f64_e32 v1, v[36:37]
	s_mov_b32 s21, 0x40900000
	s_mov_b32 s23, 0xc090cc00
	v_ldexp_f64 v[36:37], v[38:39], v1
	v_mov_b32_e32 v1, 0x7ff00000
	v_cmp_nlt_f64_e64 s[20:21], s[20:21], v[34:35]
	v_cmp_ngt_f64_e64 s[22:23], s[22:23], v[34:35]
	v_cndmask_b32_e64 v1, v1, v37, s[20:21]
	s_and_b64 s[20:21], s[22:23], s[20:21]
	v_cndmask_b32_e64 v35, 0, v1, s[22:23]
	v_cndmask_b32_e64 v34, 0, v36, s[20:21]
	v_add_f64 v[26:27], v[26:27], v[34:35]
.LBB32_38:
	s_or_b64 exec, exec, s[24:25]
	v_add_u32_e32 v34, s33, v32
	v_mov_b32_e32 v35, 0
	v_cmp_gt_i64_e64 s[20:21], s[26:27], v[34:35]
	s_and_saveexec_b64 s[30:31], s[20:21]
	s_cbranch_execz .LBB32_40
; %bb.39:
	s_mov_b32 s22, 0x652b82fe
	s_waitcnt lgkmcnt(0)
	v_add_f64 v[36:37], v[16:17], -v[20:21]
	s_mov_b32 s23, 0x3ff71547
	v_mul_f64 v[38:39], v[36:37], s[22:23]
	s_mov_b32 s22, 0xfefa39ef
	v_rndne_f64_e32 v[38:39], v[38:39]
	s_mov_b32 s23, 0xbfe62e42
	v_fma_f64 v[50:51], s[22:23], v[38:39], v[36:37]
	s_mov_b32 s22, 0x3b39803f
	s_mov_b32 s23, 0xbc7abc9e
	v_fmac_f64_e32 v[50:51], s[22:23], v[38:39]
	s_mov_b32 s22, 0x6a5dcb37
	v_mov_b32_e32 v52, 0xfca7ab0c
	v_mov_b32_e32 v53, 0x3e928af3
	s_mov_b32 s23, 0x3e5ade15
	v_fmac_f64_e32 v[52:53], s[22:23], v[50:51]
	v_mov_b32_e32 v54, 0x623fde64
	v_mov_b32_e32 v55, 0x3ec71dee
	v_fmac_f64_e32 v[54:55], v[50:51], v[52:53]
	v_mov_b32_e32 v52, 0x7c89e6b0
	v_mov_b32_e32 v53, 0x3efa0199
	;; [unrolled: 3-line block ×8, first 2 shown]
	v_fmac_f64_e32 v[52:53], v[50:51], v[54:55]
	v_fma_f64 v[52:53], v[50:51], v[52:53], 1.0
	s_mov_b32 s22, 0
	s_mov_b32 s24, 0
	v_fma_f64 v[50:51], v[50:51], v[52:53], 1.0
	v_cvt_i32_f64_e32 v1, v[38:39]
	s_mov_b32 s23, 0x40900000
	s_mov_b32 s25, 0xc090cc00
	v_ldexp_f64 v[38:39], v[50:51], v1
	v_mov_b32_e32 v1, 0x7ff00000
	v_cmp_nlt_f64_e64 s[22:23], s[22:23], v[36:37]
	v_cmp_ngt_f64_e64 s[24:25], s[24:25], v[36:37]
	v_cndmask_b32_e64 v1, v1, v39, s[22:23]
	s_and_b64 s[22:23], s[24:25], s[22:23]
	v_cndmask_b32_e64 v37, 0, v1, s[24:25]
	v_cndmask_b32_e64 v36, 0, v38, s[22:23]
	v_add_f64 v[26:27], v[26:27], v[36:37]
.LBB32_40:
	s_or_b64 exec, exec, s[30:31]
	v_add_u32_e32 v36, s33, v34
	v_mov_b32_e32 v37, v35
	v_cmp_gt_i64_e64 s[22:23], s[26:27], v[36:37]
	s_and_saveexec_b64 s[30:31], s[22:23]
	s_cbranch_execz .LBB32_42
; %bb.41:
	s_mov_b32 s24, 0x652b82fe
	s_waitcnt lgkmcnt(0)
	v_add_f64 v[38:39], v[18:19], -v[20:21]
	s_mov_b32 s25, 0x3ff71547
	v_mul_f64 v[50:51], v[38:39], s[24:25]
	s_mov_b32 s24, 0xfefa39ef
	v_rndne_f64_e32 v[50:51], v[50:51]
	s_mov_b32 s25, 0xbfe62e42
	v_fma_f64 v[52:53], s[24:25], v[50:51], v[38:39]
	s_mov_b32 s24, 0x3b39803f
	s_mov_b32 s25, 0xbc7abc9e
	v_fmac_f64_e32 v[52:53], s[24:25], v[50:51]
	s_mov_b32 s24, 0x6a5dcb37
	v_mov_b32_e32 v54, 0xfca7ab0c
	v_mov_b32_e32 v55, 0x3e928af3
	s_mov_b32 s25, 0x3e5ade15
	v_fmac_f64_e32 v[54:55], s[24:25], v[52:53]
	v_mov_b32_e32 v56, 0x623fde64
	v_mov_b32_e32 v57, 0x3ec71dee
	v_fmac_f64_e32 v[56:57], v[52:53], v[54:55]
	v_mov_b32_e32 v54, 0x7c89e6b0
	v_mov_b32_e32 v55, 0x3efa0199
	;; [unrolled: 3-line block ×8, first 2 shown]
	v_fmac_f64_e32 v[54:55], v[52:53], v[56:57]
	v_fma_f64 v[54:55], v[52:53], v[54:55], 1.0
	s_mov_b32 s24, 0
	s_mov_b32 s26, 0
	v_fma_f64 v[52:53], v[52:53], v[54:55], 1.0
	v_cvt_i32_f64_e32 v1, v[50:51]
	s_mov_b32 s25, 0x40900000
	s_mov_b32 s27, 0xc090cc00
	v_ldexp_f64 v[50:51], v[52:53], v1
	v_mov_b32_e32 v1, 0x7ff00000
	v_cmp_nlt_f64_e64 s[24:25], s[24:25], v[38:39]
	v_cmp_ngt_f64_e64 s[26:27], s[26:27], v[38:39]
	v_cndmask_b32_e64 v1, v1, v51, s[24:25]
	s_and_b64 s[24:25], s[26:27], s[24:25]
	v_cndmask_b32_e64 v39, 0, v1, s[26:27]
	v_cndmask_b32_e64 v38, 0, v50, s[24:25]
	v_add_f64 v[26:27], v[26:27], v[38:39]
.LBB32_42:
	s_or_b64 exec, exec, s[30:31]
	ds_bpermute_b32 v38, v41, v26
	ds_bpermute_b32 v39, v41, v27
	s_waitcnt lgkmcnt(0)
	s_barrier
	v_add_f64 v[26:27], v[26:27], v[38:39]
	ds_bpermute_b32 v38, v42, v26
	ds_bpermute_b32 v39, v42, v27
	s_waitcnt lgkmcnt(0)
	v_add_f64 v[26:27], v[26:27], v[38:39]
	ds_bpermute_b32 v38, v43, v26
	ds_bpermute_b32 v39, v43, v27
	s_waitcnt lgkmcnt(0)
	;; [unrolled: 4-line block ×4, first 2 shown]
	v_add_f64 v[26:27], v[26:27], v[38:39]
	ds_bpermute_b32 v38, v46, v26
	ds_bpermute_b32 v39, v46, v27
	s_and_saveexec_b64 s[24:25], s[2:3]
	s_xor_b64 s[2:3], exec, s[24:25]
	s_cbranch_execz .LBB32_44
; %bb.43:
	v_add_u32_e32 v1, 0, v47
	s_waitcnt lgkmcnt(0)
	v_add_f64 v[26:27], v[26:27], v[38:39]
	ds_write_b64 v1, v[26:27]
.LBB32_44:
	s_or_b64 exec, exec, s[2:3]
	v_pk_mov_b32 v[26:27], 0, 0
	s_waitcnt lgkmcnt(0)
	s_barrier
	s_and_saveexec_b64 s[2:3], s[4:5]
	s_cbranch_execnz .LBB32_60
; %bb.45:
	s_or_b64 exec, exec, s[2:3]
	s_and_saveexec_b64 s[2:3], s[6:7]
	s_cbranch_execnz .LBB32_61
.LBB32_46:
	s_or_b64 exec, exec, s[2:3]
	s_and_saveexec_b64 s[2:3], s[8:9]
	s_cbranch_execz .LBB32_48
.LBB32_47:
	v_mov_b32_e32 v1, 0
	s_waitcnt lgkmcnt(0)
	ds_write_b64 v1, v[26:27]
.LBB32_48:
	s_or_b64 exec, exec, s[2:3]
	v_mov_b32_e32 v1, 0
	s_waitcnt lgkmcnt(0)
	s_barrier
	ds_read_b64 v[26:27], v1
	s_mov_b32 s2, 0x55555555
	s_add_u32 s6, s28, s34
	s_mov_b32 s3, 0x3fe55555
	s_addc_u32 s7, s29, s35
	s_waitcnt lgkmcnt(0)
	v_frexp_mant_f64_e32 v[38:39], v[26:27]
	v_frexp_exp_i32_f64_e32 v1, v[26:27]
	v_cmp_gt_f64_e64 s[2:3], s[2:3], v[38:39]
	v_subbrev_co_u32_e64 v1, s[4:5], 0, v1, s[2:3]
	s_and_b64 s[2:3], s[2:3], exec
	s_mov_b32 s8, 0
	s_cselect_b32 s9, 2.0, 0x3ff00000
	v_mul_f64 v[38:39], v[38:39], s[8:9]
	v_add_f64 v[42:43], v[38:39], 1.0
	v_rcp_f64_e32 v[44:45], v[42:43]
	v_add_f64 v[48:49], v[42:43], -1.0
	v_add_f64 v[46:47], v[38:39], -1.0
	v_add_f64 v[38:39], v[38:39], -v[48:49]
	v_fma_f64 v[48:49], -v[42:43], v[44:45], 1.0
	v_fmac_f64_e32 v[44:45], v[48:49], v[44:45]
	v_fma_f64 v[48:49], -v[42:43], v[44:45], 1.0
	v_fmac_f64_e32 v[44:45], v[48:49], v[44:45]
	v_mul_f64 v[48:49], v[46:47], v[44:45]
	v_mul_f64 v[50:51], v[42:43], v[48:49]
	v_fma_f64 v[42:43], v[48:49], v[42:43], -v[50:51]
	v_fmac_f64_e32 v[42:43], v[48:49], v[38:39]
	v_add_f64 v[38:39], v[50:51], v[42:43]
	v_add_f64 v[52:53], v[46:47], -v[38:39]
	v_add_f64 v[50:51], v[38:39], -v[50:51]
	;; [unrolled: 1-line block ×5, first 2 shown]
	v_add_f64 v[38:39], v[42:43], v[38:39]
	v_add_f64 v[38:39], v[52:53], v[38:39]
	v_mul_f64 v[38:39], v[44:45], v[38:39]
	v_add_f64 v[42:43], v[48:49], v[38:39]
	v_add_f64 v[44:45], v[42:43], -v[48:49]
	s_mov_b32 s2, 0xbf559e2b
	v_add_f64 v[38:39], v[38:39], -v[44:45]
	v_mul_f64 v[44:45], v[42:43], v[42:43]
	v_mov_b32_e32 v46, 0x6b47b09a
	v_mov_b32_e32 v47, 0x3fc38538
	s_mov_b32 s3, 0x3fc3ab76
	v_fmac_f64_e32 v[46:47], s[2:3], v[44:45]
	v_mov_b32_e32 v48, 0xd7f4df2e
	v_mov_b32_e32 v49, 0x3fc7474d
	v_fmac_f64_e32 v[48:49], v[44:45], v[46:47]
	v_mov_b32_e32 v46, 0x16291751
	v_mov_b32_e32 v47, 0x3fcc71c0
	;; [unrolled: 3-line block ×5, first 2 shown]
	v_fmac_f64_e32 v[48:49], v[44:45], v[46:47]
	v_ldexp_f64 v[46:47], v[42:43], 1
	v_mul_f64 v[42:43], v[42:43], v[44:45]
	v_mul_f64 v[42:43], v[42:43], v[48:49]
	v_add_f64 v[44:45], v[46:47], v[42:43]
	v_add_f64 v[46:47], v[44:45], -v[46:47]
	v_ldexp_f64 v[38:39], v[38:39], 1
	v_add_f64 v[42:43], v[42:43], -v[46:47]
	v_add_f64 v[38:39], v[38:39], v[42:43]
	v_add_f64 v[42:43], v[44:45], v[38:39]
	v_add_f64 v[44:45], v[42:43], -v[44:45]
	s_mov_b32 s2, 0xfefa39ef
	v_add_f64 v[38:39], v[38:39], -v[44:45]
	v_cvt_f64_i32_e32 v[44:45], v1
	s_mov_b32 s3, 0x3fe62e42
	v_mul_f64 v[46:47], v[44:45], s[2:3]
	v_fma_f64 v[48:49], v[44:45], s[2:3], -v[46:47]
	s_mov_b32 s2, 0x3b39803f
	s_mov_b32 s3, 0x3c7abc9e
	v_fmac_f64_e32 v[48:49], s[2:3], v[44:45]
	v_add_f64 v[44:45], v[46:47], v[48:49]
	v_add_f64 v[46:47], v[44:45], -v[46:47]
	v_add_f64 v[46:47], v[48:49], -v[46:47]
	v_add_f64 v[48:49], v[44:45], v[42:43]
	v_add_f64 v[50:51], v[48:49], -v[44:45]
	v_add_f64 v[52:53], v[48:49], -v[50:51]
	;; [unrolled: 1-line block ×4, first 2 shown]
	v_add_f64 v[42:43], v[42:43], v[44:45]
	v_add_f64 v[44:45], v[46:47], v[38:39]
	v_add_f64 v[50:51], v[44:45], -v[46:47]
	v_add_f64 v[52:53], v[44:45], -v[50:51]
	v_add_f64 v[42:43], v[44:45], v[42:43]
	v_add_f64 v[46:47], v[46:47], -v[52:53]
	v_add_f64 v[38:39], v[38:39], -v[50:51]
	v_add_f64 v[44:45], v[48:49], v[42:43]
	v_add_f64 v[38:39], v[38:39], v[46:47]
	v_add_f64 v[46:47], v[44:45], -v[48:49]
	v_add_f64 v[42:43], v[42:43], -v[46:47]
	v_add_f64 v[38:39], v[38:39], v[42:43]
	s_movk_i32 s2, 0x204
	v_add_f64 v[38:39], v[44:45], v[38:39]
	v_cmp_class_f64_e64 s[2:3], v[26:27], s2
	v_cndmask_b32_e64 v1, v38, v26, s[2:3]
	v_cndmask_b32_e64 v23, v39, v27, s[2:3]
	v_mov_b32_e32 v25, 0x7ff80000
	v_cmp_ngt_f64_e64 s[2:3], 0, v[26:27]
	v_cndmask_b32_e64 v23, v25, v23, s[2:3]
	v_cmp_nge_f64_e64 s[2:3], 0, v[26:27]
	v_cndmask_b32_e64 v38, 0, v1, s[2:3]
	v_mov_b32_e32 v1, 0xfff00000
	v_cmp_neq_f64_e64 s[2:3], 0, v[26:27]
	v_cndmask_b32_e64 v39, v1, v23, s[2:3]
	s_and_saveexec_b64 s[2:3], vcc
	s_cbranch_execnz .LBB32_62
; %bb.49:
	s_or_b64 exec, exec, s[2:3]
	s_and_saveexec_b64 s[2:3], s[0:1]
	s_cbranch_execnz .LBB32_63
.LBB32_50:
	s_or_b64 exec, exec, s[2:3]
	s_and_saveexec_b64 s[0:1], s[10:11]
	s_cbranch_execnz .LBB32_64
.LBB32_51:
	s_or_b64 exec, exec, s[0:1]
	s_and_saveexec_b64 s[0:1], s[12:13]
	s_cbranch_execnz .LBB32_65
.LBB32_52:
	s_or_b64 exec, exec, s[0:1]
	s_and_saveexec_b64 s[0:1], s[14:15]
	s_cbranch_execnz .LBB32_66
.LBB32_53:
	s_or_b64 exec, exec, s[0:1]
	s_and_saveexec_b64 s[0:1], s[16:17]
	s_cbranch_execnz .LBB32_67
.LBB32_54:
	s_or_b64 exec, exec, s[0:1]
	s_and_saveexec_b64 s[0:1], s[18:19]
	s_cbranch_execnz .LBB32_68
.LBB32_55:
	s_or_b64 exec, exec, s[0:1]
	s_and_saveexec_b64 s[0:1], s[20:21]
	s_cbranch_execnz .LBB32_69
.LBB32_56:
	s_or_b64 exec, exec, s[0:1]
	s_and_saveexec_b64 s[0:1], s[22:23]
	s_cbranch_execnz .LBB32_70
.LBB32_57:
	s_endpgm
.LBB32_58:
	ds_read_b64 v[20:21], v48
	s_or_b64 exec, exec, s[0:1]
	v_cmp_gt_u32_e64 s[6:7], 64, v0
	s_and_saveexec_b64 s[8:9], s[6:7]
	s_cbranch_execz .LBB32_22
.LBB32_59:
	s_waitcnt lgkmcnt(0)
	ds_bpermute_b32 v22, v41, v20
	ds_bpermute_b32 v23, v41, v21
	s_waitcnt lgkmcnt(0)
	v_cmp_lt_f64_e64 s[0:1], v[20:21], v[22:23]
	v_cndmask_b32_e64 v21, v21, v23, s[0:1]
	v_cndmask_b32_e64 v20, v20, v22, s[0:1]
	ds_bpermute_b32 v23, v42, v21
	ds_bpermute_b32 v22, v42, v20
	s_waitcnt lgkmcnt(0)
	v_cmp_lt_f64_e64 s[0:1], v[20:21], v[22:23]
	v_cndmask_b32_e64 v21, v21, v23, s[0:1]
	v_cndmask_b32_e64 v20, v20, v22, s[0:1]
	;; [unrolled: 6-line block ×6, first 2 shown]
	s_or_b64 exec, exec, s[8:9]
	v_cmp_eq_u32_e64 s[8:9], 0, v0
	s_and_saveexec_b64 s[0:1], s[8:9]
	s_cbranch_execnz .LBB32_23
	s_branch .LBB32_24
.LBB32_60:
	ds_read_b64 v[26:27], v48
	s_or_b64 exec, exec, s[2:3]
	s_and_saveexec_b64 s[2:3], s[6:7]
	s_cbranch_execz .LBB32_46
.LBB32_61:
	s_waitcnt lgkmcnt(0)
	ds_bpermute_b32 v38, v41, v26
	ds_bpermute_b32 v39, v41, v27
	s_waitcnt lgkmcnt(0)
	v_add_f64 v[26:27], v[26:27], v[38:39]
	ds_bpermute_b32 v38, v42, v26
	ds_bpermute_b32 v39, v42, v27
	s_waitcnt lgkmcnt(0)
	v_add_f64 v[26:27], v[26:27], v[38:39]
	ds_bpermute_b32 v38, v43, v26
	ds_bpermute_b32 v39, v43, v27
	s_waitcnt lgkmcnt(0)
	v_add_f64 v[26:27], v[26:27], v[38:39]
	ds_bpermute_b32 v38, v44, v26
	ds_bpermute_b32 v39, v44, v27
	s_waitcnt lgkmcnt(0)
	v_add_f64 v[26:27], v[26:27], v[38:39]
	ds_bpermute_b32 v38, v45, v26
	ds_bpermute_b32 v39, v45, v27
	s_waitcnt lgkmcnt(0)
	v_add_f64 v[26:27], v[26:27], v[38:39]
	ds_bpermute_b32 v38, v46, v26
	ds_bpermute_b32 v39, v46, v27
	s_waitcnt lgkmcnt(0)
	v_add_f64 v[26:27], v[26:27], v[38:39]
	s_or_b64 exec, exec, s[2:3]
	s_and_saveexec_b64 s[2:3], s[8:9]
	s_cbranch_execnz .LBB32_47
	s_branch .LBB32_48
.LBB32_62:
	v_add_f64 v[2:3], v[2:3], -v[20:21]
	v_add_f64 v[2:3], v[2:3], -v[38:39]
	global_store_dwordx2 v40, v[2:3], s[6:7]
	s_or_b64 exec, exec, s[2:3]
	s_and_saveexec_b64 s[2:3], s[0:1]
	s_cbranch_execz .LBB32_50
.LBB32_63:
	v_lshlrev_b32_e32 v2, 3, v0
	v_add_f64 v[0:1], v[4:5], -v[20:21]
	v_add_f64 v[0:1], v[0:1], -v[38:39]
	global_store_dwordx2 v2, v[0:1], s[6:7]
	s_or_b64 exec, exec, s[2:3]
	s_and_saveexec_b64 s[0:1], s[10:11]
	s_cbranch_execz .LBB32_51
.LBB32_64:
	v_add_f64 v[0:1], v[6:7], -v[20:21]
	v_lshlrev_b32_e32 v2, 3, v22
	v_add_f64 v[0:1], v[0:1], -v[38:39]
	global_store_dwordx2 v2, v[0:1], s[6:7]
	s_or_b64 exec, exec, s[0:1]
	s_and_saveexec_b64 s[0:1], s[12:13]
	s_cbranch_execz .LBB32_52
.LBB32_65:
	v_add_f64 v[0:1], v[8:9], -v[20:21]
	v_lshlrev_b32_e32 v2, 3, v24
	v_add_f64 v[0:1], v[0:1], -v[38:39]
	global_store_dwordx2 v2, v[0:1], s[6:7]
	s_or_b64 exec, exec, s[0:1]
	s_and_saveexec_b64 s[0:1], s[14:15]
	s_cbranch_execz .LBB32_53
.LBB32_66:
	v_add_f64 v[0:1], v[10:11], -v[20:21]
	v_lshlrev_b32_e32 v2, 3, v28
	v_add_f64 v[0:1], v[0:1], -v[38:39]
	global_store_dwordx2 v2, v[0:1], s[6:7]
	s_or_b64 exec, exec, s[0:1]
	s_and_saveexec_b64 s[0:1], s[16:17]
	s_cbranch_execz .LBB32_54
.LBB32_67:
	v_add_f64 v[0:1], v[12:13], -v[20:21]
	v_lshlrev_b32_e32 v2, 3, v30
	v_add_f64 v[0:1], v[0:1], -v[38:39]
	global_store_dwordx2 v2, v[0:1], s[6:7]
	s_or_b64 exec, exec, s[0:1]
	s_and_saveexec_b64 s[0:1], s[18:19]
	s_cbranch_execz .LBB32_55
.LBB32_68:
	v_add_f64 v[0:1], v[14:15], -v[20:21]
	v_lshlrev_b32_e32 v2, 3, v32
	v_add_f64 v[0:1], v[0:1], -v[38:39]
	global_store_dwordx2 v2, v[0:1], s[6:7]
	s_or_b64 exec, exec, s[0:1]
	s_and_saveexec_b64 s[0:1], s[20:21]
	s_cbranch_execz .LBB32_56
.LBB32_69:
	v_add_f64 v[0:1], v[16:17], -v[20:21]
	v_lshlrev_b32_e32 v2, 3, v34
	v_add_f64 v[0:1], v[0:1], -v[38:39]
	global_store_dwordx2 v2, v[0:1], s[6:7]
	s_or_b64 exec, exec, s[0:1]
	s_and_saveexec_b64 s[0:1], s[22:23]
	s_cbranch_execz .LBB32_57
.LBB32_70:
	v_add_f64 v[0:1], v[18:19], -v[20:21]
	v_lshlrev_b32_e32 v2, 3, v36
	v_add_f64 v[0:1], v[0:1], -v[38:39]
	global_store_dwordx2 v2, v[0:1], s[6:7]
	s_endpgm
	.section	.rodata,"a",@progbits
	.p2align	6, 0x0
	.amdhsa_kernel _ZN2at6native12_GLOBAL__N_122cunn_SoftMaxForwardRegIdddNS1_25LogSoftMaxForwardEpilogueElLi9EEEvPT1_PKT_T3_
		.amdhsa_group_segment_fixed_size 0
		.amdhsa_private_segment_fixed_size 0
		.amdhsa_kernarg_size 280
		.amdhsa_user_sgpr_count 6
		.amdhsa_user_sgpr_private_segment_buffer 1
		.amdhsa_user_sgpr_dispatch_ptr 0
		.amdhsa_user_sgpr_queue_ptr 0
		.amdhsa_user_sgpr_kernarg_segment_ptr 1
		.amdhsa_user_sgpr_dispatch_id 0
		.amdhsa_user_sgpr_flat_scratch_init 0
		.amdhsa_user_sgpr_kernarg_preload_length 0
		.amdhsa_user_sgpr_kernarg_preload_offset 0
		.amdhsa_user_sgpr_private_segment_size 0
		.amdhsa_uses_dynamic_stack 0
		.amdhsa_system_sgpr_private_segment_wavefront_offset 0
		.amdhsa_system_sgpr_workgroup_id_x 1
		.amdhsa_system_sgpr_workgroup_id_y 0
		.amdhsa_system_sgpr_workgroup_id_z 0
		.amdhsa_system_sgpr_workgroup_info 0
		.amdhsa_system_vgpr_workitem_id 0
		.amdhsa_next_free_vgpr 58
		.amdhsa_next_free_sgpr 36
		.amdhsa_accum_offset 60
		.amdhsa_reserve_vcc 1
		.amdhsa_reserve_flat_scratch 0
		.amdhsa_float_round_mode_32 0
		.amdhsa_float_round_mode_16_64 0
		.amdhsa_float_denorm_mode_32 3
		.amdhsa_float_denorm_mode_16_64 3
		.amdhsa_dx10_clamp 1
		.amdhsa_ieee_mode 1
		.amdhsa_fp16_overflow 0
		.amdhsa_tg_split 0
		.amdhsa_exception_fp_ieee_invalid_op 0
		.amdhsa_exception_fp_denorm_src 0
		.amdhsa_exception_fp_ieee_div_zero 0
		.amdhsa_exception_fp_ieee_overflow 0
		.amdhsa_exception_fp_ieee_underflow 0
		.amdhsa_exception_fp_ieee_inexact 0
		.amdhsa_exception_int_div_zero 0
	.end_amdhsa_kernel
	.section	.text._ZN2at6native12_GLOBAL__N_122cunn_SoftMaxForwardRegIdddNS1_25LogSoftMaxForwardEpilogueElLi9EEEvPT1_PKT_T3_,"axG",@progbits,_ZN2at6native12_GLOBAL__N_122cunn_SoftMaxForwardRegIdddNS1_25LogSoftMaxForwardEpilogueElLi9EEEvPT1_PKT_T3_,comdat
.Lfunc_end32:
	.size	_ZN2at6native12_GLOBAL__N_122cunn_SoftMaxForwardRegIdddNS1_25LogSoftMaxForwardEpilogueElLi9EEEvPT1_PKT_T3_, .Lfunc_end32-_ZN2at6native12_GLOBAL__N_122cunn_SoftMaxForwardRegIdddNS1_25LogSoftMaxForwardEpilogueElLi9EEEvPT1_PKT_T3_
                                        ; -- End function
	.section	.AMDGPU.csdata,"",@progbits
; Kernel info:
; codeLenInByte = 7140
; NumSgprs: 40
; NumVgprs: 58
; NumAgprs: 0
; TotalNumVgprs: 58
; ScratchSize: 0
; MemoryBound: 0
; FloatMode: 240
; IeeeMode: 1
; LDSByteSize: 0 bytes/workgroup (compile time only)
; SGPRBlocks: 4
; VGPRBlocks: 7
; NumSGPRsForWavesPerEU: 40
; NumVGPRsForWavesPerEU: 58
; AccumOffset: 60
; Occupancy: 8
; WaveLimiterHint : 0
; COMPUTE_PGM_RSRC2:SCRATCH_EN: 0
; COMPUTE_PGM_RSRC2:USER_SGPR: 6
; COMPUTE_PGM_RSRC2:TRAP_HANDLER: 0
; COMPUTE_PGM_RSRC2:TGID_X_EN: 1
; COMPUTE_PGM_RSRC2:TGID_Y_EN: 0
; COMPUTE_PGM_RSRC2:TGID_Z_EN: 0
; COMPUTE_PGM_RSRC2:TIDIG_COMP_CNT: 0
; COMPUTE_PGM_RSRC3_GFX90A:ACCUM_OFFSET: 14
; COMPUTE_PGM_RSRC3_GFX90A:TG_SPLIT: 0
	.section	.text._ZN2at6native12_GLOBAL__N_123cunn_SoftMaxForwardSmemILi2EdddNS1_25LogSoftMaxForwardEpilogueElEEvPT2_PKT0_T4_,"axG",@progbits,_ZN2at6native12_GLOBAL__N_123cunn_SoftMaxForwardSmemILi2EdddNS1_25LogSoftMaxForwardEpilogueElEEvPT2_PKT0_T4_,comdat
	.globl	_ZN2at6native12_GLOBAL__N_123cunn_SoftMaxForwardSmemILi2EdddNS1_25LogSoftMaxForwardEpilogueElEEvPT2_PKT0_T4_ ; -- Begin function _ZN2at6native12_GLOBAL__N_123cunn_SoftMaxForwardSmemILi2EdddNS1_25LogSoftMaxForwardEpilogueElEEvPT2_PKT0_T4_
	.p2align	8
	.type	_ZN2at6native12_GLOBAL__N_123cunn_SoftMaxForwardSmemILi2EdddNS1_25LogSoftMaxForwardEpilogueElEEvPT2_PKT0_T4_,@function
_ZN2at6native12_GLOBAL__N_123cunn_SoftMaxForwardSmemILi2EdddNS1_25LogSoftMaxForwardEpilogueElEEvPT2_PKT0_T4_: ; @_ZN2at6native12_GLOBAL__N_123cunn_SoftMaxForwardSmemILi2EdddNS1_25LogSoftMaxForwardEpilogueElEEvPT2_PKT0_T4_
; %bb.0:
	s_load_dwordx4 s[20:23], s[4:5], 0x0
	s_load_dwordx2 s[18:19], s[4:5], 0x10
	v_mov_b32_e32 v1, 0
	s_mov_b32 s8, -1
	v_lshlrev_b32_e32 v2, 1, v0
	v_mov_b32_e32 v3, v1
	s_mov_b32 s9, 0xffefffff
	s_mov_b32 s12, 0
	s_waitcnt lgkmcnt(0)
	v_cmp_gt_i64_e32 vcc, s[18:19], v[2:3]
	v_pk_mov_b32 v[2:3], s[8:9], s[8:9] op_sel:[0,1]
	s_mul_i32 s33, s19, s6
	s_mul_hi_u32 s58, s18, s6
	s_mul_i32 s24, s18, s6
	v_lshlrev_b32_e32 v10, 4, v0
	s_and_saveexec_b64 s[2:3], vcc
	s_cbranch_execz .LBB33_4
; %bb.1:
	s_load_dword s6, s[4:5], 0x24
	s_add_i32 s25, s58, s33
	s_lshl_b64 s[0:1], s[24:25], 3
	v_add_u32_e32 v8, 0, v10
	v_mov_b32_e32 v9, s12
	s_waitcnt lgkmcnt(0)
	s_and_b32 s10, s6, 0xffff
	s_add_u32 s0, s22, s0
	s_addc_u32 s1, s23, s1
	v_mov_b32_e32 v2, s1
	v_add_co_u32_e64 v3, s[0:1], s0, v10
	v_addc_co_u32_e64 v2, s[0:1], 0, v2, s[0:1]
	v_add_co_u32_e64 v4, s[0:1], 8, v3
	v_addc_co_u32_e64 v5, s[0:1], 0, v2, s[0:1]
	s_lshl_b32 s11, s10, 4
	s_mov_b64 s[6:7], 0
	v_pk_mov_b32 v[2:3], s[8:9], s[8:9] op_sel:[0,1]
	v_mov_b32_e32 v11, s12
	v_pk_mov_b32 v[6:7], v[0:1], v[0:1] op_sel:[0,1]
.LBB33_2:                               ; =>This Inner Loop Header: Depth=1
	global_load_dwordx4 v[12:15], v[4:5], off offset:-8
	v_add_co_u32_e64 v6, s[0:1], s10, v6
	v_addc_co_u32_e64 v7, s[0:1], v7, v9, s[0:1]
	v_add_co_u32_e64 v4, s[0:1], s11, v4
	v_max_f64 v[2:3], v[2:3], v[2:3]
	v_addc_co_u32_e64 v5, s[0:1], v5, v11, s[0:1]
	v_lshlrev_b64 v[16:17], 1, v[6:7]
	v_cmp_le_i64_e64 s[0:1], s[18:19], v[16:17]
	s_or_b64 s[6:7], s[0:1], s[6:7]
	s_waitcnt vmcnt(0)
	ds_write_b128 v8, v[12:15]
	v_max_f64 v[12:13], v[12:13], v[12:13]
	v_max_f64 v[14:15], v[14:15], v[14:15]
	;; [unrolled: 1-line block ×3, first 2 shown]
	v_add_u32_e32 v8, s11, v8
	v_max_f64 v[2:3], v[2:3], v[14:15]
	s_andn2_b64 exec, exec, s[6:7]
	s_cbranch_execnz .LBB33_2
; %bb.3:
	s_or_b64 exec, exec, s[6:7]
.LBB33_4:
	s_or_b64 exec, exec, s[2:3]
	v_mbcnt_lo_u32_b32 v4, -1, 0
	v_mbcnt_hi_u32_b32 v7, -1, v4
	v_and_b32_e32 v8, 63, v7
	v_cmp_gt_u32_e64 s[0:1], 32, v8
	v_cndmask_b32_e64 v4, 0, 1, s[0:1]
	v_lshlrev_b32_e32 v4, 5, v4
	v_add_lshl_u32 v11, v4, v7, 2
	ds_bpermute_b32 v4, v11, v2
	ds_bpermute_b32 v5, v11, v3
	v_and_b32_e32 v6, 63, v0
	s_mov_b32 s6, -1
	v_lshrrev_b32_e32 v17, 3, v0
	s_waitcnt lgkmcnt(0)
	v_cmp_lt_f64_e64 s[0:1], v[2:3], v[4:5]
	v_cndmask_b32_e64 v3, v3, v5, s[0:1]
	v_cndmask_b32_e64 v2, v2, v4, s[0:1]
	v_cmp_gt_u32_e64 s[0:1], 48, v8
	v_cndmask_b32_e64 v4, 0, 1, s[0:1]
	v_lshlrev_b32_e32 v4, 4, v4
	v_add_lshl_u32 v12, v4, v7, 2
	ds_bpermute_b32 v5, v12, v3
	ds_bpermute_b32 v4, v12, v2
	s_barrier
	s_waitcnt lgkmcnt(0)
	v_cmp_lt_f64_e64 s[0:1], v[2:3], v[4:5]
	v_cndmask_b32_e64 v3, v3, v5, s[0:1]
	v_cndmask_b32_e64 v2, v2, v4, s[0:1]
	v_cmp_gt_u32_e64 s[0:1], 56, v8
	v_cndmask_b32_e64 v4, 0, 1, s[0:1]
	v_lshlrev_b32_e32 v4, 3, v4
	v_add_lshl_u32 v13, v4, v7, 2
	ds_bpermute_b32 v4, v13, v2
	ds_bpermute_b32 v5, v13, v3
	s_waitcnt lgkmcnt(0)
	v_cmp_lt_f64_e64 s[0:1], v[2:3], v[4:5]
	v_cndmask_b32_e64 v3, v3, v5, s[0:1]
	v_cndmask_b32_e64 v2, v2, v4, s[0:1]
	v_cmp_gt_u32_e64 s[0:1], 60, v8
	v_cndmask_b32_e64 v4, 0, 1, s[0:1]
	v_lshlrev_b32_e32 v4, 2, v4
	v_add_lshl_u32 v14, v4, v7, 2
	ds_bpermute_b32 v4, v14, v2
	ds_bpermute_b32 v5, v14, v3
	s_waitcnt lgkmcnt(0)
	v_cmp_lt_f64_e64 s[0:1], v[2:3], v[4:5]
	v_cndmask_b32_e64 v3, v3, v5, s[0:1]
	v_cndmask_b32_e64 v2, v2, v4, s[0:1]
	v_cmp_gt_u32_e64 s[0:1], 62, v8
	v_cndmask_b32_e64 v4, 0, 1, s[0:1]
	v_lshlrev_b32_e32 v4, 1, v4
	v_add_lshl_u32 v15, v4, v7, 2
	ds_bpermute_b32 v4, v15, v2
	ds_bpermute_b32 v5, v15, v3
	s_lshl_b32 s0, s18, 3
	s_add_i32 s25, s0, 0
	s_waitcnt lgkmcnt(0)
	v_cmp_lt_f64_e64 s[0:1], v[2:3], v[4:5]
	v_cndmask_b32_e64 v3, v3, v5, s[0:1]
	v_cndmask_b32_e64 v2, v2, v4, s[0:1]
	v_cmp_ne_u32_e64 s[0:1], 63, v8
	v_addc_co_u32_e64 v4, s[0:1], 0, v7, s[0:1]
	v_lshlrev_b32_e32 v16, 2, v4
	ds_bpermute_b32 v4, v16, v2
	ds_bpermute_b32 v5, v16, v3
	v_cmp_eq_u32_e64 s[0:1], 0, v6
	s_and_saveexec_b64 s[8:9], s[0:1]
	s_cbranch_execz .LBB33_6
; %bb.5:
	s_waitcnt lgkmcnt(0)
	v_cmp_lt_f64_e64 s[2:3], v[2:3], v[4:5]
	v_add_u32_e32 v7, s25, v17
	v_cndmask_b32_e64 v3, v3, v5, s[2:3]
	v_cndmask_b32_e64 v2, v2, v4, s[2:3]
	ds_write_b64 v7, v[2:3]
.LBB33_6:
	s_or_b64 exec, exec, s[8:9]
	s_waitcnt lgkmcnt(0)
	s_barrier
	s_load_dword s10, s[4:5], 0x24
	s_mov_b32 s7, 0xffefffff
	v_pk_mov_b32 v[2:3], s[6:7], s[6:7] op_sel:[0,1]
	v_lshl_add_u32 v18, v6, 3, s25
	s_waitcnt lgkmcnt(0)
	s_bfe_u32 s2, s10, 0xa0006
	v_cmp_gt_u32_e64 s[2:3], s2, v0
	s_and_saveexec_b64 s[4:5], s[2:3]
	s_cbranch_execnz .LBB33_24
; %bb.7:
	s_or_b64 exec, exec, s[4:5]
	v_cmp_gt_u32_e64 s[4:5], 64, v0
	s_and_saveexec_b64 s[8:9], s[4:5]
	s_cbranch_execnz .LBB33_25
.LBB33_8:
	s_or_b64 exec, exec, s[8:9]
	v_cmp_eq_u32_e64 s[6:7], 0, v0
	s_and_saveexec_b64 s[8:9], s[6:7]
	s_cbranch_execz .LBB33_10
.LBB33_9:
	v_mov_b32_e32 v4, s25
	s_waitcnt lgkmcnt(0)
	ds_write_b64 v4, v[2:3]
.LBB33_10:
	s_or_b64 exec, exec, s[8:9]
	s_waitcnt lgkmcnt(0)
	v_mov_b32_e32 v2, s25
	s_barrier
	ds_read_b64 v[2:3], v2
	s_and_b32 s59, s10, 0xffff
	v_pk_mov_b32 v[4:5], 0, 0
	s_and_saveexec_b64 s[22:23], vcc
	s_cbranch_execz .LBB33_14
; %bb.11:
	s_mov_b32 s8, 0xfca7ab0c
	s_mov_b32 s10, 0
	;; [unrolled: 1-line block ×17, first 2 shown]
	v_lshl_add_u32 v19, v0, 4, 0
	s_lshl_b32 s60, s59, 4
	s_mov_b64 s[26:27], 0
	v_pk_mov_b32 v[4:5], 0, 0
	s_mov_b32 s29, 0x3ff71547
	s_mov_b32 s31, 0xbfe62e42
	;; [unrolled: 1-line block ×4, first 2 shown]
	v_pk_mov_b32 v[6:7], s[8:9], s[8:9] op_sel:[0,1]
	s_mov_b32 s39, 0x3ec71dee
	s_mov_b32 s41, 0x3efa0199
	;; [unrolled: 1-line block ×9, first 2 shown]
	v_mov_b32_e32 v20, 0x7ff00000
	s_mov_b32 s57, 0xc090cc00
	v_mov_b32_e32 v21, s10
	v_pk_mov_b32 v[8:9], v[0:1], v[0:1] op_sel:[0,1]
.LBB33_12:                              ; =>This Inner Loop Header: Depth=1
	ds_read_b128 v[22:25], v19
	v_add_co_u32_e64 v8, s[8:9], s59, v8
	v_addc_co_u32_e64 v9, s[8:9], v9, v21, s[8:9]
	v_lshlrev_b64 v[26:27], 1, v[8:9]
	s_waitcnt lgkmcnt(0)
	v_add_f64 v[22:23], v[22:23], -v[2:3]
	v_cmp_le_i64_e64 s[8:9], s[18:19], v[26:27]
	v_add_f64 v[24:25], v[24:25], -v[2:3]
	v_mul_f64 v[26:27], v[22:23], s[28:29]
	v_mul_f64 v[28:29], v[24:25], s[28:29]
	v_rndne_f64_e32 v[26:27], v[26:27]
	v_rndne_f64_e32 v[28:29], v[28:29]
	v_fma_f64 v[30:31], s[30:31], v[26:27], v[22:23]
	v_fma_f64 v[32:33], s[30:31], v[28:29], v[24:25]
	v_fmac_f64_e32 v[30:31], s[34:35], v[26:27]
	v_cvt_i32_f64_e32 v34, v[26:27]
	v_fmac_f64_e32 v[32:33], s[34:35], v[28:29]
	v_fma_f64 v[26:27], s[36:37], v[30:31], v[6:7]
	v_cvt_i32_f64_e32 v35, v[28:29]
	v_fma_f64 v[28:29], s[36:37], v[32:33], v[6:7]
	v_fma_f64 v[26:27], v[30:31], v[26:27], s[38:39]
	v_fma_f64 v[28:29], v[32:33], v[28:29], s[38:39]
	v_fma_f64 v[26:27], v[30:31], v[26:27], s[40:41]
	v_fma_f64 v[28:29], v[32:33], v[28:29], s[40:41]
	v_fma_f64 v[26:27], v[30:31], v[26:27], s[42:43]
	v_fma_f64 v[28:29], v[32:33], v[28:29], s[42:43]
	v_fma_f64 v[26:27], v[30:31], v[26:27], s[44:45]
	v_fma_f64 v[28:29], v[32:33], v[28:29], s[44:45]
	v_fma_f64 v[26:27], v[30:31], v[26:27], s[46:47]
	v_fma_f64 v[28:29], v[32:33], v[28:29], s[46:47]
	v_fma_f64 v[26:27], v[30:31], v[26:27], s[48:49]
	v_fma_f64 v[28:29], v[32:33], v[28:29], s[48:49]
	v_fma_f64 v[26:27], v[30:31], v[26:27], s[50:51]
	v_fma_f64 v[28:29], v[32:33], v[28:29], s[50:51]
	v_fma_f64 v[26:27], v[30:31], v[26:27], s[52:53]
	v_fma_f64 v[28:29], v[32:33], v[28:29], s[52:53]
	v_fma_f64 v[26:27], v[30:31], v[26:27], 1.0
	v_fma_f64 v[28:29], v[32:33], v[28:29], 1.0
	;; [unrolled: 1-line block ×4, first 2 shown]
	v_ldexp_f64 v[26:27], v[26:27], v34
	v_cmp_nlt_f64_e64 s[12:13], s[54:55], v[22:23]
	v_cmp_ngt_f64_e64 s[16:17], s[56:57], v[22:23]
	v_ldexp_f64 v[28:29], v[28:29], v35
	v_cmp_nlt_f64_e64 s[10:11], s[54:55], v[24:25]
	v_cndmask_b32_e64 v27, v20, v27, s[12:13]
	v_cmp_ngt_f64_e64 s[14:15], s[56:57], v[24:25]
	s_and_b64 s[12:13], s[16:17], s[12:13]
	v_cndmask_b32_e64 v29, v20, v29, s[10:11]
	v_cndmask_b32_e64 v23, 0, v27, s[16:17]
	;; [unrolled: 1-line block ×3, first 2 shown]
	s_and_b64 s[10:11], s[14:15], s[10:11]
	v_cndmask_b32_e64 v25, 0, v29, s[14:15]
	v_cndmask_b32_e64 v24, 0, v28, s[10:11]
	v_add_f64 v[4:5], v[4:5], v[22:23]
	v_add_u32_e32 v19, s60, v19
	s_or_b64 s[26:27], s[8:9], s[26:27]
	v_add_f64 v[4:5], v[4:5], v[24:25]
	s_andn2_b64 exec, exec, s[26:27]
	s_cbranch_execnz .LBB33_12
; %bb.13:
	s_or_b64 exec, exec, s[26:27]
.LBB33_14:
	s_or_b64 exec, exec, s[22:23]
	ds_bpermute_b32 v6, v11, v4
	ds_bpermute_b32 v7, v11, v5
	s_waitcnt lgkmcnt(0)
	s_barrier
	v_add_f64 v[4:5], v[4:5], v[6:7]
	ds_bpermute_b32 v6, v12, v4
	ds_bpermute_b32 v7, v12, v5
	s_waitcnt lgkmcnt(0)
	v_add_f64 v[4:5], v[4:5], v[6:7]
	ds_bpermute_b32 v6, v13, v4
	ds_bpermute_b32 v7, v13, v5
	s_waitcnt lgkmcnt(0)
	;; [unrolled: 4-line block ×4, first 2 shown]
	v_add_f64 v[4:5], v[4:5], v[6:7]
	ds_bpermute_b32 v6, v16, v4
	ds_bpermute_b32 v7, v16, v5
	s_and_saveexec_b64 s[8:9], s[0:1]
	s_cbranch_execz .LBB33_16
; %bb.15:
	v_add_u32_e32 v8, s25, v17
	s_waitcnt lgkmcnt(0)
	v_add_f64 v[4:5], v[4:5], v[6:7]
	ds_write_b64 v8, v[4:5]
.LBB33_16:
	s_or_b64 exec, exec, s[8:9]
	v_pk_mov_b32 v[4:5], 0, 0
	s_waitcnt lgkmcnt(0)
	s_barrier
	s_and_saveexec_b64 s[0:1], s[2:3]
	s_cbranch_execnz .LBB33_26
; %bb.17:
	s_or_b64 exec, exec, s[0:1]
	s_and_saveexec_b64 s[0:1], s[4:5]
	s_cbranch_execnz .LBB33_27
.LBB33_18:
	s_or_b64 exec, exec, s[0:1]
	s_and_saveexec_b64 s[0:1], s[6:7]
	s_cbranch_execz .LBB33_20
.LBB33_19:
	v_mov_b32_e32 v6, s25
	s_waitcnt lgkmcnt(0)
	ds_write_b64 v6, v[4:5]
.LBB33_20:
	s_or_b64 exec, exec, s[0:1]
	s_waitcnt lgkmcnt(0)
	s_barrier
	s_and_saveexec_b64 s[0:1], vcc
	s_cbranch_execz .LBB33_23
; %bb.21:
	v_mov_b32_e32 v4, s25
	ds_read_b64 v[4:5], v4
	s_mov_b32 s0, 0x55555555
	s_mov_b32 s1, 0x3fe55555
	s_mov_b32 s2, 0xbf559e2b
	s_mov_b32 s3, 0x3fc3ab76
	s_waitcnt lgkmcnt(0)
	v_frexp_mant_f64_e32 v[6:7], v[4:5]
	v_frexp_exp_i32_f64_e32 v8, v[4:5]
	v_cmp_gt_f64_e32 vcc, s[0:1], v[6:7]
	v_subbrev_co_u32_e64 v11, s[0:1], 0, v8, vcc
	s_and_b64 s[0:1], vcc, exec
	s_cselect_b32 s1, 2.0, 0x3ff00000
	s_mov_b32 s0, 0
	v_mul_f64 v[6:7], v[6:7], s[0:1]
	v_add_f64 v[8:9], v[6:7], 1.0
	v_rcp_f64_e32 v[12:13], v[8:9]
	v_add_f64 v[16:17], v[8:9], -1.0
	v_add_f64 v[14:15], v[6:7], -1.0
	v_add_f64 v[6:7], v[6:7], -v[16:17]
	v_fma_f64 v[16:17], -v[8:9], v[12:13], 1.0
	v_fmac_f64_e32 v[12:13], v[16:17], v[12:13]
	v_fma_f64 v[16:17], -v[8:9], v[12:13], 1.0
	v_fmac_f64_e32 v[12:13], v[16:17], v[12:13]
	v_mul_f64 v[16:17], v[14:15], v[12:13]
	v_mul_f64 v[18:19], v[8:9], v[16:17]
	v_fma_f64 v[8:9], v[16:17], v[8:9], -v[18:19]
	v_fmac_f64_e32 v[8:9], v[16:17], v[6:7]
	v_add_f64 v[6:7], v[18:19], v[8:9]
	v_add_f64 v[20:21], v[14:15], -v[6:7]
	v_add_f64 v[18:19], v[6:7], -v[18:19]
	;; [unrolled: 1-line block ×5, first 2 shown]
	v_add_f64 v[6:7], v[8:9], v[6:7]
	v_add_f64 v[6:7], v[20:21], v[6:7]
	v_mul_f64 v[6:7], v[12:13], v[6:7]
	v_add_f64 v[8:9], v[16:17], v[6:7]
	v_add_f64 v[12:13], v[8:9], -v[16:17]
	v_add_f64 v[6:7], v[6:7], -v[12:13]
	v_mul_f64 v[12:13], v[8:9], v[8:9]
	v_mov_b32_e32 v14, 0x6b47b09a
	v_mov_b32_e32 v15, 0x3fc38538
	v_fmac_f64_e32 v[14:15], s[2:3], v[12:13]
	v_mov_b32_e32 v16, 0xd7f4df2e
	v_mov_b32_e32 v17, 0x3fc7474d
	v_fmac_f64_e32 v[16:17], v[12:13], v[14:15]
	v_mov_b32_e32 v14, 0x16291751
	v_mov_b32_e32 v15, 0x3fcc71c0
	v_fmac_f64_e32 v[14:15], v[12:13], v[16:17]
	v_mov_b32_e32 v16, 0x9b27acf1
	v_mov_b32_e32 v17, 0x3fd24924
	v_fmac_f64_e32 v[16:17], v[12:13], v[14:15]
	v_mov_b32_e32 v14, 0x998ef7b6
	v_mov_b32_e32 v15, 0x3fd99999
	v_fmac_f64_e32 v[14:15], v[12:13], v[16:17]
	v_mov_b32_e32 v16, 0x55555780
	v_mov_b32_e32 v17, 0x3fe55555
	v_fmac_f64_e32 v[16:17], v[12:13], v[14:15]
	v_ldexp_f64 v[14:15], v[8:9], 1
	v_mul_f64 v[8:9], v[8:9], v[12:13]
	v_mul_f64 v[8:9], v[8:9], v[16:17]
	v_add_f64 v[12:13], v[14:15], v[8:9]
	v_add_f64 v[14:15], v[12:13], -v[14:15]
	v_ldexp_f64 v[6:7], v[6:7], 1
	v_add_f64 v[8:9], v[8:9], -v[14:15]
	v_add_f64 v[6:7], v[6:7], v[8:9]
	v_add_f64 v[8:9], v[12:13], v[6:7]
	v_add_f64 v[12:13], v[8:9], -v[12:13]
	s_mov_b32 s2, 0xfefa39ef
	v_add_f64 v[6:7], v[6:7], -v[12:13]
	v_cvt_f64_i32_e32 v[12:13], v11
	s_mov_b32 s3, 0x3fe62e42
	v_mul_f64 v[14:15], v[12:13], s[2:3]
	v_fma_f64 v[16:17], v[12:13], s[2:3], -v[14:15]
	s_mov_b32 s2, 0x3b39803f
	s_mov_b32 s3, 0x3c7abc9e
	v_fmac_f64_e32 v[16:17], s[2:3], v[12:13]
	v_add_f64 v[12:13], v[14:15], v[16:17]
	v_add_f64 v[14:15], v[12:13], -v[14:15]
	v_add_f64 v[14:15], v[16:17], -v[14:15]
	v_add_f64 v[16:17], v[12:13], v[8:9]
	v_add_f64 v[18:19], v[16:17], -v[12:13]
	v_add_f64 v[20:21], v[16:17], -v[18:19]
	v_add_f64 v[12:13], v[12:13], -v[20:21]
	v_add_f64 v[8:9], v[8:9], -v[18:19]
	v_add_f64 v[8:9], v[8:9], v[12:13]
	v_add_f64 v[12:13], v[14:15], v[6:7]
	v_add_f64 v[18:19], v[12:13], -v[14:15]
	v_add_f64 v[20:21], v[12:13], -v[18:19]
	v_add_f64 v[8:9], v[12:13], v[8:9]
	v_add_f64 v[14:15], v[14:15], -v[20:21]
	v_add_f64 v[6:7], v[6:7], -v[18:19]
	v_add_f64 v[12:13], v[16:17], v[8:9]
	v_add_f64 v[6:7], v[6:7], v[14:15]
	v_add_f64 v[14:15], v[12:13], -v[16:17]
	v_add_f64 v[8:9], v[8:9], -v[14:15]
	v_add_f64 v[6:7], v[6:7], v[8:9]
	s_movk_i32 s1, 0x204
	v_add_f64 v[6:7], v[12:13], v[6:7]
	v_cmp_class_f64_e64 vcc, v[4:5], s1
	s_add_i32 s25, s58, s33
	v_cndmask_b32_e32 v6, v6, v4, vcc
	v_cndmask_b32_e32 v7, v7, v5, vcc
	v_mov_b32_e32 v8, 0x7ff80000
	v_cmp_ngt_f64_e32 vcc, 0, v[4:5]
	s_lshl_b64 s[4:5], s[24:25], 3
	v_cndmask_b32_e32 v7, v8, v7, vcc
	v_cmp_nge_f64_e32 vcc, 0, v[4:5]
	s_add_u32 s4, s20, s4
	v_cndmask_b32_e32 v6, 0, v6, vcc
	v_mov_b32_e32 v8, 0xfff00000
	v_cmp_neq_f64_e32 vcc, 0, v[4:5]
	s_addc_u32 s5, s21, s5
	v_cndmask_b32_e32 v7, v8, v7, vcc
	v_mov_b32_e32 v4, s5
	v_add_co_u32_e32 v5, vcc, s4, v10
	v_addc_co_u32_e32 v8, vcc, 0, v4, vcc
	v_add_co_u32_e32 v4, vcc, 8, v5
	s_mov_b64 s[2:3], 0
	s_mov_b32 s1, s0
	v_addc_co_u32_e32 v5, vcc, 0, v8, vcc
	s_lshl_b32 s4, s59, 4
	v_add_u32_e32 v8, 0, v10
.LBB33_22:                              ; =>This Inner Loop Header: Depth=1
	ds_read_b128 v[10:13], v8
	v_mov_b32_e32 v9, s1
	v_add_co_u32_e32 v0, vcc, s59, v0
	v_addc_co_u32_e32 v1, vcc, v1, v9, vcc
	v_lshlrev_b64 v[14:15], 1, v[0:1]
	s_waitcnt lgkmcnt(0)
	v_add_f64 v[10:11], v[10:11], -v[2:3]
	v_add_f64 v[12:13], v[12:13], -v[2:3]
	v_cmp_le_i64_e32 vcc, s[18:19], v[14:15]
	v_add_f64 v[10:11], v[10:11], -v[6:7]
	v_add_f64 v[12:13], v[12:13], -v[6:7]
	v_mov_b32_e32 v16, s0
	s_or_b64 s[2:3], vcc, s[2:3]
	global_store_dwordx4 v[4:5], v[10:13], off offset:-8
	v_add_co_u32_e32 v4, vcc, s4, v4
	v_add_u32_e32 v8, s4, v8
	v_addc_co_u32_e32 v5, vcc, v5, v16, vcc
	s_andn2_b64 exec, exec, s[2:3]
	s_cbranch_execnz .LBB33_22
.LBB33_23:
	s_endpgm
.LBB33_24:
	ds_read_b64 v[2:3], v18
	s_or_b64 exec, exec, s[4:5]
	v_cmp_gt_u32_e64 s[4:5], 64, v0
	s_and_saveexec_b64 s[8:9], s[4:5]
	s_cbranch_execz .LBB33_8
.LBB33_25:
	s_waitcnt lgkmcnt(0)
	ds_bpermute_b32 v4, v11, v2
	ds_bpermute_b32 v5, v11, v3
	s_waitcnt lgkmcnt(0)
	v_cmp_lt_f64_e64 s[6:7], v[2:3], v[4:5]
	v_cndmask_b32_e64 v3, v3, v5, s[6:7]
	v_cndmask_b32_e64 v2, v2, v4, s[6:7]
	ds_bpermute_b32 v5, v12, v3
	ds_bpermute_b32 v4, v12, v2
	s_waitcnt lgkmcnt(0)
	v_cmp_lt_f64_e64 s[6:7], v[2:3], v[4:5]
	v_cndmask_b32_e64 v3, v3, v5, s[6:7]
	v_cndmask_b32_e64 v2, v2, v4, s[6:7]
	;; [unrolled: 6-line block ×6, first 2 shown]
	s_or_b64 exec, exec, s[8:9]
	v_cmp_eq_u32_e64 s[6:7], 0, v0
	s_and_saveexec_b64 s[8:9], s[6:7]
	s_cbranch_execnz .LBB33_9
	s_branch .LBB33_10
.LBB33_26:
	ds_read_b64 v[4:5], v18
	s_or_b64 exec, exec, s[0:1]
	s_and_saveexec_b64 s[0:1], s[4:5]
	s_cbranch_execz .LBB33_18
.LBB33_27:
	s_waitcnt lgkmcnt(0)
	ds_bpermute_b32 v6, v11, v4
	ds_bpermute_b32 v7, v11, v5
	s_waitcnt lgkmcnt(0)
	v_add_f64 v[4:5], v[4:5], v[6:7]
	ds_bpermute_b32 v6, v12, v4
	ds_bpermute_b32 v7, v12, v5
	s_waitcnt lgkmcnt(0)
	v_add_f64 v[4:5], v[4:5], v[6:7]
	;; [unrolled: 4-line block ×6, first 2 shown]
	s_or_b64 exec, exec, s[0:1]
	s_and_saveexec_b64 s[0:1], s[6:7]
	s_cbranch_execnz .LBB33_19
	s_branch .LBB33_20
	.section	.rodata,"a",@progbits
	.p2align	6, 0x0
	.amdhsa_kernel _ZN2at6native12_GLOBAL__N_123cunn_SoftMaxForwardSmemILi2EdddNS1_25LogSoftMaxForwardEpilogueElEEvPT2_PKT0_T4_
		.amdhsa_group_segment_fixed_size 0
		.amdhsa_private_segment_fixed_size 0
		.amdhsa_kernarg_size 280
		.amdhsa_user_sgpr_count 6
		.amdhsa_user_sgpr_private_segment_buffer 1
		.amdhsa_user_sgpr_dispatch_ptr 0
		.amdhsa_user_sgpr_queue_ptr 0
		.amdhsa_user_sgpr_kernarg_segment_ptr 1
		.amdhsa_user_sgpr_dispatch_id 0
		.amdhsa_user_sgpr_flat_scratch_init 0
		.amdhsa_user_sgpr_kernarg_preload_length 0
		.amdhsa_user_sgpr_kernarg_preload_offset 0
		.amdhsa_user_sgpr_private_segment_size 0
		.amdhsa_uses_dynamic_stack 0
		.amdhsa_system_sgpr_private_segment_wavefront_offset 0
		.amdhsa_system_sgpr_workgroup_id_x 1
		.amdhsa_system_sgpr_workgroup_id_y 0
		.amdhsa_system_sgpr_workgroup_id_z 0
		.amdhsa_system_sgpr_workgroup_info 0
		.amdhsa_system_vgpr_workitem_id 0
		.amdhsa_next_free_vgpr 36
		.amdhsa_next_free_sgpr 61
		.amdhsa_accum_offset 36
		.amdhsa_reserve_vcc 1
		.amdhsa_reserve_flat_scratch 0
		.amdhsa_float_round_mode_32 0
		.amdhsa_float_round_mode_16_64 0
		.amdhsa_float_denorm_mode_32 3
		.amdhsa_float_denorm_mode_16_64 3
		.amdhsa_dx10_clamp 1
		.amdhsa_ieee_mode 1
		.amdhsa_fp16_overflow 0
		.amdhsa_tg_split 0
		.amdhsa_exception_fp_ieee_invalid_op 0
		.amdhsa_exception_fp_denorm_src 0
		.amdhsa_exception_fp_ieee_div_zero 0
		.amdhsa_exception_fp_ieee_overflow 0
		.amdhsa_exception_fp_ieee_underflow 0
		.amdhsa_exception_fp_ieee_inexact 0
		.amdhsa_exception_int_div_zero 0
	.end_amdhsa_kernel
	.section	.text._ZN2at6native12_GLOBAL__N_123cunn_SoftMaxForwardSmemILi2EdddNS1_25LogSoftMaxForwardEpilogueElEEvPT2_PKT0_T4_,"axG",@progbits,_ZN2at6native12_GLOBAL__N_123cunn_SoftMaxForwardSmemILi2EdddNS1_25LogSoftMaxForwardEpilogueElEEvPT2_PKT0_T4_,comdat
.Lfunc_end33:
	.size	_ZN2at6native12_GLOBAL__N_123cunn_SoftMaxForwardSmemILi2EdddNS1_25LogSoftMaxForwardEpilogueElEEvPT2_PKT0_T4_, .Lfunc_end33-_ZN2at6native12_GLOBAL__N_123cunn_SoftMaxForwardSmemILi2EdddNS1_25LogSoftMaxForwardEpilogueElEEvPT2_PKT0_T4_
                                        ; -- End function
	.section	.AMDGPU.csdata,"",@progbits
; Kernel info:
; codeLenInByte = 3460
; NumSgprs: 65
; NumVgprs: 36
; NumAgprs: 0
; TotalNumVgprs: 36
; ScratchSize: 0
; MemoryBound: 0
; FloatMode: 240
; IeeeMode: 1
; LDSByteSize: 0 bytes/workgroup (compile time only)
; SGPRBlocks: 8
; VGPRBlocks: 4
; NumSGPRsForWavesPerEU: 65
; NumVGPRsForWavesPerEU: 36
; AccumOffset: 36
; Occupancy: 8
; WaveLimiterHint : 0
; COMPUTE_PGM_RSRC2:SCRATCH_EN: 0
; COMPUTE_PGM_RSRC2:USER_SGPR: 6
; COMPUTE_PGM_RSRC2:TRAP_HANDLER: 0
; COMPUTE_PGM_RSRC2:TGID_X_EN: 1
; COMPUTE_PGM_RSRC2:TGID_Y_EN: 0
; COMPUTE_PGM_RSRC2:TGID_Z_EN: 0
; COMPUTE_PGM_RSRC2:TIDIG_COMP_CNT: 0
; COMPUTE_PGM_RSRC3_GFX90A:ACCUM_OFFSET: 8
; COMPUTE_PGM_RSRC3_GFX90A:TG_SPLIT: 0
	.section	.text._ZN2at6native12_GLOBAL__N_119cunn_SoftMaxForwardILi2EdddNS1_25LogSoftMaxForwardEpilogueEEEvPT2_PKT0_i,"axG",@progbits,_ZN2at6native12_GLOBAL__N_119cunn_SoftMaxForwardILi2EdddNS1_25LogSoftMaxForwardEpilogueEEEvPT2_PKT0_i,comdat
	.globl	_ZN2at6native12_GLOBAL__N_119cunn_SoftMaxForwardILi2EdddNS1_25LogSoftMaxForwardEpilogueEEEvPT2_PKT0_i ; -- Begin function _ZN2at6native12_GLOBAL__N_119cunn_SoftMaxForwardILi2EdddNS1_25LogSoftMaxForwardEpilogueEEEvPT2_PKT0_i
	.p2align	8
	.type	_ZN2at6native12_GLOBAL__N_119cunn_SoftMaxForwardILi2EdddNS1_25LogSoftMaxForwardEpilogueEEEvPT2_PKT0_i,@function
_ZN2at6native12_GLOBAL__N_119cunn_SoftMaxForwardILi2EdddNS1_25LogSoftMaxForwardEpilogueEEEvPT2_PKT0_i: ; @_ZN2at6native12_GLOBAL__N_119cunn_SoftMaxForwardILi2EdddNS1_25LogSoftMaxForwardEpilogueEEEvPT2_PKT0_i
; %bb.0:
	s_load_dword s33, s[4:5], 0x10
	s_load_dwordx4 s[20:23], s[4:5], 0x0
	s_waitcnt lgkmcnt(0)
	s_ashr_i32 s0, s33, 31
	s_mul_hi_u32 s1, s33, s6
	s_mul_i32 s0, s0, s6
	s_add_i32 s1, s1, s0
	s_mul_i32 s0, s33, s6
	s_lshl_b64 s[24:25], s[0:1], 3
	s_add_u32 s18, s22, s24
	s_addc_u32 s19, s23, s25
	s_bitcmp1_b32 s18, 3
	s_cselect_b64 s[12:13], -1, 0
	s_and_b64 vcc, exec, s[12:13]
	s_cbranch_vccz .LBB34_4
; %bb.1:
	v_cmp_ne_u32_e32 vcc, 0, v0
	v_cmp_ge_i32_e64 s[0:1], s33, v0
	s_and_b64 s[8:9], vcc, s[0:1]
	s_mov_b32 s0, -1
	s_mov_b32 s1, 0xffefffff
	v_pk_mov_b32 v[2:3], s[0:1], s[0:1] op_sel:[0,1]
	s_and_saveexec_b64 s[2:3], s[8:9]
	s_cbranch_execz .LBB34_3
; %bb.2:
	v_lshlrev_b32_e32 v1, 3, v0
	global_load_dwordx2 v[2:3], v1, s[18:19] offset:-8
	s_waitcnt vmcnt(0)
	v_max_f64 v[2:3], v[2:3], v[2:3]
	v_max_f64 v[2:3], v[2:3], s[0:1]
.LBB34_3:
	s_or_b64 exec, exec, s[2:3]
	s_load_dword s0, s[4:5], 0x24
	s_add_i32 s1, s33, 1
	s_add_u32 s2, s4, 24
	s_addc_u32 s3, s5, 0
	s_waitcnt lgkmcnt(0)
	s_and_b32 s0, s0, 0xffff
	v_mov_b32_e32 v1, s0
	s_lshl_b32 s0, s0, 3
	s_add_u32 s0, s18, s0
	v_sub_u32_e64 v1, s1, v1 clamp
	s_addc_u32 s1, s19, 0
	s_add_u32 s0, s0, -8
	v_readfirstlane_b32 s7, v1
	s_addc_u32 s1, s1, -1
	s_branch .LBB34_6
.LBB34_4:
                                        ; implicit-def: $sgpr0_sgpr1
                                        ; implicit-def: $sgpr7
                                        ; implicit-def: $vgpr2_vgpr3
                                        ; implicit-def: $sgpr2_sgpr3
	s_cbranch_execz .LBB34_6
; %bb.5:
	s_mov_b32 s0, -1
	s_add_u32 s2, s4, 24
	s_mov_b32 s1, 0xffefffff
	s_addc_u32 s3, s5, 0
	v_pk_mov_b32 v[2:3], s[0:1], s[0:1] op_sel:[0,1]
	s_mov_b32 s7, s33
	s_mov_b64 s[0:1], s[18:19]
.LBB34_6:
	s_load_dword s8, s[2:3], 0x0
	v_mov_b32_e32 v1, 0
	s_waitcnt lgkmcnt(0)
	s_cmp_lt_u32 s6, s8
	s_cselect_b32 s8, 12, 18
	s_add_u32 s2, s2, s8
	s_addc_u32 s3, s3, 0
	global_load_ushort v6, v1, s[2:3]
	s_waitcnt vmcnt(0)
	v_readfirstlane_b32 s2, v6
	s_lshl_b32 s2, s2, 1
	v_cvt_f32_u32_e32 v1, s2
	s_sub_i32 s3, 0, s2
	v_rcp_iflag_f32_e32 v1, v1
	v_mul_f32_e32 v1, 0x4f7ffffe, v1
	v_cvt_u32_f32_e32 v1, v1
	v_readfirstlane_b32 s8, v1
	s_mul_i32 s3, s3, s8
	s_mul_hi_u32 s3, s8, s3
	s_add_i32 s8, s8, s3
	s_mul_hi_u32 s3, s7, s8
	s_mul_i32 s3, s3, s2
	s_sub_i32 s3, s7, s3
	s_sub_i32 s8, s3, s2
	s_cmp_ge_u32 s3, s2
	s_cselect_b32 s3, s8, s3
	s_sub_i32 s8, s3, s2
	s_cmp_ge_u32 s3, s2
	s_cselect_b32 s2, s8, s3
	s_sub_i32 s10, s7, s2
	v_lshlrev_b32_e32 v1, 1, v0
	v_cmp_gt_i32_e32 vcc, s10, v1
	s_and_saveexec_b64 s[2:3], vcc
	s_cbranch_execz .LBB34_10
; %bb.7:
	s_mov_b64 s[8:9], 0
	v_mov_b32_e32 v7, s1
	v_mov_b32_e32 v4, v0
.LBB34_8:                               ; =>This Inner Loop Header: Depth=1
	v_ashrrev_i32_e32 v5, 31, v4
	v_lshlrev_b64 v[8:9], 4, v[4:5]
	v_add_co_u32_e32 v8, vcc, s0, v8
	v_addc_co_u32_e32 v9, vcc, v7, v9, vcc
	global_load_dwordx4 v[8:11], v[8:9], off
	v_add_u32_e32 v4, v4, v6
	v_max_f64 v[2:3], v[2:3], v[2:3]
	v_lshlrev_b32_e32 v5, 1, v4
	v_cmp_le_i32_e32 vcc, s10, v5
	s_or_b64 s[8:9], vcc, s[8:9]
	s_waitcnt vmcnt(0)
	v_max_f64 v[8:9], v[8:9], v[8:9]
	v_max_f64 v[10:11], v[10:11], v[10:11]
	v_max_f64 v[2:3], v[2:3], v[8:9]
	v_max_f64 v[2:3], v[2:3], v[10:11]
	s_andn2_b64 exec, exec, s[8:9]
	s_cbranch_execnz .LBB34_8
; %bb.9:
	s_or_b64 exec, exec, s[8:9]
.LBB34_10:
	s_or_b64 exec, exec, s[2:3]
	v_add_u32_e32 v4, s10, v0
	s_bfe_u32 s60, s18, 0x10003
	v_cmp_gt_i32_e32 vcc, s7, v4
	s_and_saveexec_b64 s[2:3], vcc
	s_cbranch_execz .LBB34_14
; %bb.11:
	s_mov_b64 s[8:9], 0
	v_mov_b32_e32 v7, s1
.LBB34_12:                              ; =>This Inner Loop Header: Depth=1
	v_ashrrev_i32_e32 v5, 31, v4
	v_lshlrev_b64 v[8:9], 3, v[4:5]
	v_add_co_u32_e32 v8, vcc, s0, v8
	v_addc_co_u32_e32 v9, vcc, v7, v9, vcc
	global_load_dwordx2 v[8:9], v[8:9], off
	v_add_u32_e32 v4, v4, v6
	v_max_f64 v[2:3], v[2:3], v[2:3]
	v_cmp_le_i32_e32 vcc, s7, v4
	s_or_b64 s[8:9], vcc, s[8:9]
	s_waitcnt vmcnt(0)
	v_max_f64 v[8:9], v[8:9], v[8:9]
	v_max_f64 v[2:3], v[2:3], v[8:9]
	s_andn2_b64 exec, exec, s[8:9]
	s_cbranch_execnz .LBB34_12
; %bb.13:
	s_or_b64 exec, exec, s[8:9]
.LBB34_14:
	s_or_b64 exec, exec, s[2:3]
	v_mbcnt_lo_u32_b32 v4, -1, 0
	v_mbcnt_hi_u32_b32 v7, -1, v4
	v_and_b32_e32 v8, 63, v7
	v_cmp_gt_u32_e32 vcc, 32, v8
	v_cndmask_b32_e64 v4, 0, 1, vcc
	v_lshlrev_b32_e32 v4, 5, v4
	v_add_lshl_u32 v27, v4, v7, 2
	ds_bpermute_b32 v4, v27, v2
	ds_bpermute_b32 v5, v27, v3
	v_and_b32_e32 v6, 63, v0
	s_mov_b32 s0, -1
	v_cmp_eq_u32_e64 s[10:11], 0, v6
	v_lshrrev_b32_e32 v33, 3, v0
	s_waitcnt lgkmcnt(0)
	v_cmp_lt_f64_e32 vcc, v[2:3], v[4:5]
	v_cndmask_b32_e32 v3, v3, v5, vcc
	v_cndmask_b32_e32 v2, v2, v4, vcc
	v_cmp_gt_u32_e32 vcc, 48, v8
	v_cndmask_b32_e64 v4, 0, 1, vcc
	v_lshlrev_b32_e32 v4, 4, v4
	v_add_lshl_u32 v28, v4, v7, 2
	ds_bpermute_b32 v5, v28, v3
	ds_bpermute_b32 v4, v28, v2
	s_waitcnt lgkmcnt(0)
	s_barrier
	v_cmp_lt_f64_e32 vcc, v[2:3], v[4:5]
	v_cndmask_b32_e32 v3, v3, v5, vcc
	v_cndmask_b32_e32 v2, v2, v4, vcc
	v_cmp_gt_u32_e32 vcc, 56, v8
	v_cndmask_b32_e64 v4, 0, 1, vcc
	v_lshlrev_b32_e32 v4, 3, v4
	v_add_lshl_u32 v29, v4, v7, 2
	ds_bpermute_b32 v4, v29, v2
	ds_bpermute_b32 v5, v29, v3
	s_waitcnt lgkmcnt(0)
	v_cmp_lt_f64_e32 vcc, v[2:3], v[4:5]
	v_cndmask_b32_e32 v3, v3, v5, vcc
	v_cndmask_b32_e32 v2, v2, v4, vcc
	v_cmp_gt_u32_e32 vcc, 60, v8
	v_cndmask_b32_e64 v4, 0, 1, vcc
	v_lshlrev_b32_e32 v4, 2, v4
	v_add_lshl_u32 v30, v4, v7, 2
	ds_bpermute_b32 v4, v30, v2
	ds_bpermute_b32 v5, v30, v3
	s_waitcnt lgkmcnt(0)
	;; [unrolled: 10-line block ×3, first 2 shown]
	v_cmp_lt_f64_e32 vcc, v[2:3], v[4:5]
	v_cndmask_b32_e32 v3, v3, v5, vcc
	v_cndmask_b32_e32 v2, v2, v4, vcc
	v_cmp_ne_u32_e32 vcc, 63, v8
	v_addc_co_u32_e32 v4, vcc, 0, v7, vcc
	v_lshlrev_b32_e32 v32, 2, v4
	ds_bpermute_b32 v4, v32, v2
	ds_bpermute_b32 v5, v32, v3
	s_and_saveexec_b64 s[2:3], s[10:11]
	s_cbranch_execz .LBB34_16
; %bb.15:
	s_waitcnt lgkmcnt(0)
	v_cmp_lt_f64_e32 vcc, v[2:3], v[4:5]
	v_add_u32_e32 v7, 0, v33
	v_cndmask_b32_e32 v3, v3, v5, vcc
	v_cndmask_b32_e32 v2, v2, v4, vcc
	ds_write_b64 v7, v[2:3]
.LBB34_16:
	s_or_b64 exec, exec, s[2:3]
	s_waitcnt lgkmcnt(0)
	s_barrier
	s_load_dword s7, s[4:5], 0x24
	s_add_u32 s14, s4, 24
	s_addc_u32 s15, s5, 0
	v_lshl_add_u32 v34, v6, 3, 0
	s_waitcnt lgkmcnt(0)
	s_bfe_u32 s1, s7, 0xa0006
	v_cmp_gt_u32_e64 s[4:5], s1, v0
	s_mov_b32 s1, 0xffefffff
	v_pk_mov_b32 v[2:3], s[0:1], s[0:1] op_sel:[0,1]
	s_and_saveexec_b64 s[0:1], s[4:5]
	s_cbranch_execnz .LBB34_55
; %bb.17:
	s_or_b64 exec, exec, s[0:1]
	v_cmp_gt_u32_e64 s[8:9], 64, v0
	s_and_saveexec_b64 s[0:1], s[8:9]
	s_cbranch_execnz .LBB34_56
.LBB34_18:
	s_or_b64 exec, exec, s[0:1]
	v_cmp_eq_u32_e64 s[0:1], 0, v0
	s_and_saveexec_b64 s[2:3], s[0:1]
	s_cbranch_execz .LBB34_20
.LBB34_19:
	v_mov_b32_e32 v4, 0
	s_waitcnt lgkmcnt(0)
	ds_write_b64 v4, v[2:3]
.LBB34_20:
	s_or_b64 exec, exec, s[2:3]
	s_waitcnt lgkmcnt(0)
	v_mov_b32_e32 v2, 0
	s_barrier
	ds_read_b64 v[2:3], v2
	v_cndmask_b32_e64 v4, 0, 1, s[12:13]
	s_and_b32 s61, s7, 0xffff
	v_cmp_ne_u32_e64 s[2:3], 1, v4
	s_andn2_b64 vcc, exec, s[12:13]
	v_pk_mov_b32 v[4:5], 0, 0
	s_mov_b64 s[22:23], s[18:19]
	s_mov_b32 s64, s33
	s_cbranch_vccnz .LBB34_24
; %bb.21:
	v_cmp_ge_i32_e32 vcc, s33, v0
	s_xor_b64 s[12:13], s[0:1], -1
	s_and_b64 s[12:13], s[12:13], vcc
	v_pk_mov_b32 v[4:5], 0, 0
	s_and_saveexec_b64 s[16:17], s[12:13]
	s_cbranch_execz .LBB34_23
; %bb.22:
	v_lshlrev_b32_e32 v4, 3, v0
	global_load_dwordx2 v[4:5], v4, s[18:19] offset:-8
	s_mov_b32 s12, 0x652b82fe
	s_mov_b32 s13, 0x3ff71547
	;; [unrolled: 1-line block ×7, first 2 shown]
	v_mov_b32_e32 v6, 0xfca7ab0c
	v_mov_b32_e32 v7, 0x3e928af3
	s_mov_b32 s29, 0x3e5ade15
	v_mov_b32_e32 v8, 0x623fde64
	v_mov_b32_e32 v9, 0x3ec71dee
	;; [unrolled: 1-line block ×16, first 2 shown]
	s_mov_b32 s30, 0
	s_mov_b32 s34, 0
	;; [unrolled: 1-line block ×4, first 2 shown]
	v_mov_b32_e32 v26, 0x7ff00000
	s_waitcnt vmcnt(0) lgkmcnt(0)
	v_add_f64 v[4:5], v[4:5], -v[2:3]
	v_mul_f64 v[24:25], v[4:5], s[12:13]
	v_rndne_f64_e32 v[24:25], v[24:25]
	v_fma_f64 v[36:37], s[22:23], v[24:25], v[4:5]
	v_fmac_f64_e32 v[36:37], s[26:27], v[24:25]
	v_fmac_f64_e32 v[6:7], s[28:29], v[36:37]
	v_fmac_f64_e32 v[8:9], v[36:37], v[6:7]
	v_fmac_f64_e32 v[10:11], v[36:37], v[8:9]
	v_fmac_f64_e32 v[12:13], v[36:37], v[10:11]
	v_fmac_f64_e32 v[14:15], v[36:37], v[12:13]
	v_fmac_f64_e32 v[16:17], v[36:37], v[14:15]
	v_fmac_f64_e32 v[18:19], v[36:37], v[16:17]
	v_fmac_f64_e32 v[20:21], v[36:37], v[18:19]
	v_fmac_f64_e32 v[22:23], v[36:37], v[20:21]
	v_fma_f64 v[6:7], v[36:37], v[22:23], 1.0
	v_cvt_i32_f64_e32 v35, v[24:25]
	v_fma_f64 v[6:7], v[36:37], v[6:7], 1.0
	v_ldexp_f64 v[6:7], v[6:7], v35
	v_add_f64 v[6:7], v[6:7], 0
	v_cmp_nlt_f64_e32 vcc, s[30:31], v[4:5]
	v_cmp_ngt_f64_e64 s[12:13], s[34:35], v[4:5]
	v_cndmask_b32_e32 v7, v26, v7, vcc
	s_and_b64 vcc, s[12:13], vcc
	v_cndmask_b32_e64 v5, 0, v7, s[12:13]
	v_cndmask_b32_e32 v4, 0, v6, vcc
.LBB34_23:
	s_or_b64 exec, exec, s[16:17]
	s_add_i32 s7, s33, 1
	v_mov_b32_e32 v6, s61
	v_sub_u32_e64 v6, s7, v6 clamp
	s_lshl_b32 s7, s61, 3
	s_add_u32 s7, s18, s7
	s_addc_u32 s12, s19, 0
	s_add_u32 s22, s7, -8
	v_readfirstlane_b32 s64, v6
	s_addc_u32 s23, s12, -1
.LBB34_24:
	s_load_dword s7, s[14:15], 0x0
	v_mov_b32_e32 v6, 0
	s_waitcnt lgkmcnt(0)
	s_cmp_lt_u32 s6, s7
	s_cselect_b32 s6, 12, 18
	s_add_u32 s6, s14, s6
	s_addc_u32 s7, s15, 0
	global_load_ushort v26, v6, s[6:7]
	s_waitcnt vmcnt(0)
	v_readfirstlane_b32 s6, v26
	s_lshl_b32 s62, s6, 1
	v_cvt_f32_u32_e32 v6, s62
	s_sub_i32 s6, 0, s62
	v_rcp_iflag_f32_e32 v6, v6
	v_mul_f32_e32 v6, 0x4f7ffffe, v6
	v_cvt_u32_f32_e32 v6, v6
	v_readfirstlane_b32 s63, v6
	s_mul_i32 s6, s6, s63
	s_mul_hi_u32 s6, s63, s6
	s_add_i32 s63, s63, s6
	s_mul_hi_u32 s6, s64, s63
	s_mul_i32 s6, s6, s62
	s_sub_i32 s6, s64, s6
	s_sub_i32 s7, s6, s62
	s_cmp_ge_u32 s6, s62
	s_cselect_b32 s6, s7, s6
	s_sub_i32 s7, s6, s62
	s_cmp_ge_u32 s6, s62
	s_cselect_b32 s6, s7, s6
	s_sub_i32 s65, s64, s6
	v_cmp_gt_i32_e32 vcc, s65, v1
	s_and_saveexec_b64 s[26:27], vcc
	s_cbranch_execz .LBB34_28
; %bb.25:
	s_mov_b32 s6, 0xfca7ab0c
	s_mov_b32 s30, 0x652b82fe
	;; [unrolled: 1-line block ×16, first 2 shown]
	s_mov_b64 s[28:29], 0
	v_mov_b32_e32 v10, s23
	s_mov_b32 s31, 0x3ff71547
	s_mov_b32 s35, 0xbfe62e42
	;; [unrolled: 1-line block ×4, first 2 shown]
	v_pk_mov_b32 v[6:7], s[6:7], s[6:7] op_sel:[0,1]
	s_mov_b32 s41, 0x3ec71dee
	s_mov_b32 s43, 0x3efa0199
	;; [unrolled: 1-line block ×9, first 2 shown]
	v_mov_b32_e32 v11, 0x7ff00000
	s_mov_b32 s59, 0xc090cc00
	v_mov_b32_e32 v8, v0
.LBB34_26:                              ; =>This Inner Loop Header: Depth=1
	v_ashrrev_i32_e32 v9, 31, v8
	v_lshlrev_b64 v[12:13], 4, v[8:9]
	v_add_co_u32_e32 v12, vcc, s22, v12
	v_addc_co_u32_e32 v13, vcc, v10, v13, vcc
	global_load_dwordx4 v[12:15], v[12:13], off
	v_add_u32_e32 v8, v8, v26
	v_lshlrev_b32_e32 v9, 1, v8
	v_cmp_le_i32_e32 vcc, s65, v9
	s_waitcnt vmcnt(0)
	v_add_f64 v[12:13], v[12:13], -v[2:3]
	v_add_f64 v[14:15], v[14:15], -v[2:3]
	v_mul_f64 v[16:17], v[12:13], s[30:31]
	v_mul_f64 v[18:19], v[14:15], s[30:31]
	v_rndne_f64_e32 v[16:17], v[16:17]
	v_rndne_f64_e32 v[18:19], v[18:19]
	v_fma_f64 v[20:21], s[34:35], v[16:17], v[12:13]
	v_fma_f64 v[22:23], s[34:35], v[18:19], v[14:15]
	v_fmac_f64_e32 v[20:21], s[36:37], v[16:17]
	v_cvt_i32_f64_e32 v9, v[16:17]
	v_fmac_f64_e32 v[22:23], s[36:37], v[18:19]
	v_fma_f64 v[16:17], s[38:39], v[20:21], v[6:7]
	v_cvt_i32_f64_e32 v24, v[18:19]
	v_fma_f64 v[18:19], s[38:39], v[22:23], v[6:7]
	v_fma_f64 v[16:17], v[20:21], v[16:17], s[40:41]
	;; [unrolled: 1-line block ×17, first 2 shown]
	v_fma_f64 v[16:17], v[20:21], v[16:17], 1.0
	v_fma_f64 v[18:19], v[22:23], v[18:19], 1.0
	;; [unrolled: 1-line block ×4, first 2 shown]
	v_ldexp_f64 v[16:17], v[16:17], v9
	v_cmp_nlt_f64_e64 s[12:13], s[56:57], v[12:13]
	v_cmp_ngt_f64_e64 s[16:17], s[58:59], v[12:13]
	v_ldexp_f64 v[18:19], v[18:19], v24
	v_cmp_nlt_f64_e64 s[6:7], s[56:57], v[14:15]
	v_cndmask_b32_e64 v9, v11, v17, s[12:13]
	v_cmp_ngt_f64_e64 s[14:15], s[58:59], v[14:15]
	s_and_b64 s[12:13], s[16:17], s[12:13]
	v_cndmask_b32_e64 v17, v11, v19, s[6:7]
	v_cndmask_b32_e64 v13, 0, v9, s[16:17]
	;; [unrolled: 1-line block ×3, first 2 shown]
	s_and_b64 s[6:7], s[14:15], s[6:7]
	v_cndmask_b32_e64 v15, 0, v17, s[14:15]
	v_cndmask_b32_e64 v14, 0, v18, s[6:7]
	v_add_f64 v[4:5], v[4:5], v[12:13]
	s_or_b64 s[28:29], vcc, s[28:29]
	v_add_f64 v[4:5], v[4:5], v[14:15]
	s_andn2_b64 exec, exec, s[28:29]
	s_cbranch_execnz .LBB34_26
; %bb.27:
	s_or_b64 exec, exec, s[28:29]
.LBB34_28:
	s_or_b64 exec, exec, s[26:27]
	v_add_u32_e32 v6, s65, v0
	v_cmp_gt_i32_e32 vcc, s64, v6
	s_and_saveexec_b64 s[12:13], vcc
	s_cbranch_execz .LBB34_32
; %bb.29:
	s_mov_b32 s16, 0x652b82fe
	s_mov_b32 s26, 0xfefa39ef
	;; [unrolled: 1-line block ×6, first 2 shown]
	s_mov_b64 s[14:15], 0
	v_mov_b32_e32 v35, s23
	s_mov_b32 s17, 0x3ff71547
	s_mov_b32 s27, 0xbfe62e42
	;; [unrolled: 1-line block ×3, first 2 shown]
	v_mov_b32_e32 v8, 0xfca7ab0c
	v_mov_b32_e32 v9, 0x3e928af3
	s_mov_b32 s31, 0x3e5ade15
	v_mov_b32_e32 v10, 0x623fde64
	v_mov_b32_e32 v11, 0x3ec71dee
	;; [unrolled: 1-line block ×16, first 2 shown]
	s_mov_b32 s35, 0x40900000
	v_mov_b32_e32 v36, 0x7ff00000
	s_mov_b32 s37, 0xc090cc00
.LBB34_30:                              ; =>This Inner Loop Header: Depth=1
	v_ashrrev_i32_e32 v7, 31, v6
	v_lshlrev_b64 v[38:39], 3, v[6:7]
	v_add_co_u32_e32 v38, vcc, s22, v38
	v_addc_co_u32_e32 v39, vcc, v35, v39, vcc
	global_load_dwordx2 v[38:39], v[38:39], off
	v_add_u32_e32 v6, v6, v26
	s_waitcnt vmcnt(0)
	v_add_f64 v[38:39], v[38:39], -v[2:3]
	v_mul_f64 v[40:41], v[38:39], s[16:17]
	v_rndne_f64_e32 v[40:41], v[40:41]
	v_fma_f64 v[42:43], s[26:27], v[40:41], v[38:39]
	v_fmac_f64_e32 v[42:43], s[28:29], v[40:41]
	v_cvt_i32_f64_e32 v7, v[40:41]
	v_fma_f64 v[40:41], s[30:31], v[42:43], v[8:9]
	v_fma_f64 v[40:41], v[42:43], v[40:41], v[10:11]
	;; [unrolled: 1-line block ×9, first 2 shown]
	v_fma_f64 v[40:41], v[42:43], v[40:41], 1.0
	v_fma_f64 v[40:41], v[42:43], v[40:41], 1.0
	v_ldexp_f64 v[40:41], v[40:41], v7
	v_cmp_nlt_f64_e32 vcc, s[34:35], v[38:39]
	v_cmp_ngt_f64_e64 s[6:7], s[36:37], v[38:39]
	v_cndmask_b32_e32 v7, v36, v41, vcc
	s_and_b64 vcc, s[6:7], vcc
	v_cndmask_b32_e64 v39, 0, v7, s[6:7]
	v_cndmask_b32_e32 v38, 0, v40, vcc
	v_cmp_le_i32_e32 vcc, s64, v6
	s_or_b64 s[14:15], vcc, s[14:15]
	v_add_f64 v[4:5], v[4:5], v[38:39]
	s_andn2_b64 exec, exec, s[14:15]
	s_cbranch_execnz .LBB34_30
; %bb.31:
	s_or_b64 exec, exec, s[14:15]
.LBB34_32:
	s_or_b64 exec, exec, s[12:13]
	ds_bpermute_b32 v6, v27, v4
	ds_bpermute_b32 v7, v27, v5
	s_waitcnt lgkmcnt(0)
	s_barrier
	v_add_f64 v[4:5], v[4:5], v[6:7]
	ds_bpermute_b32 v6, v28, v4
	ds_bpermute_b32 v7, v28, v5
	s_waitcnt lgkmcnt(0)
	v_add_f64 v[4:5], v[4:5], v[6:7]
	ds_bpermute_b32 v6, v29, v4
	ds_bpermute_b32 v7, v29, v5
	s_waitcnt lgkmcnt(0)
	;; [unrolled: 4-line block ×4, first 2 shown]
	v_add_f64 v[4:5], v[4:5], v[6:7]
	ds_bpermute_b32 v6, v32, v4
	ds_bpermute_b32 v7, v32, v5
	s_and_saveexec_b64 s[6:7], s[10:11]
	s_cbranch_execz .LBB34_34
; %bb.33:
	v_add_u32_e32 v8, 0, v33
	s_waitcnt lgkmcnt(0)
	v_add_f64 v[4:5], v[4:5], v[6:7]
	ds_write_b64 v8, v[4:5]
.LBB34_34:
	s_or_b64 exec, exec, s[6:7]
	v_pk_mov_b32 v[4:5], 0, 0
	s_waitcnt lgkmcnt(0)
	s_barrier
	s_and_saveexec_b64 s[6:7], s[4:5]
	s_cbranch_execnz .LBB34_57
; %bb.35:
	s_or_b64 exec, exec, s[6:7]
	s_and_saveexec_b64 s[4:5], s[8:9]
	s_cbranch_execnz .LBB34_58
.LBB34_36:
	s_or_b64 exec, exec, s[4:5]
	s_and_saveexec_b64 s[4:5], s[0:1]
	s_cbranch_execz .LBB34_38
.LBB34_37:
	v_mov_b32_e32 v6, 0
	s_waitcnt lgkmcnt(0)
	ds_write_b64 v6, v[4:5]
.LBB34_38:
	s_or_b64 exec, exec, s[4:5]
	s_waitcnt lgkmcnt(0)
	v_mov_b32_e32 v4, 0
	s_barrier
	ds_read_b64 v[6:7], v4
	s_mov_b32 s4, 0x55555555
	s_add_u32 s6, s20, s24
	s_mov_b32 s5, 0x3fe55555
	s_addc_u32 s7, s21, s25
	s_waitcnt lgkmcnt(0)
	v_frexp_mant_f64_e32 v[4:5], v[6:7]
	s_bfe_u32 s10, s6, 0x10003
	v_cmp_gt_f64_e32 vcc, s[4:5], v[4:5]
	s_and_b64 s[4:5], vcc, exec
	s_mov_b32 s8, 0
	s_cselect_b32 s9, 2.0, 0x3ff00000
	v_frexp_exp_i32_f64_e32 v8, v[6:7]
	v_mul_f64 v[4:5], v[4:5], s[8:9]
	v_subbrev_co_u32_e64 v20, s[4:5], 0, v8, vcc
	v_add_f64 v[8:9], v[4:5], 1.0
	v_rcp_f64_e32 v[10:11], v[8:9]
	v_add_f64 v[14:15], v[8:9], -1.0
	v_add_f64 v[12:13], v[4:5], -1.0
	v_add_f64 v[4:5], v[4:5], -v[14:15]
	v_fma_f64 v[14:15], -v[8:9], v[10:11], 1.0
	v_fmac_f64_e32 v[10:11], v[14:15], v[10:11]
	v_fma_f64 v[14:15], -v[8:9], v[10:11], 1.0
	v_fmac_f64_e32 v[10:11], v[14:15], v[10:11]
	v_mul_f64 v[14:15], v[12:13], v[10:11]
	v_mul_f64 v[16:17], v[8:9], v[14:15]
	v_fma_f64 v[8:9], v[14:15], v[8:9], -v[16:17]
	v_fmac_f64_e32 v[8:9], v[14:15], v[4:5]
	v_add_f64 v[4:5], v[16:17], v[8:9]
	v_add_f64 v[18:19], v[12:13], -v[4:5]
	v_add_f64 v[16:17], v[4:5], -v[16:17]
	;; [unrolled: 1-line block ×5, first 2 shown]
	v_add_f64 v[4:5], v[8:9], v[4:5]
	v_add_f64 v[4:5], v[18:19], v[4:5]
	v_mul_f64 v[4:5], v[10:11], v[4:5]
	v_add_f64 v[8:9], v[14:15], v[4:5]
	v_add_f64 v[10:11], v[8:9], -v[14:15]
	s_mov_b32 s4, 0xbf559e2b
	v_add_f64 v[4:5], v[4:5], -v[10:11]
	v_mul_f64 v[10:11], v[8:9], v[8:9]
	v_mov_b32_e32 v12, 0x6b47b09a
	v_mov_b32_e32 v13, 0x3fc38538
	s_mov_b32 s5, 0x3fc3ab76
	v_fmac_f64_e32 v[12:13], s[4:5], v[10:11]
	v_mov_b32_e32 v14, 0xd7f4df2e
	v_mov_b32_e32 v15, 0x3fc7474d
	v_fmac_f64_e32 v[14:15], v[10:11], v[12:13]
	v_mov_b32_e32 v12, 0x16291751
	v_mov_b32_e32 v13, 0x3fcc71c0
	;; [unrolled: 3-line block ×5, first 2 shown]
	v_fmac_f64_e32 v[14:15], v[10:11], v[12:13]
	v_ldexp_f64 v[12:13], v[8:9], 1
	v_mul_f64 v[8:9], v[8:9], v[10:11]
	v_mul_f64 v[8:9], v[8:9], v[14:15]
	v_add_f64 v[10:11], v[12:13], v[8:9]
	v_add_f64 v[12:13], v[10:11], -v[12:13]
	v_ldexp_f64 v[4:5], v[4:5], 1
	v_add_f64 v[8:9], v[8:9], -v[12:13]
	v_add_f64 v[4:5], v[4:5], v[8:9]
	v_add_f64 v[8:9], v[10:11], v[4:5]
	v_add_f64 v[10:11], v[8:9], -v[10:11]
	s_mov_b32 s4, 0xfefa39ef
	v_add_f64 v[4:5], v[4:5], -v[10:11]
	v_cvt_f64_i32_e32 v[10:11], v20
	s_mov_b32 s5, 0x3fe62e42
	v_mul_f64 v[12:13], v[10:11], s[4:5]
	v_fma_f64 v[14:15], v[10:11], s[4:5], -v[12:13]
	s_mov_b32 s4, 0x3b39803f
	s_mov_b32 s5, 0x3c7abc9e
	v_fmac_f64_e32 v[14:15], s[4:5], v[10:11]
	v_add_f64 v[10:11], v[12:13], v[14:15]
	v_add_f64 v[12:13], v[10:11], -v[12:13]
	v_add_f64 v[12:13], v[14:15], -v[12:13]
	v_add_f64 v[14:15], v[10:11], v[8:9]
	v_add_f64 v[16:17], v[14:15], -v[10:11]
	v_add_f64 v[18:19], v[14:15], -v[16:17]
	;; [unrolled: 1-line block ×4, first 2 shown]
	v_add_f64 v[8:9], v[8:9], v[10:11]
	v_add_f64 v[10:11], v[12:13], v[4:5]
	v_add_f64 v[16:17], v[10:11], -v[12:13]
	v_add_f64 v[18:19], v[10:11], -v[16:17]
	v_add_f64 v[8:9], v[10:11], v[8:9]
	v_add_f64 v[12:13], v[12:13], -v[18:19]
	v_add_f64 v[4:5], v[4:5], -v[16:17]
	v_add_f64 v[10:11], v[14:15], v[8:9]
	v_add_f64 v[4:5], v[4:5], v[12:13]
	v_add_f64 v[12:13], v[10:11], -v[14:15]
	v_add_f64 v[8:9], v[8:9], -v[12:13]
	v_add_f64 v[4:5], v[4:5], v[8:9]
	s_movk_i32 s4, 0x204
	v_add_f64 v[4:5], v[10:11], v[4:5]
	v_cmp_class_f64_e64 vcc, v[6:7], s4
	v_cndmask_b32_e32 v4, v4, v6, vcc
	v_cndmask_b32_e32 v5, v5, v7, vcc
	v_mov_b32_e32 v8, 0x7ff80000
	v_cmp_ngt_f64_e32 vcc, 0, v[6:7]
	v_cndmask_b32_e32 v5, v8, v5, vcc
	v_cmp_nge_f64_e32 vcc, 0, v[6:7]
	v_cndmask_b32_e32 v4, 0, v4, vcc
	v_mov_b32_e32 v8, 0xfff00000
	v_cmp_neq_f64_e32 vcc, 0, v[6:7]
	v_cndmask_b32_e32 v5, v8, v5, vcc
	s_cmp_lg_u32 s60, s10
	s_mov_b64 s[4:5], -1
	s_cbranch_scc0 .LBB34_43
; %bb.39:
	v_cmp_gt_i32_e32 vcc, s33, v0
	s_and_saveexec_b64 s[4:5], vcc
	s_cbranch_execz .LBB34_42
; %bb.40:
	s_mov_b64 s[8:9], 0
	v_mov_b32_e32 v8, s19
	v_mov_b32_e32 v9, s7
	;; [unrolled: 1-line block ×3, first 2 shown]
.LBB34_41:                              ; =>This Inner Loop Header: Depth=1
	v_ashrrev_i32_e32 v7, 31, v6
	v_lshlrev_b64 v[10:11], 3, v[6:7]
	v_add_co_u32_e32 v12, vcc, s18, v10
	v_addc_co_u32_e32 v13, vcc, v8, v11, vcc
	global_load_dwordx2 v[12:13], v[12:13], off
	v_add_co_u32_e32 v10, vcc, s6, v10
	v_add_u32_e32 v6, s61, v6
	v_addc_co_u32_e32 v11, vcc, v9, v11, vcc
	v_cmp_le_i32_e32 vcc, s33, v6
	s_or_b64 s[8:9], vcc, s[8:9]
	s_waitcnt vmcnt(0)
	v_add_f64 v[12:13], v[12:13], -v[2:3]
	v_add_f64 v[12:13], v[12:13], -v[4:5]
	global_store_dwordx2 v[10:11], v[12:13], off
	s_andn2_b64 exec, exec, s[8:9]
	s_cbranch_execnz .LBB34_41
.LBB34_42:
	s_or_b64 exec, exec, s[4:5]
	s_mov_b64 s[4:5], 0
.LBB34_43:
	s_andn2_b64 vcc, exec, s[4:5]
	s_cbranch_vccnz .LBB34_54
; %bb.44:
	s_and_b64 vcc, exec, s[2:3]
	s_cbranch_vccnz .LBB34_48
; %bb.45:
	v_cmp_ge_i32_e32 vcc, s33, v0
	s_xor_b64 s[0:1], s[0:1], -1
	s_and_b64 s[2:3], s[0:1], vcc
	s_and_saveexec_b64 s[0:1], s[2:3]
	s_cbranch_execz .LBB34_47
; %bb.46:
	v_lshlrev_b32_e32 v8, 3, v0
	global_load_dwordx2 v[6:7], v8, s[18:19] offset:-8
	s_waitcnt vmcnt(0)
	v_add_f64 v[6:7], v[6:7], -v[2:3]
	v_add_f64 v[6:7], v[6:7], -v[4:5]
	global_store_dwordx2 v8, v[6:7], s[6:7] offset:-8
.LBB34_47:
	s_or_b64 exec, exec, s[0:1]
	s_add_i32 s0, s33, 1
	v_mov_b32_e32 v6, s61
	v_sub_u32_e64 v6, s0, v6 clamp
	s_lshl_b32 s0, s61, 3
	s_add_u32 s1, s18, s0
	s_addc_u32 s2, s19, 0
	s_add_u32 s18, s1, -8
	s_addc_u32 s19, s2, -1
	s_add_u32 s0, s6, s0
	s_addc_u32 s1, s7, 0
	s_add_u32 s6, s0, -8
	v_readfirstlane_b32 s33, v6
	s_addc_u32 s7, s1, -1
.LBB34_48:
	s_mul_hi_u32 s0, s33, s63
	s_mul_i32 s0, s0, s62
	s_sub_i32 s0, s33, s0
	s_sub_i32 s1, s0, s62
	s_cmp_ge_u32 s0, s62
	s_cselect_b32 s0, s1, s0
	s_sub_i32 s1, s0, s62
	s_cmp_ge_u32 s0, s62
	s_cselect_b32 s0, s1, s0
	s_sub_i32 s4, s33, s0
	v_cmp_gt_i32_e32 vcc, s4, v1
	s_and_saveexec_b64 s[0:1], vcc
	s_cbranch_execz .LBB34_51
; %bb.49:
	s_mov_b64 s[2:3], 0
	v_mov_b32_e32 v1, s19
	v_mov_b32_e32 v8, s7
	;; [unrolled: 1-line block ×3, first 2 shown]
.LBB34_50:                              ; =>This Inner Loop Header: Depth=1
	v_ashrrev_i32_e32 v7, 31, v6
	v_lshlrev_b64 v[14:15], 4, v[6:7]
	v_add_co_u32_e32 v10, vcc, s18, v14
	v_addc_co_u32_e32 v11, vcc, v1, v15, vcc
	global_load_dwordx4 v[10:13], v[10:11], off
	v_add_u32_e32 v6, v6, v26
	v_add_co_u32_e32 v14, vcc, s6, v14
	v_addc_co_u32_e32 v15, vcc, v8, v15, vcc
	v_lshlrev_b32_e32 v7, 1, v6
	v_cmp_le_i32_e32 vcc, s4, v7
	s_or_b64 s[2:3], vcc, s[2:3]
	s_waitcnt vmcnt(0)
	v_add_f64 v[10:11], v[10:11], -v[2:3]
	v_add_f64 v[12:13], v[12:13], -v[2:3]
	;; [unrolled: 1-line block ×4, first 2 shown]
	global_store_dwordx4 v[14:15], v[10:13], off
	s_andn2_b64 exec, exec, s[2:3]
	s_cbranch_execnz .LBB34_50
.LBB34_51:
	s_or_b64 exec, exec, s[0:1]
	v_add_u32_e32 v0, s4, v0
	v_cmp_gt_i32_e32 vcc, s33, v0
	s_and_saveexec_b64 s[0:1], vcc
	s_cbranch_execz .LBB34_54
; %bb.52:
	s_mov_b64 s[0:1], 0
	v_mov_b32_e32 v6, s19
	v_mov_b32_e32 v7, s7
.LBB34_53:                              ; =>This Inner Loop Header: Depth=1
	v_ashrrev_i32_e32 v1, 31, v0
	v_lshlrev_b64 v[8:9], 3, v[0:1]
	v_add_co_u32_e32 v10, vcc, s18, v8
	v_addc_co_u32_e32 v11, vcc, v6, v9, vcc
	global_load_dwordx2 v[10:11], v[10:11], off
	v_add_co_u32_e32 v8, vcc, s6, v8
	v_add_u32_e32 v0, v0, v26
	v_addc_co_u32_e32 v9, vcc, v7, v9, vcc
	v_cmp_le_i32_e32 vcc, s33, v0
	s_or_b64 s[0:1], vcc, s[0:1]
	s_waitcnt vmcnt(0)
	v_add_f64 v[10:11], v[10:11], -v[2:3]
	v_add_f64 v[10:11], v[10:11], -v[4:5]
	global_store_dwordx2 v[8:9], v[10:11], off
	s_andn2_b64 exec, exec, s[0:1]
	s_cbranch_execnz .LBB34_53
.LBB34_54:
	s_endpgm
.LBB34_55:
	ds_read_b64 v[2:3], v34
	s_or_b64 exec, exec, s[0:1]
	v_cmp_gt_u32_e64 s[8:9], 64, v0
	s_and_saveexec_b64 s[0:1], s[8:9]
	s_cbranch_execz .LBB34_18
.LBB34_56:
	s_waitcnt lgkmcnt(0)
	ds_bpermute_b32 v4, v27, v2
	ds_bpermute_b32 v5, v27, v3
	s_waitcnt lgkmcnt(0)
	v_cmp_lt_f64_e32 vcc, v[2:3], v[4:5]
	v_cndmask_b32_e32 v3, v3, v5, vcc
	v_cndmask_b32_e32 v2, v2, v4, vcc
	ds_bpermute_b32 v5, v28, v3
	ds_bpermute_b32 v4, v28, v2
	s_waitcnt lgkmcnt(0)
	v_cmp_lt_f64_e32 vcc, v[2:3], v[4:5]
	v_cndmask_b32_e32 v3, v3, v5, vcc
	v_cndmask_b32_e32 v2, v2, v4, vcc
	;; [unrolled: 6-line block ×6, first 2 shown]
	s_or_b64 exec, exec, s[0:1]
	v_cmp_eq_u32_e64 s[0:1], 0, v0
	s_and_saveexec_b64 s[2:3], s[0:1]
	s_cbranch_execnz .LBB34_19
	s_branch .LBB34_20
.LBB34_57:
	ds_read_b64 v[4:5], v34
	s_or_b64 exec, exec, s[6:7]
	s_and_saveexec_b64 s[4:5], s[8:9]
	s_cbranch_execz .LBB34_36
.LBB34_58:
	s_waitcnt lgkmcnt(0)
	ds_bpermute_b32 v6, v27, v4
	ds_bpermute_b32 v7, v27, v5
	s_waitcnt lgkmcnt(0)
	v_add_f64 v[4:5], v[4:5], v[6:7]
	ds_bpermute_b32 v6, v28, v4
	ds_bpermute_b32 v7, v28, v5
	s_waitcnt lgkmcnt(0)
	v_add_f64 v[4:5], v[4:5], v[6:7]
	ds_bpermute_b32 v6, v29, v4
	ds_bpermute_b32 v7, v29, v5
	s_waitcnt lgkmcnt(0)
	v_add_f64 v[4:5], v[4:5], v[6:7]
	ds_bpermute_b32 v6, v30, v4
	ds_bpermute_b32 v7, v30, v5
	s_waitcnt lgkmcnt(0)
	v_add_f64 v[4:5], v[4:5], v[6:7]
	ds_bpermute_b32 v6, v31, v4
	ds_bpermute_b32 v7, v31, v5
	s_waitcnt lgkmcnt(0)
	v_add_f64 v[4:5], v[4:5], v[6:7]
	ds_bpermute_b32 v6, v32, v4
	ds_bpermute_b32 v7, v32, v5
	s_waitcnt lgkmcnt(0)
	v_add_f64 v[4:5], v[4:5], v[6:7]
	s_or_b64 exec, exec, s[4:5]
	s_and_saveexec_b64 s[4:5], s[0:1]
	s_cbranch_execnz .LBB34_37
	s_branch .LBB34_38
	.section	.rodata,"a",@progbits
	.p2align	6, 0x0
	.amdhsa_kernel _ZN2at6native12_GLOBAL__N_119cunn_SoftMaxForwardILi2EdddNS1_25LogSoftMaxForwardEpilogueEEEvPT2_PKT0_i
		.amdhsa_group_segment_fixed_size 0
		.amdhsa_private_segment_fixed_size 0
		.amdhsa_kernarg_size 280
		.amdhsa_user_sgpr_count 6
		.amdhsa_user_sgpr_private_segment_buffer 1
		.amdhsa_user_sgpr_dispatch_ptr 0
		.amdhsa_user_sgpr_queue_ptr 0
		.amdhsa_user_sgpr_kernarg_segment_ptr 1
		.amdhsa_user_sgpr_dispatch_id 0
		.amdhsa_user_sgpr_flat_scratch_init 0
		.amdhsa_user_sgpr_kernarg_preload_length 0
		.amdhsa_user_sgpr_kernarg_preload_offset 0
		.amdhsa_user_sgpr_private_segment_size 0
		.amdhsa_uses_dynamic_stack 0
		.amdhsa_system_sgpr_private_segment_wavefront_offset 0
		.amdhsa_system_sgpr_workgroup_id_x 1
		.amdhsa_system_sgpr_workgroup_id_y 0
		.amdhsa_system_sgpr_workgroup_id_z 0
		.amdhsa_system_sgpr_workgroup_info 0
		.amdhsa_system_vgpr_workitem_id 0
		.amdhsa_next_free_vgpr 44
		.amdhsa_next_free_sgpr 66
		.amdhsa_accum_offset 44
		.amdhsa_reserve_vcc 1
		.amdhsa_reserve_flat_scratch 0
		.amdhsa_float_round_mode_32 0
		.amdhsa_float_round_mode_16_64 0
		.amdhsa_float_denorm_mode_32 3
		.amdhsa_float_denorm_mode_16_64 3
		.amdhsa_dx10_clamp 1
		.amdhsa_ieee_mode 1
		.amdhsa_fp16_overflow 0
		.amdhsa_tg_split 0
		.amdhsa_exception_fp_ieee_invalid_op 0
		.amdhsa_exception_fp_denorm_src 0
		.amdhsa_exception_fp_ieee_div_zero 0
		.amdhsa_exception_fp_ieee_overflow 0
		.amdhsa_exception_fp_ieee_underflow 0
		.amdhsa_exception_fp_ieee_inexact 0
		.amdhsa_exception_int_div_zero 0
	.end_amdhsa_kernel
	.section	.text._ZN2at6native12_GLOBAL__N_119cunn_SoftMaxForwardILi2EdddNS1_25LogSoftMaxForwardEpilogueEEEvPT2_PKT0_i,"axG",@progbits,_ZN2at6native12_GLOBAL__N_119cunn_SoftMaxForwardILi2EdddNS1_25LogSoftMaxForwardEpilogueEEEvPT2_PKT0_i,comdat
.Lfunc_end34:
	.size	_ZN2at6native12_GLOBAL__N_119cunn_SoftMaxForwardILi2EdddNS1_25LogSoftMaxForwardEpilogueEEEvPT2_PKT0_i, .Lfunc_end34-_ZN2at6native12_GLOBAL__N_119cunn_SoftMaxForwardILi2EdddNS1_25LogSoftMaxForwardEpilogueEEEvPT2_PKT0_i
                                        ; -- End function
	.section	.AMDGPU.csdata,"",@progbits
; Kernel info:
; codeLenInByte = 5100
; NumSgprs: 70
; NumVgprs: 44
; NumAgprs: 0
; TotalNumVgprs: 44
; ScratchSize: 0
; MemoryBound: 0
; FloatMode: 240
; IeeeMode: 1
; LDSByteSize: 0 bytes/workgroup (compile time only)
; SGPRBlocks: 8
; VGPRBlocks: 5
; NumSGPRsForWavesPerEU: 70
; NumVGPRsForWavesPerEU: 44
; AccumOffset: 44
; Occupancy: 8
; WaveLimiterHint : 0
; COMPUTE_PGM_RSRC2:SCRATCH_EN: 0
; COMPUTE_PGM_RSRC2:USER_SGPR: 6
; COMPUTE_PGM_RSRC2:TRAP_HANDLER: 0
; COMPUTE_PGM_RSRC2:TGID_X_EN: 1
; COMPUTE_PGM_RSRC2:TGID_Y_EN: 0
; COMPUTE_PGM_RSRC2:TGID_Z_EN: 0
; COMPUTE_PGM_RSRC2:TIDIG_COMP_CNT: 0
; COMPUTE_PGM_RSRC3_GFX90A:ACCUM_OFFSET: 10
; COMPUTE_PGM_RSRC3_GFX90A:TG_SPLIT: 0
	.section	.text._ZN12_GLOBAL__N_120softmax_warp_forwardIfffLi0ELb1ELb0ELi64EEEvPT0_PKT_iiiPKbib,"axG",@progbits,_ZN12_GLOBAL__N_120softmax_warp_forwardIfffLi0ELb1ELb0ELi64EEEvPT0_PKT_iiiPKbib,comdat
	.globl	_ZN12_GLOBAL__N_120softmax_warp_forwardIfffLi0ELb1ELb0ELi64EEEvPT0_PKT_iiiPKbib ; -- Begin function _ZN12_GLOBAL__N_120softmax_warp_forwardIfffLi0ELb1ELb0ELi64EEEvPT0_PKT_iiiPKbib
	.p2align	8
	.type	_ZN12_GLOBAL__N_120softmax_warp_forwardIfffLi0ELb1ELb0ELi64EEEvPT0_PKT_iiiPKbib,@function
_ZN12_GLOBAL__N_120softmax_warp_forwardIfffLi0ELb1ELb0ELi64EEEvPT0_PKT_iiiPKbib: ; @_ZN12_GLOBAL__N_120softmax_warp_forwardIfffLi0ELb1ELb0ELi64EEEvPT0_PKT_iiiPKbib
; %bb.0:
	s_load_dword s0, s[4:5], 0x3c
	s_load_dwordx8 s[8:15], s[4:5], 0x0
	v_bfe_u32 v1, v0, 10, 10
	v_and_b32_e32 v0, 0x3ff, v0
	s_waitcnt lgkmcnt(0)
	s_lshr_b32 s0, s0, 16
	s_mul_i32 s6, s6, s0
	v_add_lshl_u32 v1, s6, v1, 1
	v_mad_u64_u32 v[2:3], s[0:1], v1, s13, v[0:1]
	v_ashrrev_i32_e32 v3, 31, v2
	v_lshlrev_b64 v[2:3], 2, v[2:3]
	v_sub_u32_e32 v6, s12, v1
	v_mov_b32_e32 v1, s11
	v_add_co_u32_e32 v4, vcc, s10, v2
	v_addc_co_u32_e32 v5, vcc, v1, v3, vcc
	v_cmp_gt_i32_e32 vcc, s14, v0
	v_cmp_lt_i32_e64 s[0:1], 0, v6
	s_and_b64 s[4:5], vcc, s[0:1]
	v_mov_b32_e32 v1, 0xff800000
	v_mov_b32_e32 v0, 0xff800000
	s_and_saveexec_b64 s[2:3], s[4:5]
	s_cbranch_execz .LBB35_2
; %bb.1:
	global_load_dword v0, v[4:5], off
.LBB35_2:
	s_or_b64 exec, exec, s[2:3]
	v_cmp_lt_i32_e64 s[2:3], 1, v6
	s_and_b64 s[2:3], vcc, s[2:3]
	s_and_saveexec_b64 s[4:5], s[2:3]
	s_cbranch_execz .LBB35_4
; %bb.3:
	s_mov_b32 s15, 0
	s_lshl_b64 s[2:3], s[14:15], 2
	v_mov_b32_e32 v1, s3
	v_add_co_u32_e64 v4, s[2:3], s2, v4
	v_addc_co_u32_e64 v5, s[2:3], v5, v1, s[2:3]
	global_load_dword v1, v[4:5], off
.LBB35_4:
	s_or_b64 exec, exec, s[4:5]
	s_and_saveexec_b64 s[2:3], s[0:1]
	s_cbranch_execz .LBB35_10
; %bb.5:
	s_waitcnt vmcnt(0)
	v_pk_add_f32 v[8:9], v[0:1], v[0:1] neg_lo:[0,1] neg_hi:[0,1]
	s_mov_b32 s3, 0x3fb8aa3b
	v_mul_f32_e32 v5, 0x3fb8aa3b, v9
	v_fma_f32 v7, v9, s3, -v5
	v_rndne_f32_e32 v10, v5
	v_fmac_f32_e32 v7, 0x32a5705f, v9
	v_sub_f32_e32 v5, v5, v10
	v_add_f32_e32 v5, v5, v7
	v_exp_f32_e32 v5, v5
	v_cvt_i32_f32_e32 v7, v10
	v_mov_b32_e32 v4, s9
	v_add_co_u32_e64 v2, s[0:1], s8, v2
	v_addc_co_u32_e64 v3, s[0:1], v4, v3, s[0:1]
	v_ldexp_f32 v4, v5, v7
	v_mul_f32_e32 v5, 0x3fb8aa3b, v8
	v_fma_f32 v7, v8, s3, -v5
	v_rndne_f32_e32 v10, v5
	v_fmac_f32_e32 v7, 0x32a5705f, v8
	v_sub_f32_e32 v5, v5, v10
	v_add_f32_e32 v5, v5, v7
	v_exp_f32_e32 v5, v5
	v_cvt_i32_f32_e32 v7, v10
	s_mov_b32 s4, 0xc2ce8ed0
	v_cmp_ngt_f32_e64 s[0:1], s4, v9
	s_mov_b32 s5, 0x42b17218
	v_cndmask_b32_e64 v4, 0, v4, s[0:1]
	v_mov_b32_e32 v10, 0x7f800000
	v_cmp_nlt_f32_e64 s[0:1], s5, v9
	v_cndmask_b32_e64 v4, v10, v4, s[0:1]
	v_ldexp_f32 v5, v5, v7
	v_cmp_ngt_f32_e64 s[0:1], s4, v8
	v_cndmask_b32_e64 v5, 0, v5, s[0:1]
	v_cmp_nlt_f32_e64 s[0:1], s5, v8
	s_mov_b32 s2, 0x7f800000
	v_cndmask_b32_e64 v5, v10, v5, s[0:1]
	s_and_saveexec_b64 s[4:5], vcc
	s_cbranch_execz .LBB35_7
; %bb.6:
	s_mov_b32 s0, 0x800000
	v_mov_b32_e32 v7, 0x4f800000
	v_cmp_gt_f32_e64 s[0:1], s0, v5
	v_cndmask_b32_e64 v7, 1.0, v7, s[0:1]
	v_mul_f32_e32 v5, v5, v7
	v_log_f32_e32 v5, v5
	s_mov_b32 s3, 0x3f317217
	v_sub_f32_e32 v0, v0, v0
	v_mul_f32_e32 v7, 0x3f317217, v5
	v_fma_f32 v8, v5, s3, -v7
	v_fmac_f32_e32 v8, 0x3377d1cf, v5
	v_add_f32_e32 v7, v7, v8
	v_cmp_lt_f32_e64 s[2:3], |v5|, s2
	v_cndmask_b32_e64 v5, v5, v7, s[2:3]
	v_mov_b32_e32 v7, 0x41b17218
	v_cndmask_b32_e64 v7, 0, v7, s[0:1]
	v_sub_f32_e32 v5, v5, v7
	v_sub_f32_e32 v0, v0, v5
	global_store_dword v[2:3], v0, off
.LBB35_7:
	s_or_b64 exec, exec, s[4:5]
	v_cmp_ne_u32_e64 s[0:1], 1, v6
	s_and_b64 exec, exec, s[0:1]
	s_cbranch_execz .LBB35_10
; %bb.8:
	s_and_b64 exec, exec, vcc
	s_cbranch_execz .LBB35_10
; %bb.9:
	s_mov_b32 s0, 0x800000
	v_mov_b32_e32 v0, 0x4f800000
	v_cmp_gt_f32_e32 vcc, s0, v4
	v_cndmask_b32_e32 v0, 1.0, v0, vcc
	v_mul_f32_e32 v0, v4, v0
	v_log_f32_e32 v0, v0
	s_mov_b32 s0, 0x3f317217
	s_mov_b32 s15, 0
	v_sub_f32_e32 v1, v1, v1
	v_mul_f32_e32 v4, 0x3f317217, v0
	v_fma_f32 v5, v0, s0, -v4
	v_fmac_f32_e32 v5, 0x3377d1cf, v0
	s_mov_b32 s0, 0x7f800000
	v_add_f32_e32 v4, v4, v5
	v_cmp_lt_f32_e64 s[0:1], |v0|, s0
	v_cndmask_b32_e64 v0, v0, v4, s[0:1]
	v_mov_b32_e32 v4, 0x41b17218
	v_cndmask_b32_e32 v4, 0, v4, vcc
	v_sub_f32_e32 v0, v0, v4
	s_lshl_b64 s[0:1], s[14:15], 2
	v_sub_f32_e32 v4, v1, v0
	v_mov_b32_e32 v1, s1
	v_add_co_u32_e32 v0, vcc, s0, v2
	v_addc_co_u32_e32 v1, vcc, v3, v1, vcc
	global_store_dword v[0:1], v4, off
.LBB35_10:
	s_endpgm
	.section	.rodata,"a",@progbits
	.p2align	6, 0x0
	.amdhsa_kernel _ZN12_GLOBAL__N_120softmax_warp_forwardIfffLi0ELb1ELb0ELi64EEEvPT0_PKT_iiiPKbib
		.amdhsa_group_segment_fixed_size 0
		.amdhsa_private_segment_fixed_size 0
		.amdhsa_kernarg_size 304
		.amdhsa_user_sgpr_count 6
		.amdhsa_user_sgpr_private_segment_buffer 1
		.amdhsa_user_sgpr_dispatch_ptr 0
		.amdhsa_user_sgpr_queue_ptr 0
		.amdhsa_user_sgpr_kernarg_segment_ptr 1
		.amdhsa_user_sgpr_dispatch_id 0
		.amdhsa_user_sgpr_flat_scratch_init 0
		.amdhsa_user_sgpr_kernarg_preload_length 0
		.amdhsa_user_sgpr_kernarg_preload_offset 0
		.amdhsa_user_sgpr_private_segment_size 0
		.amdhsa_uses_dynamic_stack 0
		.amdhsa_system_sgpr_private_segment_wavefront_offset 0
		.amdhsa_system_sgpr_workgroup_id_x 1
		.amdhsa_system_sgpr_workgroup_id_y 0
		.amdhsa_system_sgpr_workgroup_id_z 0
		.amdhsa_system_sgpr_workgroup_info 0
		.amdhsa_system_vgpr_workitem_id 1
		.amdhsa_next_free_vgpr 11
		.amdhsa_next_free_sgpr 16
		.amdhsa_accum_offset 12
		.amdhsa_reserve_vcc 1
		.amdhsa_reserve_flat_scratch 0
		.amdhsa_float_round_mode_32 0
		.amdhsa_float_round_mode_16_64 0
		.amdhsa_float_denorm_mode_32 3
		.amdhsa_float_denorm_mode_16_64 3
		.amdhsa_dx10_clamp 1
		.amdhsa_ieee_mode 1
		.amdhsa_fp16_overflow 0
		.amdhsa_tg_split 0
		.amdhsa_exception_fp_ieee_invalid_op 0
		.amdhsa_exception_fp_denorm_src 0
		.amdhsa_exception_fp_ieee_div_zero 0
		.amdhsa_exception_fp_ieee_overflow 0
		.amdhsa_exception_fp_ieee_underflow 0
		.amdhsa_exception_fp_ieee_inexact 0
		.amdhsa_exception_int_div_zero 0
	.end_amdhsa_kernel
	.section	.text._ZN12_GLOBAL__N_120softmax_warp_forwardIfffLi0ELb1ELb0ELi64EEEvPT0_PKT_iiiPKbib,"axG",@progbits,_ZN12_GLOBAL__N_120softmax_warp_forwardIfffLi0ELb1ELb0ELi64EEEvPT0_PKT_iiiPKbib,comdat
.Lfunc_end35:
	.size	_ZN12_GLOBAL__N_120softmax_warp_forwardIfffLi0ELb1ELb0ELi64EEEvPT0_PKT_iiiPKbib, .Lfunc_end35-_ZN12_GLOBAL__N_120softmax_warp_forwardIfffLi0ELb1ELb0ELi64EEEvPT0_PKT_iiiPKbib
                                        ; -- End function
	.section	.AMDGPU.csdata,"",@progbits
; Kernel info:
; codeLenInByte = 760
; NumSgprs: 20
; NumVgprs: 11
; NumAgprs: 0
; TotalNumVgprs: 11
; ScratchSize: 0
; MemoryBound: 0
; FloatMode: 240
; IeeeMode: 1
; LDSByteSize: 0 bytes/workgroup (compile time only)
; SGPRBlocks: 2
; VGPRBlocks: 1
; NumSGPRsForWavesPerEU: 20
; NumVGPRsForWavesPerEU: 11
; AccumOffset: 12
; Occupancy: 8
; WaveLimiterHint : 0
; COMPUTE_PGM_RSRC2:SCRATCH_EN: 0
; COMPUTE_PGM_RSRC2:USER_SGPR: 6
; COMPUTE_PGM_RSRC2:TRAP_HANDLER: 0
; COMPUTE_PGM_RSRC2:TGID_X_EN: 1
; COMPUTE_PGM_RSRC2:TGID_Y_EN: 0
; COMPUTE_PGM_RSRC2:TGID_Z_EN: 0
; COMPUTE_PGM_RSRC2:TIDIG_COMP_CNT: 1
; COMPUTE_PGM_RSRC3_GFX90A:ACCUM_OFFSET: 2
; COMPUTE_PGM_RSRC3_GFX90A:TG_SPLIT: 0
	.section	.text._ZN12_GLOBAL__N_120softmax_warp_forwardIfffLi0ELb1ELb0ELi32EEEvPT0_PKT_iiiPKbib,"axG",@progbits,_ZN12_GLOBAL__N_120softmax_warp_forwardIfffLi0ELb1ELb0ELi32EEEvPT0_PKT_iiiPKbib,comdat
	.globl	_ZN12_GLOBAL__N_120softmax_warp_forwardIfffLi0ELb1ELb0ELi32EEEvPT0_PKT_iiiPKbib ; -- Begin function _ZN12_GLOBAL__N_120softmax_warp_forwardIfffLi0ELb1ELb0ELi32EEEvPT0_PKT_iiiPKbib
	.p2align	8
	.type	_ZN12_GLOBAL__N_120softmax_warp_forwardIfffLi0ELb1ELb0ELi32EEEvPT0_PKT_iiiPKbib,@function
_ZN12_GLOBAL__N_120softmax_warp_forwardIfffLi0ELb1ELb0ELi32EEEvPT0_PKT_iiiPKbib: ; @_ZN12_GLOBAL__N_120softmax_warp_forwardIfffLi0ELb1ELb0ELi32EEEvPT0_PKT_iiiPKbib
; %bb.0:
	s_load_dword s0, s[4:5], 0x3c
	s_load_dwordx8 s[8:15], s[4:5], 0x0
	v_bfe_u32 v1, v0, 10, 10
	v_and_b32_e32 v0, 0x3ff, v0
	s_waitcnt lgkmcnt(0)
	s_lshr_b32 s0, s0, 16
	s_mul_i32 s6, s6, s0
	v_add_lshl_u32 v1, s6, v1, 1
	v_mad_u64_u32 v[2:3], s[0:1], v1, s13, v[0:1]
	v_ashrrev_i32_e32 v3, 31, v2
	v_lshlrev_b64 v[2:3], 2, v[2:3]
	v_sub_u32_e32 v6, s12, v1
	v_mov_b32_e32 v1, s11
	v_add_co_u32_e32 v4, vcc, s10, v2
	v_addc_co_u32_e32 v5, vcc, v1, v3, vcc
	v_cmp_gt_i32_e32 vcc, s14, v0
	v_cmp_lt_i32_e64 s[0:1], 0, v6
	s_and_b64 s[4:5], vcc, s[0:1]
	v_mov_b32_e32 v1, 0xff800000
	v_mov_b32_e32 v0, 0xff800000
	s_and_saveexec_b64 s[2:3], s[4:5]
	s_cbranch_execz .LBB36_2
; %bb.1:
	global_load_dword v0, v[4:5], off
.LBB36_2:
	s_or_b64 exec, exec, s[2:3]
	v_cmp_lt_i32_e64 s[2:3], 1, v6
	s_and_b64 s[2:3], vcc, s[2:3]
	s_and_saveexec_b64 s[4:5], s[2:3]
	s_cbranch_execz .LBB36_4
; %bb.3:
	s_mov_b32 s15, 0
	s_lshl_b64 s[2:3], s[14:15], 2
	v_mov_b32_e32 v1, s3
	v_add_co_u32_e64 v4, s[2:3], s2, v4
	v_addc_co_u32_e64 v5, s[2:3], v5, v1, s[2:3]
	global_load_dword v1, v[4:5], off
.LBB36_4:
	s_or_b64 exec, exec, s[4:5]
	s_and_saveexec_b64 s[2:3], s[0:1]
	s_cbranch_execz .LBB36_10
; %bb.5:
	s_waitcnt vmcnt(0)
	v_pk_add_f32 v[8:9], v[0:1], v[0:1] neg_lo:[0,1] neg_hi:[0,1]
	s_mov_b32 s3, 0x3fb8aa3b
	v_mul_f32_e32 v5, 0x3fb8aa3b, v9
	v_fma_f32 v7, v9, s3, -v5
	v_rndne_f32_e32 v10, v5
	v_fmac_f32_e32 v7, 0x32a5705f, v9
	v_sub_f32_e32 v5, v5, v10
	v_add_f32_e32 v5, v5, v7
	v_exp_f32_e32 v5, v5
	v_cvt_i32_f32_e32 v7, v10
	v_mov_b32_e32 v4, s9
	v_add_co_u32_e64 v2, s[0:1], s8, v2
	v_addc_co_u32_e64 v3, s[0:1], v4, v3, s[0:1]
	v_ldexp_f32 v4, v5, v7
	v_mul_f32_e32 v5, 0x3fb8aa3b, v8
	v_fma_f32 v7, v8, s3, -v5
	v_rndne_f32_e32 v10, v5
	v_fmac_f32_e32 v7, 0x32a5705f, v8
	v_sub_f32_e32 v5, v5, v10
	v_add_f32_e32 v5, v5, v7
	v_exp_f32_e32 v5, v5
	v_cvt_i32_f32_e32 v7, v10
	s_mov_b32 s4, 0xc2ce8ed0
	v_cmp_ngt_f32_e64 s[0:1], s4, v9
	s_mov_b32 s5, 0x42b17218
	v_cndmask_b32_e64 v4, 0, v4, s[0:1]
	v_mov_b32_e32 v10, 0x7f800000
	v_cmp_nlt_f32_e64 s[0:1], s5, v9
	v_cndmask_b32_e64 v4, v10, v4, s[0:1]
	v_ldexp_f32 v5, v5, v7
	v_cmp_ngt_f32_e64 s[0:1], s4, v8
	v_cndmask_b32_e64 v5, 0, v5, s[0:1]
	v_cmp_nlt_f32_e64 s[0:1], s5, v8
	s_mov_b32 s2, 0x7f800000
	v_cndmask_b32_e64 v5, v10, v5, s[0:1]
	s_and_saveexec_b64 s[4:5], vcc
	s_cbranch_execz .LBB36_7
; %bb.6:
	s_mov_b32 s0, 0x800000
	v_mov_b32_e32 v7, 0x4f800000
	v_cmp_gt_f32_e64 s[0:1], s0, v5
	v_cndmask_b32_e64 v7, 1.0, v7, s[0:1]
	v_mul_f32_e32 v5, v5, v7
	v_log_f32_e32 v5, v5
	s_mov_b32 s3, 0x3f317217
	v_sub_f32_e32 v0, v0, v0
	v_mul_f32_e32 v7, 0x3f317217, v5
	v_fma_f32 v8, v5, s3, -v7
	v_fmac_f32_e32 v8, 0x3377d1cf, v5
	v_add_f32_e32 v7, v7, v8
	v_cmp_lt_f32_e64 s[2:3], |v5|, s2
	v_cndmask_b32_e64 v5, v5, v7, s[2:3]
	v_mov_b32_e32 v7, 0x41b17218
	v_cndmask_b32_e64 v7, 0, v7, s[0:1]
	v_sub_f32_e32 v5, v5, v7
	v_sub_f32_e32 v0, v0, v5
	global_store_dword v[2:3], v0, off
.LBB36_7:
	s_or_b64 exec, exec, s[4:5]
	v_cmp_ne_u32_e64 s[0:1], 1, v6
	s_and_b64 exec, exec, s[0:1]
	s_cbranch_execz .LBB36_10
; %bb.8:
	s_and_b64 exec, exec, vcc
	s_cbranch_execz .LBB36_10
; %bb.9:
	s_mov_b32 s0, 0x800000
	v_mov_b32_e32 v0, 0x4f800000
	v_cmp_gt_f32_e32 vcc, s0, v4
	v_cndmask_b32_e32 v0, 1.0, v0, vcc
	v_mul_f32_e32 v0, v4, v0
	v_log_f32_e32 v0, v0
	s_mov_b32 s0, 0x3f317217
	s_mov_b32 s15, 0
	v_sub_f32_e32 v1, v1, v1
	v_mul_f32_e32 v4, 0x3f317217, v0
	v_fma_f32 v5, v0, s0, -v4
	v_fmac_f32_e32 v5, 0x3377d1cf, v0
	s_mov_b32 s0, 0x7f800000
	v_add_f32_e32 v4, v4, v5
	v_cmp_lt_f32_e64 s[0:1], |v0|, s0
	v_cndmask_b32_e64 v0, v0, v4, s[0:1]
	v_mov_b32_e32 v4, 0x41b17218
	v_cndmask_b32_e32 v4, 0, v4, vcc
	v_sub_f32_e32 v0, v0, v4
	s_lshl_b64 s[0:1], s[14:15], 2
	v_sub_f32_e32 v4, v1, v0
	v_mov_b32_e32 v1, s1
	v_add_co_u32_e32 v0, vcc, s0, v2
	v_addc_co_u32_e32 v1, vcc, v3, v1, vcc
	global_store_dword v[0:1], v4, off
.LBB36_10:
	s_endpgm
	.section	.rodata,"a",@progbits
	.p2align	6, 0x0
	.amdhsa_kernel _ZN12_GLOBAL__N_120softmax_warp_forwardIfffLi0ELb1ELb0ELi32EEEvPT0_PKT_iiiPKbib
		.amdhsa_group_segment_fixed_size 0
		.amdhsa_private_segment_fixed_size 0
		.amdhsa_kernarg_size 304
		.amdhsa_user_sgpr_count 6
		.amdhsa_user_sgpr_private_segment_buffer 1
		.amdhsa_user_sgpr_dispatch_ptr 0
		.amdhsa_user_sgpr_queue_ptr 0
		.amdhsa_user_sgpr_kernarg_segment_ptr 1
		.amdhsa_user_sgpr_dispatch_id 0
		.amdhsa_user_sgpr_flat_scratch_init 0
		.amdhsa_user_sgpr_kernarg_preload_length 0
		.amdhsa_user_sgpr_kernarg_preload_offset 0
		.amdhsa_user_sgpr_private_segment_size 0
		.amdhsa_uses_dynamic_stack 0
		.amdhsa_system_sgpr_private_segment_wavefront_offset 0
		.amdhsa_system_sgpr_workgroup_id_x 1
		.amdhsa_system_sgpr_workgroup_id_y 0
		.amdhsa_system_sgpr_workgroup_id_z 0
		.amdhsa_system_sgpr_workgroup_info 0
		.amdhsa_system_vgpr_workitem_id 1
		.amdhsa_next_free_vgpr 11
		.amdhsa_next_free_sgpr 16
		.amdhsa_accum_offset 12
		.amdhsa_reserve_vcc 1
		.amdhsa_reserve_flat_scratch 0
		.amdhsa_float_round_mode_32 0
		.amdhsa_float_round_mode_16_64 0
		.amdhsa_float_denorm_mode_32 3
		.amdhsa_float_denorm_mode_16_64 3
		.amdhsa_dx10_clamp 1
		.amdhsa_ieee_mode 1
		.amdhsa_fp16_overflow 0
		.amdhsa_tg_split 0
		.amdhsa_exception_fp_ieee_invalid_op 0
		.amdhsa_exception_fp_denorm_src 0
		.amdhsa_exception_fp_ieee_div_zero 0
		.amdhsa_exception_fp_ieee_overflow 0
		.amdhsa_exception_fp_ieee_underflow 0
		.amdhsa_exception_fp_ieee_inexact 0
		.amdhsa_exception_int_div_zero 0
	.end_amdhsa_kernel
	.section	.text._ZN12_GLOBAL__N_120softmax_warp_forwardIfffLi0ELb1ELb0ELi32EEEvPT0_PKT_iiiPKbib,"axG",@progbits,_ZN12_GLOBAL__N_120softmax_warp_forwardIfffLi0ELb1ELb0ELi32EEEvPT0_PKT_iiiPKbib,comdat
.Lfunc_end36:
	.size	_ZN12_GLOBAL__N_120softmax_warp_forwardIfffLi0ELb1ELb0ELi32EEEvPT0_PKT_iiiPKbib, .Lfunc_end36-_ZN12_GLOBAL__N_120softmax_warp_forwardIfffLi0ELb1ELb0ELi32EEEvPT0_PKT_iiiPKbib
                                        ; -- End function
	.section	.AMDGPU.csdata,"",@progbits
; Kernel info:
; codeLenInByte = 760
; NumSgprs: 20
; NumVgprs: 11
; NumAgprs: 0
; TotalNumVgprs: 11
; ScratchSize: 0
; MemoryBound: 0
; FloatMode: 240
; IeeeMode: 1
; LDSByteSize: 0 bytes/workgroup (compile time only)
; SGPRBlocks: 2
; VGPRBlocks: 1
; NumSGPRsForWavesPerEU: 20
; NumVGPRsForWavesPerEU: 11
; AccumOffset: 12
; Occupancy: 8
; WaveLimiterHint : 0
; COMPUTE_PGM_RSRC2:SCRATCH_EN: 0
; COMPUTE_PGM_RSRC2:USER_SGPR: 6
; COMPUTE_PGM_RSRC2:TRAP_HANDLER: 0
; COMPUTE_PGM_RSRC2:TGID_X_EN: 1
; COMPUTE_PGM_RSRC2:TGID_Y_EN: 0
; COMPUTE_PGM_RSRC2:TGID_Z_EN: 0
; COMPUTE_PGM_RSRC2:TIDIG_COMP_CNT: 1
; COMPUTE_PGM_RSRC3_GFX90A:ACCUM_OFFSET: 2
; COMPUTE_PGM_RSRC3_GFX90A:TG_SPLIT: 0
	.section	.text._ZN12_GLOBAL__N_120softmax_warp_forwardIfffLi1ELb1ELb0ELi64EEEvPT0_PKT_iiiPKbib,"axG",@progbits,_ZN12_GLOBAL__N_120softmax_warp_forwardIfffLi1ELb1ELb0ELi64EEEvPT0_PKT_iiiPKbib,comdat
	.globl	_ZN12_GLOBAL__N_120softmax_warp_forwardIfffLi1ELb1ELb0ELi64EEEvPT0_PKT_iiiPKbib ; -- Begin function _ZN12_GLOBAL__N_120softmax_warp_forwardIfffLi1ELb1ELb0ELi64EEEvPT0_PKT_iiiPKbib
	.p2align	8
	.type	_ZN12_GLOBAL__N_120softmax_warp_forwardIfffLi1ELb1ELb0ELi64EEEvPT0_PKT_iiiPKbib,@function
_ZN12_GLOBAL__N_120softmax_warp_forwardIfffLi1ELb1ELb0ELi64EEEvPT0_PKT_iiiPKbib: ; @_ZN12_GLOBAL__N_120softmax_warp_forwardIfffLi1ELb1ELb0ELi64EEEvPT0_PKT_iiiPKbib
; %bb.0:
	s_load_dword s0, s[4:5], 0x3c
	s_load_dwordx8 s[8:15], s[4:5], 0x0
	v_bfe_u32 v1, v0, 10, 10
	v_and_b32_e32 v0, 0x3ff, v0
	s_waitcnt lgkmcnt(0)
	s_lshr_b32 s0, s0, 16
	s_mul_i32 s6, s6, s0
	v_add_lshl_u32 v1, s6, v1, 1
	v_mad_u64_u32 v[2:3], s[0:1], v1, s13, v[0:1]
	v_ashrrev_i32_e32 v3, 31, v2
	v_lshlrev_b64 v[4:5], 2, v[2:3]
	v_sub_u32_e32 v10, s12, v1
	v_mov_b32_e32 v1, s11
	v_add_co_u32_e32 v2, vcc, s10, v4
	v_addc_co_u32_e32 v3, vcc, v1, v5, vcc
	v_cmp_gt_i32_e32 vcc, s14, v0
	v_cmp_lt_i32_e64 s[0:1], 0, v10
	s_and_b64 s[4:5], vcc, s[0:1]
	v_mov_b32_e32 v1, 0xff800000
	v_mov_b32_e32 v0, 0xff800000
	s_and_saveexec_b64 s[2:3], s[4:5]
	s_cbranch_execz .LBB37_2
; %bb.1:
	global_load_dword v0, v[2:3], off
.LBB37_2:
	s_or_b64 exec, exec, s[2:3]
	v_cmp_lt_i32_e64 s[2:3], 1, v10
	s_and_b64 s[2:3], vcc, s[2:3]
	s_and_saveexec_b64 s[4:5], s[2:3]
	s_cbranch_execz .LBB37_4
; %bb.3:
	s_mov_b32 s15, 0
	s_lshl_b64 s[2:3], s[14:15], 2
	v_mov_b32_e32 v1, s3
	v_add_co_u32_e64 v2, s[2:3], s2, v2
	v_addc_co_u32_e64 v3, s[2:3], v3, v1, s[2:3]
	global_load_dword v1, v[2:3], off
.LBB37_4:
	s_or_b64 exec, exec, s[4:5]
	v_mbcnt_lo_u32_b32 v2, -1, 0
	v_mbcnt_hi_u32_b32 v2, -1, v2
	v_and_b32_e32 v6, 0x7e, v2
	v_xor_b32_e32 v3, 1, v2
	v_add_u32_e32 v6, 2, v6
	v_cmp_lt_i32_e64 s[2:3], v3, v6
	v_cndmask_b32_e64 v2, v2, v3, s[2:3]
	v_lshlrev_b32_e32 v9, 2, v2
	s_waitcnt vmcnt(0)
	ds_bpermute_b32 v2, v9, v1
	ds_bpermute_b32 v6, v9, v0
	s_mov_b32 s4, 0x3fb8aa3b
	s_mov_b32 s5, 0xc2ce8ed0
	s_mov_b32 s6, 0x42b17218
	s_waitcnt lgkmcnt(1)
	v_cmp_lt_f32_e64 s[2:3], v1, v2
	v_cndmask_b32_e64 v3, v1, v2, s[2:3]
	s_waitcnt lgkmcnt(0)
	v_cmp_lt_f32_e64 s[2:3], v0, v6
	v_cndmask_b32_e64 v2, v0, v6, s[2:3]
	v_pk_add_f32 v[6:7], v[0:1], v[2:3] neg_lo:[0,1] neg_hi:[0,1]
	v_mul_f32_e32 v8, 0x3fb8aa3b, v7
	v_fma_f32 v11, v7, s4, -v8
	v_rndne_f32_e32 v12, v8
	v_fmac_f32_e32 v11, 0x32a5705f, v7
	v_sub_f32_e32 v8, v8, v12
	v_add_f32_e32 v8, v8, v11
	v_exp_f32_e32 v8, v8
	v_cvt_i32_f32_e32 v11, v12
	v_cmp_ngt_f32_e64 s[2:3], s5, v7
	v_ldexp_f32 v8, v8, v11
	v_mul_f32_e32 v11, 0x3fb8aa3b, v6
	v_fma_f32 v12, v6, s4, -v11
	v_rndne_f32_e32 v13, v11
	v_fmac_f32_e32 v12, 0x32a5705f, v6
	v_sub_f32_e32 v11, v11, v13
	v_add_f32_e32 v11, v11, v12
	v_exp_f32_e32 v11, v11
	v_cvt_i32_f32_e32 v12, v13
	v_cndmask_b32_e64 v8, 0, v8, s[2:3]
	v_mov_b32_e32 v13, 0x7f800000
	v_cmp_nlt_f32_e64 s[2:3], s6, v7
	v_cndmask_b32_e64 v7, v13, v8, s[2:3]
	v_ldexp_f32 v8, v11, v12
	v_cmp_ngt_f32_e64 s[2:3], s5, v6
	v_cndmask_b32_e64 v8, 0, v8, s[2:3]
	v_cmp_nlt_f32_e64 s[2:3], s6, v6
	v_cndmask_b32_e64 v6, v13, v8, s[2:3]
	ds_bpermute_b32 v8, v9, v6
	ds_bpermute_b32 v9, v9, v7
	s_and_saveexec_b64 s[2:3], s[0:1]
	s_cbranch_execz .LBB37_10
; %bb.5:
	v_mov_b32_e32 v11, s9
	v_add_co_u32_e64 v4, s[0:1], s8, v4
	v_addc_co_u32_e64 v5, s[0:1], v11, v5, s[0:1]
	s_waitcnt lgkmcnt(0)
	v_pk_add_f32 v[6:7], v[6:7], v[8:9]
	s_and_saveexec_b64 s[4:5], vcc
	s_cbranch_execz .LBB37_7
; %bb.6:
	s_mov_b32 s0, 0x800000
	v_mov_b32_e32 v8, 0x4f800000
	v_cmp_gt_f32_e64 s[0:1], s0, v6
	v_cndmask_b32_e64 v8, 1.0, v8, s[0:1]
	v_mul_f32_e32 v6, v6, v8
	v_log_f32_e32 v6, v6
	s_mov_b32 s2, 0x3f317217
	v_sub_f32_e32 v0, v0, v2
	v_mul_f32_e32 v8, 0x3f317217, v6
	v_fma_f32 v9, v6, s2, -v8
	v_fmac_f32_e32 v9, 0x3377d1cf, v6
	s_mov_b32 s2, 0x7f800000
	v_add_f32_e32 v8, v8, v9
	v_cmp_lt_f32_e64 s[2:3], |v6|, s2
	v_cndmask_b32_e64 v6, v6, v8, s[2:3]
	v_mov_b32_e32 v8, 0x41b17218
	v_cndmask_b32_e64 v8, 0, v8, s[0:1]
	v_sub_f32_e32 v6, v6, v8
	v_sub_f32_e32 v0, v0, v6
	global_store_dword v[4:5], v0, off
.LBB37_7:
	s_or_b64 exec, exec, s[4:5]
	v_cmp_ne_u32_e64 s[0:1], 1, v10
	s_and_b64 exec, exec, s[0:1]
	s_cbranch_execz .LBB37_10
; %bb.8:
	s_and_b64 exec, exec, vcc
	s_cbranch_execz .LBB37_10
; %bb.9:
	s_mov_b32 s0, 0x800000
	v_mov_b32_e32 v0, 0x4f800000
	v_cmp_gt_f32_e32 vcc, s0, v7
	v_cndmask_b32_e32 v0, 1.0, v0, vcc
	v_mul_f32_e32 v0, v7, v0
	v_log_f32_e32 v0, v0
	s_mov_b32 s0, 0x3f317217
	s_mov_b32 s15, 0
	v_sub_f32_e32 v1, v1, v3
	v_mul_f32_e32 v2, 0x3f317217, v0
	v_fma_f32 v6, v0, s0, -v2
	v_fmac_f32_e32 v6, 0x3377d1cf, v0
	s_mov_b32 s0, 0x7f800000
	v_add_f32_e32 v2, v2, v6
	v_cmp_lt_f32_e64 s[0:1], |v0|, s0
	v_cndmask_b32_e64 v0, v0, v2, s[0:1]
	v_mov_b32_e32 v2, 0x41b17218
	v_cndmask_b32_e32 v2, 0, v2, vcc
	v_sub_f32_e32 v0, v0, v2
	s_lshl_b64 s[0:1], s[14:15], 2
	v_sub_f32_e32 v2, v1, v0
	v_mov_b32_e32 v1, s1
	v_add_co_u32_e32 v0, vcc, s0, v4
	v_addc_co_u32_e32 v1, vcc, v5, v1, vcc
	global_store_dword v[0:1], v2, off
.LBB37_10:
	s_endpgm
	.section	.rodata,"a",@progbits
	.p2align	6, 0x0
	.amdhsa_kernel _ZN12_GLOBAL__N_120softmax_warp_forwardIfffLi1ELb1ELb0ELi64EEEvPT0_PKT_iiiPKbib
		.amdhsa_group_segment_fixed_size 0
		.amdhsa_private_segment_fixed_size 0
		.amdhsa_kernarg_size 304
		.amdhsa_user_sgpr_count 6
		.amdhsa_user_sgpr_private_segment_buffer 1
		.amdhsa_user_sgpr_dispatch_ptr 0
		.amdhsa_user_sgpr_queue_ptr 0
		.amdhsa_user_sgpr_kernarg_segment_ptr 1
		.amdhsa_user_sgpr_dispatch_id 0
		.amdhsa_user_sgpr_flat_scratch_init 0
		.amdhsa_user_sgpr_kernarg_preload_length 0
		.amdhsa_user_sgpr_kernarg_preload_offset 0
		.amdhsa_user_sgpr_private_segment_size 0
		.amdhsa_uses_dynamic_stack 0
		.amdhsa_system_sgpr_private_segment_wavefront_offset 0
		.amdhsa_system_sgpr_workgroup_id_x 1
		.amdhsa_system_sgpr_workgroup_id_y 0
		.amdhsa_system_sgpr_workgroup_id_z 0
		.amdhsa_system_sgpr_workgroup_info 0
		.amdhsa_system_vgpr_workitem_id 1
		.amdhsa_next_free_vgpr 14
		.amdhsa_next_free_sgpr 16
		.amdhsa_accum_offset 16
		.amdhsa_reserve_vcc 1
		.amdhsa_reserve_flat_scratch 0
		.amdhsa_float_round_mode_32 0
		.amdhsa_float_round_mode_16_64 0
		.amdhsa_float_denorm_mode_32 3
		.amdhsa_float_denorm_mode_16_64 3
		.amdhsa_dx10_clamp 1
		.amdhsa_ieee_mode 1
		.amdhsa_fp16_overflow 0
		.amdhsa_tg_split 0
		.amdhsa_exception_fp_ieee_invalid_op 0
		.amdhsa_exception_fp_denorm_src 0
		.amdhsa_exception_fp_ieee_div_zero 0
		.amdhsa_exception_fp_ieee_overflow 0
		.amdhsa_exception_fp_ieee_underflow 0
		.amdhsa_exception_fp_ieee_inexact 0
		.amdhsa_exception_int_div_zero 0
	.end_amdhsa_kernel
	.section	.text._ZN12_GLOBAL__N_120softmax_warp_forwardIfffLi1ELb1ELb0ELi64EEEvPT0_PKT_iiiPKbib,"axG",@progbits,_ZN12_GLOBAL__N_120softmax_warp_forwardIfffLi1ELb1ELb0ELi64EEEvPT0_PKT_iiiPKbib,comdat
.Lfunc_end37:
	.size	_ZN12_GLOBAL__N_120softmax_warp_forwardIfffLi1ELb1ELb0ELi64EEEvPT0_PKT_iiiPKbib, .Lfunc_end37-_ZN12_GLOBAL__N_120softmax_warp_forwardIfffLi1ELb1ELb0ELi64EEEvPT0_PKT_iiiPKbib
                                        ; -- End function
	.section	.AMDGPU.csdata,"",@progbits
; Kernel info:
; codeLenInByte = 896
; NumSgprs: 20
; NumVgprs: 14
; NumAgprs: 0
; TotalNumVgprs: 14
; ScratchSize: 0
; MemoryBound: 0
; FloatMode: 240
; IeeeMode: 1
; LDSByteSize: 0 bytes/workgroup (compile time only)
; SGPRBlocks: 2
; VGPRBlocks: 1
; NumSGPRsForWavesPerEU: 20
; NumVGPRsForWavesPerEU: 14
; AccumOffset: 16
; Occupancy: 8
; WaveLimiterHint : 0
; COMPUTE_PGM_RSRC2:SCRATCH_EN: 0
; COMPUTE_PGM_RSRC2:USER_SGPR: 6
; COMPUTE_PGM_RSRC2:TRAP_HANDLER: 0
; COMPUTE_PGM_RSRC2:TGID_X_EN: 1
; COMPUTE_PGM_RSRC2:TGID_Y_EN: 0
; COMPUTE_PGM_RSRC2:TGID_Z_EN: 0
; COMPUTE_PGM_RSRC2:TIDIG_COMP_CNT: 1
; COMPUTE_PGM_RSRC3_GFX90A:ACCUM_OFFSET: 3
; COMPUTE_PGM_RSRC3_GFX90A:TG_SPLIT: 0
	.section	.text._ZN12_GLOBAL__N_120softmax_warp_forwardIfffLi1ELb1ELb0ELi32EEEvPT0_PKT_iiiPKbib,"axG",@progbits,_ZN12_GLOBAL__N_120softmax_warp_forwardIfffLi1ELb1ELb0ELi32EEEvPT0_PKT_iiiPKbib,comdat
	.globl	_ZN12_GLOBAL__N_120softmax_warp_forwardIfffLi1ELb1ELb0ELi32EEEvPT0_PKT_iiiPKbib ; -- Begin function _ZN12_GLOBAL__N_120softmax_warp_forwardIfffLi1ELb1ELb0ELi32EEEvPT0_PKT_iiiPKbib
	.p2align	8
	.type	_ZN12_GLOBAL__N_120softmax_warp_forwardIfffLi1ELb1ELb0ELi32EEEvPT0_PKT_iiiPKbib,@function
_ZN12_GLOBAL__N_120softmax_warp_forwardIfffLi1ELb1ELb0ELi32EEEvPT0_PKT_iiiPKbib: ; @_ZN12_GLOBAL__N_120softmax_warp_forwardIfffLi1ELb1ELb0ELi32EEEvPT0_PKT_iiiPKbib
; %bb.0:
	s_load_dword s0, s[4:5], 0x3c
	s_load_dwordx8 s[8:15], s[4:5], 0x0
	v_bfe_u32 v1, v0, 10, 10
	v_and_b32_e32 v0, 0x3ff, v0
	s_waitcnt lgkmcnt(0)
	s_lshr_b32 s0, s0, 16
	s_mul_i32 s6, s6, s0
	v_add_lshl_u32 v1, s6, v1, 1
	v_mad_u64_u32 v[2:3], s[0:1], v1, s13, v[0:1]
	v_ashrrev_i32_e32 v3, 31, v2
	v_lshlrev_b64 v[4:5], 2, v[2:3]
	v_sub_u32_e32 v10, s12, v1
	v_mov_b32_e32 v1, s11
	v_add_co_u32_e32 v2, vcc, s10, v4
	v_addc_co_u32_e32 v3, vcc, v1, v5, vcc
	v_cmp_gt_i32_e32 vcc, s14, v0
	v_cmp_lt_i32_e64 s[0:1], 0, v10
	s_and_b64 s[4:5], vcc, s[0:1]
	v_mov_b32_e32 v1, 0xff800000
	v_mov_b32_e32 v0, 0xff800000
	s_and_saveexec_b64 s[2:3], s[4:5]
	s_cbranch_execz .LBB38_2
; %bb.1:
	global_load_dword v0, v[2:3], off
.LBB38_2:
	s_or_b64 exec, exec, s[2:3]
	v_cmp_lt_i32_e64 s[2:3], 1, v10
	s_and_b64 s[2:3], vcc, s[2:3]
	s_and_saveexec_b64 s[4:5], s[2:3]
	s_cbranch_execz .LBB38_4
; %bb.3:
	s_mov_b32 s15, 0
	s_lshl_b64 s[2:3], s[14:15], 2
	v_mov_b32_e32 v1, s3
	v_add_co_u32_e64 v2, s[2:3], s2, v2
	v_addc_co_u32_e64 v3, s[2:3], v3, v1, s[2:3]
	global_load_dword v1, v[2:3], off
.LBB38_4:
	s_or_b64 exec, exec, s[4:5]
	v_mbcnt_lo_u32_b32 v2, -1, 0
	v_mbcnt_hi_u32_b32 v2, -1, v2
	v_and_b32_e32 v6, 0x7e, v2
	v_xor_b32_e32 v3, 1, v2
	v_add_u32_e32 v6, 2, v6
	v_cmp_lt_i32_e64 s[2:3], v3, v6
	v_cndmask_b32_e64 v2, v2, v3, s[2:3]
	v_lshlrev_b32_e32 v9, 2, v2
	s_waitcnt vmcnt(0)
	ds_bpermute_b32 v2, v9, v1
	ds_bpermute_b32 v6, v9, v0
	s_mov_b32 s4, 0x3fb8aa3b
	s_mov_b32 s5, 0xc2ce8ed0
	s_mov_b32 s6, 0x42b17218
	s_waitcnt lgkmcnt(1)
	v_cmp_lt_f32_e64 s[2:3], v1, v2
	v_cndmask_b32_e64 v3, v1, v2, s[2:3]
	s_waitcnt lgkmcnt(0)
	v_cmp_lt_f32_e64 s[2:3], v0, v6
	v_cndmask_b32_e64 v2, v0, v6, s[2:3]
	v_pk_add_f32 v[6:7], v[0:1], v[2:3] neg_lo:[0,1] neg_hi:[0,1]
	v_mul_f32_e32 v8, 0x3fb8aa3b, v7
	v_fma_f32 v11, v7, s4, -v8
	v_rndne_f32_e32 v12, v8
	v_fmac_f32_e32 v11, 0x32a5705f, v7
	v_sub_f32_e32 v8, v8, v12
	v_add_f32_e32 v8, v8, v11
	v_exp_f32_e32 v8, v8
	v_cvt_i32_f32_e32 v11, v12
	v_cmp_ngt_f32_e64 s[2:3], s5, v7
	v_ldexp_f32 v8, v8, v11
	v_mul_f32_e32 v11, 0x3fb8aa3b, v6
	v_fma_f32 v12, v6, s4, -v11
	v_rndne_f32_e32 v13, v11
	v_fmac_f32_e32 v12, 0x32a5705f, v6
	v_sub_f32_e32 v11, v11, v13
	v_add_f32_e32 v11, v11, v12
	v_exp_f32_e32 v11, v11
	v_cvt_i32_f32_e32 v12, v13
	v_cndmask_b32_e64 v8, 0, v8, s[2:3]
	v_mov_b32_e32 v13, 0x7f800000
	v_cmp_nlt_f32_e64 s[2:3], s6, v7
	v_cndmask_b32_e64 v7, v13, v8, s[2:3]
	v_ldexp_f32 v8, v11, v12
	v_cmp_ngt_f32_e64 s[2:3], s5, v6
	v_cndmask_b32_e64 v8, 0, v8, s[2:3]
	v_cmp_nlt_f32_e64 s[2:3], s6, v6
	v_cndmask_b32_e64 v6, v13, v8, s[2:3]
	ds_bpermute_b32 v8, v9, v6
	ds_bpermute_b32 v9, v9, v7
	s_and_saveexec_b64 s[2:3], s[0:1]
	s_cbranch_execz .LBB38_10
; %bb.5:
	v_mov_b32_e32 v11, s9
	v_add_co_u32_e64 v4, s[0:1], s8, v4
	v_addc_co_u32_e64 v5, s[0:1], v11, v5, s[0:1]
	s_waitcnt lgkmcnt(0)
	v_pk_add_f32 v[6:7], v[6:7], v[8:9]
	s_and_saveexec_b64 s[4:5], vcc
	s_cbranch_execz .LBB38_7
; %bb.6:
	s_mov_b32 s0, 0x800000
	v_mov_b32_e32 v8, 0x4f800000
	v_cmp_gt_f32_e64 s[0:1], s0, v6
	v_cndmask_b32_e64 v8, 1.0, v8, s[0:1]
	v_mul_f32_e32 v6, v6, v8
	v_log_f32_e32 v6, v6
	s_mov_b32 s2, 0x3f317217
	v_sub_f32_e32 v0, v0, v2
	v_mul_f32_e32 v8, 0x3f317217, v6
	v_fma_f32 v9, v6, s2, -v8
	v_fmac_f32_e32 v9, 0x3377d1cf, v6
	s_mov_b32 s2, 0x7f800000
	v_add_f32_e32 v8, v8, v9
	v_cmp_lt_f32_e64 s[2:3], |v6|, s2
	v_cndmask_b32_e64 v6, v6, v8, s[2:3]
	v_mov_b32_e32 v8, 0x41b17218
	v_cndmask_b32_e64 v8, 0, v8, s[0:1]
	v_sub_f32_e32 v6, v6, v8
	v_sub_f32_e32 v0, v0, v6
	global_store_dword v[4:5], v0, off
.LBB38_7:
	s_or_b64 exec, exec, s[4:5]
	v_cmp_ne_u32_e64 s[0:1], 1, v10
	s_and_b64 exec, exec, s[0:1]
	s_cbranch_execz .LBB38_10
; %bb.8:
	s_and_b64 exec, exec, vcc
	s_cbranch_execz .LBB38_10
; %bb.9:
	s_mov_b32 s0, 0x800000
	v_mov_b32_e32 v0, 0x4f800000
	v_cmp_gt_f32_e32 vcc, s0, v7
	v_cndmask_b32_e32 v0, 1.0, v0, vcc
	v_mul_f32_e32 v0, v7, v0
	v_log_f32_e32 v0, v0
	s_mov_b32 s0, 0x3f317217
	s_mov_b32 s15, 0
	v_sub_f32_e32 v1, v1, v3
	v_mul_f32_e32 v2, 0x3f317217, v0
	v_fma_f32 v6, v0, s0, -v2
	v_fmac_f32_e32 v6, 0x3377d1cf, v0
	s_mov_b32 s0, 0x7f800000
	v_add_f32_e32 v2, v2, v6
	v_cmp_lt_f32_e64 s[0:1], |v0|, s0
	v_cndmask_b32_e64 v0, v0, v2, s[0:1]
	v_mov_b32_e32 v2, 0x41b17218
	v_cndmask_b32_e32 v2, 0, v2, vcc
	v_sub_f32_e32 v0, v0, v2
	s_lshl_b64 s[0:1], s[14:15], 2
	v_sub_f32_e32 v2, v1, v0
	v_mov_b32_e32 v1, s1
	v_add_co_u32_e32 v0, vcc, s0, v4
	v_addc_co_u32_e32 v1, vcc, v5, v1, vcc
	global_store_dword v[0:1], v2, off
.LBB38_10:
	s_endpgm
	.section	.rodata,"a",@progbits
	.p2align	6, 0x0
	.amdhsa_kernel _ZN12_GLOBAL__N_120softmax_warp_forwardIfffLi1ELb1ELb0ELi32EEEvPT0_PKT_iiiPKbib
		.amdhsa_group_segment_fixed_size 0
		.amdhsa_private_segment_fixed_size 0
		.amdhsa_kernarg_size 304
		.amdhsa_user_sgpr_count 6
		.amdhsa_user_sgpr_private_segment_buffer 1
		.amdhsa_user_sgpr_dispatch_ptr 0
		.amdhsa_user_sgpr_queue_ptr 0
		.amdhsa_user_sgpr_kernarg_segment_ptr 1
		.amdhsa_user_sgpr_dispatch_id 0
		.amdhsa_user_sgpr_flat_scratch_init 0
		.amdhsa_user_sgpr_kernarg_preload_length 0
		.amdhsa_user_sgpr_kernarg_preload_offset 0
		.amdhsa_user_sgpr_private_segment_size 0
		.amdhsa_uses_dynamic_stack 0
		.amdhsa_system_sgpr_private_segment_wavefront_offset 0
		.amdhsa_system_sgpr_workgroup_id_x 1
		.amdhsa_system_sgpr_workgroup_id_y 0
		.amdhsa_system_sgpr_workgroup_id_z 0
		.amdhsa_system_sgpr_workgroup_info 0
		.amdhsa_system_vgpr_workitem_id 1
		.amdhsa_next_free_vgpr 14
		.amdhsa_next_free_sgpr 16
		.amdhsa_accum_offset 16
		.amdhsa_reserve_vcc 1
		.amdhsa_reserve_flat_scratch 0
		.amdhsa_float_round_mode_32 0
		.amdhsa_float_round_mode_16_64 0
		.amdhsa_float_denorm_mode_32 3
		.amdhsa_float_denorm_mode_16_64 3
		.amdhsa_dx10_clamp 1
		.amdhsa_ieee_mode 1
		.amdhsa_fp16_overflow 0
		.amdhsa_tg_split 0
		.amdhsa_exception_fp_ieee_invalid_op 0
		.amdhsa_exception_fp_denorm_src 0
		.amdhsa_exception_fp_ieee_div_zero 0
		.amdhsa_exception_fp_ieee_overflow 0
		.amdhsa_exception_fp_ieee_underflow 0
		.amdhsa_exception_fp_ieee_inexact 0
		.amdhsa_exception_int_div_zero 0
	.end_amdhsa_kernel
	.section	.text._ZN12_GLOBAL__N_120softmax_warp_forwardIfffLi1ELb1ELb0ELi32EEEvPT0_PKT_iiiPKbib,"axG",@progbits,_ZN12_GLOBAL__N_120softmax_warp_forwardIfffLi1ELb1ELb0ELi32EEEvPT0_PKT_iiiPKbib,comdat
.Lfunc_end38:
	.size	_ZN12_GLOBAL__N_120softmax_warp_forwardIfffLi1ELb1ELb0ELi32EEEvPT0_PKT_iiiPKbib, .Lfunc_end38-_ZN12_GLOBAL__N_120softmax_warp_forwardIfffLi1ELb1ELb0ELi32EEEvPT0_PKT_iiiPKbib
                                        ; -- End function
	.section	.AMDGPU.csdata,"",@progbits
; Kernel info:
; codeLenInByte = 896
; NumSgprs: 20
; NumVgprs: 14
; NumAgprs: 0
; TotalNumVgprs: 14
; ScratchSize: 0
; MemoryBound: 0
; FloatMode: 240
; IeeeMode: 1
; LDSByteSize: 0 bytes/workgroup (compile time only)
; SGPRBlocks: 2
; VGPRBlocks: 1
; NumSGPRsForWavesPerEU: 20
; NumVGPRsForWavesPerEU: 14
; AccumOffset: 16
; Occupancy: 8
; WaveLimiterHint : 0
; COMPUTE_PGM_RSRC2:SCRATCH_EN: 0
; COMPUTE_PGM_RSRC2:USER_SGPR: 6
; COMPUTE_PGM_RSRC2:TRAP_HANDLER: 0
; COMPUTE_PGM_RSRC2:TGID_X_EN: 1
; COMPUTE_PGM_RSRC2:TGID_Y_EN: 0
; COMPUTE_PGM_RSRC2:TGID_Z_EN: 0
; COMPUTE_PGM_RSRC2:TIDIG_COMP_CNT: 1
; COMPUTE_PGM_RSRC3_GFX90A:ACCUM_OFFSET: 3
; COMPUTE_PGM_RSRC3_GFX90A:TG_SPLIT: 0
	.section	.text._ZN12_GLOBAL__N_120softmax_warp_forwardIfffLi2ELb1ELb0ELi64EEEvPT0_PKT_iiiPKbib,"axG",@progbits,_ZN12_GLOBAL__N_120softmax_warp_forwardIfffLi2ELb1ELb0ELi64EEEvPT0_PKT_iiiPKbib,comdat
	.globl	_ZN12_GLOBAL__N_120softmax_warp_forwardIfffLi2ELb1ELb0ELi64EEEvPT0_PKT_iiiPKbib ; -- Begin function _ZN12_GLOBAL__N_120softmax_warp_forwardIfffLi2ELb1ELb0ELi64EEEvPT0_PKT_iiiPKbib
	.p2align	8
	.type	_ZN12_GLOBAL__N_120softmax_warp_forwardIfffLi2ELb1ELb0ELi64EEEvPT0_PKT_iiiPKbib,@function
_ZN12_GLOBAL__N_120softmax_warp_forwardIfffLi2ELb1ELb0ELi64EEEvPT0_PKT_iiiPKbib: ; @_ZN12_GLOBAL__N_120softmax_warp_forwardIfffLi2ELb1ELb0ELi64EEEvPT0_PKT_iiiPKbib
; %bb.0:
	s_load_dword s0, s[4:5], 0x3c
	s_load_dwordx8 s[8:15], s[4:5], 0x0
	v_bfe_u32 v1, v0, 10, 10
	v_and_b32_e32 v0, 0x3ff, v0
	s_waitcnt lgkmcnt(0)
	s_lshr_b32 s0, s0, 16
	s_mul_i32 s6, s6, s0
	v_add_lshl_u32 v1, s6, v1, 1
	v_mad_u64_u32 v[2:3], s[0:1], v1, s13, v[0:1]
	v_ashrrev_i32_e32 v3, 31, v2
	v_lshlrev_b64 v[2:3], 2, v[2:3]
	v_sub_u32_e32 v10, s12, v1
	v_mov_b32_e32 v1, s11
	v_add_co_u32_e32 v4, vcc, s10, v2
	v_addc_co_u32_e32 v5, vcc, v1, v3, vcc
	v_cmp_gt_i32_e32 vcc, s14, v0
	v_cmp_lt_i32_e64 s[0:1], 0, v10
	s_and_b64 s[4:5], vcc, s[0:1]
	v_mov_b32_e32 v1, 0xff800000
	v_mov_b32_e32 v0, 0xff800000
	s_and_saveexec_b64 s[2:3], s[4:5]
	s_cbranch_execz .LBB39_2
; %bb.1:
	global_load_dword v0, v[4:5], off
.LBB39_2:
	s_or_b64 exec, exec, s[2:3]
	v_cmp_lt_i32_e64 s[2:3], 1, v10
	s_and_b64 s[2:3], vcc, s[2:3]
	s_and_saveexec_b64 s[4:5], s[2:3]
	s_cbranch_execz .LBB39_4
; %bb.3:
	s_mov_b32 s15, 0
	s_lshl_b64 s[2:3], s[14:15], 2
	v_mov_b32_e32 v1, s3
	v_add_co_u32_e64 v4, s[2:3], s2, v4
	v_addc_co_u32_e64 v5, s[2:3], v5, v1, s[2:3]
	global_load_dword v1, v[4:5], off
.LBB39_4:
	s_or_b64 exec, exec, s[4:5]
	v_mbcnt_lo_u32_b32 v4, -1, 0
	v_mbcnt_hi_u32_b32 v4, -1, v4
	v_and_b32_e32 v5, 0x7c, v4
	v_add_u32_e32 v5, 4, v5
	v_xor_b32_e32 v6, 2, v4
	v_cmp_lt_i32_e64 s[2:3], v6, v5
	v_cndmask_b32_e64 v6, v4, v6, s[2:3]
	v_lshlrev_b32_e32 v9, 2, v6
	s_waitcnt vmcnt(0)
	ds_bpermute_b32 v7, v9, v1
	ds_bpermute_b32 v6, v9, v0
	v_xor_b32_e32 v8, 1, v4
	v_cmp_lt_i32_e64 s[2:3], v8, v5
	v_cndmask_b32_e64 v4, v4, v8, s[2:3]
	s_waitcnt lgkmcnt(1)
	v_cmp_lt_f32_e64 s[2:3], v1, v7
	v_lshlrev_b32_e32 v11, 2, v4
	v_cndmask_b32_e64 v4, v1, v7, s[2:3]
	s_waitcnt lgkmcnt(0)
	v_cmp_lt_f32_e64 s[2:3], v0, v6
	ds_bpermute_b32 v5, v11, v4
	v_cndmask_b32_e64 v6, v0, v6, s[2:3]
	ds_bpermute_b32 v7, v11, v6
	s_mov_b32 s4, 0x3fb8aa3b
	s_mov_b32 s5, 0xc2ce8ed0
	s_waitcnt lgkmcnt(1)
	v_cmp_lt_f32_e64 s[2:3], v4, v5
	v_cndmask_b32_e64 v5, v4, v5, s[2:3]
	s_waitcnt lgkmcnt(0)
	v_cmp_lt_f32_e64 s[2:3], v6, v7
	v_cndmask_b32_e64 v4, v6, v7, s[2:3]
	v_pk_add_f32 v[6:7], v[0:1], v[4:5] neg_lo:[0,1] neg_hi:[0,1]
	v_mul_f32_e32 v8, 0x3fb8aa3b, v7
	v_fma_f32 v12, v7, s4, -v8
	v_rndne_f32_e32 v13, v8
	v_fmac_f32_e32 v12, 0x32a5705f, v7
	v_sub_f32_e32 v8, v8, v13
	v_add_f32_e32 v8, v8, v12
	v_exp_f32_e32 v8, v8
	v_cvt_i32_f32_e32 v12, v13
	v_cmp_ngt_f32_e64 s[2:3], s5, v7
	s_mov_b32 s6, 0x42b17218
	v_ldexp_f32 v8, v8, v12
	v_mul_f32_e32 v12, 0x3fb8aa3b, v6
	v_fma_f32 v13, v6, s4, -v12
	v_rndne_f32_e32 v14, v12
	v_fmac_f32_e32 v13, 0x32a5705f, v6
	v_sub_f32_e32 v12, v12, v14
	v_add_f32_e32 v12, v12, v13
	v_exp_f32_e32 v12, v12
	v_cvt_i32_f32_e32 v13, v14
	v_cndmask_b32_e64 v8, 0, v8, s[2:3]
	v_mov_b32_e32 v14, 0x7f800000
	v_cmp_nlt_f32_e64 s[2:3], s6, v7
	v_cndmask_b32_e64 v7, v14, v8, s[2:3]
	v_ldexp_f32 v8, v12, v13
	v_cmp_ngt_f32_e64 s[2:3], s5, v6
	v_cndmask_b32_e64 v8, 0, v8, s[2:3]
	v_cmp_nlt_f32_e64 s[2:3], s6, v6
	v_cndmask_b32_e64 v6, v14, v8, s[2:3]
	ds_bpermute_b32 v8, v9, v6
	ds_bpermute_b32 v9, v9, v7
	s_waitcnt lgkmcnt(0)
	v_pk_add_f32 v[6:7], v[6:7], v[8:9]
	ds_bpermute_b32 v8, v11, v6
	ds_bpermute_b32 v9, v11, v7
	s_and_saveexec_b64 s[2:3], s[0:1]
	s_cbranch_execz .LBB39_10
; %bb.5:
	v_mov_b32_e32 v11, s9
	v_add_co_u32_e64 v2, s[0:1], s8, v2
	v_addc_co_u32_e64 v3, s[0:1], v11, v3, s[0:1]
	s_waitcnt lgkmcnt(0)
	v_pk_add_f32 v[6:7], v[6:7], v[8:9]
	s_and_saveexec_b64 s[4:5], vcc
	s_cbranch_execz .LBB39_7
; %bb.6:
	s_mov_b32 s0, 0x800000
	v_mov_b32_e32 v8, 0x4f800000
	v_cmp_gt_f32_e64 s[0:1], s0, v6
	v_cndmask_b32_e64 v8, 1.0, v8, s[0:1]
	v_mul_f32_e32 v6, v6, v8
	v_log_f32_e32 v6, v6
	s_mov_b32 s2, 0x3f317217
	v_sub_f32_e32 v0, v0, v4
	v_mul_f32_e32 v8, 0x3f317217, v6
	v_fma_f32 v9, v6, s2, -v8
	v_fmac_f32_e32 v9, 0x3377d1cf, v6
	s_mov_b32 s2, 0x7f800000
	v_add_f32_e32 v8, v8, v9
	v_cmp_lt_f32_e64 s[2:3], |v6|, s2
	v_cndmask_b32_e64 v6, v6, v8, s[2:3]
	v_mov_b32_e32 v8, 0x41b17218
	v_cndmask_b32_e64 v8, 0, v8, s[0:1]
	v_sub_f32_e32 v6, v6, v8
	v_sub_f32_e32 v0, v0, v6
	global_store_dword v[2:3], v0, off
.LBB39_7:
	s_or_b64 exec, exec, s[4:5]
	v_cmp_ne_u32_e64 s[0:1], 1, v10
	s_and_b64 exec, exec, s[0:1]
	s_cbranch_execz .LBB39_10
; %bb.8:
	s_and_b64 exec, exec, vcc
	s_cbranch_execz .LBB39_10
; %bb.9:
	s_mov_b32 s0, 0x800000
	v_mov_b32_e32 v0, 0x4f800000
	v_cmp_gt_f32_e32 vcc, s0, v7
	v_cndmask_b32_e32 v0, 1.0, v0, vcc
	v_mul_f32_e32 v0, v7, v0
	v_log_f32_e32 v0, v0
	s_mov_b32 s0, 0x3f317217
	s_mov_b32 s15, 0
	v_sub_f32_e32 v1, v1, v5
	v_mul_f32_e32 v4, 0x3f317217, v0
	v_fma_f32 v6, v0, s0, -v4
	v_fmac_f32_e32 v6, 0x3377d1cf, v0
	s_mov_b32 s0, 0x7f800000
	v_add_f32_e32 v4, v4, v6
	v_cmp_lt_f32_e64 s[0:1], |v0|, s0
	v_cndmask_b32_e64 v0, v0, v4, s[0:1]
	v_mov_b32_e32 v4, 0x41b17218
	v_cndmask_b32_e32 v4, 0, v4, vcc
	v_sub_f32_e32 v0, v0, v4
	s_lshl_b64 s[0:1], s[14:15], 2
	v_sub_f32_e32 v4, v1, v0
	v_mov_b32_e32 v1, s1
	v_add_co_u32_e32 v0, vcc, s0, v2
	v_addc_co_u32_e32 v1, vcc, v3, v1, vcc
	global_store_dword v[0:1], v4, off
.LBB39_10:
	s_endpgm
	.section	.rodata,"a",@progbits
	.p2align	6, 0x0
	.amdhsa_kernel _ZN12_GLOBAL__N_120softmax_warp_forwardIfffLi2ELb1ELb0ELi64EEEvPT0_PKT_iiiPKbib
		.amdhsa_group_segment_fixed_size 0
		.amdhsa_private_segment_fixed_size 0
		.amdhsa_kernarg_size 304
		.amdhsa_user_sgpr_count 6
		.amdhsa_user_sgpr_private_segment_buffer 1
		.amdhsa_user_sgpr_dispatch_ptr 0
		.amdhsa_user_sgpr_queue_ptr 0
		.amdhsa_user_sgpr_kernarg_segment_ptr 1
		.amdhsa_user_sgpr_dispatch_id 0
		.amdhsa_user_sgpr_flat_scratch_init 0
		.amdhsa_user_sgpr_kernarg_preload_length 0
		.amdhsa_user_sgpr_kernarg_preload_offset 0
		.amdhsa_user_sgpr_private_segment_size 0
		.amdhsa_uses_dynamic_stack 0
		.amdhsa_system_sgpr_private_segment_wavefront_offset 0
		.amdhsa_system_sgpr_workgroup_id_x 1
		.amdhsa_system_sgpr_workgroup_id_y 0
		.amdhsa_system_sgpr_workgroup_id_z 0
		.amdhsa_system_sgpr_workgroup_info 0
		.amdhsa_system_vgpr_workitem_id 1
		.amdhsa_next_free_vgpr 15
		.amdhsa_next_free_sgpr 16
		.amdhsa_accum_offset 16
		.amdhsa_reserve_vcc 1
		.amdhsa_reserve_flat_scratch 0
		.amdhsa_float_round_mode_32 0
		.amdhsa_float_round_mode_16_64 0
		.amdhsa_float_denorm_mode_32 3
		.amdhsa_float_denorm_mode_16_64 3
		.amdhsa_dx10_clamp 1
		.amdhsa_ieee_mode 1
		.amdhsa_fp16_overflow 0
		.amdhsa_tg_split 0
		.amdhsa_exception_fp_ieee_invalid_op 0
		.amdhsa_exception_fp_denorm_src 0
		.amdhsa_exception_fp_ieee_div_zero 0
		.amdhsa_exception_fp_ieee_overflow 0
		.amdhsa_exception_fp_ieee_underflow 0
		.amdhsa_exception_fp_ieee_inexact 0
		.amdhsa_exception_int_div_zero 0
	.end_amdhsa_kernel
	.section	.text._ZN12_GLOBAL__N_120softmax_warp_forwardIfffLi2ELb1ELb0ELi64EEEvPT0_PKT_iiiPKbib,"axG",@progbits,_ZN12_GLOBAL__N_120softmax_warp_forwardIfffLi2ELb1ELb0ELi64EEEvPT0_PKT_iiiPKbib,comdat
.Lfunc_end39:
	.size	_ZN12_GLOBAL__N_120softmax_warp_forwardIfffLi2ELb1ELb0ELi64EEEvPT0_PKT_iiiPKbib, .Lfunc_end39-_ZN12_GLOBAL__N_120softmax_warp_forwardIfffLi2ELb1ELb0ELi64EEEvPT0_PKT_iiiPKbib
                                        ; -- End function
	.section	.AMDGPU.csdata,"",@progbits
; Kernel info:
; codeLenInByte = 1004
; NumSgprs: 20
; NumVgprs: 15
; NumAgprs: 0
; TotalNumVgprs: 15
; ScratchSize: 0
; MemoryBound: 0
; FloatMode: 240
; IeeeMode: 1
; LDSByteSize: 0 bytes/workgroup (compile time only)
; SGPRBlocks: 2
; VGPRBlocks: 1
; NumSGPRsForWavesPerEU: 20
; NumVGPRsForWavesPerEU: 15
; AccumOffset: 16
; Occupancy: 8
; WaveLimiterHint : 0
; COMPUTE_PGM_RSRC2:SCRATCH_EN: 0
; COMPUTE_PGM_RSRC2:USER_SGPR: 6
; COMPUTE_PGM_RSRC2:TRAP_HANDLER: 0
; COMPUTE_PGM_RSRC2:TGID_X_EN: 1
; COMPUTE_PGM_RSRC2:TGID_Y_EN: 0
; COMPUTE_PGM_RSRC2:TGID_Z_EN: 0
; COMPUTE_PGM_RSRC2:TIDIG_COMP_CNT: 1
; COMPUTE_PGM_RSRC3_GFX90A:ACCUM_OFFSET: 3
; COMPUTE_PGM_RSRC3_GFX90A:TG_SPLIT: 0
	.section	.text._ZN12_GLOBAL__N_120softmax_warp_forwardIfffLi2ELb1ELb0ELi32EEEvPT0_PKT_iiiPKbib,"axG",@progbits,_ZN12_GLOBAL__N_120softmax_warp_forwardIfffLi2ELb1ELb0ELi32EEEvPT0_PKT_iiiPKbib,comdat
	.globl	_ZN12_GLOBAL__N_120softmax_warp_forwardIfffLi2ELb1ELb0ELi32EEEvPT0_PKT_iiiPKbib ; -- Begin function _ZN12_GLOBAL__N_120softmax_warp_forwardIfffLi2ELb1ELb0ELi32EEEvPT0_PKT_iiiPKbib
	.p2align	8
	.type	_ZN12_GLOBAL__N_120softmax_warp_forwardIfffLi2ELb1ELb0ELi32EEEvPT0_PKT_iiiPKbib,@function
_ZN12_GLOBAL__N_120softmax_warp_forwardIfffLi2ELb1ELb0ELi32EEEvPT0_PKT_iiiPKbib: ; @_ZN12_GLOBAL__N_120softmax_warp_forwardIfffLi2ELb1ELb0ELi32EEEvPT0_PKT_iiiPKbib
; %bb.0:
	s_load_dword s0, s[4:5], 0x3c
	s_load_dwordx8 s[8:15], s[4:5], 0x0
	v_bfe_u32 v1, v0, 10, 10
	v_and_b32_e32 v0, 0x3ff, v0
	s_waitcnt lgkmcnt(0)
	s_lshr_b32 s0, s0, 16
	s_mul_i32 s6, s6, s0
	v_add_lshl_u32 v1, s6, v1, 1
	v_mad_u64_u32 v[2:3], s[0:1], v1, s13, v[0:1]
	v_ashrrev_i32_e32 v3, 31, v2
	v_lshlrev_b64 v[2:3], 2, v[2:3]
	v_sub_u32_e32 v10, s12, v1
	v_mov_b32_e32 v1, s11
	v_add_co_u32_e32 v4, vcc, s10, v2
	v_addc_co_u32_e32 v5, vcc, v1, v3, vcc
	v_cmp_gt_i32_e32 vcc, s14, v0
	v_cmp_lt_i32_e64 s[0:1], 0, v10
	s_and_b64 s[4:5], vcc, s[0:1]
	v_mov_b32_e32 v1, 0xff800000
	v_mov_b32_e32 v0, 0xff800000
	s_and_saveexec_b64 s[2:3], s[4:5]
	s_cbranch_execz .LBB40_2
; %bb.1:
	global_load_dword v0, v[4:5], off
.LBB40_2:
	s_or_b64 exec, exec, s[2:3]
	v_cmp_lt_i32_e64 s[2:3], 1, v10
	s_and_b64 s[2:3], vcc, s[2:3]
	s_and_saveexec_b64 s[4:5], s[2:3]
	s_cbranch_execz .LBB40_4
; %bb.3:
	s_mov_b32 s15, 0
	s_lshl_b64 s[2:3], s[14:15], 2
	v_mov_b32_e32 v1, s3
	v_add_co_u32_e64 v4, s[2:3], s2, v4
	v_addc_co_u32_e64 v5, s[2:3], v5, v1, s[2:3]
	global_load_dword v1, v[4:5], off
.LBB40_4:
	s_or_b64 exec, exec, s[4:5]
	v_mbcnt_lo_u32_b32 v4, -1, 0
	v_mbcnt_hi_u32_b32 v4, -1, v4
	v_and_b32_e32 v5, 0x7c, v4
	v_add_u32_e32 v5, 4, v5
	v_xor_b32_e32 v6, 2, v4
	v_cmp_lt_i32_e64 s[2:3], v6, v5
	v_cndmask_b32_e64 v6, v4, v6, s[2:3]
	v_lshlrev_b32_e32 v9, 2, v6
	s_waitcnt vmcnt(0)
	ds_bpermute_b32 v7, v9, v1
	ds_bpermute_b32 v6, v9, v0
	v_xor_b32_e32 v8, 1, v4
	v_cmp_lt_i32_e64 s[2:3], v8, v5
	v_cndmask_b32_e64 v4, v4, v8, s[2:3]
	s_waitcnt lgkmcnt(1)
	v_cmp_lt_f32_e64 s[2:3], v1, v7
	v_lshlrev_b32_e32 v11, 2, v4
	v_cndmask_b32_e64 v4, v1, v7, s[2:3]
	s_waitcnt lgkmcnt(0)
	v_cmp_lt_f32_e64 s[2:3], v0, v6
	ds_bpermute_b32 v5, v11, v4
	v_cndmask_b32_e64 v6, v0, v6, s[2:3]
	ds_bpermute_b32 v7, v11, v6
	s_mov_b32 s4, 0x3fb8aa3b
	s_mov_b32 s5, 0xc2ce8ed0
	s_waitcnt lgkmcnt(1)
	v_cmp_lt_f32_e64 s[2:3], v4, v5
	v_cndmask_b32_e64 v5, v4, v5, s[2:3]
	s_waitcnt lgkmcnt(0)
	v_cmp_lt_f32_e64 s[2:3], v6, v7
	v_cndmask_b32_e64 v4, v6, v7, s[2:3]
	v_pk_add_f32 v[6:7], v[0:1], v[4:5] neg_lo:[0,1] neg_hi:[0,1]
	v_mul_f32_e32 v8, 0x3fb8aa3b, v7
	v_fma_f32 v12, v7, s4, -v8
	v_rndne_f32_e32 v13, v8
	v_fmac_f32_e32 v12, 0x32a5705f, v7
	v_sub_f32_e32 v8, v8, v13
	v_add_f32_e32 v8, v8, v12
	v_exp_f32_e32 v8, v8
	v_cvt_i32_f32_e32 v12, v13
	v_cmp_ngt_f32_e64 s[2:3], s5, v7
	s_mov_b32 s6, 0x42b17218
	v_ldexp_f32 v8, v8, v12
	v_mul_f32_e32 v12, 0x3fb8aa3b, v6
	v_fma_f32 v13, v6, s4, -v12
	v_rndne_f32_e32 v14, v12
	v_fmac_f32_e32 v13, 0x32a5705f, v6
	v_sub_f32_e32 v12, v12, v14
	v_add_f32_e32 v12, v12, v13
	v_exp_f32_e32 v12, v12
	v_cvt_i32_f32_e32 v13, v14
	v_cndmask_b32_e64 v8, 0, v8, s[2:3]
	v_mov_b32_e32 v14, 0x7f800000
	v_cmp_nlt_f32_e64 s[2:3], s6, v7
	v_cndmask_b32_e64 v7, v14, v8, s[2:3]
	v_ldexp_f32 v8, v12, v13
	v_cmp_ngt_f32_e64 s[2:3], s5, v6
	v_cndmask_b32_e64 v8, 0, v8, s[2:3]
	v_cmp_nlt_f32_e64 s[2:3], s6, v6
	v_cndmask_b32_e64 v6, v14, v8, s[2:3]
	ds_bpermute_b32 v8, v9, v6
	ds_bpermute_b32 v9, v9, v7
	s_waitcnt lgkmcnt(0)
	v_pk_add_f32 v[6:7], v[6:7], v[8:9]
	ds_bpermute_b32 v8, v11, v6
	ds_bpermute_b32 v9, v11, v7
	s_and_saveexec_b64 s[2:3], s[0:1]
	s_cbranch_execz .LBB40_10
; %bb.5:
	v_mov_b32_e32 v11, s9
	v_add_co_u32_e64 v2, s[0:1], s8, v2
	v_addc_co_u32_e64 v3, s[0:1], v11, v3, s[0:1]
	s_waitcnt lgkmcnt(0)
	v_pk_add_f32 v[6:7], v[6:7], v[8:9]
	s_and_saveexec_b64 s[4:5], vcc
	s_cbranch_execz .LBB40_7
; %bb.6:
	s_mov_b32 s0, 0x800000
	v_mov_b32_e32 v8, 0x4f800000
	v_cmp_gt_f32_e64 s[0:1], s0, v6
	v_cndmask_b32_e64 v8, 1.0, v8, s[0:1]
	v_mul_f32_e32 v6, v6, v8
	v_log_f32_e32 v6, v6
	s_mov_b32 s2, 0x3f317217
	v_sub_f32_e32 v0, v0, v4
	v_mul_f32_e32 v8, 0x3f317217, v6
	v_fma_f32 v9, v6, s2, -v8
	v_fmac_f32_e32 v9, 0x3377d1cf, v6
	s_mov_b32 s2, 0x7f800000
	v_add_f32_e32 v8, v8, v9
	v_cmp_lt_f32_e64 s[2:3], |v6|, s2
	v_cndmask_b32_e64 v6, v6, v8, s[2:3]
	v_mov_b32_e32 v8, 0x41b17218
	v_cndmask_b32_e64 v8, 0, v8, s[0:1]
	v_sub_f32_e32 v6, v6, v8
	v_sub_f32_e32 v0, v0, v6
	global_store_dword v[2:3], v0, off
.LBB40_7:
	s_or_b64 exec, exec, s[4:5]
	v_cmp_ne_u32_e64 s[0:1], 1, v10
	s_and_b64 exec, exec, s[0:1]
	s_cbranch_execz .LBB40_10
; %bb.8:
	s_and_b64 exec, exec, vcc
	s_cbranch_execz .LBB40_10
; %bb.9:
	s_mov_b32 s0, 0x800000
	v_mov_b32_e32 v0, 0x4f800000
	v_cmp_gt_f32_e32 vcc, s0, v7
	v_cndmask_b32_e32 v0, 1.0, v0, vcc
	v_mul_f32_e32 v0, v7, v0
	v_log_f32_e32 v0, v0
	s_mov_b32 s0, 0x3f317217
	s_mov_b32 s15, 0
	v_sub_f32_e32 v1, v1, v5
	v_mul_f32_e32 v4, 0x3f317217, v0
	v_fma_f32 v6, v0, s0, -v4
	v_fmac_f32_e32 v6, 0x3377d1cf, v0
	s_mov_b32 s0, 0x7f800000
	v_add_f32_e32 v4, v4, v6
	v_cmp_lt_f32_e64 s[0:1], |v0|, s0
	v_cndmask_b32_e64 v0, v0, v4, s[0:1]
	v_mov_b32_e32 v4, 0x41b17218
	v_cndmask_b32_e32 v4, 0, v4, vcc
	v_sub_f32_e32 v0, v0, v4
	s_lshl_b64 s[0:1], s[14:15], 2
	v_sub_f32_e32 v4, v1, v0
	v_mov_b32_e32 v1, s1
	v_add_co_u32_e32 v0, vcc, s0, v2
	v_addc_co_u32_e32 v1, vcc, v3, v1, vcc
	global_store_dword v[0:1], v4, off
.LBB40_10:
	s_endpgm
	.section	.rodata,"a",@progbits
	.p2align	6, 0x0
	.amdhsa_kernel _ZN12_GLOBAL__N_120softmax_warp_forwardIfffLi2ELb1ELb0ELi32EEEvPT0_PKT_iiiPKbib
		.amdhsa_group_segment_fixed_size 0
		.amdhsa_private_segment_fixed_size 0
		.amdhsa_kernarg_size 304
		.amdhsa_user_sgpr_count 6
		.amdhsa_user_sgpr_private_segment_buffer 1
		.amdhsa_user_sgpr_dispatch_ptr 0
		.amdhsa_user_sgpr_queue_ptr 0
		.amdhsa_user_sgpr_kernarg_segment_ptr 1
		.amdhsa_user_sgpr_dispatch_id 0
		.amdhsa_user_sgpr_flat_scratch_init 0
		.amdhsa_user_sgpr_kernarg_preload_length 0
		.amdhsa_user_sgpr_kernarg_preload_offset 0
		.amdhsa_user_sgpr_private_segment_size 0
		.amdhsa_uses_dynamic_stack 0
		.amdhsa_system_sgpr_private_segment_wavefront_offset 0
		.amdhsa_system_sgpr_workgroup_id_x 1
		.amdhsa_system_sgpr_workgroup_id_y 0
		.amdhsa_system_sgpr_workgroup_id_z 0
		.amdhsa_system_sgpr_workgroup_info 0
		.amdhsa_system_vgpr_workitem_id 1
		.amdhsa_next_free_vgpr 15
		.amdhsa_next_free_sgpr 16
		.amdhsa_accum_offset 16
		.amdhsa_reserve_vcc 1
		.amdhsa_reserve_flat_scratch 0
		.amdhsa_float_round_mode_32 0
		.amdhsa_float_round_mode_16_64 0
		.amdhsa_float_denorm_mode_32 3
		.amdhsa_float_denorm_mode_16_64 3
		.amdhsa_dx10_clamp 1
		.amdhsa_ieee_mode 1
		.amdhsa_fp16_overflow 0
		.amdhsa_tg_split 0
		.amdhsa_exception_fp_ieee_invalid_op 0
		.amdhsa_exception_fp_denorm_src 0
		.amdhsa_exception_fp_ieee_div_zero 0
		.amdhsa_exception_fp_ieee_overflow 0
		.amdhsa_exception_fp_ieee_underflow 0
		.amdhsa_exception_fp_ieee_inexact 0
		.amdhsa_exception_int_div_zero 0
	.end_amdhsa_kernel
	.section	.text._ZN12_GLOBAL__N_120softmax_warp_forwardIfffLi2ELb1ELb0ELi32EEEvPT0_PKT_iiiPKbib,"axG",@progbits,_ZN12_GLOBAL__N_120softmax_warp_forwardIfffLi2ELb1ELb0ELi32EEEvPT0_PKT_iiiPKbib,comdat
.Lfunc_end40:
	.size	_ZN12_GLOBAL__N_120softmax_warp_forwardIfffLi2ELb1ELb0ELi32EEEvPT0_PKT_iiiPKbib, .Lfunc_end40-_ZN12_GLOBAL__N_120softmax_warp_forwardIfffLi2ELb1ELb0ELi32EEEvPT0_PKT_iiiPKbib
                                        ; -- End function
	.section	.AMDGPU.csdata,"",@progbits
; Kernel info:
; codeLenInByte = 1004
; NumSgprs: 20
; NumVgprs: 15
; NumAgprs: 0
; TotalNumVgprs: 15
; ScratchSize: 0
; MemoryBound: 0
; FloatMode: 240
; IeeeMode: 1
; LDSByteSize: 0 bytes/workgroup (compile time only)
; SGPRBlocks: 2
; VGPRBlocks: 1
; NumSGPRsForWavesPerEU: 20
; NumVGPRsForWavesPerEU: 15
; AccumOffset: 16
; Occupancy: 8
; WaveLimiterHint : 0
; COMPUTE_PGM_RSRC2:SCRATCH_EN: 0
; COMPUTE_PGM_RSRC2:USER_SGPR: 6
; COMPUTE_PGM_RSRC2:TRAP_HANDLER: 0
; COMPUTE_PGM_RSRC2:TGID_X_EN: 1
; COMPUTE_PGM_RSRC2:TGID_Y_EN: 0
; COMPUTE_PGM_RSRC2:TGID_Z_EN: 0
; COMPUTE_PGM_RSRC2:TIDIG_COMP_CNT: 1
; COMPUTE_PGM_RSRC3_GFX90A:ACCUM_OFFSET: 3
; COMPUTE_PGM_RSRC3_GFX90A:TG_SPLIT: 0
	.section	.text._ZN12_GLOBAL__N_120softmax_warp_forwardIfffLi3ELb1ELb0ELi64EEEvPT0_PKT_iiiPKbib,"axG",@progbits,_ZN12_GLOBAL__N_120softmax_warp_forwardIfffLi3ELb1ELb0ELi64EEEvPT0_PKT_iiiPKbib,comdat
	.globl	_ZN12_GLOBAL__N_120softmax_warp_forwardIfffLi3ELb1ELb0ELi64EEEvPT0_PKT_iiiPKbib ; -- Begin function _ZN12_GLOBAL__N_120softmax_warp_forwardIfffLi3ELb1ELb0ELi64EEEvPT0_PKT_iiiPKbib
	.p2align	8
	.type	_ZN12_GLOBAL__N_120softmax_warp_forwardIfffLi3ELb1ELb0ELi64EEEvPT0_PKT_iiiPKbib,@function
_ZN12_GLOBAL__N_120softmax_warp_forwardIfffLi3ELb1ELb0ELi64EEEvPT0_PKT_iiiPKbib: ; @_ZN12_GLOBAL__N_120softmax_warp_forwardIfffLi3ELb1ELb0ELi64EEEvPT0_PKT_iiiPKbib
; %bb.0:
	s_load_dword s0, s[4:5], 0x3c
	s_load_dwordx8 s[8:15], s[4:5], 0x0
	v_bfe_u32 v1, v0, 10, 10
	v_and_b32_e32 v0, 0x3ff, v0
	s_waitcnt lgkmcnt(0)
	s_lshr_b32 s0, s0, 16
	s_mul_i32 s6, s6, s0
	v_add_lshl_u32 v1, s6, v1, 1
	v_mad_u64_u32 v[2:3], s[0:1], v1, s13, v[0:1]
	v_ashrrev_i32_e32 v3, 31, v2
	v_lshlrev_b64 v[2:3], 2, v[2:3]
	v_sub_u32_e32 v10, s12, v1
	v_mov_b32_e32 v1, s11
	v_add_co_u32_e32 v4, vcc, s10, v2
	v_addc_co_u32_e32 v5, vcc, v1, v3, vcc
	v_cmp_gt_i32_e32 vcc, s14, v0
	v_cmp_lt_i32_e64 s[0:1], 0, v10
	s_and_b64 s[4:5], vcc, s[0:1]
	v_mov_b32_e32 v1, 0xff800000
	v_mov_b32_e32 v0, 0xff800000
	s_and_saveexec_b64 s[2:3], s[4:5]
	s_cbranch_execz .LBB41_2
; %bb.1:
	global_load_dword v0, v[4:5], off
.LBB41_2:
	s_or_b64 exec, exec, s[2:3]
	v_cmp_lt_i32_e64 s[2:3], 1, v10
	s_and_b64 s[2:3], vcc, s[2:3]
	s_and_saveexec_b64 s[4:5], s[2:3]
	s_cbranch_execz .LBB41_4
; %bb.3:
	s_mov_b32 s15, 0
	s_lshl_b64 s[2:3], s[14:15], 2
	v_mov_b32_e32 v1, s3
	v_add_co_u32_e64 v4, s[2:3], s2, v4
	v_addc_co_u32_e64 v5, s[2:3], v5, v1, s[2:3]
	global_load_dword v1, v[4:5], off
.LBB41_4:
	s_or_b64 exec, exec, s[4:5]
	v_mbcnt_lo_u32_b32 v4, -1, 0
	v_mbcnt_hi_u32_b32 v4, -1, v4
	v_and_b32_e32 v5, 0x78, v4
	v_add_u32_e32 v5, 8, v5
	v_xor_b32_e32 v6, 4, v4
	v_cmp_lt_i32_e64 s[2:3], v6, v5
	v_cndmask_b32_e64 v6, v4, v6, s[2:3]
	v_lshlrev_b32_e32 v9, 2, v6
	s_waitcnt vmcnt(0)
	ds_bpermute_b32 v7, v9, v1
	v_xor_b32_e32 v8, 2, v4
	ds_bpermute_b32 v6, v9, v0
	v_cmp_lt_i32_e64 s[2:3], v8, v5
	v_cndmask_b32_e64 v8, v4, v8, s[2:3]
	v_lshlrev_b32_e32 v11, 2, v8
	v_xor_b32_e32 v8, 1, v4
	v_cmp_lt_i32_e64 s[2:3], v8, v5
	v_cndmask_b32_e64 v4, v4, v8, s[2:3]
	s_waitcnt lgkmcnt(1)
	v_cmp_lt_f32_e64 s[2:3], v1, v7
	v_cndmask_b32_e64 v5, v1, v7, s[2:3]
	s_waitcnt lgkmcnt(0)
	v_cmp_lt_f32_e64 s[2:3], v0, v6
	ds_bpermute_b32 v7, v11, v5
	v_cndmask_b32_e64 v6, v0, v6, s[2:3]
	ds_bpermute_b32 v8, v11, v6
	v_lshlrev_b32_e32 v12, 2, v4
	s_mov_b32 s4, 0x3fb8aa3b
	s_waitcnt lgkmcnt(1)
	v_cmp_lt_f32_e64 s[2:3], v5, v7
	v_cndmask_b32_e64 v4, v5, v7, s[2:3]
	s_waitcnt lgkmcnt(0)
	v_cmp_lt_f32_e64 s[2:3], v6, v8
	ds_bpermute_b32 v5, v12, v4
	v_cndmask_b32_e64 v6, v6, v8, s[2:3]
	ds_bpermute_b32 v7, v12, v6
	s_mov_b32 s5, 0xc2ce8ed0
	s_mov_b32 s6, 0x42b17218
	s_waitcnt lgkmcnt(1)
	v_cmp_lt_f32_e64 s[2:3], v4, v5
	v_cndmask_b32_e64 v5, v4, v5, s[2:3]
	s_waitcnt lgkmcnt(0)
	v_cmp_lt_f32_e64 s[2:3], v6, v7
	v_cndmask_b32_e64 v4, v6, v7, s[2:3]
	v_pk_add_f32 v[6:7], v[0:1], v[4:5] neg_lo:[0,1] neg_hi:[0,1]
	v_mul_f32_e32 v8, 0x3fb8aa3b, v7
	v_fma_f32 v13, v7, s4, -v8
	v_rndne_f32_e32 v14, v8
	v_fmac_f32_e32 v13, 0x32a5705f, v7
	v_sub_f32_e32 v8, v8, v14
	v_add_f32_e32 v8, v8, v13
	v_exp_f32_e32 v8, v8
	v_cvt_i32_f32_e32 v13, v14
	v_cmp_ngt_f32_e64 s[2:3], s5, v7
	v_ldexp_f32 v8, v8, v13
	v_mul_f32_e32 v13, 0x3fb8aa3b, v6
	v_fma_f32 v14, v6, s4, -v13
	v_rndne_f32_e32 v15, v13
	v_fmac_f32_e32 v14, 0x32a5705f, v6
	v_sub_f32_e32 v13, v13, v15
	v_add_f32_e32 v13, v13, v14
	v_exp_f32_e32 v13, v13
	v_cvt_i32_f32_e32 v14, v15
	v_cndmask_b32_e64 v8, 0, v8, s[2:3]
	v_mov_b32_e32 v15, 0x7f800000
	v_cmp_nlt_f32_e64 s[2:3], s6, v7
	v_cndmask_b32_e64 v7, v15, v8, s[2:3]
	v_ldexp_f32 v8, v13, v14
	v_cmp_ngt_f32_e64 s[2:3], s5, v6
	v_cndmask_b32_e64 v8, 0, v8, s[2:3]
	v_cmp_nlt_f32_e64 s[2:3], s6, v6
	v_cndmask_b32_e64 v6, v15, v8, s[2:3]
	ds_bpermute_b32 v8, v9, v6
	ds_bpermute_b32 v9, v9, v7
	s_waitcnt lgkmcnt(0)
	v_pk_add_f32 v[6:7], v[6:7], v[8:9]
	ds_bpermute_b32 v8, v11, v6
	ds_bpermute_b32 v9, v11, v7
	s_waitcnt lgkmcnt(0)
	v_pk_add_f32 v[6:7], v[6:7], v[8:9]
	ds_bpermute_b32 v8, v12, v6
	ds_bpermute_b32 v9, v12, v7
	s_and_saveexec_b64 s[2:3], s[0:1]
	s_cbranch_execz .LBB41_10
; %bb.5:
	v_mov_b32_e32 v11, s9
	v_add_co_u32_e64 v2, s[0:1], s8, v2
	v_addc_co_u32_e64 v3, s[0:1], v11, v3, s[0:1]
	s_waitcnt lgkmcnt(0)
	v_pk_add_f32 v[6:7], v[6:7], v[8:9]
	s_and_saveexec_b64 s[4:5], vcc
	s_cbranch_execz .LBB41_7
; %bb.6:
	s_mov_b32 s0, 0x800000
	v_mov_b32_e32 v8, 0x4f800000
	v_cmp_gt_f32_e64 s[0:1], s0, v6
	v_cndmask_b32_e64 v8, 1.0, v8, s[0:1]
	v_mul_f32_e32 v6, v6, v8
	v_log_f32_e32 v6, v6
	s_mov_b32 s2, 0x3f317217
	v_sub_f32_e32 v0, v0, v4
	v_mul_f32_e32 v8, 0x3f317217, v6
	v_fma_f32 v9, v6, s2, -v8
	v_fmac_f32_e32 v9, 0x3377d1cf, v6
	s_mov_b32 s2, 0x7f800000
	v_add_f32_e32 v8, v8, v9
	v_cmp_lt_f32_e64 s[2:3], |v6|, s2
	v_cndmask_b32_e64 v6, v6, v8, s[2:3]
	v_mov_b32_e32 v8, 0x41b17218
	v_cndmask_b32_e64 v8, 0, v8, s[0:1]
	v_sub_f32_e32 v6, v6, v8
	v_sub_f32_e32 v0, v0, v6
	global_store_dword v[2:3], v0, off
.LBB41_7:
	s_or_b64 exec, exec, s[4:5]
	v_cmp_ne_u32_e64 s[0:1], 1, v10
	s_and_b64 exec, exec, s[0:1]
	s_cbranch_execz .LBB41_10
; %bb.8:
	s_and_b64 exec, exec, vcc
	s_cbranch_execz .LBB41_10
; %bb.9:
	s_mov_b32 s0, 0x800000
	v_mov_b32_e32 v0, 0x4f800000
	v_cmp_gt_f32_e32 vcc, s0, v7
	v_cndmask_b32_e32 v0, 1.0, v0, vcc
	v_mul_f32_e32 v0, v7, v0
	v_log_f32_e32 v0, v0
	s_mov_b32 s0, 0x3f317217
	s_mov_b32 s15, 0
	v_sub_f32_e32 v1, v1, v5
	v_mul_f32_e32 v4, 0x3f317217, v0
	v_fma_f32 v6, v0, s0, -v4
	v_fmac_f32_e32 v6, 0x3377d1cf, v0
	s_mov_b32 s0, 0x7f800000
	v_add_f32_e32 v4, v4, v6
	v_cmp_lt_f32_e64 s[0:1], |v0|, s0
	v_cndmask_b32_e64 v0, v0, v4, s[0:1]
	v_mov_b32_e32 v4, 0x41b17218
	v_cndmask_b32_e32 v4, 0, v4, vcc
	v_sub_f32_e32 v0, v0, v4
	s_lshl_b64 s[0:1], s[14:15], 2
	v_sub_f32_e32 v4, v1, v0
	v_mov_b32_e32 v1, s1
	v_add_co_u32_e32 v0, vcc, s0, v2
	v_addc_co_u32_e32 v1, vcc, v3, v1, vcc
	global_store_dword v[0:1], v4, off
.LBB41_10:
	s_endpgm
	.section	.rodata,"a",@progbits
	.p2align	6, 0x0
	.amdhsa_kernel _ZN12_GLOBAL__N_120softmax_warp_forwardIfffLi3ELb1ELb0ELi64EEEvPT0_PKT_iiiPKbib
		.amdhsa_group_segment_fixed_size 0
		.amdhsa_private_segment_fixed_size 0
		.amdhsa_kernarg_size 304
		.amdhsa_user_sgpr_count 6
		.amdhsa_user_sgpr_private_segment_buffer 1
		.amdhsa_user_sgpr_dispatch_ptr 0
		.amdhsa_user_sgpr_queue_ptr 0
		.amdhsa_user_sgpr_kernarg_segment_ptr 1
		.amdhsa_user_sgpr_dispatch_id 0
		.amdhsa_user_sgpr_flat_scratch_init 0
		.amdhsa_user_sgpr_kernarg_preload_length 0
		.amdhsa_user_sgpr_kernarg_preload_offset 0
		.amdhsa_user_sgpr_private_segment_size 0
		.amdhsa_uses_dynamic_stack 0
		.amdhsa_system_sgpr_private_segment_wavefront_offset 0
		.amdhsa_system_sgpr_workgroup_id_x 1
		.amdhsa_system_sgpr_workgroup_id_y 0
		.amdhsa_system_sgpr_workgroup_id_z 0
		.amdhsa_system_sgpr_workgroup_info 0
		.amdhsa_system_vgpr_workitem_id 1
		.amdhsa_next_free_vgpr 16
		.amdhsa_next_free_sgpr 16
		.amdhsa_accum_offset 16
		.amdhsa_reserve_vcc 1
		.amdhsa_reserve_flat_scratch 0
		.amdhsa_float_round_mode_32 0
		.amdhsa_float_round_mode_16_64 0
		.amdhsa_float_denorm_mode_32 3
		.amdhsa_float_denorm_mode_16_64 3
		.amdhsa_dx10_clamp 1
		.amdhsa_ieee_mode 1
		.amdhsa_fp16_overflow 0
		.amdhsa_tg_split 0
		.amdhsa_exception_fp_ieee_invalid_op 0
		.amdhsa_exception_fp_denorm_src 0
		.amdhsa_exception_fp_ieee_div_zero 0
		.amdhsa_exception_fp_ieee_overflow 0
		.amdhsa_exception_fp_ieee_underflow 0
		.amdhsa_exception_fp_ieee_inexact 0
		.amdhsa_exception_int_div_zero 0
	.end_amdhsa_kernel
	.section	.text._ZN12_GLOBAL__N_120softmax_warp_forwardIfffLi3ELb1ELb0ELi64EEEvPT0_PKT_iiiPKbib,"axG",@progbits,_ZN12_GLOBAL__N_120softmax_warp_forwardIfffLi3ELb1ELb0ELi64EEEvPT0_PKT_iiiPKbib,comdat
.Lfunc_end41:
	.size	_ZN12_GLOBAL__N_120softmax_warp_forwardIfffLi3ELb1ELb0ELi64EEEvPT0_PKT_iiiPKbib, .Lfunc_end41-_ZN12_GLOBAL__N_120softmax_warp_forwardIfffLi3ELb1ELb0ELi64EEEvPT0_PKT_iiiPKbib
                                        ; -- End function
	.section	.AMDGPU.csdata,"",@progbits
; Kernel info:
; codeLenInByte = 1112
; NumSgprs: 20
; NumVgprs: 16
; NumAgprs: 0
; TotalNumVgprs: 16
; ScratchSize: 0
; MemoryBound: 0
; FloatMode: 240
; IeeeMode: 1
; LDSByteSize: 0 bytes/workgroup (compile time only)
; SGPRBlocks: 2
; VGPRBlocks: 1
; NumSGPRsForWavesPerEU: 20
; NumVGPRsForWavesPerEU: 16
; AccumOffset: 16
; Occupancy: 8
; WaveLimiterHint : 0
; COMPUTE_PGM_RSRC2:SCRATCH_EN: 0
; COMPUTE_PGM_RSRC2:USER_SGPR: 6
; COMPUTE_PGM_RSRC2:TRAP_HANDLER: 0
; COMPUTE_PGM_RSRC2:TGID_X_EN: 1
; COMPUTE_PGM_RSRC2:TGID_Y_EN: 0
; COMPUTE_PGM_RSRC2:TGID_Z_EN: 0
; COMPUTE_PGM_RSRC2:TIDIG_COMP_CNT: 1
; COMPUTE_PGM_RSRC3_GFX90A:ACCUM_OFFSET: 3
; COMPUTE_PGM_RSRC3_GFX90A:TG_SPLIT: 0
	.section	.text._ZN12_GLOBAL__N_120softmax_warp_forwardIfffLi3ELb1ELb0ELi32EEEvPT0_PKT_iiiPKbib,"axG",@progbits,_ZN12_GLOBAL__N_120softmax_warp_forwardIfffLi3ELb1ELb0ELi32EEEvPT0_PKT_iiiPKbib,comdat
	.globl	_ZN12_GLOBAL__N_120softmax_warp_forwardIfffLi3ELb1ELb0ELi32EEEvPT0_PKT_iiiPKbib ; -- Begin function _ZN12_GLOBAL__N_120softmax_warp_forwardIfffLi3ELb1ELb0ELi32EEEvPT0_PKT_iiiPKbib
	.p2align	8
	.type	_ZN12_GLOBAL__N_120softmax_warp_forwardIfffLi3ELb1ELb0ELi32EEEvPT0_PKT_iiiPKbib,@function
_ZN12_GLOBAL__N_120softmax_warp_forwardIfffLi3ELb1ELb0ELi32EEEvPT0_PKT_iiiPKbib: ; @_ZN12_GLOBAL__N_120softmax_warp_forwardIfffLi3ELb1ELb0ELi32EEEvPT0_PKT_iiiPKbib
; %bb.0:
	s_load_dword s0, s[4:5], 0x3c
	s_load_dwordx8 s[8:15], s[4:5], 0x0
	v_bfe_u32 v1, v0, 10, 10
	v_and_b32_e32 v0, 0x3ff, v0
	s_waitcnt lgkmcnt(0)
	s_lshr_b32 s0, s0, 16
	s_mul_i32 s6, s6, s0
	v_add_lshl_u32 v1, s6, v1, 1
	v_mad_u64_u32 v[2:3], s[0:1], v1, s13, v[0:1]
	v_ashrrev_i32_e32 v3, 31, v2
	v_lshlrev_b64 v[2:3], 2, v[2:3]
	v_sub_u32_e32 v10, s12, v1
	v_mov_b32_e32 v1, s11
	v_add_co_u32_e32 v4, vcc, s10, v2
	v_addc_co_u32_e32 v5, vcc, v1, v3, vcc
	v_cmp_gt_i32_e32 vcc, s14, v0
	v_cmp_lt_i32_e64 s[0:1], 0, v10
	s_and_b64 s[4:5], vcc, s[0:1]
	v_mov_b32_e32 v1, 0xff800000
	v_mov_b32_e32 v0, 0xff800000
	s_and_saveexec_b64 s[2:3], s[4:5]
	s_cbranch_execz .LBB42_2
; %bb.1:
	global_load_dword v0, v[4:5], off
.LBB42_2:
	s_or_b64 exec, exec, s[2:3]
	v_cmp_lt_i32_e64 s[2:3], 1, v10
	s_and_b64 s[2:3], vcc, s[2:3]
	s_and_saveexec_b64 s[4:5], s[2:3]
	s_cbranch_execz .LBB42_4
; %bb.3:
	s_mov_b32 s15, 0
	s_lshl_b64 s[2:3], s[14:15], 2
	v_mov_b32_e32 v1, s3
	v_add_co_u32_e64 v4, s[2:3], s2, v4
	v_addc_co_u32_e64 v5, s[2:3], v5, v1, s[2:3]
	global_load_dword v1, v[4:5], off
.LBB42_4:
	s_or_b64 exec, exec, s[4:5]
	v_mbcnt_lo_u32_b32 v4, -1, 0
	v_mbcnt_hi_u32_b32 v4, -1, v4
	v_and_b32_e32 v5, 0x78, v4
	v_add_u32_e32 v5, 8, v5
	v_xor_b32_e32 v6, 4, v4
	v_cmp_lt_i32_e64 s[2:3], v6, v5
	v_cndmask_b32_e64 v6, v4, v6, s[2:3]
	v_lshlrev_b32_e32 v9, 2, v6
	s_waitcnt vmcnt(0)
	ds_bpermute_b32 v7, v9, v1
	v_xor_b32_e32 v8, 2, v4
	ds_bpermute_b32 v6, v9, v0
	v_cmp_lt_i32_e64 s[2:3], v8, v5
	v_cndmask_b32_e64 v8, v4, v8, s[2:3]
	v_lshlrev_b32_e32 v11, 2, v8
	v_xor_b32_e32 v8, 1, v4
	v_cmp_lt_i32_e64 s[2:3], v8, v5
	v_cndmask_b32_e64 v4, v4, v8, s[2:3]
	s_waitcnt lgkmcnt(1)
	v_cmp_lt_f32_e64 s[2:3], v1, v7
	v_cndmask_b32_e64 v5, v1, v7, s[2:3]
	s_waitcnt lgkmcnt(0)
	v_cmp_lt_f32_e64 s[2:3], v0, v6
	ds_bpermute_b32 v7, v11, v5
	v_cndmask_b32_e64 v6, v0, v6, s[2:3]
	ds_bpermute_b32 v8, v11, v6
	v_lshlrev_b32_e32 v12, 2, v4
	s_mov_b32 s4, 0x3fb8aa3b
	s_waitcnt lgkmcnt(1)
	v_cmp_lt_f32_e64 s[2:3], v5, v7
	v_cndmask_b32_e64 v4, v5, v7, s[2:3]
	s_waitcnt lgkmcnt(0)
	v_cmp_lt_f32_e64 s[2:3], v6, v8
	ds_bpermute_b32 v5, v12, v4
	v_cndmask_b32_e64 v6, v6, v8, s[2:3]
	ds_bpermute_b32 v7, v12, v6
	s_mov_b32 s5, 0xc2ce8ed0
	s_mov_b32 s6, 0x42b17218
	s_waitcnt lgkmcnt(1)
	v_cmp_lt_f32_e64 s[2:3], v4, v5
	v_cndmask_b32_e64 v5, v4, v5, s[2:3]
	s_waitcnt lgkmcnt(0)
	v_cmp_lt_f32_e64 s[2:3], v6, v7
	v_cndmask_b32_e64 v4, v6, v7, s[2:3]
	v_pk_add_f32 v[6:7], v[0:1], v[4:5] neg_lo:[0,1] neg_hi:[0,1]
	v_mul_f32_e32 v8, 0x3fb8aa3b, v7
	v_fma_f32 v13, v7, s4, -v8
	v_rndne_f32_e32 v14, v8
	v_fmac_f32_e32 v13, 0x32a5705f, v7
	v_sub_f32_e32 v8, v8, v14
	v_add_f32_e32 v8, v8, v13
	v_exp_f32_e32 v8, v8
	v_cvt_i32_f32_e32 v13, v14
	v_cmp_ngt_f32_e64 s[2:3], s5, v7
	v_ldexp_f32 v8, v8, v13
	v_mul_f32_e32 v13, 0x3fb8aa3b, v6
	v_fma_f32 v14, v6, s4, -v13
	v_rndne_f32_e32 v15, v13
	v_fmac_f32_e32 v14, 0x32a5705f, v6
	v_sub_f32_e32 v13, v13, v15
	v_add_f32_e32 v13, v13, v14
	v_exp_f32_e32 v13, v13
	v_cvt_i32_f32_e32 v14, v15
	v_cndmask_b32_e64 v8, 0, v8, s[2:3]
	v_mov_b32_e32 v15, 0x7f800000
	v_cmp_nlt_f32_e64 s[2:3], s6, v7
	v_cndmask_b32_e64 v7, v15, v8, s[2:3]
	v_ldexp_f32 v8, v13, v14
	v_cmp_ngt_f32_e64 s[2:3], s5, v6
	v_cndmask_b32_e64 v8, 0, v8, s[2:3]
	v_cmp_nlt_f32_e64 s[2:3], s6, v6
	v_cndmask_b32_e64 v6, v15, v8, s[2:3]
	ds_bpermute_b32 v8, v9, v6
	ds_bpermute_b32 v9, v9, v7
	s_waitcnt lgkmcnt(0)
	v_pk_add_f32 v[6:7], v[6:7], v[8:9]
	ds_bpermute_b32 v8, v11, v6
	ds_bpermute_b32 v9, v11, v7
	s_waitcnt lgkmcnt(0)
	v_pk_add_f32 v[6:7], v[6:7], v[8:9]
	ds_bpermute_b32 v8, v12, v6
	ds_bpermute_b32 v9, v12, v7
	s_and_saveexec_b64 s[2:3], s[0:1]
	s_cbranch_execz .LBB42_10
; %bb.5:
	v_mov_b32_e32 v11, s9
	v_add_co_u32_e64 v2, s[0:1], s8, v2
	v_addc_co_u32_e64 v3, s[0:1], v11, v3, s[0:1]
	s_waitcnt lgkmcnt(0)
	v_pk_add_f32 v[6:7], v[6:7], v[8:9]
	s_and_saveexec_b64 s[4:5], vcc
	s_cbranch_execz .LBB42_7
; %bb.6:
	s_mov_b32 s0, 0x800000
	v_mov_b32_e32 v8, 0x4f800000
	v_cmp_gt_f32_e64 s[0:1], s0, v6
	v_cndmask_b32_e64 v8, 1.0, v8, s[0:1]
	v_mul_f32_e32 v6, v6, v8
	v_log_f32_e32 v6, v6
	s_mov_b32 s2, 0x3f317217
	v_sub_f32_e32 v0, v0, v4
	v_mul_f32_e32 v8, 0x3f317217, v6
	v_fma_f32 v9, v6, s2, -v8
	v_fmac_f32_e32 v9, 0x3377d1cf, v6
	s_mov_b32 s2, 0x7f800000
	v_add_f32_e32 v8, v8, v9
	v_cmp_lt_f32_e64 s[2:3], |v6|, s2
	v_cndmask_b32_e64 v6, v6, v8, s[2:3]
	v_mov_b32_e32 v8, 0x41b17218
	v_cndmask_b32_e64 v8, 0, v8, s[0:1]
	v_sub_f32_e32 v6, v6, v8
	v_sub_f32_e32 v0, v0, v6
	global_store_dword v[2:3], v0, off
.LBB42_7:
	s_or_b64 exec, exec, s[4:5]
	v_cmp_ne_u32_e64 s[0:1], 1, v10
	s_and_b64 exec, exec, s[0:1]
	s_cbranch_execz .LBB42_10
; %bb.8:
	s_and_b64 exec, exec, vcc
	s_cbranch_execz .LBB42_10
; %bb.9:
	s_mov_b32 s0, 0x800000
	v_mov_b32_e32 v0, 0x4f800000
	v_cmp_gt_f32_e32 vcc, s0, v7
	v_cndmask_b32_e32 v0, 1.0, v0, vcc
	v_mul_f32_e32 v0, v7, v0
	v_log_f32_e32 v0, v0
	s_mov_b32 s0, 0x3f317217
	s_mov_b32 s15, 0
	v_sub_f32_e32 v1, v1, v5
	v_mul_f32_e32 v4, 0x3f317217, v0
	v_fma_f32 v6, v0, s0, -v4
	v_fmac_f32_e32 v6, 0x3377d1cf, v0
	s_mov_b32 s0, 0x7f800000
	v_add_f32_e32 v4, v4, v6
	v_cmp_lt_f32_e64 s[0:1], |v0|, s0
	v_cndmask_b32_e64 v0, v0, v4, s[0:1]
	v_mov_b32_e32 v4, 0x41b17218
	v_cndmask_b32_e32 v4, 0, v4, vcc
	v_sub_f32_e32 v0, v0, v4
	s_lshl_b64 s[0:1], s[14:15], 2
	v_sub_f32_e32 v4, v1, v0
	v_mov_b32_e32 v1, s1
	v_add_co_u32_e32 v0, vcc, s0, v2
	v_addc_co_u32_e32 v1, vcc, v3, v1, vcc
	global_store_dword v[0:1], v4, off
.LBB42_10:
	s_endpgm
	.section	.rodata,"a",@progbits
	.p2align	6, 0x0
	.amdhsa_kernel _ZN12_GLOBAL__N_120softmax_warp_forwardIfffLi3ELb1ELb0ELi32EEEvPT0_PKT_iiiPKbib
		.amdhsa_group_segment_fixed_size 0
		.amdhsa_private_segment_fixed_size 0
		.amdhsa_kernarg_size 304
		.amdhsa_user_sgpr_count 6
		.amdhsa_user_sgpr_private_segment_buffer 1
		.amdhsa_user_sgpr_dispatch_ptr 0
		.amdhsa_user_sgpr_queue_ptr 0
		.amdhsa_user_sgpr_kernarg_segment_ptr 1
		.amdhsa_user_sgpr_dispatch_id 0
		.amdhsa_user_sgpr_flat_scratch_init 0
		.amdhsa_user_sgpr_kernarg_preload_length 0
		.amdhsa_user_sgpr_kernarg_preload_offset 0
		.amdhsa_user_sgpr_private_segment_size 0
		.amdhsa_uses_dynamic_stack 0
		.amdhsa_system_sgpr_private_segment_wavefront_offset 0
		.amdhsa_system_sgpr_workgroup_id_x 1
		.amdhsa_system_sgpr_workgroup_id_y 0
		.amdhsa_system_sgpr_workgroup_id_z 0
		.amdhsa_system_sgpr_workgroup_info 0
		.amdhsa_system_vgpr_workitem_id 1
		.amdhsa_next_free_vgpr 16
		.amdhsa_next_free_sgpr 16
		.amdhsa_accum_offset 16
		.amdhsa_reserve_vcc 1
		.amdhsa_reserve_flat_scratch 0
		.amdhsa_float_round_mode_32 0
		.amdhsa_float_round_mode_16_64 0
		.amdhsa_float_denorm_mode_32 3
		.amdhsa_float_denorm_mode_16_64 3
		.amdhsa_dx10_clamp 1
		.amdhsa_ieee_mode 1
		.amdhsa_fp16_overflow 0
		.amdhsa_tg_split 0
		.amdhsa_exception_fp_ieee_invalid_op 0
		.amdhsa_exception_fp_denorm_src 0
		.amdhsa_exception_fp_ieee_div_zero 0
		.amdhsa_exception_fp_ieee_overflow 0
		.amdhsa_exception_fp_ieee_underflow 0
		.amdhsa_exception_fp_ieee_inexact 0
		.amdhsa_exception_int_div_zero 0
	.end_amdhsa_kernel
	.section	.text._ZN12_GLOBAL__N_120softmax_warp_forwardIfffLi3ELb1ELb0ELi32EEEvPT0_PKT_iiiPKbib,"axG",@progbits,_ZN12_GLOBAL__N_120softmax_warp_forwardIfffLi3ELb1ELb0ELi32EEEvPT0_PKT_iiiPKbib,comdat
.Lfunc_end42:
	.size	_ZN12_GLOBAL__N_120softmax_warp_forwardIfffLi3ELb1ELb0ELi32EEEvPT0_PKT_iiiPKbib, .Lfunc_end42-_ZN12_GLOBAL__N_120softmax_warp_forwardIfffLi3ELb1ELb0ELi32EEEvPT0_PKT_iiiPKbib
                                        ; -- End function
	.section	.AMDGPU.csdata,"",@progbits
; Kernel info:
; codeLenInByte = 1112
; NumSgprs: 20
; NumVgprs: 16
; NumAgprs: 0
; TotalNumVgprs: 16
; ScratchSize: 0
; MemoryBound: 0
; FloatMode: 240
; IeeeMode: 1
; LDSByteSize: 0 bytes/workgroup (compile time only)
; SGPRBlocks: 2
; VGPRBlocks: 1
; NumSGPRsForWavesPerEU: 20
; NumVGPRsForWavesPerEU: 16
; AccumOffset: 16
; Occupancy: 8
; WaveLimiterHint : 0
; COMPUTE_PGM_RSRC2:SCRATCH_EN: 0
; COMPUTE_PGM_RSRC2:USER_SGPR: 6
; COMPUTE_PGM_RSRC2:TRAP_HANDLER: 0
; COMPUTE_PGM_RSRC2:TGID_X_EN: 1
; COMPUTE_PGM_RSRC2:TGID_Y_EN: 0
; COMPUTE_PGM_RSRC2:TGID_Z_EN: 0
; COMPUTE_PGM_RSRC2:TIDIG_COMP_CNT: 1
; COMPUTE_PGM_RSRC3_GFX90A:ACCUM_OFFSET: 3
; COMPUTE_PGM_RSRC3_GFX90A:TG_SPLIT: 0
	.section	.text._ZN12_GLOBAL__N_120softmax_warp_forwardIfffLi4ELb1ELb0ELi64EEEvPT0_PKT_iiiPKbib,"axG",@progbits,_ZN12_GLOBAL__N_120softmax_warp_forwardIfffLi4ELb1ELb0ELi64EEEvPT0_PKT_iiiPKbib,comdat
	.globl	_ZN12_GLOBAL__N_120softmax_warp_forwardIfffLi4ELb1ELb0ELi64EEEvPT0_PKT_iiiPKbib ; -- Begin function _ZN12_GLOBAL__N_120softmax_warp_forwardIfffLi4ELb1ELb0ELi64EEEvPT0_PKT_iiiPKbib
	.p2align	8
	.type	_ZN12_GLOBAL__N_120softmax_warp_forwardIfffLi4ELb1ELb0ELi64EEEvPT0_PKT_iiiPKbib,@function
_ZN12_GLOBAL__N_120softmax_warp_forwardIfffLi4ELb1ELb0ELi64EEEvPT0_PKT_iiiPKbib: ; @_ZN12_GLOBAL__N_120softmax_warp_forwardIfffLi4ELb1ELb0ELi64EEEvPT0_PKT_iiiPKbib
; %bb.0:
	s_load_dword s0, s[4:5], 0x3c
	s_load_dwordx8 s[8:15], s[4:5], 0x0
	v_bfe_u32 v1, v0, 10, 10
	v_and_b32_e32 v0, 0x3ff, v0
	s_waitcnt lgkmcnt(0)
	s_lshr_b32 s0, s0, 16
	s_mul_i32 s6, s6, s0
	v_add_lshl_u32 v1, s6, v1, 1
	v_mad_u64_u32 v[2:3], s[0:1], v1, s13, v[0:1]
	v_ashrrev_i32_e32 v3, 31, v2
	v_lshlrev_b64 v[2:3], 2, v[2:3]
	v_sub_u32_e32 v10, s12, v1
	v_mov_b32_e32 v1, s11
	v_add_co_u32_e32 v4, vcc, s10, v2
	v_addc_co_u32_e32 v5, vcc, v1, v3, vcc
	v_cmp_gt_i32_e32 vcc, s14, v0
	v_cmp_lt_i32_e64 s[0:1], 0, v10
	s_and_b64 s[4:5], vcc, s[0:1]
	v_mov_b32_e32 v1, 0xff800000
	v_mov_b32_e32 v0, 0xff800000
	s_and_saveexec_b64 s[2:3], s[4:5]
	s_cbranch_execz .LBB43_2
; %bb.1:
	global_load_dword v0, v[4:5], off
.LBB43_2:
	s_or_b64 exec, exec, s[2:3]
	v_cmp_lt_i32_e64 s[2:3], 1, v10
	s_and_b64 s[2:3], vcc, s[2:3]
	s_and_saveexec_b64 s[4:5], s[2:3]
	s_cbranch_execz .LBB43_4
; %bb.3:
	s_mov_b32 s15, 0
	s_lshl_b64 s[2:3], s[14:15], 2
	v_mov_b32_e32 v1, s3
	v_add_co_u32_e64 v4, s[2:3], s2, v4
	v_addc_co_u32_e64 v5, s[2:3], v5, v1, s[2:3]
	global_load_dword v1, v[4:5], off
.LBB43_4:
	s_or_b64 exec, exec, s[4:5]
	v_mbcnt_lo_u32_b32 v4, -1, 0
	v_mbcnt_hi_u32_b32 v4, -1, v4
	v_and_b32_e32 v5, 0x70, v4
	v_add_u32_e32 v5, 16, v5
	v_xor_b32_e32 v6, 8, v4
	v_cmp_lt_i32_e64 s[2:3], v6, v5
	v_cndmask_b32_e64 v6, v4, v6, s[2:3]
	v_lshlrev_b32_e32 v9, 2, v6
	s_waitcnt vmcnt(0)
	ds_bpermute_b32 v6, v9, v1
	ds_bpermute_b32 v7, v9, v0
	v_xor_b32_e32 v8, 4, v4
	v_xor_b32_e32 v13, 2, v4
	;; [unrolled: 1-line block ×3, first 2 shown]
	s_waitcnt lgkmcnt(1)
	v_cmp_lt_f32_e64 s[2:3], v1, v6
	v_cndmask_b32_e64 v6, v1, v6, s[2:3]
	s_waitcnt lgkmcnt(0)
	v_cmp_lt_f32_e64 s[2:3], v0, v7
	v_cndmask_b32_e64 v7, v0, v7, s[2:3]
	v_cmp_lt_i32_e64 s[2:3], v8, v5
	v_cndmask_b32_e64 v8, v4, v8, s[2:3]
	v_lshlrev_b32_e32 v11, 2, v8
	ds_bpermute_b32 v12, v11, v6
	ds_bpermute_b32 v8, v11, v7
	v_cmp_lt_i32_e64 s[2:3], v13, v5
	v_cndmask_b32_e64 v13, v4, v13, s[2:3]
	v_cmp_lt_i32_e64 s[2:3], v14, v5
	v_cndmask_b32_e64 v4, v4, v14, s[2:3]
	s_waitcnt lgkmcnt(1)
	v_cmp_lt_f32_e64 s[2:3], v6, v12
	v_lshlrev_b32_e32 v13, 2, v13
	v_cndmask_b32_e64 v5, v6, v12, s[2:3]
	s_waitcnt lgkmcnt(0)
	v_cmp_lt_f32_e64 s[2:3], v7, v8
	ds_bpermute_b32 v6, v13, v5
	v_cndmask_b32_e64 v7, v7, v8, s[2:3]
	ds_bpermute_b32 v8, v13, v7
	v_lshlrev_b32_e32 v12, 2, v4
	s_mov_b32 s4, 0x3fb8aa3b
	s_waitcnt lgkmcnt(1)
	v_cmp_lt_f32_e64 s[2:3], v5, v6
	v_cndmask_b32_e64 v4, v5, v6, s[2:3]
	s_waitcnt lgkmcnt(0)
	v_cmp_lt_f32_e64 s[2:3], v7, v8
	ds_bpermute_b32 v5, v12, v4
	v_cndmask_b32_e64 v6, v7, v8, s[2:3]
	ds_bpermute_b32 v7, v12, v6
	s_mov_b32 s5, 0xc2ce8ed0
	s_mov_b32 s6, 0x42b17218
	s_waitcnt lgkmcnt(1)
	v_cmp_lt_f32_e64 s[2:3], v4, v5
	v_cndmask_b32_e64 v5, v4, v5, s[2:3]
	s_waitcnt lgkmcnt(0)
	v_cmp_lt_f32_e64 s[2:3], v6, v7
	v_cndmask_b32_e64 v4, v6, v7, s[2:3]
	v_pk_add_f32 v[6:7], v[0:1], v[4:5] neg_lo:[0,1] neg_hi:[0,1]
	v_mul_f32_e32 v8, 0x3fb8aa3b, v7
	v_fma_f32 v14, v7, s4, -v8
	v_rndne_f32_e32 v15, v8
	v_fmac_f32_e32 v14, 0x32a5705f, v7
	v_sub_f32_e32 v8, v8, v15
	v_add_f32_e32 v8, v8, v14
	v_exp_f32_e32 v8, v8
	v_cvt_i32_f32_e32 v14, v15
	v_cmp_ngt_f32_e64 s[2:3], s5, v7
	v_ldexp_f32 v8, v8, v14
	v_mul_f32_e32 v14, 0x3fb8aa3b, v6
	v_fma_f32 v15, v6, s4, -v14
	v_rndne_f32_e32 v16, v14
	v_fmac_f32_e32 v15, 0x32a5705f, v6
	v_sub_f32_e32 v14, v14, v16
	v_add_f32_e32 v14, v14, v15
	v_exp_f32_e32 v14, v14
	v_cvt_i32_f32_e32 v15, v16
	v_cndmask_b32_e64 v8, 0, v8, s[2:3]
	v_mov_b32_e32 v16, 0x7f800000
	v_cmp_nlt_f32_e64 s[2:3], s6, v7
	v_cndmask_b32_e64 v7, v16, v8, s[2:3]
	v_ldexp_f32 v8, v14, v15
	v_cmp_ngt_f32_e64 s[2:3], s5, v6
	v_cndmask_b32_e64 v8, 0, v8, s[2:3]
	v_cmp_nlt_f32_e64 s[2:3], s6, v6
	v_cndmask_b32_e64 v6, v16, v8, s[2:3]
	ds_bpermute_b32 v8, v9, v6
	ds_bpermute_b32 v9, v9, v7
	s_waitcnt lgkmcnt(0)
	v_pk_add_f32 v[6:7], v[6:7], v[8:9]
	ds_bpermute_b32 v8, v11, v6
	ds_bpermute_b32 v9, v11, v7
	s_waitcnt lgkmcnt(0)
	v_pk_add_f32 v[6:7], v[6:7], v[8:9]
	;; [unrolled: 4-line block ×3, first 2 shown]
	ds_bpermute_b32 v8, v12, v6
	ds_bpermute_b32 v9, v12, v7
	s_and_saveexec_b64 s[2:3], s[0:1]
	s_cbranch_execz .LBB43_10
; %bb.5:
	v_mov_b32_e32 v11, s9
	v_add_co_u32_e64 v2, s[0:1], s8, v2
	v_addc_co_u32_e64 v3, s[0:1], v11, v3, s[0:1]
	s_waitcnt lgkmcnt(0)
	v_pk_add_f32 v[6:7], v[6:7], v[8:9]
	s_and_saveexec_b64 s[4:5], vcc
	s_cbranch_execz .LBB43_7
; %bb.6:
	s_mov_b32 s0, 0x800000
	v_mov_b32_e32 v8, 0x4f800000
	v_cmp_gt_f32_e64 s[0:1], s0, v6
	v_cndmask_b32_e64 v8, 1.0, v8, s[0:1]
	v_mul_f32_e32 v6, v6, v8
	v_log_f32_e32 v6, v6
	s_mov_b32 s2, 0x3f317217
	v_sub_f32_e32 v0, v0, v4
	v_mul_f32_e32 v8, 0x3f317217, v6
	v_fma_f32 v9, v6, s2, -v8
	v_fmac_f32_e32 v9, 0x3377d1cf, v6
	s_mov_b32 s2, 0x7f800000
	v_add_f32_e32 v8, v8, v9
	v_cmp_lt_f32_e64 s[2:3], |v6|, s2
	v_cndmask_b32_e64 v6, v6, v8, s[2:3]
	v_mov_b32_e32 v8, 0x41b17218
	v_cndmask_b32_e64 v8, 0, v8, s[0:1]
	v_sub_f32_e32 v6, v6, v8
	v_sub_f32_e32 v0, v0, v6
	global_store_dword v[2:3], v0, off
.LBB43_7:
	s_or_b64 exec, exec, s[4:5]
	v_cmp_ne_u32_e64 s[0:1], 1, v10
	s_and_b64 exec, exec, s[0:1]
	s_cbranch_execz .LBB43_10
; %bb.8:
	s_and_b64 exec, exec, vcc
	s_cbranch_execz .LBB43_10
; %bb.9:
	s_mov_b32 s0, 0x800000
	v_mov_b32_e32 v0, 0x4f800000
	v_cmp_gt_f32_e32 vcc, s0, v7
	v_cndmask_b32_e32 v0, 1.0, v0, vcc
	v_mul_f32_e32 v0, v7, v0
	v_log_f32_e32 v0, v0
	s_mov_b32 s0, 0x3f317217
	s_mov_b32 s15, 0
	v_sub_f32_e32 v1, v1, v5
	v_mul_f32_e32 v4, 0x3f317217, v0
	v_fma_f32 v6, v0, s0, -v4
	v_fmac_f32_e32 v6, 0x3377d1cf, v0
	s_mov_b32 s0, 0x7f800000
	v_add_f32_e32 v4, v4, v6
	v_cmp_lt_f32_e64 s[0:1], |v0|, s0
	v_cndmask_b32_e64 v0, v0, v4, s[0:1]
	v_mov_b32_e32 v4, 0x41b17218
	v_cndmask_b32_e32 v4, 0, v4, vcc
	v_sub_f32_e32 v0, v0, v4
	s_lshl_b64 s[0:1], s[14:15], 2
	v_sub_f32_e32 v4, v1, v0
	v_mov_b32_e32 v1, s1
	v_add_co_u32_e32 v0, vcc, s0, v2
	v_addc_co_u32_e32 v1, vcc, v3, v1, vcc
	global_store_dword v[0:1], v4, off
.LBB43_10:
	s_endpgm
	.section	.rodata,"a",@progbits
	.p2align	6, 0x0
	.amdhsa_kernel _ZN12_GLOBAL__N_120softmax_warp_forwardIfffLi4ELb1ELb0ELi64EEEvPT0_PKT_iiiPKbib
		.amdhsa_group_segment_fixed_size 0
		.amdhsa_private_segment_fixed_size 0
		.amdhsa_kernarg_size 304
		.amdhsa_user_sgpr_count 6
		.amdhsa_user_sgpr_private_segment_buffer 1
		.amdhsa_user_sgpr_dispatch_ptr 0
		.amdhsa_user_sgpr_queue_ptr 0
		.amdhsa_user_sgpr_kernarg_segment_ptr 1
		.amdhsa_user_sgpr_dispatch_id 0
		.amdhsa_user_sgpr_flat_scratch_init 0
		.amdhsa_user_sgpr_kernarg_preload_length 0
		.amdhsa_user_sgpr_kernarg_preload_offset 0
		.amdhsa_user_sgpr_private_segment_size 0
		.amdhsa_uses_dynamic_stack 0
		.amdhsa_system_sgpr_private_segment_wavefront_offset 0
		.amdhsa_system_sgpr_workgroup_id_x 1
		.amdhsa_system_sgpr_workgroup_id_y 0
		.amdhsa_system_sgpr_workgroup_id_z 0
		.amdhsa_system_sgpr_workgroup_info 0
		.amdhsa_system_vgpr_workitem_id 1
		.amdhsa_next_free_vgpr 17
		.amdhsa_next_free_sgpr 16
		.amdhsa_accum_offset 20
		.amdhsa_reserve_vcc 1
		.amdhsa_reserve_flat_scratch 0
		.amdhsa_float_round_mode_32 0
		.amdhsa_float_round_mode_16_64 0
		.amdhsa_float_denorm_mode_32 3
		.amdhsa_float_denorm_mode_16_64 3
		.amdhsa_dx10_clamp 1
		.amdhsa_ieee_mode 1
		.amdhsa_fp16_overflow 0
		.amdhsa_tg_split 0
		.amdhsa_exception_fp_ieee_invalid_op 0
		.amdhsa_exception_fp_denorm_src 0
		.amdhsa_exception_fp_ieee_div_zero 0
		.amdhsa_exception_fp_ieee_overflow 0
		.amdhsa_exception_fp_ieee_underflow 0
		.amdhsa_exception_fp_ieee_inexact 0
		.amdhsa_exception_int_div_zero 0
	.end_amdhsa_kernel
	.section	.text._ZN12_GLOBAL__N_120softmax_warp_forwardIfffLi4ELb1ELb0ELi64EEEvPT0_PKT_iiiPKbib,"axG",@progbits,_ZN12_GLOBAL__N_120softmax_warp_forwardIfffLi4ELb1ELb0ELi64EEEvPT0_PKT_iiiPKbib,comdat
.Lfunc_end43:
	.size	_ZN12_GLOBAL__N_120softmax_warp_forwardIfffLi4ELb1ELb0ELi64EEEvPT0_PKT_iiiPKbib, .Lfunc_end43-_ZN12_GLOBAL__N_120softmax_warp_forwardIfffLi4ELb1ELb0ELi64EEEvPT0_PKT_iiiPKbib
                                        ; -- End function
	.section	.AMDGPU.csdata,"",@progbits
; Kernel info:
; codeLenInByte = 1220
; NumSgprs: 20
; NumVgprs: 17
; NumAgprs: 0
; TotalNumVgprs: 17
; ScratchSize: 0
; MemoryBound: 0
; FloatMode: 240
; IeeeMode: 1
; LDSByteSize: 0 bytes/workgroup (compile time only)
; SGPRBlocks: 2
; VGPRBlocks: 2
; NumSGPRsForWavesPerEU: 20
; NumVGPRsForWavesPerEU: 17
; AccumOffset: 20
; Occupancy: 8
; WaveLimiterHint : 0
; COMPUTE_PGM_RSRC2:SCRATCH_EN: 0
; COMPUTE_PGM_RSRC2:USER_SGPR: 6
; COMPUTE_PGM_RSRC2:TRAP_HANDLER: 0
; COMPUTE_PGM_RSRC2:TGID_X_EN: 1
; COMPUTE_PGM_RSRC2:TGID_Y_EN: 0
; COMPUTE_PGM_RSRC2:TGID_Z_EN: 0
; COMPUTE_PGM_RSRC2:TIDIG_COMP_CNT: 1
; COMPUTE_PGM_RSRC3_GFX90A:ACCUM_OFFSET: 4
; COMPUTE_PGM_RSRC3_GFX90A:TG_SPLIT: 0
	.section	.text._ZN12_GLOBAL__N_120softmax_warp_forwardIfffLi4ELb1ELb0ELi32EEEvPT0_PKT_iiiPKbib,"axG",@progbits,_ZN12_GLOBAL__N_120softmax_warp_forwardIfffLi4ELb1ELb0ELi32EEEvPT0_PKT_iiiPKbib,comdat
	.globl	_ZN12_GLOBAL__N_120softmax_warp_forwardIfffLi4ELb1ELb0ELi32EEEvPT0_PKT_iiiPKbib ; -- Begin function _ZN12_GLOBAL__N_120softmax_warp_forwardIfffLi4ELb1ELb0ELi32EEEvPT0_PKT_iiiPKbib
	.p2align	8
	.type	_ZN12_GLOBAL__N_120softmax_warp_forwardIfffLi4ELb1ELb0ELi32EEEvPT0_PKT_iiiPKbib,@function
_ZN12_GLOBAL__N_120softmax_warp_forwardIfffLi4ELb1ELb0ELi32EEEvPT0_PKT_iiiPKbib: ; @_ZN12_GLOBAL__N_120softmax_warp_forwardIfffLi4ELb1ELb0ELi32EEEvPT0_PKT_iiiPKbib
; %bb.0:
	s_load_dword s0, s[4:5], 0x3c
	s_load_dwordx8 s[8:15], s[4:5], 0x0
	v_bfe_u32 v1, v0, 10, 10
	v_and_b32_e32 v0, 0x3ff, v0
	s_waitcnt lgkmcnt(0)
	s_lshr_b32 s0, s0, 16
	s_mul_i32 s6, s6, s0
	v_add_lshl_u32 v1, s6, v1, 1
	v_mad_u64_u32 v[2:3], s[0:1], v1, s13, v[0:1]
	v_ashrrev_i32_e32 v3, 31, v2
	v_lshlrev_b64 v[2:3], 2, v[2:3]
	v_sub_u32_e32 v10, s12, v1
	v_mov_b32_e32 v1, s11
	v_add_co_u32_e32 v4, vcc, s10, v2
	v_addc_co_u32_e32 v5, vcc, v1, v3, vcc
	v_cmp_gt_i32_e32 vcc, s14, v0
	v_cmp_lt_i32_e64 s[0:1], 0, v10
	s_and_b64 s[4:5], vcc, s[0:1]
	v_mov_b32_e32 v1, 0xff800000
	v_mov_b32_e32 v0, 0xff800000
	s_and_saveexec_b64 s[2:3], s[4:5]
	s_cbranch_execz .LBB44_2
; %bb.1:
	global_load_dword v0, v[4:5], off
.LBB44_2:
	s_or_b64 exec, exec, s[2:3]
	v_cmp_lt_i32_e64 s[2:3], 1, v10
	s_and_b64 s[2:3], vcc, s[2:3]
	s_and_saveexec_b64 s[4:5], s[2:3]
	s_cbranch_execz .LBB44_4
; %bb.3:
	s_mov_b32 s15, 0
	s_lshl_b64 s[2:3], s[14:15], 2
	v_mov_b32_e32 v1, s3
	v_add_co_u32_e64 v4, s[2:3], s2, v4
	v_addc_co_u32_e64 v5, s[2:3], v5, v1, s[2:3]
	global_load_dword v1, v[4:5], off
.LBB44_4:
	s_or_b64 exec, exec, s[4:5]
	v_mbcnt_lo_u32_b32 v4, -1, 0
	v_mbcnt_hi_u32_b32 v4, -1, v4
	v_and_b32_e32 v5, 0x70, v4
	v_add_u32_e32 v5, 16, v5
	v_xor_b32_e32 v6, 8, v4
	v_cmp_lt_i32_e64 s[2:3], v6, v5
	v_cndmask_b32_e64 v6, v4, v6, s[2:3]
	v_lshlrev_b32_e32 v9, 2, v6
	s_waitcnt vmcnt(0)
	ds_bpermute_b32 v6, v9, v1
	ds_bpermute_b32 v7, v9, v0
	v_xor_b32_e32 v8, 4, v4
	v_xor_b32_e32 v13, 2, v4
	;; [unrolled: 1-line block ×3, first 2 shown]
	s_waitcnt lgkmcnt(1)
	v_cmp_lt_f32_e64 s[2:3], v1, v6
	v_cndmask_b32_e64 v6, v1, v6, s[2:3]
	s_waitcnt lgkmcnt(0)
	v_cmp_lt_f32_e64 s[2:3], v0, v7
	v_cndmask_b32_e64 v7, v0, v7, s[2:3]
	v_cmp_lt_i32_e64 s[2:3], v8, v5
	v_cndmask_b32_e64 v8, v4, v8, s[2:3]
	v_lshlrev_b32_e32 v11, 2, v8
	ds_bpermute_b32 v12, v11, v6
	ds_bpermute_b32 v8, v11, v7
	v_cmp_lt_i32_e64 s[2:3], v13, v5
	v_cndmask_b32_e64 v13, v4, v13, s[2:3]
	v_cmp_lt_i32_e64 s[2:3], v14, v5
	v_cndmask_b32_e64 v4, v4, v14, s[2:3]
	s_waitcnt lgkmcnt(1)
	v_cmp_lt_f32_e64 s[2:3], v6, v12
	v_lshlrev_b32_e32 v13, 2, v13
	v_cndmask_b32_e64 v5, v6, v12, s[2:3]
	s_waitcnt lgkmcnt(0)
	v_cmp_lt_f32_e64 s[2:3], v7, v8
	ds_bpermute_b32 v6, v13, v5
	v_cndmask_b32_e64 v7, v7, v8, s[2:3]
	ds_bpermute_b32 v8, v13, v7
	v_lshlrev_b32_e32 v12, 2, v4
	s_mov_b32 s4, 0x3fb8aa3b
	s_waitcnt lgkmcnt(1)
	v_cmp_lt_f32_e64 s[2:3], v5, v6
	v_cndmask_b32_e64 v4, v5, v6, s[2:3]
	s_waitcnt lgkmcnt(0)
	v_cmp_lt_f32_e64 s[2:3], v7, v8
	ds_bpermute_b32 v5, v12, v4
	v_cndmask_b32_e64 v6, v7, v8, s[2:3]
	ds_bpermute_b32 v7, v12, v6
	s_mov_b32 s5, 0xc2ce8ed0
	s_mov_b32 s6, 0x42b17218
	s_waitcnt lgkmcnt(1)
	v_cmp_lt_f32_e64 s[2:3], v4, v5
	v_cndmask_b32_e64 v5, v4, v5, s[2:3]
	s_waitcnt lgkmcnt(0)
	v_cmp_lt_f32_e64 s[2:3], v6, v7
	v_cndmask_b32_e64 v4, v6, v7, s[2:3]
	v_pk_add_f32 v[6:7], v[0:1], v[4:5] neg_lo:[0,1] neg_hi:[0,1]
	v_mul_f32_e32 v8, 0x3fb8aa3b, v7
	v_fma_f32 v14, v7, s4, -v8
	v_rndne_f32_e32 v15, v8
	v_fmac_f32_e32 v14, 0x32a5705f, v7
	v_sub_f32_e32 v8, v8, v15
	v_add_f32_e32 v8, v8, v14
	v_exp_f32_e32 v8, v8
	v_cvt_i32_f32_e32 v14, v15
	v_cmp_ngt_f32_e64 s[2:3], s5, v7
	v_ldexp_f32 v8, v8, v14
	v_mul_f32_e32 v14, 0x3fb8aa3b, v6
	v_fma_f32 v15, v6, s4, -v14
	v_rndne_f32_e32 v16, v14
	v_fmac_f32_e32 v15, 0x32a5705f, v6
	v_sub_f32_e32 v14, v14, v16
	v_add_f32_e32 v14, v14, v15
	v_exp_f32_e32 v14, v14
	v_cvt_i32_f32_e32 v15, v16
	v_cndmask_b32_e64 v8, 0, v8, s[2:3]
	v_mov_b32_e32 v16, 0x7f800000
	v_cmp_nlt_f32_e64 s[2:3], s6, v7
	v_cndmask_b32_e64 v7, v16, v8, s[2:3]
	v_ldexp_f32 v8, v14, v15
	v_cmp_ngt_f32_e64 s[2:3], s5, v6
	v_cndmask_b32_e64 v8, 0, v8, s[2:3]
	v_cmp_nlt_f32_e64 s[2:3], s6, v6
	v_cndmask_b32_e64 v6, v16, v8, s[2:3]
	ds_bpermute_b32 v8, v9, v6
	ds_bpermute_b32 v9, v9, v7
	s_waitcnt lgkmcnt(0)
	v_pk_add_f32 v[6:7], v[6:7], v[8:9]
	ds_bpermute_b32 v8, v11, v6
	ds_bpermute_b32 v9, v11, v7
	s_waitcnt lgkmcnt(0)
	v_pk_add_f32 v[6:7], v[6:7], v[8:9]
	;; [unrolled: 4-line block ×3, first 2 shown]
	ds_bpermute_b32 v8, v12, v6
	ds_bpermute_b32 v9, v12, v7
	s_and_saveexec_b64 s[2:3], s[0:1]
	s_cbranch_execz .LBB44_10
; %bb.5:
	v_mov_b32_e32 v11, s9
	v_add_co_u32_e64 v2, s[0:1], s8, v2
	v_addc_co_u32_e64 v3, s[0:1], v11, v3, s[0:1]
	s_waitcnt lgkmcnt(0)
	v_pk_add_f32 v[6:7], v[6:7], v[8:9]
	s_and_saveexec_b64 s[4:5], vcc
	s_cbranch_execz .LBB44_7
; %bb.6:
	s_mov_b32 s0, 0x800000
	v_mov_b32_e32 v8, 0x4f800000
	v_cmp_gt_f32_e64 s[0:1], s0, v6
	v_cndmask_b32_e64 v8, 1.0, v8, s[0:1]
	v_mul_f32_e32 v6, v6, v8
	v_log_f32_e32 v6, v6
	s_mov_b32 s2, 0x3f317217
	v_sub_f32_e32 v0, v0, v4
	v_mul_f32_e32 v8, 0x3f317217, v6
	v_fma_f32 v9, v6, s2, -v8
	v_fmac_f32_e32 v9, 0x3377d1cf, v6
	s_mov_b32 s2, 0x7f800000
	v_add_f32_e32 v8, v8, v9
	v_cmp_lt_f32_e64 s[2:3], |v6|, s2
	v_cndmask_b32_e64 v6, v6, v8, s[2:3]
	v_mov_b32_e32 v8, 0x41b17218
	v_cndmask_b32_e64 v8, 0, v8, s[0:1]
	v_sub_f32_e32 v6, v6, v8
	v_sub_f32_e32 v0, v0, v6
	global_store_dword v[2:3], v0, off
.LBB44_7:
	s_or_b64 exec, exec, s[4:5]
	v_cmp_ne_u32_e64 s[0:1], 1, v10
	s_and_b64 exec, exec, s[0:1]
	s_cbranch_execz .LBB44_10
; %bb.8:
	s_and_b64 exec, exec, vcc
	s_cbranch_execz .LBB44_10
; %bb.9:
	s_mov_b32 s0, 0x800000
	v_mov_b32_e32 v0, 0x4f800000
	v_cmp_gt_f32_e32 vcc, s0, v7
	v_cndmask_b32_e32 v0, 1.0, v0, vcc
	v_mul_f32_e32 v0, v7, v0
	v_log_f32_e32 v0, v0
	s_mov_b32 s0, 0x3f317217
	s_mov_b32 s15, 0
	v_sub_f32_e32 v1, v1, v5
	v_mul_f32_e32 v4, 0x3f317217, v0
	v_fma_f32 v6, v0, s0, -v4
	v_fmac_f32_e32 v6, 0x3377d1cf, v0
	s_mov_b32 s0, 0x7f800000
	v_add_f32_e32 v4, v4, v6
	v_cmp_lt_f32_e64 s[0:1], |v0|, s0
	v_cndmask_b32_e64 v0, v0, v4, s[0:1]
	v_mov_b32_e32 v4, 0x41b17218
	v_cndmask_b32_e32 v4, 0, v4, vcc
	v_sub_f32_e32 v0, v0, v4
	s_lshl_b64 s[0:1], s[14:15], 2
	v_sub_f32_e32 v4, v1, v0
	v_mov_b32_e32 v1, s1
	v_add_co_u32_e32 v0, vcc, s0, v2
	v_addc_co_u32_e32 v1, vcc, v3, v1, vcc
	global_store_dword v[0:1], v4, off
.LBB44_10:
	s_endpgm
	.section	.rodata,"a",@progbits
	.p2align	6, 0x0
	.amdhsa_kernel _ZN12_GLOBAL__N_120softmax_warp_forwardIfffLi4ELb1ELb0ELi32EEEvPT0_PKT_iiiPKbib
		.amdhsa_group_segment_fixed_size 0
		.amdhsa_private_segment_fixed_size 0
		.amdhsa_kernarg_size 304
		.amdhsa_user_sgpr_count 6
		.amdhsa_user_sgpr_private_segment_buffer 1
		.amdhsa_user_sgpr_dispatch_ptr 0
		.amdhsa_user_sgpr_queue_ptr 0
		.amdhsa_user_sgpr_kernarg_segment_ptr 1
		.amdhsa_user_sgpr_dispatch_id 0
		.amdhsa_user_sgpr_flat_scratch_init 0
		.amdhsa_user_sgpr_kernarg_preload_length 0
		.amdhsa_user_sgpr_kernarg_preload_offset 0
		.amdhsa_user_sgpr_private_segment_size 0
		.amdhsa_uses_dynamic_stack 0
		.amdhsa_system_sgpr_private_segment_wavefront_offset 0
		.amdhsa_system_sgpr_workgroup_id_x 1
		.amdhsa_system_sgpr_workgroup_id_y 0
		.amdhsa_system_sgpr_workgroup_id_z 0
		.amdhsa_system_sgpr_workgroup_info 0
		.amdhsa_system_vgpr_workitem_id 1
		.amdhsa_next_free_vgpr 17
		.amdhsa_next_free_sgpr 16
		.amdhsa_accum_offset 20
		.amdhsa_reserve_vcc 1
		.amdhsa_reserve_flat_scratch 0
		.amdhsa_float_round_mode_32 0
		.amdhsa_float_round_mode_16_64 0
		.amdhsa_float_denorm_mode_32 3
		.amdhsa_float_denorm_mode_16_64 3
		.amdhsa_dx10_clamp 1
		.amdhsa_ieee_mode 1
		.amdhsa_fp16_overflow 0
		.amdhsa_tg_split 0
		.amdhsa_exception_fp_ieee_invalid_op 0
		.amdhsa_exception_fp_denorm_src 0
		.amdhsa_exception_fp_ieee_div_zero 0
		.amdhsa_exception_fp_ieee_overflow 0
		.amdhsa_exception_fp_ieee_underflow 0
		.amdhsa_exception_fp_ieee_inexact 0
		.amdhsa_exception_int_div_zero 0
	.end_amdhsa_kernel
	.section	.text._ZN12_GLOBAL__N_120softmax_warp_forwardIfffLi4ELb1ELb0ELi32EEEvPT0_PKT_iiiPKbib,"axG",@progbits,_ZN12_GLOBAL__N_120softmax_warp_forwardIfffLi4ELb1ELb0ELi32EEEvPT0_PKT_iiiPKbib,comdat
.Lfunc_end44:
	.size	_ZN12_GLOBAL__N_120softmax_warp_forwardIfffLi4ELb1ELb0ELi32EEEvPT0_PKT_iiiPKbib, .Lfunc_end44-_ZN12_GLOBAL__N_120softmax_warp_forwardIfffLi4ELb1ELb0ELi32EEEvPT0_PKT_iiiPKbib
                                        ; -- End function
	.section	.AMDGPU.csdata,"",@progbits
; Kernel info:
; codeLenInByte = 1220
; NumSgprs: 20
; NumVgprs: 17
; NumAgprs: 0
; TotalNumVgprs: 17
; ScratchSize: 0
; MemoryBound: 0
; FloatMode: 240
; IeeeMode: 1
; LDSByteSize: 0 bytes/workgroup (compile time only)
; SGPRBlocks: 2
; VGPRBlocks: 2
; NumSGPRsForWavesPerEU: 20
; NumVGPRsForWavesPerEU: 17
; AccumOffset: 20
; Occupancy: 8
; WaveLimiterHint : 0
; COMPUTE_PGM_RSRC2:SCRATCH_EN: 0
; COMPUTE_PGM_RSRC2:USER_SGPR: 6
; COMPUTE_PGM_RSRC2:TRAP_HANDLER: 0
; COMPUTE_PGM_RSRC2:TGID_X_EN: 1
; COMPUTE_PGM_RSRC2:TGID_Y_EN: 0
; COMPUTE_PGM_RSRC2:TGID_Z_EN: 0
; COMPUTE_PGM_RSRC2:TIDIG_COMP_CNT: 1
; COMPUTE_PGM_RSRC3_GFX90A:ACCUM_OFFSET: 4
; COMPUTE_PGM_RSRC3_GFX90A:TG_SPLIT: 0
	.section	.text._ZN12_GLOBAL__N_120softmax_warp_forwardIfffLi5ELb1ELb0ELi64EEEvPT0_PKT_iiiPKbib,"axG",@progbits,_ZN12_GLOBAL__N_120softmax_warp_forwardIfffLi5ELb1ELb0ELi64EEEvPT0_PKT_iiiPKbib,comdat
	.globl	_ZN12_GLOBAL__N_120softmax_warp_forwardIfffLi5ELb1ELb0ELi64EEEvPT0_PKT_iiiPKbib ; -- Begin function _ZN12_GLOBAL__N_120softmax_warp_forwardIfffLi5ELb1ELb0ELi64EEEvPT0_PKT_iiiPKbib
	.p2align	8
	.type	_ZN12_GLOBAL__N_120softmax_warp_forwardIfffLi5ELb1ELb0ELi64EEEvPT0_PKT_iiiPKbib,@function
_ZN12_GLOBAL__N_120softmax_warp_forwardIfffLi5ELb1ELb0ELi64EEEvPT0_PKT_iiiPKbib: ; @_ZN12_GLOBAL__N_120softmax_warp_forwardIfffLi5ELb1ELb0ELi64EEEvPT0_PKT_iiiPKbib
; %bb.0:
	s_load_dword s0, s[4:5], 0x3c
	s_load_dwordx8 s[8:15], s[4:5], 0x0
	v_bfe_u32 v1, v0, 10, 10
	v_and_b32_e32 v0, 0x3ff, v0
	s_waitcnt lgkmcnt(0)
	s_lshr_b32 s0, s0, 16
	s_mul_i32 s6, s6, s0
	v_add_lshl_u32 v1, s6, v1, 1
	v_mad_u64_u32 v[2:3], s[0:1], v1, s13, v[0:1]
	v_ashrrev_i32_e32 v3, 31, v2
	v_lshlrev_b64 v[2:3], 2, v[2:3]
	v_sub_u32_e32 v10, s12, v1
	v_mov_b32_e32 v1, s11
	v_add_co_u32_e32 v4, vcc, s10, v2
	v_addc_co_u32_e32 v5, vcc, v1, v3, vcc
	v_cmp_gt_i32_e32 vcc, s14, v0
	v_cmp_lt_i32_e64 s[0:1], 0, v10
	s_and_b64 s[4:5], vcc, s[0:1]
	v_mov_b32_e32 v1, 0xff800000
	v_mov_b32_e32 v0, 0xff800000
	s_and_saveexec_b64 s[2:3], s[4:5]
	s_cbranch_execz .LBB45_2
; %bb.1:
	global_load_dword v0, v[4:5], off
.LBB45_2:
	s_or_b64 exec, exec, s[2:3]
	v_cmp_lt_i32_e64 s[2:3], 1, v10
	s_and_b64 s[2:3], vcc, s[2:3]
	s_and_saveexec_b64 s[4:5], s[2:3]
	s_cbranch_execz .LBB45_4
; %bb.3:
	s_mov_b32 s15, 0
	s_lshl_b64 s[2:3], s[14:15], 2
	v_mov_b32_e32 v1, s3
	v_add_co_u32_e64 v4, s[2:3], s2, v4
	v_addc_co_u32_e64 v5, s[2:3], v5, v1, s[2:3]
	global_load_dword v1, v[4:5], off
.LBB45_4:
	s_or_b64 exec, exec, s[4:5]
	v_mbcnt_lo_u32_b32 v4, -1, 0
	v_mbcnt_hi_u32_b32 v4, -1, v4
	v_and_b32_e32 v5, 0x60, v4
	v_add_u32_e32 v5, 32, v5
	v_xor_b32_e32 v6, 16, v4
	v_cmp_lt_i32_e64 s[2:3], v6, v5
	v_cndmask_b32_e64 v6, v4, v6, s[2:3]
	v_lshlrev_b32_e32 v9, 2, v6
	s_waitcnt vmcnt(0)
	ds_bpermute_b32 v7, v9, v1
	ds_bpermute_b32 v6, v9, v0
	v_xor_b32_e32 v8, 8, v4
	v_cmp_lt_i32_e64 s[2:3], v8, v5
	v_cndmask_b32_e64 v8, v4, v8, s[2:3]
	s_waitcnt lgkmcnt(1)
	v_cmp_lt_f32_e64 s[2:3], v1, v7
	v_lshlrev_b32_e32 v11, 2, v8
	v_cndmask_b32_e64 v7, v1, v7, s[2:3]
	s_waitcnt lgkmcnt(0)
	v_cmp_lt_f32_e64 s[2:3], v0, v6
	ds_bpermute_b32 v8, v11, v7
	v_cndmask_b32_e64 v6, v0, v6, s[2:3]
	ds_bpermute_b32 v12, v11, v6
	v_xor_b32_e32 v14, 2, v4
	v_xor_b32_e32 v15, 1, v4
	s_waitcnt lgkmcnt(1)
	v_cmp_lt_f32_e64 s[2:3], v7, v8
	v_cndmask_b32_e64 v7, v7, v8, s[2:3]
	s_waitcnt lgkmcnt(0)
	v_cmp_lt_f32_e64 s[2:3], v6, v12
	v_xor_b32_e32 v8, 4, v4
	v_cndmask_b32_e64 v6, v6, v12, s[2:3]
	v_cmp_lt_i32_e64 s[2:3], v8, v5
	v_cndmask_b32_e64 v8, v4, v8, s[2:3]
	v_lshlrev_b32_e32 v12, 2, v8
	ds_bpermute_b32 v13, v12, v7
	ds_bpermute_b32 v8, v12, v6
	v_cmp_lt_i32_e64 s[2:3], v14, v5
	v_cndmask_b32_e64 v14, v4, v14, s[2:3]
	v_cmp_lt_i32_e64 s[2:3], v15, v5
	v_cndmask_b32_e64 v4, v4, v15, s[2:3]
	s_waitcnt lgkmcnt(1)
	v_cmp_lt_f32_e64 s[2:3], v7, v13
	v_lshlrev_b32_e32 v14, 2, v14
	v_cndmask_b32_e64 v5, v7, v13, s[2:3]
	s_waitcnt lgkmcnt(0)
	v_cmp_lt_f32_e64 s[2:3], v6, v8
	ds_bpermute_b32 v7, v14, v5
	v_cndmask_b32_e64 v6, v6, v8, s[2:3]
	ds_bpermute_b32 v8, v14, v6
	v_lshlrev_b32_e32 v13, 2, v4
	s_mov_b32 s4, 0x3fb8aa3b
	s_waitcnt lgkmcnt(1)
	v_cmp_lt_f32_e64 s[2:3], v5, v7
	v_cndmask_b32_e64 v4, v5, v7, s[2:3]
	s_waitcnt lgkmcnt(0)
	v_cmp_lt_f32_e64 s[2:3], v6, v8
	ds_bpermute_b32 v5, v13, v4
	v_cndmask_b32_e64 v6, v6, v8, s[2:3]
	ds_bpermute_b32 v7, v13, v6
	s_mov_b32 s5, 0xc2ce8ed0
	s_mov_b32 s6, 0x42b17218
	s_waitcnt lgkmcnt(1)
	v_cmp_lt_f32_e64 s[2:3], v4, v5
	v_cndmask_b32_e64 v5, v4, v5, s[2:3]
	s_waitcnt lgkmcnt(0)
	v_cmp_lt_f32_e64 s[2:3], v6, v7
	v_cndmask_b32_e64 v4, v6, v7, s[2:3]
	v_pk_add_f32 v[6:7], v[0:1], v[4:5] neg_lo:[0,1] neg_hi:[0,1]
	v_mul_f32_e32 v8, 0x3fb8aa3b, v7
	v_fma_f32 v15, v7, s4, -v8
	v_rndne_f32_e32 v16, v8
	v_fmac_f32_e32 v15, 0x32a5705f, v7
	v_sub_f32_e32 v8, v8, v16
	v_add_f32_e32 v8, v8, v15
	v_exp_f32_e32 v8, v8
	v_cvt_i32_f32_e32 v15, v16
	v_cmp_ngt_f32_e64 s[2:3], s5, v7
	v_ldexp_f32 v8, v8, v15
	v_mul_f32_e32 v15, 0x3fb8aa3b, v6
	v_fma_f32 v16, v6, s4, -v15
	v_rndne_f32_e32 v17, v15
	v_fmac_f32_e32 v16, 0x32a5705f, v6
	v_sub_f32_e32 v15, v15, v17
	v_add_f32_e32 v15, v15, v16
	v_exp_f32_e32 v15, v15
	v_cvt_i32_f32_e32 v16, v17
	v_cndmask_b32_e64 v8, 0, v8, s[2:3]
	v_mov_b32_e32 v17, 0x7f800000
	v_cmp_nlt_f32_e64 s[2:3], s6, v7
	v_cndmask_b32_e64 v7, v17, v8, s[2:3]
	v_ldexp_f32 v8, v15, v16
	v_cmp_ngt_f32_e64 s[2:3], s5, v6
	v_cndmask_b32_e64 v8, 0, v8, s[2:3]
	v_cmp_nlt_f32_e64 s[2:3], s6, v6
	v_cndmask_b32_e64 v6, v17, v8, s[2:3]
	ds_bpermute_b32 v8, v9, v6
	ds_bpermute_b32 v9, v9, v7
	s_waitcnt lgkmcnt(0)
	v_pk_add_f32 v[6:7], v[6:7], v[8:9]
	ds_bpermute_b32 v8, v11, v6
	ds_bpermute_b32 v9, v11, v7
	s_waitcnt lgkmcnt(0)
	v_pk_add_f32 v[6:7], v[6:7], v[8:9]
	;; [unrolled: 4-line block ×4, first 2 shown]
	ds_bpermute_b32 v8, v13, v6
	ds_bpermute_b32 v9, v13, v7
	s_and_saveexec_b64 s[2:3], s[0:1]
	s_cbranch_execz .LBB45_10
; %bb.5:
	v_mov_b32_e32 v11, s9
	v_add_co_u32_e64 v2, s[0:1], s8, v2
	v_addc_co_u32_e64 v3, s[0:1], v11, v3, s[0:1]
	s_waitcnt lgkmcnt(0)
	v_pk_add_f32 v[6:7], v[6:7], v[8:9]
	s_and_saveexec_b64 s[4:5], vcc
	s_cbranch_execz .LBB45_7
; %bb.6:
	s_mov_b32 s0, 0x800000
	v_mov_b32_e32 v8, 0x4f800000
	v_cmp_gt_f32_e64 s[0:1], s0, v6
	v_cndmask_b32_e64 v8, 1.0, v8, s[0:1]
	v_mul_f32_e32 v6, v6, v8
	v_log_f32_e32 v6, v6
	s_mov_b32 s2, 0x3f317217
	v_sub_f32_e32 v0, v0, v4
	v_mul_f32_e32 v8, 0x3f317217, v6
	v_fma_f32 v9, v6, s2, -v8
	v_fmac_f32_e32 v9, 0x3377d1cf, v6
	s_mov_b32 s2, 0x7f800000
	v_add_f32_e32 v8, v8, v9
	v_cmp_lt_f32_e64 s[2:3], |v6|, s2
	v_cndmask_b32_e64 v6, v6, v8, s[2:3]
	v_mov_b32_e32 v8, 0x41b17218
	v_cndmask_b32_e64 v8, 0, v8, s[0:1]
	v_sub_f32_e32 v6, v6, v8
	v_sub_f32_e32 v0, v0, v6
	global_store_dword v[2:3], v0, off
.LBB45_7:
	s_or_b64 exec, exec, s[4:5]
	v_cmp_ne_u32_e64 s[0:1], 1, v10
	s_and_b64 exec, exec, s[0:1]
	s_cbranch_execz .LBB45_10
; %bb.8:
	s_and_b64 exec, exec, vcc
	s_cbranch_execz .LBB45_10
; %bb.9:
	s_mov_b32 s0, 0x800000
	v_mov_b32_e32 v0, 0x4f800000
	v_cmp_gt_f32_e32 vcc, s0, v7
	v_cndmask_b32_e32 v0, 1.0, v0, vcc
	v_mul_f32_e32 v0, v7, v0
	v_log_f32_e32 v0, v0
	s_mov_b32 s0, 0x3f317217
	s_mov_b32 s15, 0
	v_sub_f32_e32 v1, v1, v5
	v_mul_f32_e32 v4, 0x3f317217, v0
	v_fma_f32 v6, v0, s0, -v4
	v_fmac_f32_e32 v6, 0x3377d1cf, v0
	s_mov_b32 s0, 0x7f800000
	v_add_f32_e32 v4, v4, v6
	v_cmp_lt_f32_e64 s[0:1], |v0|, s0
	v_cndmask_b32_e64 v0, v0, v4, s[0:1]
	v_mov_b32_e32 v4, 0x41b17218
	v_cndmask_b32_e32 v4, 0, v4, vcc
	v_sub_f32_e32 v0, v0, v4
	s_lshl_b64 s[0:1], s[14:15], 2
	v_sub_f32_e32 v4, v1, v0
	v_mov_b32_e32 v1, s1
	v_add_co_u32_e32 v0, vcc, s0, v2
	v_addc_co_u32_e32 v1, vcc, v3, v1, vcc
	global_store_dword v[0:1], v4, off
.LBB45_10:
	s_endpgm
	.section	.rodata,"a",@progbits
	.p2align	6, 0x0
	.amdhsa_kernel _ZN12_GLOBAL__N_120softmax_warp_forwardIfffLi5ELb1ELb0ELi64EEEvPT0_PKT_iiiPKbib
		.amdhsa_group_segment_fixed_size 0
		.amdhsa_private_segment_fixed_size 0
		.amdhsa_kernarg_size 304
		.amdhsa_user_sgpr_count 6
		.amdhsa_user_sgpr_private_segment_buffer 1
		.amdhsa_user_sgpr_dispatch_ptr 0
		.amdhsa_user_sgpr_queue_ptr 0
		.amdhsa_user_sgpr_kernarg_segment_ptr 1
		.amdhsa_user_sgpr_dispatch_id 0
		.amdhsa_user_sgpr_flat_scratch_init 0
		.amdhsa_user_sgpr_kernarg_preload_length 0
		.amdhsa_user_sgpr_kernarg_preload_offset 0
		.amdhsa_user_sgpr_private_segment_size 0
		.amdhsa_uses_dynamic_stack 0
		.amdhsa_system_sgpr_private_segment_wavefront_offset 0
		.amdhsa_system_sgpr_workgroup_id_x 1
		.amdhsa_system_sgpr_workgroup_id_y 0
		.amdhsa_system_sgpr_workgroup_id_z 0
		.amdhsa_system_sgpr_workgroup_info 0
		.amdhsa_system_vgpr_workitem_id 1
		.amdhsa_next_free_vgpr 18
		.amdhsa_next_free_sgpr 16
		.amdhsa_accum_offset 20
		.amdhsa_reserve_vcc 1
		.amdhsa_reserve_flat_scratch 0
		.amdhsa_float_round_mode_32 0
		.amdhsa_float_round_mode_16_64 0
		.amdhsa_float_denorm_mode_32 3
		.amdhsa_float_denorm_mode_16_64 3
		.amdhsa_dx10_clamp 1
		.amdhsa_ieee_mode 1
		.amdhsa_fp16_overflow 0
		.amdhsa_tg_split 0
		.amdhsa_exception_fp_ieee_invalid_op 0
		.amdhsa_exception_fp_denorm_src 0
		.amdhsa_exception_fp_ieee_div_zero 0
		.amdhsa_exception_fp_ieee_overflow 0
		.amdhsa_exception_fp_ieee_underflow 0
		.amdhsa_exception_fp_ieee_inexact 0
		.amdhsa_exception_int_div_zero 0
	.end_amdhsa_kernel
	.section	.text._ZN12_GLOBAL__N_120softmax_warp_forwardIfffLi5ELb1ELb0ELi64EEEvPT0_PKT_iiiPKbib,"axG",@progbits,_ZN12_GLOBAL__N_120softmax_warp_forwardIfffLi5ELb1ELb0ELi64EEEvPT0_PKT_iiiPKbib,comdat
.Lfunc_end45:
	.size	_ZN12_GLOBAL__N_120softmax_warp_forwardIfffLi5ELb1ELb0ELi64EEEvPT0_PKT_iiiPKbib, .Lfunc_end45-_ZN12_GLOBAL__N_120softmax_warp_forwardIfffLi5ELb1ELb0ELi64EEEvPT0_PKT_iiiPKbib
                                        ; -- End function
	.section	.AMDGPU.csdata,"",@progbits
; Kernel info:
; codeLenInByte = 1328
; NumSgprs: 20
; NumVgprs: 18
; NumAgprs: 0
; TotalNumVgprs: 18
; ScratchSize: 0
; MemoryBound: 0
; FloatMode: 240
; IeeeMode: 1
; LDSByteSize: 0 bytes/workgroup (compile time only)
; SGPRBlocks: 2
; VGPRBlocks: 2
; NumSGPRsForWavesPerEU: 20
; NumVGPRsForWavesPerEU: 18
; AccumOffset: 20
; Occupancy: 8
; WaveLimiterHint : 0
; COMPUTE_PGM_RSRC2:SCRATCH_EN: 0
; COMPUTE_PGM_RSRC2:USER_SGPR: 6
; COMPUTE_PGM_RSRC2:TRAP_HANDLER: 0
; COMPUTE_PGM_RSRC2:TGID_X_EN: 1
; COMPUTE_PGM_RSRC2:TGID_Y_EN: 0
; COMPUTE_PGM_RSRC2:TGID_Z_EN: 0
; COMPUTE_PGM_RSRC2:TIDIG_COMP_CNT: 1
; COMPUTE_PGM_RSRC3_GFX90A:ACCUM_OFFSET: 4
; COMPUTE_PGM_RSRC3_GFX90A:TG_SPLIT: 0
	.section	.text._ZN12_GLOBAL__N_120softmax_warp_forwardIfffLi5ELb1ELb0ELi32EEEvPT0_PKT_iiiPKbib,"axG",@progbits,_ZN12_GLOBAL__N_120softmax_warp_forwardIfffLi5ELb1ELb0ELi32EEEvPT0_PKT_iiiPKbib,comdat
	.globl	_ZN12_GLOBAL__N_120softmax_warp_forwardIfffLi5ELb1ELb0ELi32EEEvPT0_PKT_iiiPKbib ; -- Begin function _ZN12_GLOBAL__N_120softmax_warp_forwardIfffLi5ELb1ELb0ELi32EEEvPT0_PKT_iiiPKbib
	.p2align	8
	.type	_ZN12_GLOBAL__N_120softmax_warp_forwardIfffLi5ELb1ELb0ELi32EEEvPT0_PKT_iiiPKbib,@function
_ZN12_GLOBAL__N_120softmax_warp_forwardIfffLi5ELb1ELb0ELi32EEEvPT0_PKT_iiiPKbib: ; @_ZN12_GLOBAL__N_120softmax_warp_forwardIfffLi5ELb1ELb0ELi32EEEvPT0_PKT_iiiPKbib
; %bb.0:
	s_load_dword s0, s[4:5], 0x3c
	s_load_dwordx8 s[8:15], s[4:5], 0x0
	v_bfe_u32 v1, v0, 10, 10
	v_and_b32_e32 v0, 0x3ff, v0
	s_waitcnt lgkmcnt(0)
	s_lshr_b32 s0, s0, 16
	s_mul_i32 s6, s6, s0
	v_add_lshl_u32 v1, s6, v1, 1
	v_mad_u64_u32 v[2:3], s[0:1], v1, s13, v[0:1]
	v_ashrrev_i32_e32 v3, 31, v2
	v_lshlrev_b64 v[2:3], 2, v[2:3]
	v_sub_u32_e32 v10, s12, v1
	v_mov_b32_e32 v1, s11
	v_add_co_u32_e32 v4, vcc, s10, v2
	v_addc_co_u32_e32 v5, vcc, v1, v3, vcc
	v_cmp_gt_i32_e32 vcc, s14, v0
	v_cmp_lt_i32_e64 s[0:1], 0, v10
	s_and_b64 s[4:5], vcc, s[0:1]
	v_mov_b32_e32 v1, 0xff800000
	v_mov_b32_e32 v0, 0xff800000
	s_and_saveexec_b64 s[2:3], s[4:5]
	s_cbranch_execz .LBB46_2
; %bb.1:
	global_load_dword v0, v[4:5], off
.LBB46_2:
	s_or_b64 exec, exec, s[2:3]
	v_cmp_lt_i32_e64 s[2:3], 1, v10
	s_and_b64 s[2:3], vcc, s[2:3]
	s_and_saveexec_b64 s[4:5], s[2:3]
	s_cbranch_execz .LBB46_4
; %bb.3:
	s_mov_b32 s15, 0
	s_lshl_b64 s[2:3], s[14:15], 2
	v_mov_b32_e32 v1, s3
	v_add_co_u32_e64 v4, s[2:3], s2, v4
	v_addc_co_u32_e64 v5, s[2:3], v5, v1, s[2:3]
	global_load_dword v1, v[4:5], off
.LBB46_4:
	s_or_b64 exec, exec, s[4:5]
	v_mbcnt_lo_u32_b32 v4, -1, 0
	v_mbcnt_hi_u32_b32 v4, -1, v4
	v_and_b32_e32 v5, 0x60, v4
	v_add_u32_e32 v5, 32, v5
	v_xor_b32_e32 v6, 16, v4
	v_cmp_lt_i32_e64 s[2:3], v6, v5
	v_cndmask_b32_e64 v6, v4, v6, s[2:3]
	v_lshlrev_b32_e32 v9, 2, v6
	s_waitcnt vmcnt(0)
	ds_bpermute_b32 v7, v9, v1
	ds_bpermute_b32 v6, v9, v0
	v_xor_b32_e32 v8, 8, v4
	v_cmp_lt_i32_e64 s[2:3], v8, v5
	v_cndmask_b32_e64 v8, v4, v8, s[2:3]
	s_waitcnt lgkmcnt(1)
	v_cmp_lt_f32_e64 s[2:3], v1, v7
	v_lshlrev_b32_e32 v11, 2, v8
	v_cndmask_b32_e64 v7, v1, v7, s[2:3]
	s_waitcnt lgkmcnt(0)
	v_cmp_lt_f32_e64 s[2:3], v0, v6
	ds_bpermute_b32 v8, v11, v7
	v_cndmask_b32_e64 v6, v0, v6, s[2:3]
	ds_bpermute_b32 v12, v11, v6
	v_xor_b32_e32 v14, 2, v4
	v_xor_b32_e32 v15, 1, v4
	s_waitcnt lgkmcnt(1)
	v_cmp_lt_f32_e64 s[2:3], v7, v8
	v_cndmask_b32_e64 v7, v7, v8, s[2:3]
	s_waitcnt lgkmcnt(0)
	v_cmp_lt_f32_e64 s[2:3], v6, v12
	v_xor_b32_e32 v8, 4, v4
	v_cndmask_b32_e64 v6, v6, v12, s[2:3]
	v_cmp_lt_i32_e64 s[2:3], v8, v5
	v_cndmask_b32_e64 v8, v4, v8, s[2:3]
	v_lshlrev_b32_e32 v12, 2, v8
	ds_bpermute_b32 v13, v12, v7
	ds_bpermute_b32 v8, v12, v6
	v_cmp_lt_i32_e64 s[2:3], v14, v5
	v_cndmask_b32_e64 v14, v4, v14, s[2:3]
	v_cmp_lt_i32_e64 s[2:3], v15, v5
	v_cndmask_b32_e64 v4, v4, v15, s[2:3]
	s_waitcnt lgkmcnt(1)
	v_cmp_lt_f32_e64 s[2:3], v7, v13
	v_lshlrev_b32_e32 v14, 2, v14
	v_cndmask_b32_e64 v5, v7, v13, s[2:3]
	s_waitcnt lgkmcnt(0)
	v_cmp_lt_f32_e64 s[2:3], v6, v8
	ds_bpermute_b32 v7, v14, v5
	v_cndmask_b32_e64 v6, v6, v8, s[2:3]
	ds_bpermute_b32 v8, v14, v6
	v_lshlrev_b32_e32 v13, 2, v4
	s_mov_b32 s4, 0x3fb8aa3b
	s_waitcnt lgkmcnt(1)
	v_cmp_lt_f32_e64 s[2:3], v5, v7
	v_cndmask_b32_e64 v4, v5, v7, s[2:3]
	s_waitcnt lgkmcnt(0)
	v_cmp_lt_f32_e64 s[2:3], v6, v8
	ds_bpermute_b32 v5, v13, v4
	v_cndmask_b32_e64 v6, v6, v8, s[2:3]
	ds_bpermute_b32 v7, v13, v6
	s_mov_b32 s5, 0xc2ce8ed0
	s_mov_b32 s6, 0x42b17218
	s_waitcnt lgkmcnt(1)
	v_cmp_lt_f32_e64 s[2:3], v4, v5
	v_cndmask_b32_e64 v5, v4, v5, s[2:3]
	s_waitcnt lgkmcnt(0)
	v_cmp_lt_f32_e64 s[2:3], v6, v7
	v_cndmask_b32_e64 v4, v6, v7, s[2:3]
	v_pk_add_f32 v[6:7], v[0:1], v[4:5] neg_lo:[0,1] neg_hi:[0,1]
	v_mul_f32_e32 v8, 0x3fb8aa3b, v7
	v_fma_f32 v15, v7, s4, -v8
	v_rndne_f32_e32 v16, v8
	v_fmac_f32_e32 v15, 0x32a5705f, v7
	v_sub_f32_e32 v8, v8, v16
	v_add_f32_e32 v8, v8, v15
	v_exp_f32_e32 v8, v8
	v_cvt_i32_f32_e32 v15, v16
	v_cmp_ngt_f32_e64 s[2:3], s5, v7
	v_ldexp_f32 v8, v8, v15
	v_mul_f32_e32 v15, 0x3fb8aa3b, v6
	v_fma_f32 v16, v6, s4, -v15
	v_rndne_f32_e32 v17, v15
	v_fmac_f32_e32 v16, 0x32a5705f, v6
	v_sub_f32_e32 v15, v15, v17
	v_add_f32_e32 v15, v15, v16
	v_exp_f32_e32 v15, v15
	v_cvt_i32_f32_e32 v16, v17
	v_cndmask_b32_e64 v8, 0, v8, s[2:3]
	v_mov_b32_e32 v17, 0x7f800000
	v_cmp_nlt_f32_e64 s[2:3], s6, v7
	v_cndmask_b32_e64 v7, v17, v8, s[2:3]
	v_ldexp_f32 v8, v15, v16
	v_cmp_ngt_f32_e64 s[2:3], s5, v6
	v_cndmask_b32_e64 v8, 0, v8, s[2:3]
	v_cmp_nlt_f32_e64 s[2:3], s6, v6
	v_cndmask_b32_e64 v6, v17, v8, s[2:3]
	ds_bpermute_b32 v8, v9, v6
	ds_bpermute_b32 v9, v9, v7
	s_waitcnt lgkmcnt(0)
	v_pk_add_f32 v[6:7], v[6:7], v[8:9]
	ds_bpermute_b32 v8, v11, v6
	ds_bpermute_b32 v9, v11, v7
	s_waitcnt lgkmcnt(0)
	v_pk_add_f32 v[6:7], v[6:7], v[8:9]
	ds_bpermute_b32 v8, v12, v6
	ds_bpermute_b32 v9, v12, v7
	s_waitcnt lgkmcnt(0)
	v_pk_add_f32 v[6:7], v[6:7], v[8:9]
	ds_bpermute_b32 v8, v14, v6
	ds_bpermute_b32 v9, v14, v7
	s_waitcnt lgkmcnt(0)
	v_pk_add_f32 v[6:7], v[6:7], v[8:9]
	ds_bpermute_b32 v8, v13, v6
	ds_bpermute_b32 v9, v13, v7
	s_and_saveexec_b64 s[2:3], s[0:1]
	s_cbranch_execz .LBB46_10
; %bb.5:
	v_mov_b32_e32 v11, s9
	v_add_co_u32_e64 v2, s[0:1], s8, v2
	v_addc_co_u32_e64 v3, s[0:1], v11, v3, s[0:1]
	s_waitcnt lgkmcnt(0)
	v_pk_add_f32 v[6:7], v[6:7], v[8:9]
	s_and_saveexec_b64 s[4:5], vcc
	s_cbranch_execz .LBB46_7
; %bb.6:
	s_mov_b32 s0, 0x800000
	v_mov_b32_e32 v8, 0x4f800000
	v_cmp_gt_f32_e64 s[0:1], s0, v6
	v_cndmask_b32_e64 v8, 1.0, v8, s[0:1]
	v_mul_f32_e32 v6, v6, v8
	v_log_f32_e32 v6, v6
	s_mov_b32 s2, 0x3f317217
	v_sub_f32_e32 v0, v0, v4
	v_mul_f32_e32 v8, 0x3f317217, v6
	v_fma_f32 v9, v6, s2, -v8
	v_fmac_f32_e32 v9, 0x3377d1cf, v6
	s_mov_b32 s2, 0x7f800000
	v_add_f32_e32 v8, v8, v9
	v_cmp_lt_f32_e64 s[2:3], |v6|, s2
	v_cndmask_b32_e64 v6, v6, v8, s[2:3]
	v_mov_b32_e32 v8, 0x41b17218
	v_cndmask_b32_e64 v8, 0, v8, s[0:1]
	v_sub_f32_e32 v6, v6, v8
	v_sub_f32_e32 v0, v0, v6
	global_store_dword v[2:3], v0, off
.LBB46_7:
	s_or_b64 exec, exec, s[4:5]
	v_cmp_ne_u32_e64 s[0:1], 1, v10
	s_and_b64 exec, exec, s[0:1]
	s_cbranch_execz .LBB46_10
; %bb.8:
	s_and_b64 exec, exec, vcc
	s_cbranch_execz .LBB46_10
; %bb.9:
	s_mov_b32 s0, 0x800000
	v_mov_b32_e32 v0, 0x4f800000
	v_cmp_gt_f32_e32 vcc, s0, v7
	v_cndmask_b32_e32 v0, 1.0, v0, vcc
	v_mul_f32_e32 v0, v7, v0
	v_log_f32_e32 v0, v0
	s_mov_b32 s0, 0x3f317217
	s_mov_b32 s15, 0
	v_sub_f32_e32 v1, v1, v5
	v_mul_f32_e32 v4, 0x3f317217, v0
	v_fma_f32 v6, v0, s0, -v4
	v_fmac_f32_e32 v6, 0x3377d1cf, v0
	s_mov_b32 s0, 0x7f800000
	v_add_f32_e32 v4, v4, v6
	v_cmp_lt_f32_e64 s[0:1], |v0|, s0
	v_cndmask_b32_e64 v0, v0, v4, s[0:1]
	v_mov_b32_e32 v4, 0x41b17218
	v_cndmask_b32_e32 v4, 0, v4, vcc
	v_sub_f32_e32 v0, v0, v4
	s_lshl_b64 s[0:1], s[14:15], 2
	v_sub_f32_e32 v4, v1, v0
	v_mov_b32_e32 v1, s1
	v_add_co_u32_e32 v0, vcc, s0, v2
	v_addc_co_u32_e32 v1, vcc, v3, v1, vcc
	global_store_dword v[0:1], v4, off
.LBB46_10:
	s_endpgm
	.section	.rodata,"a",@progbits
	.p2align	6, 0x0
	.amdhsa_kernel _ZN12_GLOBAL__N_120softmax_warp_forwardIfffLi5ELb1ELb0ELi32EEEvPT0_PKT_iiiPKbib
		.amdhsa_group_segment_fixed_size 0
		.amdhsa_private_segment_fixed_size 0
		.amdhsa_kernarg_size 304
		.amdhsa_user_sgpr_count 6
		.amdhsa_user_sgpr_private_segment_buffer 1
		.amdhsa_user_sgpr_dispatch_ptr 0
		.amdhsa_user_sgpr_queue_ptr 0
		.amdhsa_user_sgpr_kernarg_segment_ptr 1
		.amdhsa_user_sgpr_dispatch_id 0
		.amdhsa_user_sgpr_flat_scratch_init 0
		.amdhsa_user_sgpr_kernarg_preload_length 0
		.amdhsa_user_sgpr_kernarg_preload_offset 0
		.amdhsa_user_sgpr_private_segment_size 0
		.amdhsa_uses_dynamic_stack 0
		.amdhsa_system_sgpr_private_segment_wavefront_offset 0
		.amdhsa_system_sgpr_workgroup_id_x 1
		.amdhsa_system_sgpr_workgroup_id_y 0
		.amdhsa_system_sgpr_workgroup_id_z 0
		.amdhsa_system_sgpr_workgroup_info 0
		.amdhsa_system_vgpr_workitem_id 1
		.amdhsa_next_free_vgpr 18
		.amdhsa_next_free_sgpr 16
		.amdhsa_accum_offset 20
		.amdhsa_reserve_vcc 1
		.amdhsa_reserve_flat_scratch 0
		.amdhsa_float_round_mode_32 0
		.amdhsa_float_round_mode_16_64 0
		.amdhsa_float_denorm_mode_32 3
		.amdhsa_float_denorm_mode_16_64 3
		.amdhsa_dx10_clamp 1
		.amdhsa_ieee_mode 1
		.amdhsa_fp16_overflow 0
		.amdhsa_tg_split 0
		.amdhsa_exception_fp_ieee_invalid_op 0
		.amdhsa_exception_fp_denorm_src 0
		.amdhsa_exception_fp_ieee_div_zero 0
		.amdhsa_exception_fp_ieee_overflow 0
		.amdhsa_exception_fp_ieee_underflow 0
		.amdhsa_exception_fp_ieee_inexact 0
		.amdhsa_exception_int_div_zero 0
	.end_amdhsa_kernel
	.section	.text._ZN12_GLOBAL__N_120softmax_warp_forwardIfffLi5ELb1ELb0ELi32EEEvPT0_PKT_iiiPKbib,"axG",@progbits,_ZN12_GLOBAL__N_120softmax_warp_forwardIfffLi5ELb1ELb0ELi32EEEvPT0_PKT_iiiPKbib,comdat
.Lfunc_end46:
	.size	_ZN12_GLOBAL__N_120softmax_warp_forwardIfffLi5ELb1ELb0ELi32EEEvPT0_PKT_iiiPKbib, .Lfunc_end46-_ZN12_GLOBAL__N_120softmax_warp_forwardIfffLi5ELb1ELb0ELi32EEEvPT0_PKT_iiiPKbib
                                        ; -- End function
	.section	.AMDGPU.csdata,"",@progbits
; Kernel info:
; codeLenInByte = 1328
; NumSgprs: 20
; NumVgprs: 18
; NumAgprs: 0
; TotalNumVgprs: 18
; ScratchSize: 0
; MemoryBound: 0
; FloatMode: 240
; IeeeMode: 1
; LDSByteSize: 0 bytes/workgroup (compile time only)
; SGPRBlocks: 2
; VGPRBlocks: 2
; NumSGPRsForWavesPerEU: 20
; NumVGPRsForWavesPerEU: 18
; AccumOffset: 20
; Occupancy: 8
; WaveLimiterHint : 0
; COMPUTE_PGM_RSRC2:SCRATCH_EN: 0
; COMPUTE_PGM_RSRC2:USER_SGPR: 6
; COMPUTE_PGM_RSRC2:TRAP_HANDLER: 0
; COMPUTE_PGM_RSRC2:TGID_X_EN: 1
; COMPUTE_PGM_RSRC2:TGID_Y_EN: 0
; COMPUTE_PGM_RSRC2:TGID_Z_EN: 0
; COMPUTE_PGM_RSRC2:TIDIG_COMP_CNT: 1
; COMPUTE_PGM_RSRC3_GFX90A:ACCUM_OFFSET: 4
; COMPUTE_PGM_RSRC3_GFX90A:TG_SPLIT: 0
	.section	.text._ZN12_GLOBAL__N_120softmax_warp_forwardIfffLi6ELb1ELb0ELi64EEEvPT0_PKT_iiiPKbib,"axG",@progbits,_ZN12_GLOBAL__N_120softmax_warp_forwardIfffLi6ELb1ELb0ELi64EEEvPT0_PKT_iiiPKbib,comdat
	.globl	_ZN12_GLOBAL__N_120softmax_warp_forwardIfffLi6ELb1ELb0ELi64EEEvPT0_PKT_iiiPKbib ; -- Begin function _ZN12_GLOBAL__N_120softmax_warp_forwardIfffLi6ELb1ELb0ELi64EEEvPT0_PKT_iiiPKbib
	.p2align	8
	.type	_ZN12_GLOBAL__N_120softmax_warp_forwardIfffLi6ELb1ELb0ELi64EEEvPT0_PKT_iiiPKbib,@function
_ZN12_GLOBAL__N_120softmax_warp_forwardIfffLi6ELb1ELb0ELi64EEEvPT0_PKT_iiiPKbib: ; @_ZN12_GLOBAL__N_120softmax_warp_forwardIfffLi6ELb1ELb0ELi64EEEvPT0_PKT_iiiPKbib
; %bb.0:
	s_load_dword s0, s[4:5], 0x3c
	s_load_dwordx8 s[8:15], s[4:5], 0x0
	v_bfe_u32 v1, v0, 10, 10
	v_and_b32_e32 v0, 0x3ff, v0
	s_waitcnt lgkmcnt(0)
	s_lshr_b32 s0, s0, 16
	s_mul_i32 s6, s6, s0
	v_add_lshl_u32 v1, s6, v1, 1
	v_mad_u64_u32 v[2:3], s[0:1], v1, s13, v[0:1]
	v_ashrrev_i32_e32 v3, 31, v2
	v_lshlrev_b64 v[2:3], 2, v[2:3]
	v_sub_u32_e32 v10, s12, v1
	v_mov_b32_e32 v1, s11
	v_add_co_u32_e32 v4, vcc, s10, v2
	v_addc_co_u32_e32 v5, vcc, v1, v3, vcc
	v_cmp_gt_i32_e32 vcc, s14, v0
	v_cmp_lt_i32_e64 s[0:1], 0, v10
	s_and_b64 s[4:5], vcc, s[0:1]
	v_mov_b32_e32 v1, 0xff800000
	v_mov_b32_e32 v0, 0xff800000
	s_and_saveexec_b64 s[2:3], s[4:5]
	s_cbranch_execz .LBB47_2
; %bb.1:
	global_load_dword v0, v[4:5], off
.LBB47_2:
	s_or_b64 exec, exec, s[2:3]
	v_cmp_lt_i32_e64 s[2:3], 1, v10
	s_and_b64 s[2:3], vcc, s[2:3]
	s_and_saveexec_b64 s[4:5], s[2:3]
	s_cbranch_execz .LBB47_4
; %bb.3:
	s_mov_b32 s15, 0
	s_lshl_b64 s[2:3], s[14:15], 2
	v_mov_b32_e32 v1, s3
	v_add_co_u32_e64 v4, s[2:3], s2, v4
	v_addc_co_u32_e64 v5, s[2:3], v5, v1, s[2:3]
	global_load_dword v1, v[4:5], off
.LBB47_4:
	s_or_b64 exec, exec, s[4:5]
	v_mbcnt_lo_u32_b32 v4, -1, 0
	v_mbcnt_hi_u32_b32 v4, -1, v4
	v_and_b32_e32 v5, 64, v4
	v_add_u32_e32 v5, 64, v5
	v_xor_b32_e32 v6, 32, v4
	v_cmp_lt_i32_e64 s[2:3], v6, v5
	v_cndmask_b32_e64 v6, v4, v6, s[2:3]
	v_lshlrev_b32_e32 v9, 2, v6
	s_waitcnt vmcnt(0)
	ds_bpermute_b32 v7, v9, v1
	v_xor_b32_e32 v8, 16, v4
	ds_bpermute_b32 v6, v9, v0
	v_cmp_lt_i32_e64 s[2:3], v8, v5
	v_cndmask_b32_e64 v8, v4, v8, s[2:3]
	v_lshlrev_b32_e32 v11, 2, v8
	v_xor_b32_e32 v8, 8, v4
	v_cmp_lt_i32_e64 s[2:3], v8, v5
	v_cndmask_b32_e64 v8, v4, v8, s[2:3]
	s_waitcnt lgkmcnt(1)
	v_cmp_lt_f32_e64 s[2:3], v1, v7
	v_cndmask_b32_e64 v7, v1, v7, s[2:3]
	s_waitcnt lgkmcnt(0)
	v_cmp_lt_f32_e64 s[2:3], v0, v6
	ds_bpermute_b32 v13, v11, v7
	v_cndmask_b32_e64 v6, v0, v6, s[2:3]
	ds_bpermute_b32 v14, v11, v6
	v_lshlrev_b32_e32 v12, 2, v8
	v_xor_b32_e32 v8, 4, v4
	v_cmp_lt_i32_e64 s[2:3], v8, v5
	v_cndmask_b32_e64 v8, v4, v8, s[2:3]
	s_waitcnt lgkmcnt(1)
	v_cmp_lt_f32_e64 s[2:3], v7, v13
	v_cndmask_b32_e64 v7, v7, v13, s[2:3]
	s_waitcnt lgkmcnt(0)
	v_cmp_lt_f32_e64 s[2:3], v6, v14
	ds_bpermute_b32 v13, v12, v7
	v_cndmask_b32_e64 v6, v6, v14, s[2:3]
	ds_bpermute_b32 v14, v12, v6
	v_lshlrev_b32_e32 v15, 2, v8
	v_xor_b32_e32 v16, 1, v4
	s_waitcnt lgkmcnt(1)
	v_cmp_lt_f32_e64 s[2:3], v7, v13
	v_cndmask_b32_e64 v7, v7, v13, s[2:3]
	s_waitcnt lgkmcnt(0)
	v_cmp_lt_f32_e64 s[2:3], v6, v14
	ds_bpermute_b32 v8, v15, v7
	v_cndmask_b32_e64 v6, v6, v14, s[2:3]
	ds_bpermute_b32 v13, v15, v6
	s_mov_b32 s4, 0x3fb8aa3b
	s_mov_b32 s5, 0xc2ce8ed0
	s_waitcnt lgkmcnt(1)
	v_cmp_lt_f32_e64 s[2:3], v7, v8
	v_cndmask_b32_e64 v7, v7, v8, s[2:3]
	s_waitcnt lgkmcnt(0)
	v_cmp_lt_f32_e64 s[2:3], v6, v13
	v_xor_b32_e32 v8, 2, v4
	v_cndmask_b32_e64 v6, v6, v13, s[2:3]
	v_cmp_lt_i32_e64 s[2:3], v8, v5
	v_cndmask_b32_e64 v8, v4, v8, s[2:3]
	v_lshlrev_b32_e32 v13, 2, v8
	ds_bpermute_b32 v14, v13, v7
	ds_bpermute_b32 v8, v13, v6
	v_cmp_lt_i32_e64 s[2:3], v16, v5
	v_cndmask_b32_e64 v4, v4, v16, s[2:3]
	v_lshlrev_b32_e32 v16, 2, v4
	s_waitcnt lgkmcnt(1)
	v_cmp_lt_f32_e64 s[2:3], v7, v14
	v_cndmask_b32_e64 v4, v7, v14, s[2:3]
	s_waitcnt lgkmcnt(0)
	v_cmp_lt_f32_e64 s[2:3], v6, v8
	ds_bpermute_b32 v5, v16, v4
	v_cndmask_b32_e64 v6, v6, v8, s[2:3]
	ds_bpermute_b32 v7, v16, v6
	s_mov_b32 s6, 0x42b17218
	s_waitcnt lgkmcnt(1)
	v_cmp_lt_f32_e64 s[2:3], v4, v5
	v_cndmask_b32_e64 v5, v4, v5, s[2:3]
	s_waitcnt lgkmcnt(0)
	v_cmp_lt_f32_e64 s[2:3], v6, v7
	v_cndmask_b32_e64 v4, v6, v7, s[2:3]
	v_pk_add_f32 v[6:7], v[0:1], v[4:5] neg_lo:[0,1] neg_hi:[0,1]
	v_mul_f32_e32 v8, 0x3fb8aa3b, v7
	v_fma_f32 v14, v7, s4, -v8
	v_rndne_f32_e32 v17, v8
	v_fmac_f32_e32 v14, 0x32a5705f, v7
	v_sub_f32_e32 v8, v8, v17
	v_add_f32_e32 v8, v8, v14
	v_exp_f32_e32 v8, v8
	v_cvt_i32_f32_e32 v14, v17
	v_cmp_ngt_f32_e64 s[2:3], s5, v7
	v_ldexp_f32 v8, v8, v14
	v_mul_f32_e32 v14, 0x3fb8aa3b, v6
	v_fma_f32 v17, v6, s4, -v14
	v_rndne_f32_e32 v18, v14
	v_fmac_f32_e32 v17, 0x32a5705f, v6
	v_sub_f32_e32 v14, v14, v18
	v_add_f32_e32 v14, v14, v17
	v_exp_f32_e32 v14, v14
	v_cvt_i32_f32_e32 v17, v18
	v_cndmask_b32_e64 v8, 0, v8, s[2:3]
	v_mov_b32_e32 v18, 0x7f800000
	v_cmp_nlt_f32_e64 s[2:3], s6, v7
	v_cndmask_b32_e64 v7, v18, v8, s[2:3]
	v_ldexp_f32 v8, v14, v17
	v_cmp_ngt_f32_e64 s[2:3], s5, v6
	v_cndmask_b32_e64 v8, 0, v8, s[2:3]
	v_cmp_nlt_f32_e64 s[2:3], s6, v6
	v_cndmask_b32_e64 v6, v18, v8, s[2:3]
	ds_bpermute_b32 v8, v9, v6
	ds_bpermute_b32 v9, v9, v7
	s_waitcnt lgkmcnt(0)
	v_pk_add_f32 v[6:7], v[6:7], v[8:9]
	ds_bpermute_b32 v8, v11, v6
	ds_bpermute_b32 v9, v11, v7
	s_waitcnt lgkmcnt(0)
	v_pk_add_f32 v[6:7], v[6:7], v[8:9]
	;; [unrolled: 4-line block ×5, first 2 shown]
	ds_bpermute_b32 v8, v16, v6
	ds_bpermute_b32 v9, v16, v7
	s_and_saveexec_b64 s[2:3], s[0:1]
	s_cbranch_execz .LBB47_10
; %bb.5:
	v_mov_b32_e32 v11, s9
	v_add_co_u32_e64 v2, s[0:1], s8, v2
	v_addc_co_u32_e64 v3, s[0:1], v11, v3, s[0:1]
	s_waitcnt lgkmcnt(0)
	v_pk_add_f32 v[6:7], v[6:7], v[8:9]
	s_and_saveexec_b64 s[4:5], vcc
	s_cbranch_execz .LBB47_7
; %bb.6:
	s_mov_b32 s0, 0x800000
	v_mov_b32_e32 v8, 0x4f800000
	v_cmp_gt_f32_e64 s[0:1], s0, v6
	v_cndmask_b32_e64 v8, 1.0, v8, s[0:1]
	v_mul_f32_e32 v6, v6, v8
	v_log_f32_e32 v6, v6
	s_mov_b32 s2, 0x3f317217
	v_sub_f32_e32 v0, v0, v4
	v_mul_f32_e32 v8, 0x3f317217, v6
	v_fma_f32 v9, v6, s2, -v8
	v_fmac_f32_e32 v9, 0x3377d1cf, v6
	s_mov_b32 s2, 0x7f800000
	v_add_f32_e32 v8, v8, v9
	v_cmp_lt_f32_e64 s[2:3], |v6|, s2
	v_cndmask_b32_e64 v6, v6, v8, s[2:3]
	v_mov_b32_e32 v8, 0x41b17218
	v_cndmask_b32_e64 v8, 0, v8, s[0:1]
	v_sub_f32_e32 v6, v6, v8
	v_sub_f32_e32 v0, v0, v6
	global_store_dword v[2:3], v0, off
.LBB47_7:
	s_or_b64 exec, exec, s[4:5]
	v_cmp_ne_u32_e64 s[0:1], 1, v10
	s_and_b64 exec, exec, s[0:1]
	s_cbranch_execz .LBB47_10
; %bb.8:
	s_and_b64 exec, exec, vcc
	s_cbranch_execz .LBB47_10
; %bb.9:
	s_mov_b32 s0, 0x800000
	v_mov_b32_e32 v0, 0x4f800000
	v_cmp_gt_f32_e32 vcc, s0, v7
	v_cndmask_b32_e32 v0, 1.0, v0, vcc
	v_mul_f32_e32 v0, v7, v0
	v_log_f32_e32 v0, v0
	s_mov_b32 s0, 0x3f317217
	s_mov_b32 s15, 0
	v_sub_f32_e32 v1, v1, v5
	v_mul_f32_e32 v4, 0x3f317217, v0
	v_fma_f32 v6, v0, s0, -v4
	v_fmac_f32_e32 v6, 0x3377d1cf, v0
	s_mov_b32 s0, 0x7f800000
	v_add_f32_e32 v4, v4, v6
	v_cmp_lt_f32_e64 s[0:1], |v0|, s0
	v_cndmask_b32_e64 v0, v0, v4, s[0:1]
	v_mov_b32_e32 v4, 0x41b17218
	v_cndmask_b32_e32 v4, 0, v4, vcc
	v_sub_f32_e32 v0, v0, v4
	s_lshl_b64 s[0:1], s[14:15], 2
	v_sub_f32_e32 v4, v1, v0
	v_mov_b32_e32 v1, s1
	v_add_co_u32_e32 v0, vcc, s0, v2
	v_addc_co_u32_e32 v1, vcc, v3, v1, vcc
	global_store_dword v[0:1], v4, off
.LBB47_10:
	s_endpgm
	.section	.rodata,"a",@progbits
	.p2align	6, 0x0
	.amdhsa_kernel _ZN12_GLOBAL__N_120softmax_warp_forwardIfffLi6ELb1ELb0ELi64EEEvPT0_PKT_iiiPKbib
		.amdhsa_group_segment_fixed_size 0
		.amdhsa_private_segment_fixed_size 0
		.amdhsa_kernarg_size 304
		.amdhsa_user_sgpr_count 6
		.amdhsa_user_sgpr_private_segment_buffer 1
		.amdhsa_user_sgpr_dispatch_ptr 0
		.amdhsa_user_sgpr_queue_ptr 0
		.amdhsa_user_sgpr_kernarg_segment_ptr 1
		.amdhsa_user_sgpr_dispatch_id 0
		.amdhsa_user_sgpr_flat_scratch_init 0
		.amdhsa_user_sgpr_kernarg_preload_length 0
		.amdhsa_user_sgpr_kernarg_preload_offset 0
		.amdhsa_user_sgpr_private_segment_size 0
		.amdhsa_uses_dynamic_stack 0
		.amdhsa_system_sgpr_private_segment_wavefront_offset 0
		.amdhsa_system_sgpr_workgroup_id_x 1
		.amdhsa_system_sgpr_workgroup_id_y 0
		.amdhsa_system_sgpr_workgroup_id_z 0
		.amdhsa_system_sgpr_workgroup_info 0
		.amdhsa_system_vgpr_workitem_id 1
		.amdhsa_next_free_vgpr 19
		.amdhsa_next_free_sgpr 16
		.amdhsa_accum_offset 20
		.amdhsa_reserve_vcc 1
		.amdhsa_reserve_flat_scratch 0
		.amdhsa_float_round_mode_32 0
		.amdhsa_float_round_mode_16_64 0
		.amdhsa_float_denorm_mode_32 3
		.amdhsa_float_denorm_mode_16_64 3
		.amdhsa_dx10_clamp 1
		.amdhsa_ieee_mode 1
		.amdhsa_fp16_overflow 0
		.amdhsa_tg_split 0
		.amdhsa_exception_fp_ieee_invalid_op 0
		.amdhsa_exception_fp_denorm_src 0
		.amdhsa_exception_fp_ieee_div_zero 0
		.amdhsa_exception_fp_ieee_overflow 0
		.amdhsa_exception_fp_ieee_underflow 0
		.amdhsa_exception_fp_ieee_inexact 0
		.amdhsa_exception_int_div_zero 0
	.end_amdhsa_kernel
	.section	.text._ZN12_GLOBAL__N_120softmax_warp_forwardIfffLi6ELb1ELb0ELi64EEEvPT0_PKT_iiiPKbib,"axG",@progbits,_ZN12_GLOBAL__N_120softmax_warp_forwardIfffLi6ELb1ELb0ELi64EEEvPT0_PKT_iiiPKbib,comdat
.Lfunc_end47:
	.size	_ZN12_GLOBAL__N_120softmax_warp_forwardIfffLi6ELb1ELb0ELi64EEEvPT0_PKT_iiiPKbib, .Lfunc_end47-_ZN12_GLOBAL__N_120softmax_warp_forwardIfffLi6ELb1ELb0ELi64EEEvPT0_PKT_iiiPKbib
                                        ; -- End function
	.section	.AMDGPU.csdata,"",@progbits
; Kernel info:
; codeLenInByte = 1432
; NumSgprs: 20
; NumVgprs: 19
; NumAgprs: 0
; TotalNumVgprs: 19
; ScratchSize: 0
; MemoryBound: 0
; FloatMode: 240
; IeeeMode: 1
; LDSByteSize: 0 bytes/workgroup (compile time only)
; SGPRBlocks: 2
; VGPRBlocks: 2
; NumSGPRsForWavesPerEU: 20
; NumVGPRsForWavesPerEU: 19
; AccumOffset: 20
; Occupancy: 8
; WaveLimiterHint : 0
; COMPUTE_PGM_RSRC2:SCRATCH_EN: 0
; COMPUTE_PGM_RSRC2:USER_SGPR: 6
; COMPUTE_PGM_RSRC2:TRAP_HANDLER: 0
; COMPUTE_PGM_RSRC2:TGID_X_EN: 1
; COMPUTE_PGM_RSRC2:TGID_Y_EN: 0
; COMPUTE_PGM_RSRC2:TGID_Z_EN: 0
; COMPUTE_PGM_RSRC2:TIDIG_COMP_CNT: 1
; COMPUTE_PGM_RSRC3_GFX90A:ACCUM_OFFSET: 4
; COMPUTE_PGM_RSRC3_GFX90A:TG_SPLIT: 0
	.section	.text._ZN12_GLOBAL__N_120softmax_warp_forwardIfffLi6ELb1ELb0ELi32EEEvPT0_PKT_iiiPKbib,"axG",@progbits,_ZN12_GLOBAL__N_120softmax_warp_forwardIfffLi6ELb1ELb0ELi32EEEvPT0_PKT_iiiPKbib,comdat
	.globl	_ZN12_GLOBAL__N_120softmax_warp_forwardIfffLi6ELb1ELb0ELi32EEEvPT0_PKT_iiiPKbib ; -- Begin function _ZN12_GLOBAL__N_120softmax_warp_forwardIfffLi6ELb1ELb0ELi32EEEvPT0_PKT_iiiPKbib
	.p2align	8
	.type	_ZN12_GLOBAL__N_120softmax_warp_forwardIfffLi6ELb1ELb0ELi32EEEvPT0_PKT_iiiPKbib,@function
_ZN12_GLOBAL__N_120softmax_warp_forwardIfffLi6ELb1ELb0ELi32EEEvPT0_PKT_iiiPKbib: ; @_ZN12_GLOBAL__N_120softmax_warp_forwardIfffLi6ELb1ELb0ELi32EEEvPT0_PKT_iiiPKbib
; %bb.0:
	s_load_dword s0, s[4:5], 0x3c
	s_load_dwordx8 s[8:15], s[4:5], 0x0
	v_bfe_u32 v1, v0, 10, 10
	v_and_b32_e32 v8, 0x3ff, v0
	v_mov_b32_e32 v2, 0xff800000
	s_waitcnt lgkmcnt(0)
	s_lshr_b32 s0, s0, 16
	s_mul_i32 s6, s6, s0
	v_add_lshl_u32 v1, s6, v1, 1
	v_sub_u32_e32 v12, s12, v1
	v_mad_u64_u32 v[0:1], s[0:1], v1, s13, v[8:9]
	v_ashrrev_i32_e32 v1, 31, v0
	v_lshlrev_b64 v[4:5], 2, v[0:1]
	v_mov_b32_e32 v0, s11
	v_add_co_u32_e32 v6, vcc, s10, v4
	v_cmp_lt_i32_e64 s[2:3], 0, v12
	v_cmp_gt_i32_e64 s[0:1], s14, v8
	v_addc_co_u32_e32 v7, vcc, v0, v5, vcc
	s_and_b64 s[6:7], s[2:3], s[0:1]
	v_mov_b32_e32 v0, 0xff800000
	s_and_saveexec_b64 s[4:5], s[6:7]
	s_cbranch_execz .LBB48_2
; %bb.1:
	global_load_dword v2, v[6:7], off
.LBB48_2:
	s_or_b64 exec, exec, s[4:5]
	v_add_u32_e32 v1, 32, v8
	v_cmp_gt_i32_e32 vcc, s14, v1
	s_and_b64 s[6:7], s[2:3], vcc
	s_and_saveexec_b64 s[4:5], s[6:7]
	s_cbranch_execz .LBB48_4
; %bb.3:
	global_load_dword v0, v[6:7], off offset:128
.LBB48_4:
	s_or_b64 exec, exec, s[4:5]
	v_cmp_lt_i32_e64 s[4:5], 1, v12
	s_and_b64 s[6:7], s[4:5], s[0:1]
	v_mov_b32_e32 v1, 0xff800000
	v_mov_b32_e32 v3, 0xff800000
	s_and_saveexec_b64 s[10:11], s[6:7]
	s_cbranch_execz .LBB48_6
; %bb.5:
	s_mov_b32 s15, 0
	s_lshl_b64 s[6:7], s[14:15], 2
	v_mov_b32_e32 v3, s7
	v_add_co_u32_e64 v8, s[6:7], s6, v6
	v_addc_co_u32_e64 v9, s[6:7], v7, v3, s[6:7]
	global_load_dword v3, v[8:9], off
.LBB48_6:
	s_or_b64 exec, exec, s[10:11]
	s_and_b64 s[4:5], s[4:5], vcc
	s_and_saveexec_b64 s[6:7], s[4:5]
	s_cbranch_execz .LBB48_8
; %bb.7:
	s_mov_b32 s15, 0
	s_lshl_b64 s[4:5], s[14:15], 2
	v_mov_b32_e32 v1, s5
	v_add_co_u32_e64 v6, s[4:5], s4, v6
	v_addc_co_u32_e64 v7, s[4:5], v7, v1, s[4:5]
	global_load_dword v1, v[6:7], off offset:128
.LBB48_8:
	s_or_b64 exec, exec, s[6:7]
	v_mbcnt_lo_u32_b32 v6, -1, 0
	v_mbcnt_hi_u32_b32 v6, -1, v6
	v_and_b32_e32 v7, 0x60, v6
	v_add_u32_e32 v7, 32, v7
	v_xor_b32_e32 v8, 16, v6
	v_cmp_lt_i32_e64 s[4:5], v8, v7
	v_cndmask_b32_e64 v8, v6, v8, s[4:5]
	v_lshlrev_b32_e32 v13, 2, v8
	v_xor_b32_e32 v8, 8, v6
	v_cmp_lt_i32_e64 s[4:5], v8, v7
	v_cndmask_b32_e64 v8, v6, v8, s[4:5]
	s_waitcnt vmcnt(0)
	v_cmp_gt_f32_e64 s[4:5], v3, v1
	v_cndmask_b32_e64 v9, v1, v3, s[4:5]
	v_cmp_gt_f32_e64 s[4:5], v2, v0
	ds_bpermute_b32 v10, v13, v9
	v_cndmask_b32_e64 v11, v0, v2, s[4:5]
	ds_bpermute_b32 v15, v13, v11
	v_lshlrev_b32_e32 v14, 2, v8
	v_xor_b32_e32 v8, 4, v6
	v_cmp_lt_i32_e64 s[4:5], v8, v7
	v_cndmask_b32_e64 v8, v6, v8, s[4:5]
	s_waitcnt lgkmcnt(1)
	v_cmp_lt_f32_e64 s[4:5], v9, v10
	v_cndmask_b32_e64 v9, v9, v10, s[4:5]
	s_waitcnt lgkmcnt(0)
	v_cmp_lt_f32_e64 s[4:5], v11, v15
	ds_bpermute_b32 v10, v14, v9
	v_cndmask_b32_e64 v11, v11, v15, s[4:5]
	ds_bpermute_b32 v15, v14, v11
	v_lshlrev_b32_e32 v16, 2, v8
	v_xor_b32_e32 v17, 1, v6
	s_waitcnt lgkmcnt(1)
	v_cmp_lt_f32_e64 s[4:5], v9, v10
	v_cndmask_b32_e64 v8, v9, v10, s[4:5]
	s_waitcnt lgkmcnt(0)
	v_cmp_lt_f32_e64 s[4:5], v11, v15
	ds_bpermute_b32 v9, v16, v8
	v_cndmask_b32_e64 v10, v11, v15, s[4:5]
	ds_bpermute_b32 v11, v16, v10
	s_mov_b32 s6, 0x3fb8aa3b
	s_mov_b32 s7, 0xc2ce8ed0
	s_waitcnt lgkmcnt(1)
	v_cmp_lt_f32_e64 s[4:5], v8, v9
	v_cndmask_b32_e64 v8, v8, v9, s[4:5]
	s_waitcnt lgkmcnt(0)
	v_cmp_lt_f32_e64 s[4:5], v10, v11
	v_cndmask_b32_e64 v9, v10, v11, s[4:5]
	v_xor_b32_e32 v10, 2, v6
	v_cmp_lt_i32_e64 s[4:5], v10, v7
	v_cndmask_b32_e64 v10, v6, v10, s[4:5]
	v_lshlrev_b32_e32 v15, 2, v10
	ds_bpermute_b32 v11, v15, v8
	ds_bpermute_b32 v10, v15, v9
	v_cmp_lt_i32_e64 s[4:5], v17, v7
	v_cndmask_b32_e64 v6, v6, v17, s[4:5]
	v_lshlrev_b32_e32 v17, 2, v6
	s_waitcnt lgkmcnt(1)
	v_cmp_lt_f32_e64 s[4:5], v8, v11
	v_cndmask_b32_e64 v6, v8, v11, s[4:5]
	s_waitcnt lgkmcnt(0)
	v_cmp_lt_f32_e64 s[4:5], v9, v10
	ds_bpermute_b32 v7, v17, v6
	v_cndmask_b32_e64 v8, v9, v10, s[4:5]
	ds_bpermute_b32 v9, v17, v8
	s_mov_b32 s10, 0x42b17218
	s_waitcnt lgkmcnt(1)
	v_cmp_lt_f32_e64 s[4:5], v6, v7
	v_cndmask_b32_e64 v7, v6, v7, s[4:5]
	s_waitcnt lgkmcnt(0)
	v_cmp_lt_f32_e64 s[4:5], v8, v9
	v_cndmask_b32_e64 v6, v8, v9, s[4:5]
	v_pk_add_f32 v[8:9], v[2:3], v[6:7] neg_lo:[0,1] neg_hi:[0,1]
	v_mul_f32_e32 v10, 0x3fb8aa3b, v9
	v_fma_f32 v11, v9, s6, -v10
	v_rndne_f32_e32 v18, v10
	v_fmac_f32_e32 v11, 0x32a5705f, v9
	v_sub_f32_e32 v10, v10, v18
	v_add_f32_e32 v10, v10, v11
	v_exp_f32_e32 v10, v10
	v_cvt_i32_f32_e32 v11, v18
	v_cmp_ngt_f32_e64 s[4:5], s7, v9
	v_ldexp_f32 v10, v10, v11
	v_mul_f32_e32 v11, 0x3fb8aa3b, v8
	v_fma_f32 v18, v8, s6, -v11
	v_rndne_f32_e32 v19, v11
	v_fmac_f32_e32 v18, 0x32a5705f, v8
	v_sub_f32_e32 v11, v11, v19
	v_add_f32_e32 v11, v11, v18
	v_exp_f32_e32 v11, v11
	v_cvt_i32_f32_e32 v18, v19
	v_cndmask_b32_e64 v10, 0, v10, s[4:5]
	v_mov_b32_e32 v19, 0x7f800000
	v_cmp_nlt_f32_e64 s[4:5], s10, v9
	v_cndmask_b32_e64 v9, v19, v10, s[4:5]
	v_ldexp_f32 v18, v11, v18
	v_pk_add_f32 v[10:11], v[0:1], v[6:7] neg_lo:[0,1] neg_hi:[0,1]
	v_mul_f32_e32 v20, 0x3fb8aa3b, v11
	v_fma_f32 v21, v11, s6, -v20
	v_rndne_f32_e32 v22, v20
	v_fmac_f32_e32 v21, 0x32a5705f, v11
	v_sub_f32_e32 v20, v20, v22
	v_add_f32_e32 v20, v20, v21
	v_exp_f32_e32 v20, v20
	v_cvt_i32_f32_e32 v21, v22
	v_cmp_ngt_f32_e64 s[4:5], s7, v8
	v_cndmask_b32_e64 v18, 0, v18, s[4:5]
	v_cmp_nlt_f32_e64 s[4:5], s10, v8
	v_cndmask_b32_e64 v8, v19, v18, s[4:5]
	v_ldexp_f32 v18, v20, v21
	v_mul_f32_e32 v20, 0x3fb8aa3b, v10
	v_fma_f32 v21, v10, s6, -v20
	v_rndne_f32_e32 v22, v20
	v_fmac_f32_e32 v21, 0x32a5705f, v10
	v_sub_f32_e32 v20, v20, v22
	v_add_f32_e32 v20, v20, v21
	v_exp_f32_e32 v20, v20
	v_cvt_i32_f32_e32 v21, v22
	v_cmp_ngt_f32_e64 s[4:5], s7, v11
	v_cndmask_b32_e64 v18, 0, v18, s[4:5]
	v_cmp_nlt_f32_e64 s[4:5], s10, v11
	v_cndmask_b32_e64 v11, v19, v18, s[4:5]
	v_ldexp_f32 v18, v20, v21
	v_cmp_ngt_f32_e64 s[4:5], s7, v10
	v_cndmask_b32_e64 v18, 0, v18, s[4:5]
	v_cmp_nlt_f32_e64 s[4:5], s10, v10
	v_cndmask_b32_e64 v10, v19, v18, s[4:5]
	v_pk_add_f32 v[8:9], v[8:9], v[10:11]
	ds_bpermute_b32 v10, v13, v8
	ds_bpermute_b32 v11, v13, v9
	s_waitcnt lgkmcnt(0)
	v_pk_add_f32 v[8:9], v[8:9], v[10:11]
	ds_bpermute_b32 v10, v14, v8
	ds_bpermute_b32 v11, v14, v9
	s_waitcnt lgkmcnt(0)
	;; [unrolled: 4-line block ×4, first 2 shown]
	v_pk_add_f32 v[8:9], v[8:9], v[10:11]
	ds_bpermute_b32 v10, v17, v8
	ds_bpermute_b32 v11, v17, v9
	s_and_saveexec_b64 s[4:5], s[2:3]
	s_cbranch_execz .LBB48_16
; %bb.9:
	v_mov_b32_e32 v13, s9
	v_add_co_u32_e64 v4, s[2:3], s8, v4
	v_addc_co_u32_e64 v5, s[2:3], v13, v5, s[2:3]
	s_waitcnt lgkmcnt(0)
	v_pk_add_f32 v[8:9], v[8:9], v[10:11]
	s_and_saveexec_b64 s[6:7], s[0:1]
	s_cbranch_execz .LBB48_12
; %bb.10:
	s_mov_b32 s2, 0x800000
	v_mov_b32_e32 v10, 0x4f800000
	v_cmp_gt_f32_e64 s[2:3], s2, v8
	v_cndmask_b32_e64 v10, 1.0, v10, s[2:3]
	v_mul_f32_e32 v8, v8, v10
	v_log_f32_e32 v8, v8
	s_mov_b32 s4, 0x3f317217
	v_sub_f32_e32 v2, v2, v6
	v_mul_f32_e32 v10, 0x3f317217, v8
	v_fma_f32 v11, v8, s4, -v10
	v_fmac_f32_e32 v11, 0x3377d1cf, v8
	s_mov_b32 s4, 0x7f800000
	v_add_f32_e32 v10, v10, v11
	v_cmp_lt_f32_e64 s[4:5], |v8|, s4
	v_cndmask_b32_e64 v8, v8, v10, s[4:5]
	v_mov_b32_e32 v10, 0x41b17218
	v_cndmask_b32_e64 v10, 0, v10, s[2:3]
	v_sub_f32_e32 v8, v8, v10
	v_sub_f32_e32 v2, v2, v8
	global_store_dword v[4:5], v2, off
	s_and_b64 exec, exec, vcc
	s_cbranch_execz .LBB48_12
; %bb.11:
	v_sub_f32_e32 v0, v0, v6
	v_sub_f32_e32 v0, v0, v8
	global_store_dword v[4:5], v0, off offset:128
.LBB48_12:
	s_or_b64 exec, exec, s[6:7]
	v_cmp_ne_u32_e64 s[2:3], 1, v12
	s_and_b64 exec, exec, s[2:3]
	s_cbranch_execz .LBB48_16
; %bb.13:
	s_and_b64 exec, exec, s[0:1]
	s_cbranch_execz .LBB48_16
; %bb.14:
	s_mov_b32 s0, 0x800000
	v_mov_b32_e32 v0, 0x4f800000
	v_cmp_gt_f32_e64 s[0:1], s0, v9
	v_cndmask_b32_e64 v0, 1.0, v0, s[0:1]
	v_mul_f32_e32 v0, v9, v0
	v_log_f32_e32 v0, v0
	s_mov_b32 s2, 0x3f317217
	s_mov_b32 s15, 0
	v_mul_f32_e32 v2, 0x3f317217, v0
	v_fma_f32 v6, v0, s2, -v2
	v_fmac_f32_e32 v6, 0x3377d1cf, v0
	s_mov_b32 s2, 0x7f800000
	v_add_f32_e32 v2, v2, v6
	v_cmp_lt_f32_e64 s[2:3], |v0|, s2
	v_cndmask_b32_e64 v0, v0, v2, s[2:3]
	v_mov_b32_e32 v2, 0x41b17218
	v_cndmask_b32_e64 v2, 0, v2, s[0:1]
	v_sub_f32_e32 v0, v0, v2
	v_sub_f32_e32 v2, v3, v7
	s_lshl_b64 s[0:1], s[14:15], 2
	v_sub_f32_e32 v6, v2, v0
	v_mov_b32_e32 v3, s1
	v_add_co_u32_e64 v2, s[0:1], s0, v4
	v_addc_co_u32_e64 v3, s[0:1], v5, v3, s[0:1]
	global_store_dword v[2:3], v6, off
	s_and_b64 exec, exec, vcc
	s_cbranch_execz .LBB48_16
; %bb.15:
	s_ashr_i32 s15, s14, 31
	v_sub_f32_e32 v1, v1, v7
	s_lshl_b64 s[0:1], s[14:15], 2
	v_sub_f32_e32 v2, v1, v0
	v_mov_b32_e32 v1, s1
	v_add_co_u32_e32 v0, vcc, s0, v4
	v_addc_co_u32_e32 v1, vcc, v5, v1, vcc
	global_store_dword v[0:1], v2, off offset:128
.LBB48_16:
	s_endpgm
	.section	.rodata,"a",@progbits
	.p2align	6, 0x0
	.amdhsa_kernel _ZN12_GLOBAL__N_120softmax_warp_forwardIfffLi6ELb1ELb0ELi32EEEvPT0_PKT_iiiPKbib
		.amdhsa_group_segment_fixed_size 0
		.amdhsa_private_segment_fixed_size 0
		.amdhsa_kernarg_size 304
		.amdhsa_user_sgpr_count 6
		.amdhsa_user_sgpr_private_segment_buffer 1
		.amdhsa_user_sgpr_dispatch_ptr 0
		.amdhsa_user_sgpr_queue_ptr 0
		.amdhsa_user_sgpr_kernarg_segment_ptr 1
		.amdhsa_user_sgpr_dispatch_id 0
		.amdhsa_user_sgpr_flat_scratch_init 0
		.amdhsa_user_sgpr_kernarg_preload_length 0
		.amdhsa_user_sgpr_kernarg_preload_offset 0
		.amdhsa_user_sgpr_private_segment_size 0
		.amdhsa_uses_dynamic_stack 0
		.amdhsa_system_sgpr_private_segment_wavefront_offset 0
		.amdhsa_system_sgpr_workgroup_id_x 1
		.amdhsa_system_sgpr_workgroup_id_y 0
		.amdhsa_system_sgpr_workgroup_id_z 0
		.amdhsa_system_sgpr_workgroup_info 0
		.amdhsa_system_vgpr_workitem_id 1
		.amdhsa_next_free_vgpr 23
		.amdhsa_next_free_sgpr 16
		.amdhsa_accum_offset 24
		.amdhsa_reserve_vcc 1
		.amdhsa_reserve_flat_scratch 0
		.amdhsa_float_round_mode_32 0
		.amdhsa_float_round_mode_16_64 0
		.amdhsa_float_denorm_mode_32 3
		.amdhsa_float_denorm_mode_16_64 3
		.amdhsa_dx10_clamp 1
		.amdhsa_ieee_mode 1
		.amdhsa_fp16_overflow 0
		.amdhsa_tg_split 0
		.amdhsa_exception_fp_ieee_invalid_op 0
		.amdhsa_exception_fp_denorm_src 0
		.amdhsa_exception_fp_ieee_div_zero 0
		.amdhsa_exception_fp_ieee_overflow 0
		.amdhsa_exception_fp_ieee_underflow 0
		.amdhsa_exception_fp_ieee_inexact 0
		.amdhsa_exception_int_div_zero 0
	.end_amdhsa_kernel
	.section	.text._ZN12_GLOBAL__N_120softmax_warp_forwardIfffLi6ELb1ELb0ELi32EEEvPT0_PKT_iiiPKbib,"axG",@progbits,_ZN12_GLOBAL__N_120softmax_warp_forwardIfffLi6ELb1ELb0ELi32EEEvPT0_PKT_iiiPKbib,comdat
.Lfunc_end48:
	.size	_ZN12_GLOBAL__N_120softmax_warp_forwardIfffLi6ELb1ELb0ELi32EEEvPT0_PKT_iiiPKbib, .Lfunc_end48-_ZN12_GLOBAL__N_120softmax_warp_forwardIfffLi6ELb1ELb0ELi32EEEvPT0_PKT_iiiPKbib
                                        ; -- End function
	.section	.AMDGPU.csdata,"",@progbits
; Kernel info:
; codeLenInByte = 1736
; NumSgprs: 20
; NumVgprs: 23
; NumAgprs: 0
; TotalNumVgprs: 23
; ScratchSize: 0
; MemoryBound: 0
; FloatMode: 240
; IeeeMode: 1
; LDSByteSize: 0 bytes/workgroup (compile time only)
; SGPRBlocks: 2
; VGPRBlocks: 2
; NumSGPRsForWavesPerEU: 20
; NumVGPRsForWavesPerEU: 23
; AccumOffset: 24
; Occupancy: 8
; WaveLimiterHint : 0
; COMPUTE_PGM_RSRC2:SCRATCH_EN: 0
; COMPUTE_PGM_RSRC2:USER_SGPR: 6
; COMPUTE_PGM_RSRC2:TRAP_HANDLER: 0
; COMPUTE_PGM_RSRC2:TGID_X_EN: 1
; COMPUTE_PGM_RSRC2:TGID_Y_EN: 0
; COMPUTE_PGM_RSRC2:TGID_Z_EN: 0
; COMPUTE_PGM_RSRC2:TIDIG_COMP_CNT: 1
; COMPUTE_PGM_RSRC3_GFX90A:ACCUM_OFFSET: 5
; COMPUTE_PGM_RSRC3_GFX90A:TG_SPLIT: 0
	.section	.text._ZN12_GLOBAL__N_120softmax_warp_forwardIfffLi7ELb1ELb0ELi64EEEvPT0_PKT_iiiPKbib,"axG",@progbits,_ZN12_GLOBAL__N_120softmax_warp_forwardIfffLi7ELb1ELb0ELi64EEEvPT0_PKT_iiiPKbib,comdat
	.globl	_ZN12_GLOBAL__N_120softmax_warp_forwardIfffLi7ELb1ELb0ELi64EEEvPT0_PKT_iiiPKbib ; -- Begin function _ZN12_GLOBAL__N_120softmax_warp_forwardIfffLi7ELb1ELb0ELi64EEEvPT0_PKT_iiiPKbib
	.p2align	8
	.type	_ZN12_GLOBAL__N_120softmax_warp_forwardIfffLi7ELb1ELb0ELi64EEEvPT0_PKT_iiiPKbib,@function
_ZN12_GLOBAL__N_120softmax_warp_forwardIfffLi7ELb1ELb0ELi64EEEvPT0_PKT_iiiPKbib: ; @_ZN12_GLOBAL__N_120softmax_warp_forwardIfffLi7ELb1ELb0ELi64EEEvPT0_PKT_iiiPKbib
; %bb.0:
	s_load_dword s0, s[4:5], 0x3c
	s_load_dwordx8 s[8:15], s[4:5], 0x0
	v_bfe_u32 v1, v0, 10, 10
	v_and_b32_e32 v8, 0x3ff, v0
	v_mov_b32_e32 v2, 0xff800000
	s_waitcnt lgkmcnt(0)
	s_lshr_b32 s0, s0, 16
	s_mul_i32 s6, s6, s0
	v_add_lshl_u32 v1, s6, v1, 1
	v_sub_u32_e32 v12, s12, v1
	v_mad_u64_u32 v[0:1], s[0:1], v1, s13, v[8:9]
	v_ashrrev_i32_e32 v1, 31, v0
	v_lshlrev_b64 v[4:5], 2, v[0:1]
	v_mov_b32_e32 v0, s11
	v_add_co_u32_e32 v6, vcc, s10, v4
	v_cmp_lt_i32_e64 s[2:3], 0, v12
	v_cmp_gt_i32_e64 s[0:1], s14, v8
	v_addc_co_u32_e32 v7, vcc, v0, v5, vcc
	s_and_b64 s[6:7], s[2:3], s[0:1]
	v_mov_b32_e32 v0, 0xff800000
	s_and_saveexec_b64 s[4:5], s[6:7]
	s_cbranch_execz .LBB49_2
; %bb.1:
	global_load_dword v2, v[6:7], off
.LBB49_2:
	s_or_b64 exec, exec, s[4:5]
	v_add_u32_e32 v1, 64, v8
	v_cmp_gt_i32_e32 vcc, s14, v1
	s_and_b64 s[6:7], s[2:3], vcc
	s_and_saveexec_b64 s[4:5], s[6:7]
	s_cbranch_execz .LBB49_4
; %bb.3:
	global_load_dword v0, v[6:7], off offset:256
.LBB49_4:
	s_or_b64 exec, exec, s[4:5]
	v_cmp_lt_i32_e64 s[4:5], 1, v12
	s_and_b64 s[6:7], s[4:5], s[0:1]
	v_mov_b32_e32 v1, 0xff800000
	v_mov_b32_e32 v3, 0xff800000
	s_and_saveexec_b64 s[10:11], s[6:7]
	s_cbranch_execz .LBB49_6
; %bb.5:
	s_mov_b32 s15, 0
	s_lshl_b64 s[6:7], s[14:15], 2
	v_mov_b32_e32 v3, s7
	v_add_co_u32_e64 v8, s[6:7], s6, v6
	v_addc_co_u32_e64 v9, s[6:7], v7, v3, s[6:7]
	global_load_dword v3, v[8:9], off
.LBB49_6:
	s_or_b64 exec, exec, s[10:11]
	s_and_b64 s[4:5], s[4:5], vcc
	s_and_saveexec_b64 s[6:7], s[4:5]
	s_cbranch_execz .LBB49_8
; %bb.7:
	s_mov_b32 s15, 0
	s_lshl_b64 s[4:5], s[14:15], 2
	v_mov_b32_e32 v1, s5
	v_add_co_u32_e64 v6, s[4:5], s4, v6
	v_addc_co_u32_e64 v7, s[4:5], v7, v1, s[4:5]
	global_load_dword v1, v[6:7], off offset:256
.LBB49_8:
	s_or_b64 exec, exec, s[6:7]
	v_mbcnt_lo_u32_b32 v6, -1, 0
	v_mbcnt_hi_u32_b32 v6, -1, v6
	v_and_b32_e32 v7, 64, v6
	v_add_u32_e32 v7, 64, v7
	v_xor_b32_e32 v8, 32, v6
	v_cmp_lt_i32_e64 s[4:5], v8, v7
	v_cndmask_b32_e64 v8, v6, v8, s[4:5]
	v_lshlrev_b32_e32 v13, 2, v8
	v_xor_b32_e32 v8, 16, v6
	v_cmp_lt_i32_e64 s[4:5], v8, v7
	v_cndmask_b32_e64 v8, v6, v8, s[4:5]
	v_lshlrev_b32_e32 v14, 2, v8
	v_xor_b32_e32 v8, 8, v6
	v_cmp_lt_i32_e64 s[4:5], v8, v7
	v_cndmask_b32_e64 v8, v6, v8, s[4:5]
	s_waitcnt vmcnt(0)
	v_cmp_gt_f32_e64 s[4:5], v3, v1
	v_lshlrev_b32_e32 v15, 2, v8
	v_cndmask_b32_e64 v8, v1, v3, s[4:5]
	v_cmp_gt_f32_e64 s[4:5], v2, v0
	ds_bpermute_b32 v9, v13, v8
	v_cndmask_b32_e64 v10, v0, v2, s[4:5]
	ds_bpermute_b32 v11, v13, v10
	v_xor_b32_e32 v16, 4, v6
	v_xor_b32_e32 v18, 1, v6
	s_waitcnt lgkmcnt(1)
	v_cmp_lt_f32_e64 s[4:5], v8, v9
	v_cndmask_b32_e64 v8, v8, v9, s[4:5]
	s_waitcnt lgkmcnt(0)
	v_cmp_lt_f32_e64 s[4:5], v10, v11
	ds_bpermute_b32 v9, v14, v8
	v_cndmask_b32_e64 v10, v10, v11, s[4:5]
	ds_bpermute_b32 v11, v14, v10
	v_cmp_lt_i32_e64 s[4:5], v16, v7
	v_cndmask_b32_e64 v16, v6, v16, s[4:5]
	s_waitcnt lgkmcnt(1)
	v_cmp_lt_f32_e64 s[4:5], v8, v9
	v_cndmask_b32_e64 v8, v8, v9, s[4:5]
	s_waitcnt lgkmcnt(0)
	v_cmp_lt_f32_e64 s[4:5], v10, v11
	ds_bpermute_b32 v9, v15, v8
	v_cndmask_b32_e64 v10, v10, v11, s[4:5]
	ds_bpermute_b32 v11, v15, v10
	v_lshlrev_b32_e32 v16, 2, v16
	s_mov_b32 s6, 0x3fb8aa3b
	s_waitcnt lgkmcnt(1)
	v_cmp_lt_f32_e64 s[4:5], v8, v9
	v_cndmask_b32_e64 v8, v8, v9, s[4:5]
	s_waitcnt lgkmcnt(0)
	v_cmp_lt_f32_e64 s[4:5], v10, v11
	ds_bpermute_b32 v9, v16, v8
	v_cndmask_b32_e64 v10, v10, v11, s[4:5]
	ds_bpermute_b32 v11, v16, v10
	s_mov_b32 s7, 0xc2ce8ed0
	s_mov_b32 s10, 0x42b17218
	s_waitcnt lgkmcnt(1)
	v_cmp_lt_f32_e64 s[4:5], v8, v9
	v_cndmask_b32_e64 v8, v8, v9, s[4:5]
	s_waitcnt lgkmcnt(0)
	v_cmp_lt_f32_e64 s[4:5], v10, v11
	v_cndmask_b32_e64 v9, v10, v11, s[4:5]
	v_xor_b32_e32 v10, 2, v6
	v_cmp_lt_i32_e64 s[4:5], v10, v7
	v_cndmask_b32_e64 v10, v6, v10, s[4:5]
	v_lshlrev_b32_e32 v17, 2, v10
	ds_bpermute_b32 v11, v17, v8
	ds_bpermute_b32 v10, v17, v9
	v_cmp_lt_i32_e64 s[4:5], v18, v7
	v_cndmask_b32_e64 v6, v6, v18, s[4:5]
	v_lshlrev_b32_e32 v18, 2, v6
	s_waitcnt lgkmcnt(1)
	v_cmp_lt_f32_e64 s[4:5], v8, v11
	v_cndmask_b32_e64 v6, v8, v11, s[4:5]
	s_waitcnt lgkmcnt(0)
	v_cmp_lt_f32_e64 s[4:5], v9, v10
	ds_bpermute_b32 v7, v18, v6
	v_cndmask_b32_e64 v8, v9, v10, s[4:5]
	ds_bpermute_b32 v9, v18, v8
	s_waitcnt lgkmcnt(1)
	v_cmp_lt_f32_e64 s[4:5], v6, v7
	v_cndmask_b32_e64 v7, v6, v7, s[4:5]
	s_waitcnt lgkmcnt(0)
	v_cmp_lt_f32_e64 s[4:5], v8, v9
	v_cndmask_b32_e64 v6, v8, v9, s[4:5]
	v_pk_add_f32 v[8:9], v[2:3], v[6:7] neg_lo:[0,1] neg_hi:[0,1]
	v_mul_f32_e32 v10, 0x3fb8aa3b, v9
	v_fma_f32 v11, v9, s6, -v10
	v_rndne_f32_e32 v19, v10
	v_fmac_f32_e32 v11, 0x32a5705f, v9
	v_sub_f32_e32 v10, v10, v19
	v_add_f32_e32 v10, v10, v11
	v_exp_f32_e32 v10, v10
	v_cvt_i32_f32_e32 v11, v19
	v_cmp_ngt_f32_e64 s[4:5], s7, v9
	v_ldexp_f32 v10, v10, v11
	v_mul_f32_e32 v11, 0x3fb8aa3b, v8
	v_fma_f32 v19, v8, s6, -v11
	v_rndne_f32_e32 v20, v11
	v_fmac_f32_e32 v19, 0x32a5705f, v8
	v_sub_f32_e32 v11, v11, v20
	v_add_f32_e32 v11, v11, v19
	v_exp_f32_e32 v11, v11
	v_cvt_i32_f32_e32 v19, v20
	v_cndmask_b32_e64 v10, 0, v10, s[4:5]
	v_mov_b32_e32 v20, 0x7f800000
	v_cmp_nlt_f32_e64 s[4:5], s10, v9
	v_cndmask_b32_e64 v9, v20, v10, s[4:5]
	v_ldexp_f32 v19, v11, v19
	v_pk_add_f32 v[10:11], v[0:1], v[6:7] neg_lo:[0,1] neg_hi:[0,1]
	v_mul_f32_e32 v21, 0x3fb8aa3b, v11
	v_fma_f32 v22, v11, s6, -v21
	v_rndne_f32_e32 v23, v21
	v_fmac_f32_e32 v22, 0x32a5705f, v11
	v_sub_f32_e32 v21, v21, v23
	v_add_f32_e32 v21, v21, v22
	v_exp_f32_e32 v21, v21
	v_cvt_i32_f32_e32 v22, v23
	v_cmp_ngt_f32_e64 s[4:5], s7, v8
	v_cndmask_b32_e64 v19, 0, v19, s[4:5]
	v_cmp_nlt_f32_e64 s[4:5], s10, v8
	v_cndmask_b32_e64 v8, v20, v19, s[4:5]
	v_ldexp_f32 v19, v21, v22
	v_mul_f32_e32 v21, 0x3fb8aa3b, v10
	v_fma_f32 v22, v10, s6, -v21
	v_rndne_f32_e32 v23, v21
	v_fmac_f32_e32 v22, 0x32a5705f, v10
	v_sub_f32_e32 v21, v21, v23
	v_add_f32_e32 v21, v21, v22
	v_exp_f32_e32 v21, v21
	v_cvt_i32_f32_e32 v22, v23
	v_cmp_ngt_f32_e64 s[4:5], s7, v11
	v_cndmask_b32_e64 v19, 0, v19, s[4:5]
	v_cmp_nlt_f32_e64 s[4:5], s10, v11
	v_cndmask_b32_e64 v11, v20, v19, s[4:5]
	v_ldexp_f32 v19, v21, v22
	v_cmp_ngt_f32_e64 s[4:5], s7, v10
	v_cndmask_b32_e64 v19, 0, v19, s[4:5]
	v_cmp_nlt_f32_e64 s[4:5], s10, v10
	v_cndmask_b32_e64 v10, v20, v19, s[4:5]
	v_pk_add_f32 v[8:9], v[8:9], v[10:11]
	ds_bpermute_b32 v10, v13, v8
	ds_bpermute_b32 v11, v13, v9
	s_waitcnt lgkmcnt(0)
	v_pk_add_f32 v[8:9], v[8:9], v[10:11]
	ds_bpermute_b32 v10, v14, v8
	ds_bpermute_b32 v11, v14, v9
	s_waitcnt lgkmcnt(0)
	;; [unrolled: 4-line block ×5, first 2 shown]
	v_pk_add_f32 v[8:9], v[8:9], v[10:11]
	ds_bpermute_b32 v10, v18, v8
	ds_bpermute_b32 v11, v18, v9
	s_and_saveexec_b64 s[4:5], s[2:3]
	s_cbranch_execz .LBB49_16
; %bb.9:
	v_mov_b32_e32 v13, s9
	v_add_co_u32_e64 v4, s[2:3], s8, v4
	v_addc_co_u32_e64 v5, s[2:3], v13, v5, s[2:3]
	s_waitcnt lgkmcnt(0)
	v_pk_add_f32 v[8:9], v[8:9], v[10:11]
	s_and_saveexec_b64 s[6:7], s[0:1]
	s_cbranch_execz .LBB49_12
; %bb.10:
	s_mov_b32 s2, 0x800000
	v_mov_b32_e32 v10, 0x4f800000
	v_cmp_gt_f32_e64 s[2:3], s2, v8
	v_cndmask_b32_e64 v10, 1.0, v10, s[2:3]
	v_mul_f32_e32 v8, v8, v10
	v_log_f32_e32 v8, v8
	s_mov_b32 s4, 0x3f317217
	v_sub_f32_e32 v2, v2, v6
	v_mul_f32_e32 v10, 0x3f317217, v8
	v_fma_f32 v11, v8, s4, -v10
	v_fmac_f32_e32 v11, 0x3377d1cf, v8
	s_mov_b32 s4, 0x7f800000
	v_add_f32_e32 v10, v10, v11
	v_cmp_lt_f32_e64 s[4:5], |v8|, s4
	v_cndmask_b32_e64 v8, v8, v10, s[4:5]
	v_mov_b32_e32 v10, 0x41b17218
	v_cndmask_b32_e64 v10, 0, v10, s[2:3]
	v_sub_f32_e32 v8, v8, v10
	v_sub_f32_e32 v2, v2, v8
	global_store_dword v[4:5], v2, off
	s_and_b64 exec, exec, vcc
	s_cbranch_execz .LBB49_12
; %bb.11:
	v_sub_f32_e32 v0, v0, v6
	v_sub_f32_e32 v0, v0, v8
	global_store_dword v[4:5], v0, off offset:256
.LBB49_12:
	s_or_b64 exec, exec, s[6:7]
	v_cmp_ne_u32_e64 s[2:3], 1, v12
	s_and_b64 exec, exec, s[2:3]
	s_cbranch_execz .LBB49_16
; %bb.13:
	s_and_b64 exec, exec, s[0:1]
	s_cbranch_execz .LBB49_16
; %bb.14:
	s_mov_b32 s0, 0x800000
	v_mov_b32_e32 v0, 0x4f800000
	v_cmp_gt_f32_e64 s[0:1], s0, v9
	v_cndmask_b32_e64 v0, 1.0, v0, s[0:1]
	v_mul_f32_e32 v0, v9, v0
	v_log_f32_e32 v0, v0
	s_mov_b32 s2, 0x3f317217
	s_mov_b32 s15, 0
	v_mul_f32_e32 v2, 0x3f317217, v0
	v_fma_f32 v6, v0, s2, -v2
	v_fmac_f32_e32 v6, 0x3377d1cf, v0
	s_mov_b32 s2, 0x7f800000
	v_add_f32_e32 v2, v2, v6
	v_cmp_lt_f32_e64 s[2:3], |v0|, s2
	v_cndmask_b32_e64 v0, v0, v2, s[2:3]
	v_mov_b32_e32 v2, 0x41b17218
	v_cndmask_b32_e64 v2, 0, v2, s[0:1]
	v_sub_f32_e32 v0, v0, v2
	v_sub_f32_e32 v2, v3, v7
	s_lshl_b64 s[0:1], s[14:15], 2
	v_sub_f32_e32 v6, v2, v0
	v_mov_b32_e32 v3, s1
	v_add_co_u32_e64 v2, s[0:1], s0, v4
	v_addc_co_u32_e64 v3, s[0:1], v5, v3, s[0:1]
	global_store_dword v[2:3], v6, off
	s_and_b64 exec, exec, vcc
	s_cbranch_execz .LBB49_16
; %bb.15:
	s_ashr_i32 s15, s14, 31
	v_sub_f32_e32 v1, v1, v7
	s_lshl_b64 s[0:1], s[14:15], 2
	v_sub_f32_e32 v2, v1, v0
	v_mov_b32_e32 v1, s1
	v_add_co_u32_e32 v0, vcc, s0, v4
	v_addc_co_u32_e32 v1, vcc, v5, v1, vcc
	global_store_dword v[0:1], v2, off offset:256
.LBB49_16:
	s_endpgm
	.section	.rodata,"a",@progbits
	.p2align	6, 0x0
	.amdhsa_kernel _ZN12_GLOBAL__N_120softmax_warp_forwardIfffLi7ELb1ELb0ELi64EEEvPT0_PKT_iiiPKbib
		.amdhsa_group_segment_fixed_size 0
		.amdhsa_private_segment_fixed_size 0
		.amdhsa_kernarg_size 304
		.amdhsa_user_sgpr_count 6
		.amdhsa_user_sgpr_private_segment_buffer 1
		.amdhsa_user_sgpr_dispatch_ptr 0
		.amdhsa_user_sgpr_queue_ptr 0
		.amdhsa_user_sgpr_kernarg_segment_ptr 1
		.amdhsa_user_sgpr_dispatch_id 0
		.amdhsa_user_sgpr_flat_scratch_init 0
		.amdhsa_user_sgpr_kernarg_preload_length 0
		.amdhsa_user_sgpr_kernarg_preload_offset 0
		.amdhsa_user_sgpr_private_segment_size 0
		.amdhsa_uses_dynamic_stack 0
		.amdhsa_system_sgpr_private_segment_wavefront_offset 0
		.amdhsa_system_sgpr_workgroup_id_x 1
		.amdhsa_system_sgpr_workgroup_id_y 0
		.amdhsa_system_sgpr_workgroup_id_z 0
		.amdhsa_system_sgpr_workgroup_info 0
		.amdhsa_system_vgpr_workitem_id 1
		.amdhsa_next_free_vgpr 24
		.amdhsa_next_free_sgpr 16
		.amdhsa_accum_offset 24
		.amdhsa_reserve_vcc 1
		.amdhsa_reserve_flat_scratch 0
		.amdhsa_float_round_mode_32 0
		.amdhsa_float_round_mode_16_64 0
		.amdhsa_float_denorm_mode_32 3
		.amdhsa_float_denorm_mode_16_64 3
		.amdhsa_dx10_clamp 1
		.amdhsa_ieee_mode 1
		.amdhsa_fp16_overflow 0
		.amdhsa_tg_split 0
		.amdhsa_exception_fp_ieee_invalid_op 0
		.amdhsa_exception_fp_denorm_src 0
		.amdhsa_exception_fp_ieee_div_zero 0
		.amdhsa_exception_fp_ieee_overflow 0
		.amdhsa_exception_fp_ieee_underflow 0
		.amdhsa_exception_fp_ieee_inexact 0
		.amdhsa_exception_int_div_zero 0
	.end_amdhsa_kernel
	.section	.text._ZN12_GLOBAL__N_120softmax_warp_forwardIfffLi7ELb1ELb0ELi64EEEvPT0_PKT_iiiPKbib,"axG",@progbits,_ZN12_GLOBAL__N_120softmax_warp_forwardIfffLi7ELb1ELb0ELi64EEEvPT0_PKT_iiiPKbib,comdat
.Lfunc_end49:
	.size	_ZN12_GLOBAL__N_120softmax_warp_forwardIfffLi7ELb1ELb0ELi64EEEvPT0_PKT_iiiPKbib, .Lfunc_end49-_ZN12_GLOBAL__N_120softmax_warp_forwardIfffLi7ELb1ELb0ELi64EEEvPT0_PKT_iiiPKbib
                                        ; -- End function
	.section	.AMDGPU.csdata,"",@progbits
; Kernel info:
; codeLenInByte = 1840
; NumSgprs: 20
; NumVgprs: 24
; NumAgprs: 0
; TotalNumVgprs: 24
; ScratchSize: 0
; MemoryBound: 0
; FloatMode: 240
; IeeeMode: 1
; LDSByteSize: 0 bytes/workgroup (compile time only)
; SGPRBlocks: 2
; VGPRBlocks: 2
; NumSGPRsForWavesPerEU: 20
; NumVGPRsForWavesPerEU: 24
; AccumOffset: 24
; Occupancy: 8
; WaveLimiterHint : 0
; COMPUTE_PGM_RSRC2:SCRATCH_EN: 0
; COMPUTE_PGM_RSRC2:USER_SGPR: 6
; COMPUTE_PGM_RSRC2:TRAP_HANDLER: 0
; COMPUTE_PGM_RSRC2:TGID_X_EN: 1
; COMPUTE_PGM_RSRC2:TGID_Y_EN: 0
; COMPUTE_PGM_RSRC2:TGID_Z_EN: 0
; COMPUTE_PGM_RSRC2:TIDIG_COMP_CNT: 1
; COMPUTE_PGM_RSRC3_GFX90A:ACCUM_OFFSET: 5
; COMPUTE_PGM_RSRC3_GFX90A:TG_SPLIT: 0
	.section	.text._ZN12_GLOBAL__N_120softmax_warp_forwardIfffLi7ELb1ELb0ELi32EEEvPT0_PKT_iiiPKbib,"axG",@progbits,_ZN12_GLOBAL__N_120softmax_warp_forwardIfffLi7ELb1ELb0ELi32EEEvPT0_PKT_iiiPKbib,comdat
	.globl	_ZN12_GLOBAL__N_120softmax_warp_forwardIfffLi7ELb1ELb0ELi32EEEvPT0_PKT_iiiPKbib ; -- Begin function _ZN12_GLOBAL__N_120softmax_warp_forwardIfffLi7ELb1ELb0ELi32EEEvPT0_PKT_iiiPKbib
	.p2align	8
	.type	_ZN12_GLOBAL__N_120softmax_warp_forwardIfffLi7ELb1ELb0ELi32EEEvPT0_PKT_iiiPKbib,@function
_ZN12_GLOBAL__N_120softmax_warp_forwardIfffLi7ELb1ELb0ELi32EEEvPT0_PKT_iiiPKbib: ; @_ZN12_GLOBAL__N_120softmax_warp_forwardIfffLi7ELb1ELb0ELi32EEEvPT0_PKT_iiiPKbib
; %bb.0:
	s_load_dword s0, s[4:5], 0x3c
	s_load_dwordx8 s[12:19], s[4:5], 0x0
	v_bfe_u32 v1, v0, 10, 10
	v_and_b32_e32 v12, 0x3ff, v0
	v_mov_b32_e32 v4, 0xff800000
	s_waitcnt lgkmcnt(0)
	s_lshr_b32 s0, s0, 16
	s_mul_i32 s6, s6, s0
	v_add_lshl_u32 v1, s6, v1, 1
	v_sub_u32_e32 v16, s16, v1
	v_mad_u64_u32 v[0:1], s[0:1], v1, s17, v[12:13]
	v_ashrrev_i32_e32 v1, 31, v0
	v_lshlrev_b64 v[8:9], 2, v[0:1]
	v_mov_b32_e32 v0, s15
	v_add_co_u32_e32 v10, vcc, s14, v8
	v_cmp_lt_i32_e64 s[6:7], 0, v16
	v_cmp_gt_i32_e64 s[4:5], s18, v12
	v_addc_co_u32_e32 v11, vcc, v0, v9, vcc
	s_and_b64 s[2:3], s[6:7], s[4:5]
	v_mov_b32_e32 v0, 0xff800000
	s_and_saveexec_b64 s[0:1], s[2:3]
	s_cbranch_execz .LBB50_2
; %bb.1:
	global_load_dword v4, v[10:11], off
.LBB50_2:
	s_or_b64 exec, exec, s[0:1]
	v_add_u32_e32 v1, 32, v12
	v_cmp_gt_i32_e32 vcc, s18, v1
	s_and_b64 s[2:3], s[6:7], vcc
	s_and_saveexec_b64 s[0:1], s[2:3]
	s_cbranch_execz .LBB50_4
; %bb.3:
	global_load_dword v0, v[10:11], off offset:128
.LBB50_4:
	s_or_b64 exec, exec, s[0:1]
	v_add_u32_e32 v1, 64, v12
	v_cmp_gt_i32_e64 s[0:1], s18, v1
	s_and_b64 s[8:9], s[6:7], s[0:1]
	v_mov_b32_e32 v2, 0xff800000
	v_mov_b32_e32 v6, 0xff800000
	s_and_saveexec_b64 s[2:3], s[8:9]
	s_cbranch_execz .LBB50_6
; %bb.5:
	global_load_dword v6, v[10:11], off offset:256
.LBB50_6:
	s_or_b64 exec, exec, s[2:3]
	v_add_u32_e32 v1, 0x60, v12
	v_cmp_gt_i32_e64 s[2:3], s18, v1
	s_and_b64 s[10:11], s[6:7], s[2:3]
	s_and_saveexec_b64 s[8:9], s[10:11]
	s_cbranch_execz .LBB50_8
; %bb.7:
	global_load_dword v2, v[10:11], off offset:384
.LBB50_8:
	s_or_b64 exec, exec, s[8:9]
	v_cmp_lt_i32_e64 s[8:9], 1, v16
	s_and_b64 s[10:11], s[8:9], s[4:5]
	v_mov_b32_e32 v1, 0xff800000
	v_mov_b32_e32 v5, 0xff800000
	s_and_saveexec_b64 s[14:15], s[10:11]
	s_cbranch_execz .LBB50_10
; %bb.9:
	s_mov_b32 s19, 0
	s_lshl_b64 s[10:11], s[18:19], 2
	v_mov_b32_e32 v3, s11
	v_add_co_u32_e64 v12, s[10:11], s10, v10
	v_addc_co_u32_e64 v13, s[10:11], v11, v3, s[10:11]
	global_load_dword v5, v[12:13], off
.LBB50_10:
	s_or_b64 exec, exec, s[14:15]
	s_and_b64 s[10:11], s[8:9], vcc
	s_and_saveexec_b64 s[14:15], s[10:11]
	s_cbranch_execz .LBB50_12
; %bb.11:
	s_mov_b32 s19, 0
	s_lshl_b64 s[10:11], s[18:19], 2
	v_mov_b32_e32 v1, s11
	v_add_co_u32_e64 v12, s[10:11], s10, v10
	v_addc_co_u32_e64 v13, s[10:11], v11, v1, s[10:11]
	global_load_dword v1, v[12:13], off offset:128
.LBB50_12:
	s_or_b64 exec, exec, s[14:15]
	s_and_b64 s[10:11], s[8:9], s[0:1]
	v_mov_b32_e32 v3, 0xff800000
	v_mov_b32_e32 v7, 0xff800000
	s_and_saveexec_b64 s[14:15], s[10:11]
	s_cbranch_execz .LBB50_14
; %bb.13:
	s_mov_b32 s19, 0
	s_lshl_b64 s[10:11], s[18:19], 2
	v_mov_b32_e32 v7, s11
	v_add_co_u32_e64 v12, s[10:11], s10, v10
	v_addc_co_u32_e64 v13, s[10:11], v11, v7, s[10:11]
	global_load_dword v7, v[12:13], off offset:256
.LBB50_14:
	s_or_b64 exec, exec, s[14:15]
	s_and_b64 s[8:9], s[8:9], s[2:3]
	s_and_saveexec_b64 s[10:11], s[8:9]
	s_cbranch_execz .LBB50_16
; %bb.15:
	s_mov_b32 s19, 0
	s_lshl_b64 s[8:9], s[18:19], 2
	v_mov_b32_e32 v3, s9
	v_add_co_u32_e64 v10, s[8:9], s8, v10
	v_addc_co_u32_e64 v11, s[8:9], v11, v3, s[8:9]
	global_load_dword v3, v[10:11], off offset:384
.LBB50_16:
	s_or_b64 exec, exec, s[10:11]
	v_mbcnt_lo_u32_b32 v12, -1, 0
	v_mbcnt_hi_u32_b32 v12, -1, v12
	s_waitcnt vmcnt(0)
	v_cmp_gt_f32_e64 s[8:9], v4, v0
	v_and_b32_e32 v13, 0x60, v12
	v_cndmask_b32_e64 v10, v0, v4, s[8:9]
	v_cmp_gt_f32_e64 s[8:9], v5, v1
	v_add_u32_e32 v13, 32, v13
	v_xor_b32_e32 v14, 16, v12
	v_cndmask_b32_e64 v11, v1, v5, s[8:9]
	v_cmp_lt_i32_e64 s[8:9], v14, v13
	v_cndmask_b32_e64 v14, v12, v14, s[8:9]
	v_lshlrev_b32_e32 v17, 2, v14
	v_xor_b32_e32 v14, 8, v12
	v_cmp_lt_i32_e64 s[8:9], v14, v13
	v_cndmask_b32_e64 v14, v12, v14, s[8:9]
	v_lshlrev_b32_e32 v22, 2, v14
	v_xor_b32_e32 v14, 4, v12
	v_cmp_lt_i32_e64 s[8:9], v14, v13
	v_cndmask_b32_e64 v14, v12, v14, s[8:9]
	v_cmp_gt_f32_e64 s[8:9], v11, v7
	v_cndmask_b32_e64 v11, v7, v11, s[8:9]
	v_cmp_gt_f32_e64 s[8:9], v11, v3
	v_cndmask_b32_e64 v11, v3, v11, s[8:9]
	ds_bpermute_b32 v15, v17, v11
	v_cmp_gt_f32_e64 s[8:9], v10, v6
	v_cndmask_b32_e64 v10, v6, v10, s[8:9]
	v_cmp_gt_f32_e64 s[8:9], v10, v2
	v_cndmask_b32_e64 v10, v2, v10, s[8:9]
	ds_bpermute_b32 v18, v17, v10
	s_waitcnt lgkmcnt(1)
	v_cmp_lt_f32_e64 s[8:9], v11, v15
	v_cndmask_b32_e64 v11, v11, v15, s[8:9]
	v_lshlrev_b32_e32 v23, 2, v14
	v_xor_b32_e32 v14, 2, v12
	ds_bpermute_b32 v15, v22, v11
	v_cmp_lt_i32_e64 s[8:9], v14, v13
	v_cndmask_b32_e64 v14, v12, v14, s[8:9]
	s_waitcnt lgkmcnt(1)
	v_cmp_lt_f32_e64 s[8:9], v10, v18
	v_cndmask_b32_e64 v10, v10, v18, s[8:9]
	ds_bpermute_b32 v18, v22, v10
	s_waitcnt lgkmcnt(1)
	v_cmp_lt_f32_e64 s[8:9], v11, v15
	v_cndmask_b32_e64 v11, v11, v15, s[8:9]
	ds_bpermute_b32 v15, v23, v11
	v_lshlrev_b32_e32 v24, 2, v14
	s_waitcnt lgkmcnt(1)
	v_cmp_lt_f32_e64 s[8:9], v10, v18
	v_cndmask_b32_e64 v10, v10, v18, s[8:9]
	ds_bpermute_b32 v14, v23, v10
	s_waitcnt lgkmcnt(1)
	v_cmp_lt_f32_e64 s[8:9], v11, v15
	v_cndmask_b32_e64 v11, v11, v15, s[8:9]
	ds_bpermute_b32 v15, v24, v11
	s_mov_b32 s10, 0x3fb8aa3b
	s_waitcnt lgkmcnt(1)
	v_cmp_lt_f32_e64 s[8:9], v10, v14
	v_cndmask_b32_e64 v10, v10, v14, s[8:9]
	ds_bpermute_b32 v14, v24, v10
	s_waitcnt lgkmcnt(1)
	v_cmp_lt_f32_e64 s[8:9], v11, v15
	v_cndmask_b32_e64 v11, v11, v15, s[8:9]
	v_xor_b32_e32 v15, 1, v12
	v_cmp_lt_i32_e64 s[8:9], v15, v13
	v_cndmask_b32_e64 v12, v12, v15, s[8:9]
	v_lshlrev_b32_e32 v25, 2, v12
	s_waitcnt lgkmcnt(0)
	v_cmp_lt_f32_e64 s[8:9], v10, v14
	ds_bpermute_b32 v12, v25, v11
	v_cndmask_b32_e64 v10, v10, v14, s[8:9]
	ds_bpermute_b32 v13, v25, v10
	s_mov_b32 s11, 0xc2ce8ed0
	s_mov_b32 s14, 0x42b17218
	s_waitcnt lgkmcnt(1)
	v_cmp_lt_f32_e64 s[8:9], v11, v12
	v_cndmask_b32_e64 v11, v11, v12, s[8:9]
	s_waitcnt lgkmcnt(0)
	v_cmp_lt_f32_e64 s[8:9], v10, v13
	v_cndmask_b32_e64 v10, v10, v13, s[8:9]
	v_pk_add_f32 v[12:13], v[4:5], v[10:11] neg_lo:[0,1] neg_hi:[0,1]
	v_mul_f32_e32 v14, 0x3fb8aa3b, v13
	v_fma_f32 v15, v13, s10, -v14
	v_rndne_f32_e32 v18, v14
	v_fmac_f32_e32 v15, 0x32a5705f, v13
	v_sub_f32_e32 v14, v14, v18
	v_add_f32_e32 v14, v14, v15
	v_exp_f32_e32 v14, v14
	v_cvt_i32_f32_e32 v15, v18
	v_cmp_ngt_f32_e64 s[8:9], s11, v13
	v_mov_b32_e32 v26, 0x7f800000
	v_ldexp_f32 v14, v14, v15
	v_mul_f32_e32 v15, 0x3fb8aa3b, v12
	v_fma_f32 v18, v12, s10, -v15
	v_rndne_f32_e32 v19, v15
	v_fmac_f32_e32 v18, 0x32a5705f, v12
	v_sub_f32_e32 v15, v15, v19
	v_add_f32_e32 v15, v15, v18
	v_exp_f32_e32 v15, v15
	v_cvt_i32_f32_e32 v18, v19
	v_cndmask_b32_e64 v14, 0, v14, s[8:9]
	v_cmp_nlt_f32_e64 s[8:9], s14, v13
	v_cndmask_b32_e64 v13, v26, v14, s[8:9]
	v_ldexp_f32 v18, v15, v18
	v_pk_add_f32 v[14:15], v[0:1], v[10:11] neg_lo:[0,1] neg_hi:[0,1]
	v_mul_f32_e32 v19, 0x3fb8aa3b, v15
	v_fma_f32 v20, v15, s10, -v19
	v_rndne_f32_e32 v21, v19
	v_fmac_f32_e32 v20, 0x32a5705f, v15
	v_sub_f32_e32 v19, v19, v21
	v_add_f32_e32 v19, v19, v20
	v_exp_f32_e32 v19, v19
	v_cvt_i32_f32_e32 v20, v21
	v_cmp_ngt_f32_e64 s[8:9], s11, v12
	v_cndmask_b32_e64 v18, 0, v18, s[8:9]
	v_cmp_nlt_f32_e64 s[8:9], s14, v12
	v_cndmask_b32_e64 v12, v26, v18, s[8:9]
	v_ldexp_f32 v18, v19, v20
	v_mul_f32_e32 v19, 0x3fb8aa3b, v14
	v_fma_f32 v20, v14, s10, -v19
	v_rndne_f32_e32 v21, v19
	v_fmac_f32_e32 v20, 0x32a5705f, v14
	v_sub_f32_e32 v19, v19, v21
	v_add_f32_e32 v19, v19, v20
	v_exp_f32_e32 v19, v19
	v_cvt_i32_f32_e32 v20, v21
	v_cmp_ngt_f32_e64 s[8:9], s11, v15
	v_cndmask_b32_e64 v18, 0, v18, s[8:9]
	v_cmp_nlt_f32_e64 s[8:9], s14, v15
	v_cndmask_b32_e64 v15, v26, v18, s[8:9]
	v_ldexp_f32 v18, v19, v20
	v_cmp_ngt_f32_e64 s[8:9], s11, v14
	v_cndmask_b32_e64 v20, 0, v18, s[8:9]
	v_pk_add_f32 v[18:19], v[6:7], v[10:11] neg_lo:[0,1] neg_hi:[0,1]
	v_mul_f32_e32 v21, 0x3fb8aa3b, v19
	v_fma_f32 v27, v19, s10, -v21
	v_rndne_f32_e32 v28, v21
	v_fmac_f32_e32 v27, 0x32a5705f, v19
	v_sub_f32_e32 v21, v21, v28
	v_add_f32_e32 v21, v21, v27
	v_exp_f32_e32 v21, v21
	v_cvt_i32_f32_e32 v27, v28
	v_cmp_nlt_f32_e64 s[8:9], s14, v14
	v_cndmask_b32_e64 v14, v26, v20, s[8:9]
	v_pk_add_f32 v[12:13], v[12:13], v[14:15]
	v_mul_f32_e32 v15, 0x3fb8aa3b, v18
	v_ldexp_f32 v14, v21, v27
	v_fma_f32 v20, v18, s10, -v15
	v_rndne_f32_e32 v21, v15
	v_fmac_f32_e32 v20, 0x32a5705f, v18
	v_sub_f32_e32 v15, v15, v21
	v_add_f32_e32 v15, v15, v20
	v_exp_f32_e32 v20, v15
	v_cvt_i32_f32_e32 v21, v21
	v_cmp_ngt_f32_e64 s[8:9], s11, v19
	v_cndmask_b32_e64 v14, 0, v14, s[8:9]
	v_cmp_nlt_f32_e64 s[8:9], s14, v19
	v_cndmask_b32_e64 v15, v26, v14, s[8:9]
	v_ldexp_f32 v14, v20, v21
	v_pk_add_f32 v[20:21], v[2:3], v[10:11] neg_lo:[0,1] neg_hi:[0,1]
	v_mul_f32_e32 v19, 0x3fb8aa3b, v21
	v_fma_f32 v27, v21, s10, -v19
	v_rndne_f32_e32 v28, v19
	v_fmac_f32_e32 v27, 0x32a5705f, v21
	v_sub_f32_e32 v19, v19, v28
	v_add_f32_e32 v19, v19, v27
	v_cmp_ngt_f32_e64 s[8:9], s11, v18
	v_exp_f32_e32 v19, v19
	v_cvt_i32_f32_e32 v27, v28
	v_cndmask_b32_e64 v14, 0, v14, s[8:9]
	v_cmp_nlt_f32_e64 s[8:9], s14, v18
	v_cndmask_b32_e64 v14, v26, v14, s[8:9]
	v_pk_add_f32 v[12:13], v[12:13], v[14:15]
	v_mul_f32_e32 v15, 0x3fb8aa3b, v20
	v_ldexp_f32 v14, v19, v27
	v_fma_f32 v18, v20, s10, -v15
	v_rndne_f32_e32 v19, v15
	v_fmac_f32_e32 v18, 0x32a5705f, v20
	v_sub_f32_e32 v15, v15, v19
	v_add_f32_e32 v15, v15, v18
	v_exp_f32_e32 v18, v15
	v_cvt_i32_f32_e32 v19, v19
	v_cmp_ngt_f32_e64 s[8:9], s11, v21
	v_cndmask_b32_e64 v14, 0, v14, s[8:9]
	v_cmp_nlt_f32_e64 s[8:9], s14, v21
	v_cndmask_b32_e64 v15, v26, v14, s[8:9]
	v_ldexp_f32 v14, v18, v19
	v_cmp_ngt_f32_e64 s[8:9], s11, v20
	v_cndmask_b32_e64 v14, 0, v14, s[8:9]
	v_cmp_nlt_f32_e64 s[8:9], s14, v20
	v_cndmask_b32_e64 v14, v26, v14, s[8:9]
	v_pk_add_f32 v[12:13], v[12:13], v[14:15]
	ds_bpermute_b32 v14, v17, v12
	ds_bpermute_b32 v15, v17, v13
	s_waitcnt lgkmcnt(0)
	v_pk_add_f32 v[12:13], v[12:13], v[14:15]
	ds_bpermute_b32 v14, v22, v12
	ds_bpermute_b32 v15, v22, v13
	s_waitcnt lgkmcnt(0)
	v_pk_add_f32 v[12:13], v[12:13], v[14:15]
	ds_bpermute_b32 v14, v23, v12
	ds_bpermute_b32 v15, v23, v13
	s_waitcnt lgkmcnt(0)
	v_pk_add_f32 v[12:13], v[12:13], v[14:15]
	ds_bpermute_b32 v14, v24, v12
	ds_bpermute_b32 v15, v24, v13
	s_waitcnt lgkmcnt(0)
	v_pk_add_f32 v[12:13], v[12:13], v[14:15]
	ds_bpermute_b32 v14, v25, v12
	ds_bpermute_b32 v15, v25, v13
	s_and_saveexec_b64 s[8:9], s[6:7]
	s_cbranch_execz .LBB50_28
; %bb.17:
	v_mov_b32_e32 v17, s13
	v_add_co_u32_e64 v8, s[6:7], s12, v8
	v_addc_co_u32_e64 v9, s[6:7], v17, v9, s[6:7]
	s_waitcnt lgkmcnt(0)
	v_pk_add_f32 v[12:13], v[12:13], v[14:15]
	s_and_saveexec_b64 s[10:11], s[4:5]
	s_cbranch_execz .LBB50_22
; %bb.18:
	s_mov_b32 s6, 0x800000
	v_mov_b32_e32 v14, 0x4f800000
	v_cmp_gt_f32_e64 s[6:7], s6, v12
	v_cndmask_b32_e64 v14, 1.0, v14, s[6:7]
	v_mul_f32_e32 v12, v12, v14
	v_log_f32_e32 v12, v12
	s_mov_b32 s8, 0x3f317217
	v_sub_f32_e32 v4, v4, v10
	v_mul_f32_e32 v14, 0x3f317217, v12
	v_fma_f32 v15, v12, s8, -v14
	v_fmac_f32_e32 v15, 0x3377d1cf, v12
	s_mov_b32 s8, 0x7f800000
	v_add_f32_e32 v14, v14, v15
	v_cmp_lt_f32_e64 s[8:9], |v12|, s8
	v_cndmask_b32_e64 v12, v12, v14, s[8:9]
	v_mov_b32_e32 v14, 0x41b17218
	v_cndmask_b32_e64 v14, 0, v14, s[6:7]
	v_sub_f32_e32 v12, v12, v14
	v_sub_f32_e32 v4, v4, v12
	global_store_dword v[8:9], v4, off
	s_and_b64 exec, exec, vcc
	s_cbranch_execz .LBB50_22
; %bb.19:
	v_sub_f32_e32 v0, v0, v10
	v_sub_f32_e32 v0, v0, v12
	global_store_dword v[8:9], v0, off offset:128
	s_and_b64 exec, exec, s[0:1]
	s_cbranch_execz .LBB50_22
; %bb.20:
	v_sub_f32_e32 v0, v6, v10
	v_sub_f32_e32 v0, v0, v12
	global_store_dword v[8:9], v0, off offset:256
	s_and_b64 exec, exec, s[2:3]
	s_cbranch_execz .LBB50_22
; %bb.21:
	v_sub_f32_e32 v0, v2, v10
	v_sub_f32_e32 v0, v0, v12
	global_store_dword v[8:9], v0, off offset:384
.LBB50_22:
	s_or_b64 exec, exec, s[10:11]
	v_cmp_ne_u32_e64 s[6:7], 1, v16
	s_and_b64 exec, exec, s[6:7]
	s_cbranch_execz .LBB50_28
; %bb.23:
	s_and_b64 exec, exec, s[4:5]
	s_cbranch_execz .LBB50_28
; %bb.24:
	s_mov_b32 s4, 0x800000
	v_mov_b32_e32 v0, 0x4f800000
	v_cmp_gt_f32_e64 s[4:5], s4, v13
	v_cndmask_b32_e64 v0, 1.0, v0, s[4:5]
	v_mul_f32_e32 v0, v13, v0
	v_log_f32_e32 v0, v0
	s_mov_b32 s6, 0x3f317217
	s_ashr_i32 s19, s18, 31
	v_mul_f32_e32 v2, 0x3f317217, v0
	v_fma_f32 v4, v0, s6, -v2
	v_fmac_f32_e32 v4, 0x3377d1cf, v0
	s_mov_b32 s6, 0x7f800000
	v_add_f32_e32 v2, v2, v4
	v_cmp_lt_f32_e64 s[6:7], |v0|, s6
	v_cndmask_b32_e64 v0, v0, v2, s[6:7]
	v_mov_b32_e32 v2, 0x41b17218
	v_cndmask_b32_e64 v2, 0, v2, s[4:5]
	s_lshl_b64 s[4:5], s[18:19], 2
	v_sub_f32_e32 v0, v0, v2
	v_sub_f32_e32 v2, v5, v11
	v_mov_b32_e32 v5, s5
	v_add_co_u32_e64 v4, s[4:5], s4, v8
	v_sub_f32_e32 v2, v2, v0
	v_addc_co_u32_e64 v5, s[4:5], v9, v5, s[4:5]
	global_store_dword v[4:5], v2, off
	s_and_b64 exec, exec, vcc
	s_cbranch_execz .LBB50_28
; %bb.25:
	v_sub_f32_e32 v1, v1, v11
	v_sub_f32_e32 v1, v1, v0
	global_store_dword v[4:5], v1, off offset:128
	s_and_b64 exec, exec, s[0:1]
	s_cbranch_execz .LBB50_28
; %bb.26:
	v_sub_f32_e32 v1, v7, v11
	v_sub_f32_e32 v1, v1, v0
	global_store_dword v[4:5], v1, off offset:256
	s_and_b64 exec, exec, s[2:3]
	s_cbranch_execz .LBB50_28
; %bb.27:
	v_sub_f32_e32 v1, v3, v11
	v_sub_f32_e32 v0, v1, v0
	global_store_dword v[4:5], v0, off offset:384
.LBB50_28:
	s_endpgm
	.section	.rodata,"a",@progbits
	.p2align	6, 0x0
	.amdhsa_kernel _ZN12_GLOBAL__N_120softmax_warp_forwardIfffLi7ELb1ELb0ELi32EEEvPT0_PKT_iiiPKbib
		.amdhsa_group_segment_fixed_size 0
		.amdhsa_private_segment_fixed_size 0
		.amdhsa_kernarg_size 304
		.amdhsa_user_sgpr_count 6
		.amdhsa_user_sgpr_private_segment_buffer 1
		.amdhsa_user_sgpr_dispatch_ptr 0
		.amdhsa_user_sgpr_queue_ptr 0
		.amdhsa_user_sgpr_kernarg_segment_ptr 1
		.amdhsa_user_sgpr_dispatch_id 0
		.amdhsa_user_sgpr_flat_scratch_init 0
		.amdhsa_user_sgpr_kernarg_preload_length 0
		.amdhsa_user_sgpr_kernarg_preload_offset 0
		.amdhsa_user_sgpr_private_segment_size 0
		.amdhsa_uses_dynamic_stack 0
		.amdhsa_system_sgpr_private_segment_wavefront_offset 0
		.amdhsa_system_sgpr_workgroup_id_x 1
		.amdhsa_system_sgpr_workgroup_id_y 0
		.amdhsa_system_sgpr_workgroup_id_z 0
		.amdhsa_system_sgpr_workgroup_info 0
		.amdhsa_system_vgpr_workitem_id 1
		.amdhsa_next_free_vgpr 29
		.amdhsa_next_free_sgpr 20
		.amdhsa_accum_offset 32
		.amdhsa_reserve_vcc 1
		.amdhsa_reserve_flat_scratch 0
		.amdhsa_float_round_mode_32 0
		.amdhsa_float_round_mode_16_64 0
		.amdhsa_float_denorm_mode_32 3
		.amdhsa_float_denorm_mode_16_64 3
		.amdhsa_dx10_clamp 1
		.amdhsa_ieee_mode 1
		.amdhsa_fp16_overflow 0
		.amdhsa_tg_split 0
		.amdhsa_exception_fp_ieee_invalid_op 0
		.amdhsa_exception_fp_denorm_src 0
		.amdhsa_exception_fp_ieee_div_zero 0
		.amdhsa_exception_fp_ieee_overflow 0
		.amdhsa_exception_fp_ieee_underflow 0
		.amdhsa_exception_fp_ieee_inexact 0
		.amdhsa_exception_int_div_zero 0
	.end_amdhsa_kernel
	.section	.text._ZN12_GLOBAL__N_120softmax_warp_forwardIfffLi7ELb1ELb0ELi32EEEvPT0_PKT_iiiPKbib,"axG",@progbits,_ZN12_GLOBAL__N_120softmax_warp_forwardIfffLi7ELb1ELb0ELi32EEEvPT0_PKT_iiiPKbib,comdat
.Lfunc_end50:
	.size	_ZN12_GLOBAL__N_120softmax_warp_forwardIfffLi7ELb1ELb0ELi32EEEvPT0_PKT_iiiPKbib, .Lfunc_end50-_ZN12_GLOBAL__N_120softmax_warp_forwardIfffLi7ELb1ELb0ELi32EEEvPT0_PKT_iiiPKbib
                                        ; -- End function
	.section	.AMDGPU.csdata,"",@progbits
; Kernel info:
; codeLenInByte = 2456
; NumSgprs: 24
; NumVgprs: 29
; NumAgprs: 0
; TotalNumVgprs: 29
; ScratchSize: 0
; MemoryBound: 0
; FloatMode: 240
; IeeeMode: 1
; LDSByteSize: 0 bytes/workgroup (compile time only)
; SGPRBlocks: 2
; VGPRBlocks: 3
; NumSGPRsForWavesPerEU: 24
; NumVGPRsForWavesPerEU: 29
; AccumOffset: 32
; Occupancy: 8
; WaveLimiterHint : 0
; COMPUTE_PGM_RSRC2:SCRATCH_EN: 0
; COMPUTE_PGM_RSRC2:USER_SGPR: 6
; COMPUTE_PGM_RSRC2:TRAP_HANDLER: 0
; COMPUTE_PGM_RSRC2:TGID_X_EN: 1
; COMPUTE_PGM_RSRC2:TGID_Y_EN: 0
; COMPUTE_PGM_RSRC2:TGID_Z_EN: 0
; COMPUTE_PGM_RSRC2:TIDIG_COMP_CNT: 1
; COMPUTE_PGM_RSRC3_GFX90A:ACCUM_OFFSET: 7
; COMPUTE_PGM_RSRC3_GFX90A:TG_SPLIT: 0
	.section	.text._ZN12_GLOBAL__N_120softmax_warp_forwardIfffLi8ELb1ELb0ELi64EEEvPT0_PKT_iiiPKbib,"axG",@progbits,_ZN12_GLOBAL__N_120softmax_warp_forwardIfffLi8ELb1ELb0ELi64EEEvPT0_PKT_iiiPKbib,comdat
	.globl	_ZN12_GLOBAL__N_120softmax_warp_forwardIfffLi8ELb1ELb0ELi64EEEvPT0_PKT_iiiPKbib ; -- Begin function _ZN12_GLOBAL__N_120softmax_warp_forwardIfffLi8ELb1ELb0ELi64EEEvPT0_PKT_iiiPKbib
	.p2align	8
	.type	_ZN12_GLOBAL__N_120softmax_warp_forwardIfffLi8ELb1ELb0ELi64EEEvPT0_PKT_iiiPKbib,@function
_ZN12_GLOBAL__N_120softmax_warp_forwardIfffLi8ELb1ELb0ELi64EEEvPT0_PKT_iiiPKbib: ; @_ZN12_GLOBAL__N_120softmax_warp_forwardIfffLi8ELb1ELb0ELi64EEEvPT0_PKT_iiiPKbib
; %bb.0:
	s_load_dword s0, s[4:5], 0x3c
	s_load_dwordx8 s[8:15], s[4:5], 0x0
	v_bfe_u32 v1, v0, 10, 10
	v_and_b32_e32 v4, 0x3ff, v0
	v_mov_b32_e32 v7, 0xff800000
	s_waitcnt lgkmcnt(0)
	s_lshr_b32 s0, s0, 16
	s_mul_i32 s6, s6, s0
	v_add_u32_e32 v1, s6, v1
	v_sub_u32_e32 v5, s12, v1
	v_mad_u64_u32 v[0:1], s[0:1], v1, s13, v[4:5]
	v_ashrrev_i32_e32 v1, 31, v0
	v_lshlrev_b64 v[0:1], 2, v[0:1]
	v_mov_b32_e32 v3, s11
	v_add_co_u32_e32 v2, vcc, s10, v0
	v_cmp_lt_i32_e64 s[6:7], 0, v5
	v_cmp_gt_i32_e64 s[4:5], s14, v4
	v_addc_co_u32_e32 v3, vcc, v3, v1, vcc
	s_and_b64 s[2:3], s[6:7], s[4:5]
	v_mov_b32_e32 v9, 0xff800000
	s_and_saveexec_b64 s[0:1], s[2:3]
	s_cbranch_execz .LBB51_2
; %bb.1:
	global_load_dword v9, v[2:3], off
.LBB51_2:
	s_or_b64 exec, exec, s[0:1]
	v_add_u32_e32 v6, 64, v4
	v_cmp_gt_i32_e32 vcc, s14, v6
	s_and_b64 s[2:3], s[6:7], vcc
	s_and_saveexec_b64 s[0:1], s[2:3]
	s_cbranch_execz .LBB51_4
; %bb.3:
	global_load_dword v7, v[2:3], off offset:256
.LBB51_4:
	s_or_b64 exec, exec, s[0:1]
	v_add_u32_e32 v6, 0x80, v4
	v_cmp_gt_i32_e64 s[0:1], s14, v6
	s_and_b64 s[10:11], s[6:7], s[0:1]
	v_mov_b32_e32 v6, 0xff800000
	v_mov_b32_e32 v8, 0xff800000
	s_and_saveexec_b64 s[2:3], s[10:11]
	s_cbranch_execz .LBB51_6
; %bb.5:
	global_load_dword v8, v[2:3], off offset:512
.LBB51_6:
	s_or_b64 exec, exec, s[2:3]
	v_add_u32_e32 v4, 0xc0, v4
	v_cmp_gt_i32_e64 s[2:3], s14, v4
	s_and_b64 s[10:11], s[6:7], s[2:3]
	s_and_saveexec_b64 s[6:7], s[10:11]
	s_cbranch_execz .LBB51_8
; %bb.7:
	global_load_dword v6, v[2:3], off offset:768
.LBB51_8:
	s_or_b64 exec, exec, s[6:7]
	s_waitcnt vmcnt(0)
	v_cmp_gt_f32_e64 s[6:7], v9, v7
	v_cndmask_b32_e64 v2, v7, v9, s[6:7]
	v_mbcnt_lo_u32_b32 v3, -1, 0
	v_cmp_gt_f32_e64 s[6:7], v2, v8
	v_mbcnt_hi_u32_b32 v3, -1, v3
	v_cndmask_b32_e64 v2, v8, v2, s[6:7]
	v_and_b32_e32 v4, 64, v3
	v_cmp_gt_f32_e64 s[6:7], v2, v6
	v_add_u32_e32 v4, 64, v4
	v_xor_b32_e32 v10, 32, v3
	v_cndmask_b32_e64 v2, v6, v2, s[6:7]
	v_cmp_lt_i32_e64 s[6:7], v10, v4
	v_cndmask_b32_e64 v10, v3, v10, s[6:7]
	v_lshlrev_b32_e32 v10, 2, v10
	ds_bpermute_b32 v11, v10, v2
	s_mov_b32 s10, 0x3fb8aa3b
	s_mov_b32 s11, 0xc2ce8ed0
	;; [unrolled: 1-line block ×3, first 2 shown]
	s_waitcnt lgkmcnt(0)
	v_cmp_lt_f32_e64 s[6:7], v2, v11
	v_cndmask_b32_e64 v2, v2, v11, s[6:7]
	v_xor_b32_e32 v11, 16, v3
	v_cmp_lt_i32_e64 s[6:7], v11, v4
	v_cndmask_b32_e64 v11, v3, v11, s[6:7]
	v_lshlrev_b32_e32 v11, 2, v11
	ds_bpermute_b32 v12, v11, v2
	s_waitcnt lgkmcnt(0)
	v_cmp_lt_f32_e64 s[6:7], v2, v12
	v_cndmask_b32_e64 v2, v2, v12, s[6:7]
	v_xor_b32_e32 v12, 8, v3
	v_cmp_lt_i32_e64 s[6:7], v12, v4
	v_cndmask_b32_e64 v12, v3, v12, s[6:7]
	v_lshlrev_b32_e32 v12, 2, v12
	ds_bpermute_b32 v13, v12, v2
	;; [unrolled: 8-line block ×5, first 2 shown]
	s_waitcnt lgkmcnt(0)
	v_cmp_lt_f32_e64 s[6:7], v2, v3
	v_cndmask_b32_e64 v16, v2, v3, s[6:7]
	v_sub_f32_e32 v2, v9, v16
	v_mul_f32_e32 v3, 0x3fb8aa3b, v2
	v_fma_f32 v4, v2, s10, -v3
	v_rndne_f32_e32 v9, v3
	v_fmac_f32_e32 v4, 0x32a5705f, v2
	v_sub_f32_e32 v3, v3, v9
	v_add_f32_e32 v3, v3, v4
	v_exp_f32_e32 v3, v3
	v_cvt_i32_f32_e32 v4, v9
	v_cmp_ngt_f32_e64 s[6:7], s11, v2
	v_sub_f32_e32 v6, v6, v16
	v_ldexp_f32 v3, v3, v4
	v_cndmask_b32_e64 v4, 0, v3, s[6:7]
	v_sub_f32_e32 v3, v7, v16
	v_mul_f32_e32 v7, 0x3fb8aa3b, v3
	v_fma_f32 v9, v3, s10, -v7
	v_rndne_f32_e32 v17, v7
	v_fmac_f32_e32 v9, 0x32a5705f, v3
	v_sub_f32_e32 v7, v7, v17
	v_add_f32_e32 v7, v7, v9
	v_exp_f32_e32 v7, v7
	v_cvt_i32_f32_e32 v9, v17
	v_mov_b32_e32 v17, 0x7f800000
	v_cmp_nlt_f32_e64 s[6:7], s12, v2
	v_cndmask_b32_e64 v18, v17, v4, s[6:7]
	v_ldexp_f32 v4, v7, v9
	v_cmp_ngt_f32_e64 s[6:7], s11, v3
	v_cndmask_b32_e64 v7, 0, v4, s[6:7]
	v_sub_f32_e32 v4, v8, v16
	v_mul_f32_e32 v8, 0x3fb8aa3b, v4
	v_fma_f32 v9, v4, s10, -v8
	v_rndne_f32_e32 v19, v8
	v_fmac_f32_e32 v9, 0x32a5705f, v4
	v_sub_f32_e32 v8, v8, v19
	v_add_f32_e32 v8, v8, v9
	v_exp_f32_e32 v8, v8
	v_cvt_i32_f32_e32 v9, v19
	v_cmp_nlt_f32_e64 s[6:7], s12, v3
	v_cndmask_b32_e64 v7, v17, v7, s[6:7]
	v_add_f32_e32 v7, v18, v7
	v_ldexp_f32 v8, v8, v9
	v_mul_f32_e32 v9, 0x3fb8aa3b, v6
	v_fma_f32 v16, v6, s10, -v9
	v_rndne_f32_e32 v18, v9
	v_fmac_f32_e32 v16, 0x32a5705f, v6
	v_sub_f32_e32 v9, v9, v18
	v_add_f32_e32 v9, v9, v16
	v_exp_f32_e32 v9, v9
	v_cvt_i32_f32_e32 v16, v18
	v_cmp_ngt_f32_e64 s[6:7], s11, v4
	v_cndmask_b32_e64 v8, 0, v8, s[6:7]
	v_cmp_nlt_f32_e64 s[6:7], s12, v4
	v_cndmask_b32_e64 v8, v17, v8, s[6:7]
	v_add_f32_e32 v7, v7, v8
	v_ldexp_f32 v8, v9, v16
	v_cmp_ngt_f32_e64 s[6:7], s11, v6
	v_cndmask_b32_e64 v8, 0, v8, s[6:7]
	v_cmp_nlt_f32_e64 s[6:7], s12, v6
	v_cndmask_b32_e64 v8, v17, v8, s[6:7]
	v_add_f32_e32 v7, v7, v8
	ds_bpermute_b32 v8, v10, v7
	v_cmp_lt_i32_e64 s[6:7], 0, v5
	s_waitcnt lgkmcnt(0)
	v_add_f32_e32 v7, v7, v8
	ds_bpermute_b32 v8, v11, v7
	s_waitcnt lgkmcnt(0)
	v_add_f32_e32 v7, v7, v8
	ds_bpermute_b32 v8, v12, v7
	;; [unrolled: 3-line block ×5, first 2 shown]
	s_and_saveexec_b64 s[10:11], s[6:7]
	s_cbranch_execz .LBB51_14
; %bb.9:
	s_and_b64 exec, exec, s[4:5]
	s_cbranch_execz .LBB51_14
; %bb.10:
	s_waitcnt lgkmcnt(0)
	v_add_f32_e32 v5, v7, v8
	s_mov_b32 s4, 0x800000
	v_mov_b32_e32 v7, 0x4f800000
	v_cmp_gt_f32_e64 s[4:5], s4, v5
	v_cndmask_b32_e64 v7, 1.0, v7, s[4:5]
	v_mul_f32_e32 v5, v5, v7
	v_log_f32_e32 v5, v5
	s_mov_b32 s6, 0x3f317217
	v_mul_f32_e32 v7, 0x3f317217, v5
	v_fma_f32 v8, v5, s6, -v7
	v_fmac_f32_e32 v8, 0x3377d1cf, v5
	s_mov_b32 s6, 0x7f800000
	v_add_f32_e32 v7, v7, v8
	v_cmp_lt_f32_e64 s[6:7], |v5|, s6
	v_cndmask_b32_e64 v5, v5, v7, s[6:7]
	v_mov_b32_e32 v7, 0x41b17218
	v_cndmask_b32_e64 v7, 0, v7, s[4:5]
	v_sub_f32_e32 v5, v5, v7
	v_mov_b32_e32 v7, s9
	v_add_co_u32_e64 v0, s[4:5], s8, v0
	v_addc_co_u32_e64 v1, s[4:5], v7, v1, s[4:5]
	v_sub_f32_e32 v2, v2, v5
	global_store_dword v[0:1], v2, off
	s_and_b64 exec, exec, vcc
	s_cbranch_execz .LBB51_14
; %bb.11:
	v_sub_f32_e32 v2, v3, v5
	global_store_dword v[0:1], v2, off offset:256
	s_and_b64 exec, exec, s[0:1]
	s_cbranch_execz .LBB51_14
; %bb.12:
	v_sub_f32_e32 v2, v4, v5
	global_store_dword v[0:1], v2, off offset:512
	s_and_b64 exec, exec, s[2:3]
	s_cbranch_execz .LBB51_14
; %bb.13:
	v_sub_f32_e32 v2, v6, v5
	global_store_dword v[0:1], v2, off offset:768
.LBB51_14:
	s_endpgm
	.section	.rodata,"a",@progbits
	.p2align	6, 0x0
	.amdhsa_kernel _ZN12_GLOBAL__N_120softmax_warp_forwardIfffLi8ELb1ELb0ELi64EEEvPT0_PKT_iiiPKbib
		.amdhsa_group_segment_fixed_size 0
		.amdhsa_private_segment_fixed_size 0
		.amdhsa_kernarg_size 304
		.amdhsa_user_sgpr_count 6
		.amdhsa_user_sgpr_private_segment_buffer 1
		.amdhsa_user_sgpr_dispatch_ptr 0
		.amdhsa_user_sgpr_queue_ptr 0
		.amdhsa_user_sgpr_kernarg_segment_ptr 1
		.amdhsa_user_sgpr_dispatch_id 0
		.amdhsa_user_sgpr_flat_scratch_init 0
		.amdhsa_user_sgpr_kernarg_preload_length 0
		.amdhsa_user_sgpr_kernarg_preload_offset 0
		.amdhsa_user_sgpr_private_segment_size 0
		.amdhsa_uses_dynamic_stack 0
		.amdhsa_system_sgpr_private_segment_wavefront_offset 0
		.amdhsa_system_sgpr_workgroup_id_x 1
		.amdhsa_system_sgpr_workgroup_id_y 0
		.amdhsa_system_sgpr_workgroup_id_z 0
		.amdhsa_system_sgpr_workgroup_info 0
		.amdhsa_system_vgpr_workitem_id 1
		.amdhsa_next_free_vgpr 20
		.amdhsa_next_free_sgpr 16
		.amdhsa_accum_offset 20
		.amdhsa_reserve_vcc 1
		.amdhsa_reserve_flat_scratch 0
		.amdhsa_float_round_mode_32 0
		.amdhsa_float_round_mode_16_64 0
		.amdhsa_float_denorm_mode_32 3
		.amdhsa_float_denorm_mode_16_64 3
		.amdhsa_dx10_clamp 1
		.amdhsa_ieee_mode 1
		.amdhsa_fp16_overflow 0
		.amdhsa_tg_split 0
		.amdhsa_exception_fp_ieee_invalid_op 0
		.amdhsa_exception_fp_denorm_src 0
		.amdhsa_exception_fp_ieee_div_zero 0
		.amdhsa_exception_fp_ieee_overflow 0
		.amdhsa_exception_fp_ieee_underflow 0
		.amdhsa_exception_fp_ieee_inexact 0
		.amdhsa_exception_int_div_zero 0
	.end_amdhsa_kernel
	.section	.text._ZN12_GLOBAL__N_120softmax_warp_forwardIfffLi8ELb1ELb0ELi64EEEvPT0_PKT_iiiPKbib,"axG",@progbits,_ZN12_GLOBAL__N_120softmax_warp_forwardIfffLi8ELb1ELb0ELi64EEEvPT0_PKT_iiiPKbib,comdat
.Lfunc_end51:
	.size	_ZN12_GLOBAL__N_120softmax_warp_forwardIfffLi8ELb1ELb0ELi64EEEvPT0_PKT_iiiPKbib, .Lfunc_end51-_ZN12_GLOBAL__N_120softmax_warp_forwardIfffLi8ELb1ELb0ELi64EEEvPT0_PKT_iiiPKbib
                                        ; -- End function
	.section	.AMDGPU.csdata,"",@progbits
; Kernel info:
; codeLenInByte = 1388
; NumSgprs: 20
; NumVgprs: 20
; NumAgprs: 0
; TotalNumVgprs: 20
; ScratchSize: 0
; MemoryBound: 0
; FloatMode: 240
; IeeeMode: 1
; LDSByteSize: 0 bytes/workgroup (compile time only)
; SGPRBlocks: 2
; VGPRBlocks: 2
; NumSGPRsForWavesPerEU: 20
; NumVGPRsForWavesPerEU: 20
; AccumOffset: 20
; Occupancy: 8
; WaveLimiterHint : 0
; COMPUTE_PGM_RSRC2:SCRATCH_EN: 0
; COMPUTE_PGM_RSRC2:USER_SGPR: 6
; COMPUTE_PGM_RSRC2:TRAP_HANDLER: 0
; COMPUTE_PGM_RSRC2:TGID_X_EN: 1
; COMPUTE_PGM_RSRC2:TGID_Y_EN: 0
; COMPUTE_PGM_RSRC2:TGID_Z_EN: 0
; COMPUTE_PGM_RSRC2:TIDIG_COMP_CNT: 1
; COMPUTE_PGM_RSRC3_GFX90A:ACCUM_OFFSET: 4
; COMPUTE_PGM_RSRC3_GFX90A:TG_SPLIT: 0
	.section	.text._ZN12_GLOBAL__N_120softmax_warp_forwardIfffLi8ELb1ELb0ELi32EEEvPT0_PKT_iiiPKbib,"axG",@progbits,_ZN12_GLOBAL__N_120softmax_warp_forwardIfffLi8ELb1ELb0ELi32EEEvPT0_PKT_iiiPKbib,comdat
	.globl	_ZN12_GLOBAL__N_120softmax_warp_forwardIfffLi8ELb1ELb0ELi32EEEvPT0_PKT_iiiPKbib ; -- Begin function _ZN12_GLOBAL__N_120softmax_warp_forwardIfffLi8ELb1ELb0ELi32EEEvPT0_PKT_iiiPKbib
	.p2align	8
	.type	_ZN12_GLOBAL__N_120softmax_warp_forwardIfffLi8ELb1ELb0ELi32EEEvPT0_PKT_iiiPKbib,@function
_ZN12_GLOBAL__N_120softmax_warp_forwardIfffLi8ELb1ELb0ELi32EEEvPT0_PKT_iiiPKbib: ; @_ZN12_GLOBAL__N_120softmax_warp_forwardIfffLi8ELb1ELb0ELi32EEEvPT0_PKT_iiiPKbib
; %bb.0:
	s_load_dword s0, s[4:5], 0x3c
	s_load_dwordx8 s[16:23], s[4:5], 0x0
	v_bfe_u32 v1, v0, 10, 10
	v_and_b32_e32 v4, 0x3ff, v0
	v_mov_b32_e32 v10, 0xff800000
	s_waitcnt lgkmcnt(0)
	s_lshr_b32 s0, s0, 16
	s_mul_i32 s6, s6, s0
	v_add_u32_e32 v1, s6, v1
	v_sub_u32_e32 v5, s20, v1
	v_mad_u64_u32 v[0:1], s[0:1], v1, s21, v[4:5]
	v_ashrrev_i32_e32 v1, 31, v0
	v_lshlrev_b64 v[0:1], 2, v[0:1]
	v_mov_b32_e32 v3, s19
	v_add_co_u32_e32 v2, vcc, s18, v0
	v_cmp_lt_i32_e64 s[14:15], 0, v5
	v_cmp_gt_i32_e64 s[4:5], s22, v4
	v_addc_co_u32_e32 v3, vcc, v3, v1, vcc
	s_and_b64 s[2:3], s[14:15], s[4:5]
	v_mov_b32_e32 v13, 0xff800000
	s_and_saveexec_b64 s[0:1], s[2:3]
	s_cbranch_execz .LBB52_2
; %bb.1:
	global_load_dword v13, v[2:3], off
.LBB52_2:
	s_or_b64 exec, exec, s[0:1]
	v_add_u32_e32 v6, 32, v4
	v_cmp_gt_i32_e32 vcc, s22, v6
	s_and_b64 s[2:3], s[14:15], vcc
	s_and_saveexec_b64 s[0:1], s[2:3]
	s_cbranch_execz .LBB52_4
; %bb.3:
	global_load_dword v10, v[2:3], off offset:128
.LBB52_4:
	s_or_b64 exec, exec, s[0:1]
	v_add_u32_e32 v6, 64, v4
	v_cmp_gt_i32_e64 s[0:1], s22, v6
	s_and_b64 s[6:7], s[14:15], s[0:1]
	v_mov_b32_e32 v8, 0xff800000
	v_mov_b32_e32 v12, 0xff800000
	s_and_saveexec_b64 s[2:3], s[6:7]
	s_cbranch_execz .LBB52_6
; %bb.5:
	global_load_dword v12, v[2:3], off offset:256
.LBB52_6:
	s_or_b64 exec, exec, s[2:3]
	v_add_u32_e32 v6, 0x60, v4
	v_cmp_gt_i32_e64 s[2:3], s22, v6
	s_and_b64 s[8:9], s[14:15], s[2:3]
	s_and_saveexec_b64 s[6:7], s[8:9]
	s_cbranch_execz .LBB52_8
; %bb.7:
	global_load_dword v8, v[2:3], off offset:384
.LBB52_8:
	s_or_b64 exec, exec, s[6:7]
	v_add_u32_e32 v6, 0x80, v4
	v_cmp_gt_i32_e64 s[6:7], s22, v6
	s_and_b64 s[10:11], s[14:15], s[6:7]
	v_mov_b32_e32 v7, 0xff800000
	v_mov_b32_e32 v11, 0xff800000
	s_and_saveexec_b64 s[8:9], s[10:11]
	s_cbranch_execz .LBB52_10
; %bb.9:
	global_load_dword v11, v[2:3], off offset:512
.LBB52_10:
	s_or_b64 exec, exec, s[8:9]
	v_add_u32_e32 v6, 0xa0, v4
	v_cmp_gt_i32_e64 s[8:9], s22, v6
	s_and_b64 s[12:13], s[14:15], s[8:9]
	s_and_saveexec_b64 s[10:11], s[12:13]
	s_cbranch_execz .LBB52_12
; %bb.11:
	global_load_dword v7, v[2:3], off offset:640
.LBB52_12:
	s_or_b64 exec, exec, s[10:11]
	v_add_u32_e32 v6, 0xc0, v4
	v_cmp_gt_i32_e64 s[10:11], s22, v6
	s_and_b64 s[18:19], s[14:15], s[10:11]
	v_mov_b32_e32 v6, 0xff800000
	v_mov_b32_e32 v9, 0xff800000
	s_and_saveexec_b64 s[12:13], s[18:19]
	s_cbranch_execz .LBB52_14
; %bb.13:
	global_load_dword v9, v[2:3], off offset:768
.LBB52_14:
	s_or_b64 exec, exec, s[12:13]
	v_add_u32_e32 v4, 0xe0, v4
	v_cmp_gt_i32_e64 s[12:13], s22, v4
	s_and_b64 s[18:19], s[14:15], s[12:13]
	s_and_saveexec_b64 s[14:15], s[18:19]
	s_cbranch_execz .LBB52_16
; %bb.15:
	global_load_dword v6, v[2:3], off offset:896
.LBB52_16:
	s_or_b64 exec, exec, s[14:15]
	s_waitcnt vmcnt(0)
	v_cmp_gt_f32_e64 s[14:15], v13, v10
	v_cndmask_b32_e64 v2, v10, v13, s[14:15]
	v_cmp_gt_f32_e64 s[14:15], v2, v12
	v_cndmask_b32_e64 v2, v12, v2, s[14:15]
	;; [unrolled: 2-line block ×5, first 2 shown]
	v_mbcnt_lo_u32_b32 v3, -1, 0
	v_cmp_gt_f32_e64 s[14:15], v2, v9
	v_mbcnt_hi_u32_b32 v3, -1, v3
	v_cndmask_b32_e64 v2, v9, v2, s[14:15]
	v_and_b32_e32 v4, 0x60, v3
	v_cmp_gt_f32_e64 s[14:15], v2, v6
	v_add_u32_e32 v4, 32, v4
	v_xor_b32_e32 v14, 16, v3
	v_cndmask_b32_e64 v2, v6, v2, s[14:15]
	v_cmp_lt_i32_e64 s[14:15], v14, v4
	v_cndmask_b32_e64 v14, v3, v14, s[14:15]
	v_lshlrev_b32_e32 v14, 2, v14
	ds_bpermute_b32 v15, v14, v2
	s_mov_b32 s18, 0x3fb8aa3b
	s_mov_b32 s19, 0xc2ce8ed0
	;; [unrolled: 1-line block ×3, first 2 shown]
	s_waitcnt lgkmcnt(0)
	v_cmp_lt_f32_e64 s[14:15], v2, v15
	v_cndmask_b32_e64 v2, v2, v15, s[14:15]
	v_xor_b32_e32 v15, 8, v3
	v_cmp_lt_i32_e64 s[14:15], v15, v4
	v_cndmask_b32_e64 v15, v3, v15, s[14:15]
	v_lshlrev_b32_e32 v15, 2, v15
	ds_bpermute_b32 v16, v15, v2
	s_waitcnt lgkmcnt(0)
	v_cmp_lt_f32_e64 s[14:15], v2, v16
	v_cndmask_b32_e64 v2, v2, v16, s[14:15]
	v_xor_b32_e32 v16, 4, v3
	v_cmp_lt_i32_e64 s[14:15], v16, v4
	v_cndmask_b32_e64 v16, v3, v16, s[14:15]
	v_lshlrev_b32_e32 v16, 2, v16
	ds_bpermute_b32 v17, v16, v2
	;; [unrolled: 8-line block ×4, first 2 shown]
	s_waitcnt lgkmcnt(0)
	v_cmp_lt_f32_e64 s[14:15], v2, v3
	v_cndmask_b32_e64 v19, v2, v3, s[14:15]
	v_sub_f32_e32 v2, v13, v19
	v_mul_f32_e32 v3, 0x3fb8aa3b, v2
	v_fma_f32 v4, v2, s18, -v3
	v_rndne_f32_e32 v13, v3
	v_fmac_f32_e32 v4, 0x32a5705f, v2
	v_sub_f32_e32 v3, v3, v13
	v_add_f32_e32 v3, v3, v4
	v_exp_f32_e32 v3, v3
	v_cvt_i32_f32_e32 v4, v13
	v_cmp_ngt_f32_e64 s[14:15], s19, v2
	v_sub_f32_e32 v8, v8, v19
	v_sub_f32_e32 v7, v7, v19
	v_ldexp_f32 v3, v3, v4
	v_cndmask_b32_e64 v4, 0, v3, s[14:15]
	v_sub_f32_e32 v3, v10, v19
	v_mul_f32_e32 v10, 0x3fb8aa3b, v3
	v_fma_f32 v13, v3, s18, -v10
	v_rndne_f32_e32 v20, v10
	v_fmac_f32_e32 v13, 0x32a5705f, v3
	v_sub_f32_e32 v10, v10, v20
	v_add_f32_e32 v10, v10, v13
	v_exp_f32_e32 v10, v10
	v_cvt_i32_f32_e32 v13, v20
	v_mov_b32_e32 v20, 0x7f800000
	v_cmp_nlt_f32_e64 s[14:15], s20, v2
	v_cndmask_b32_e64 v21, v20, v4, s[14:15]
	v_ldexp_f32 v4, v10, v13
	v_cmp_ngt_f32_e64 s[14:15], s19, v3
	v_cndmask_b32_e64 v10, 0, v4, s[14:15]
	v_sub_f32_e32 v4, v12, v19
	v_mul_f32_e32 v12, 0x3fb8aa3b, v4
	v_fma_f32 v13, v4, s18, -v12
	v_rndne_f32_e32 v22, v12
	v_fmac_f32_e32 v13, 0x32a5705f, v4
	v_sub_f32_e32 v12, v12, v22
	v_add_f32_e32 v12, v12, v13
	v_exp_f32_e32 v12, v12
	v_cvt_i32_f32_e32 v13, v22
	v_cmp_nlt_f32_e64 s[14:15], s20, v3
	v_cndmask_b32_e64 v10, v20, v10, s[14:15]
	v_add_f32_e32 v10, v21, v10
	v_ldexp_f32 v12, v12, v13
	v_mul_f32_e32 v13, 0x3fb8aa3b, v8
	v_fma_f32 v21, v8, s18, -v13
	v_rndne_f32_e32 v22, v13
	v_fmac_f32_e32 v21, 0x32a5705f, v8
	v_sub_f32_e32 v13, v13, v22
	v_add_f32_e32 v13, v13, v21
	v_exp_f32_e32 v13, v13
	v_cvt_i32_f32_e32 v21, v22
	v_cmp_ngt_f32_e64 s[14:15], s19, v4
	v_cndmask_b32_e64 v12, 0, v12, s[14:15]
	v_cmp_nlt_f32_e64 s[14:15], s20, v4
	v_cndmask_b32_e64 v12, v20, v12, s[14:15]
	v_add_f32_e32 v12, v10, v12
	v_ldexp_f32 v10, v13, v21
	v_cmp_ngt_f32_e64 s[14:15], s19, v8
	v_cndmask_b32_e64 v13, 0, v10, s[14:15]
	v_sub_f32_e32 v10, v11, v19
	v_mul_f32_e32 v11, 0x3fb8aa3b, v10
	v_fma_f32 v21, v10, s18, -v11
	v_rndne_f32_e32 v22, v11
	v_fmac_f32_e32 v21, 0x32a5705f, v10
	v_sub_f32_e32 v11, v11, v22
	v_add_f32_e32 v11, v11, v21
	v_exp_f32_e32 v11, v11
	v_cvt_i32_f32_e32 v21, v22
	v_cmp_nlt_f32_e64 s[14:15], s20, v8
	v_cndmask_b32_e64 v13, v20, v13, s[14:15]
	v_add_f32_e32 v12, v12, v13
	v_mul_f32_e32 v13, 0x3fb8aa3b, v7
	v_ldexp_f32 v11, v11, v21
	v_fma_f32 v21, v7, s18, -v13
	v_rndne_f32_e32 v22, v13
	v_fmac_f32_e32 v21, 0x32a5705f, v7
	v_sub_f32_e32 v13, v13, v22
	v_add_f32_e32 v13, v13, v21
	v_exp_f32_e32 v13, v13
	v_cvt_i32_f32_e32 v21, v22
	v_cmp_ngt_f32_e64 s[14:15], s19, v10
	v_cndmask_b32_e64 v11, 0, v11, s[14:15]
	v_cmp_nlt_f32_e64 s[14:15], s20, v10
	v_cndmask_b32_e64 v11, v20, v11, s[14:15]
	v_sub_f32_e32 v9, v9, v19
	v_add_f32_e32 v11, v12, v11
	v_ldexp_f32 v12, v13, v21
	v_mul_f32_e32 v13, 0x3fb8aa3b, v9
	v_fma_f32 v21, v9, s18, -v13
	v_rndne_f32_e32 v22, v13
	v_fmac_f32_e32 v21, 0x32a5705f, v9
	v_sub_f32_e32 v13, v13, v22
	v_add_f32_e32 v13, v13, v21
	v_exp_f32_e32 v13, v13
	v_cvt_i32_f32_e32 v21, v22
	v_cmp_ngt_f32_e64 s[14:15], s19, v7
	v_cndmask_b32_e64 v12, 0, v12, s[14:15]
	v_cmp_nlt_f32_e64 s[14:15], s20, v7
	v_cndmask_b32_e64 v12, v20, v12, s[14:15]
	v_sub_f32_e32 v6, v6, v19
	v_add_f32_e32 v11, v11, v12
	v_ldexp_f32 v12, v13, v21
	v_mul_f32_e32 v13, 0x3fb8aa3b, v6
	v_fma_f32 v19, v6, s18, -v13
	v_rndne_f32_e32 v21, v13
	v_fmac_f32_e32 v19, 0x32a5705f, v6
	v_sub_f32_e32 v13, v13, v21
	v_add_f32_e32 v13, v13, v19
	v_exp_f32_e32 v13, v13
	v_cvt_i32_f32_e32 v19, v21
	v_cmp_ngt_f32_e64 s[14:15], s19, v9
	v_cndmask_b32_e64 v12, 0, v12, s[14:15]
	v_cmp_nlt_f32_e64 s[14:15], s20, v9
	v_cndmask_b32_e64 v12, v20, v12, s[14:15]
	v_add_f32_e32 v11, v11, v12
	v_ldexp_f32 v12, v13, v19
	v_cmp_ngt_f32_e64 s[14:15], s19, v6
	v_cndmask_b32_e64 v12, 0, v12, s[14:15]
	v_cmp_nlt_f32_e64 s[14:15], s20, v6
	v_cndmask_b32_e64 v12, v20, v12, s[14:15]
	v_add_f32_e32 v11, v11, v12
	ds_bpermute_b32 v12, v14, v11
	v_cmp_lt_i32_e64 s[14:15], 0, v5
	s_waitcnt lgkmcnt(0)
	v_add_f32_e32 v11, v11, v12
	ds_bpermute_b32 v12, v15, v11
	s_waitcnt lgkmcnt(0)
	v_add_f32_e32 v11, v11, v12
	ds_bpermute_b32 v12, v16, v11
	;; [unrolled: 3-line block ×4, first 2 shown]
	s_and_saveexec_b64 s[18:19], s[14:15]
	s_cbranch_execz .LBB52_26
; %bb.17:
	s_and_b64 exec, exec, s[4:5]
	s_cbranch_execz .LBB52_26
; %bb.18:
	s_waitcnt lgkmcnt(0)
	v_add_f32_e32 v5, v11, v12
	s_mov_b32 s4, 0x800000
	v_mov_b32_e32 v11, 0x4f800000
	v_cmp_gt_f32_e64 s[4:5], s4, v5
	v_cndmask_b32_e64 v11, 1.0, v11, s[4:5]
	v_mul_f32_e32 v5, v5, v11
	v_log_f32_e32 v5, v5
	s_mov_b32 s14, 0x3f317217
	v_mul_f32_e32 v11, 0x3f317217, v5
	v_fma_f32 v12, v5, s14, -v11
	v_fmac_f32_e32 v12, 0x3377d1cf, v5
	s_mov_b32 s14, 0x7f800000
	v_add_f32_e32 v11, v11, v12
	v_cmp_lt_f32_e64 s[14:15], |v5|, s14
	v_cndmask_b32_e64 v5, v5, v11, s[14:15]
	v_mov_b32_e32 v11, 0x41b17218
	v_cndmask_b32_e64 v11, 0, v11, s[4:5]
	v_sub_f32_e32 v5, v5, v11
	v_mov_b32_e32 v11, s17
	v_add_co_u32_e64 v0, s[4:5], s16, v0
	v_addc_co_u32_e64 v1, s[4:5], v11, v1, s[4:5]
	v_sub_f32_e32 v2, v2, v5
	global_store_dword v[0:1], v2, off
	s_and_b64 exec, exec, vcc
	s_cbranch_execz .LBB52_26
; %bb.19:
	v_sub_f32_e32 v2, v3, v5
	global_store_dword v[0:1], v2, off offset:128
	s_and_b64 exec, exec, s[0:1]
	s_cbranch_execz .LBB52_26
; %bb.20:
	v_sub_f32_e32 v2, v4, v5
	global_store_dword v[0:1], v2, off offset:256
	s_and_b64 exec, exec, s[2:3]
	;; [unrolled: 5-line block ×6, first 2 shown]
	s_cbranch_execz .LBB52_26
; %bb.25:
	v_sub_f32_e32 v2, v6, v5
	global_store_dword v[0:1], v2, off offset:896
.LBB52_26:
	s_endpgm
	.section	.rodata,"a",@progbits
	.p2align	6, 0x0
	.amdhsa_kernel _ZN12_GLOBAL__N_120softmax_warp_forwardIfffLi8ELb1ELb0ELi32EEEvPT0_PKT_iiiPKbib
		.amdhsa_group_segment_fixed_size 0
		.amdhsa_private_segment_fixed_size 0
		.amdhsa_kernarg_size 304
		.amdhsa_user_sgpr_count 6
		.amdhsa_user_sgpr_private_segment_buffer 1
		.amdhsa_user_sgpr_dispatch_ptr 0
		.amdhsa_user_sgpr_queue_ptr 0
		.amdhsa_user_sgpr_kernarg_segment_ptr 1
		.amdhsa_user_sgpr_dispatch_id 0
		.amdhsa_user_sgpr_flat_scratch_init 0
		.amdhsa_user_sgpr_kernarg_preload_length 0
		.amdhsa_user_sgpr_kernarg_preload_offset 0
		.amdhsa_user_sgpr_private_segment_size 0
		.amdhsa_uses_dynamic_stack 0
		.amdhsa_system_sgpr_private_segment_wavefront_offset 0
		.amdhsa_system_sgpr_workgroup_id_x 1
		.amdhsa_system_sgpr_workgroup_id_y 0
		.amdhsa_system_sgpr_workgroup_id_z 0
		.amdhsa_system_sgpr_workgroup_info 0
		.amdhsa_system_vgpr_workitem_id 1
		.amdhsa_next_free_vgpr 23
		.amdhsa_next_free_sgpr 24
		.amdhsa_accum_offset 24
		.amdhsa_reserve_vcc 1
		.amdhsa_reserve_flat_scratch 0
		.amdhsa_float_round_mode_32 0
		.amdhsa_float_round_mode_16_64 0
		.amdhsa_float_denorm_mode_32 3
		.amdhsa_float_denorm_mode_16_64 3
		.amdhsa_dx10_clamp 1
		.amdhsa_ieee_mode 1
		.amdhsa_fp16_overflow 0
		.amdhsa_tg_split 0
		.amdhsa_exception_fp_ieee_invalid_op 0
		.amdhsa_exception_fp_denorm_src 0
		.amdhsa_exception_fp_ieee_div_zero 0
		.amdhsa_exception_fp_ieee_overflow 0
		.amdhsa_exception_fp_ieee_underflow 0
		.amdhsa_exception_fp_ieee_inexact 0
		.amdhsa_exception_int_div_zero 0
	.end_amdhsa_kernel
	.section	.text._ZN12_GLOBAL__N_120softmax_warp_forwardIfffLi8ELb1ELb0ELi32EEEvPT0_PKT_iiiPKbib,"axG",@progbits,_ZN12_GLOBAL__N_120softmax_warp_forwardIfffLi8ELb1ELb0ELi32EEEvPT0_PKT_iiiPKbib,comdat
.Lfunc_end52:
	.size	_ZN12_GLOBAL__N_120softmax_warp_forwardIfffLi8ELb1ELb0ELi32EEEvPT0_PKT_iiiPKbib, .Lfunc_end52-_ZN12_GLOBAL__N_120softmax_warp_forwardIfffLi8ELb1ELb0ELi32EEEvPT0_PKT_iiiPKbib
                                        ; -- End function
	.section	.AMDGPU.csdata,"",@progbits
; Kernel info:
; codeLenInByte = 2024
; NumSgprs: 28
; NumVgprs: 23
; NumAgprs: 0
; TotalNumVgprs: 23
; ScratchSize: 0
; MemoryBound: 0
; FloatMode: 240
; IeeeMode: 1
; LDSByteSize: 0 bytes/workgroup (compile time only)
; SGPRBlocks: 3
; VGPRBlocks: 2
; NumSGPRsForWavesPerEU: 28
; NumVGPRsForWavesPerEU: 23
; AccumOffset: 24
; Occupancy: 8
; WaveLimiterHint : 0
; COMPUTE_PGM_RSRC2:SCRATCH_EN: 0
; COMPUTE_PGM_RSRC2:USER_SGPR: 6
; COMPUTE_PGM_RSRC2:TRAP_HANDLER: 0
; COMPUTE_PGM_RSRC2:TGID_X_EN: 1
; COMPUTE_PGM_RSRC2:TGID_Y_EN: 0
; COMPUTE_PGM_RSRC2:TGID_Z_EN: 0
; COMPUTE_PGM_RSRC2:TIDIG_COMP_CNT: 1
; COMPUTE_PGM_RSRC3_GFX90A:ACCUM_OFFSET: 5
; COMPUTE_PGM_RSRC3_GFX90A:TG_SPLIT: 0
	.section	.text._ZN12_GLOBAL__N_120softmax_warp_forwardIfffLi9ELb1ELb0ELi64EEEvPT0_PKT_iiiPKbib,"axG",@progbits,_ZN12_GLOBAL__N_120softmax_warp_forwardIfffLi9ELb1ELb0ELi64EEEvPT0_PKT_iiiPKbib,comdat
	.globl	_ZN12_GLOBAL__N_120softmax_warp_forwardIfffLi9ELb1ELb0ELi64EEEvPT0_PKT_iiiPKbib ; -- Begin function _ZN12_GLOBAL__N_120softmax_warp_forwardIfffLi9ELb1ELb0ELi64EEEvPT0_PKT_iiiPKbib
	.p2align	8
	.type	_ZN12_GLOBAL__N_120softmax_warp_forwardIfffLi9ELb1ELb0ELi64EEEvPT0_PKT_iiiPKbib,@function
_ZN12_GLOBAL__N_120softmax_warp_forwardIfffLi9ELb1ELb0ELi64EEEvPT0_PKT_iiiPKbib: ; @_ZN12_GLOBAL__N_120softmax_warp_forwardIfffLi9ELb1ELb0ELi64EEEvPT0_PKT_iiiPKbib
; %bb.0:
	s_load_dword s0, s[4:5], 0x3c
	s_load_dwordx8 s[16:23], s[4:5], 0x0
	v_bfe_u32 v1, v0, 10, 10
	v_and_b32_e32 v4, 0x3ff, v0
	v_mov_b32_e32 v10, 0xff800000
	s_waitcnt lgkmcnt(0)
	s_lshr_b32 s0, s0, 16
	s_mul_i32 s6, s6, s0
	v_add_u32_e32 v1, s6, v1
	v_sub_u32_e32 v5, s20, v1
	v_mad_u64_u32 v[0:1], s[0:1], v1, s21, v[4:5]
	v_ashrrev_i32_e32 v1, 31, v0
	v_lshlrev_b64 v[0:1], 2, v[0:1]
	v_mov_b32_e32 v3, s19
	v_add_co_u32_e32 v2, vcc, s18, v0
	v_cmp_lt_i32_e64 s[14:15], 0, v5
	v_cmp_gt_i32_e64 s[4:5], s22, v4
	v_addc_co_u32_e32 v3, vcc, v3, v1, vcc
	s_and_b64 s[2:3], s[14:15], s[4:5]
	v_mov_b32_e32 v13, 0xff800000
	s_and_saveexec_b64 s[0:1], s[2:3]
	s_cbranch_execz .LBB53_2
; %bb.1:
	global_load_dword v13, v[2:3], off
.LBB53_2:
	s_or_b64 exec, exec, s[0:1]
	v_add_u32_e32 v6, 64, v4
	v_cmp_gt_i32_e32 vcc, s22, v6
	s_and_b64 s[2:3], s[14:15], vcc
	s_and_saveexec_b64 s[0:1], s[2:3]
	s_cbranch_execz .LBB53_4
; %bb.3:
	global_load_dword v10, v[2:3], off offset:256
.LBB53_4:
	s_or_b64 exec, exec, s[0:1]
	v_add_u32_e32 v6, 0x80, v4
	v_cmp_gt_i32_e64 s[0:1], s22, v6
	s_and_b64 s[6:7], s[14:15], s[0:1]
	v_mov_b32_e32 v8, 0xff800000
	v_mov_b32_e32 v12, 0xff800000
	s_and_saveexec_b64 s[2:3], s[6:7]
	s_cbranch_execz .LBB53_6
; %bb.5:
	global_load_dword v12, v[2:3], off offset:512
.LBB53_6:
	s_or_b64 exec, exec, s[2:3]
	v_add_u32_e32 v6, 0xc0, v4
	v_cmp_gt_i32_e64 s[2:3], s22, v6
	s_and_b64 s[8:9], s[14:15], s[2:3]
	s_and_saveexec_b64 s[6:7], s[8:9]
	s_cbranch_execz .LBB53_8
; %bb.7:
	global_load_dword v8, v[2:3], off offset:768
.LBB53_8:
	s_or_b64 exec, exec, s[6:7]
	v_add_u32_e32 v6, 0x100, v4
	v_cmp_gt_i32_e64 s[6:7], s22, v6
	s_and_b64 s[10:11], s[14:15], s[6:7]
	v_mov_b32_e32 v7, 0xff800000
	v_mov_b32_e32 v11, 0xff800000
	s_and_saveexec_b64 s[8:9], s[10:11]
	s_cbranch_execz .LBB53_10
; %bb.9:
	global_load_dword v11, v[2:3], off offset:1024
.LBB53_10:
	s_or_b64 exec, exec, s[8:9]
	v_add_u32_e32 v6, 0x140, v4
	v_cmp_gt_i32_e64 s[8:9], s22, v6
	s_and_b64 s[12:13], s[14:15], s[8:9]
	;; [unrolled: 20-line block ×3, first 2 shown]
	s_and_saveexec_b64 s[14:15], s[18:19]
	s_cbranch_execz .LBB53_16
; %bb.15:
	global_load_dword v6, v[2:3], off offset:1792
.LBB53_16:
	s_or_b64 exec, exec, s[14:15]
	s_waitcnt vmcnt(0)
	v_cmp_gt_f32_e64 s[14:15], v13, v10
	v_cndmask_b32_e64 v2, v10, v13, s[14:15]
	v_cmp_gt_f32_e64 s[14:15], v2, v12
	v_cndmask_b32_e64 v2, v12, v2, s[14:15]
	;; [unrolled: 2-line block ×5, first 2 shown]
	v_mbcnt_lo_u32_b32 v3, -1, 0
	v_cmp_gt_f32_e64 s[14:15], v2, v9
	v_mbcnt_hi_u32_b32 v3, -1, v3
	v_cndmask_b32_e64 v2, v9, v2, s[14:15]
	v_and_b32_e32 v4, 64, v3
	v_cmp_gt_f32_e64 s[14:15], v2, v6
	v_add_u32_e32 v4, 64, v4
	v_xor_b32_e32 v14, 32, v3
	v_cndmask_b32_e64 v2, v6, v2, s[14:15]
	v_cmp_lt_i32_e64 s[14:15], v14, v4
	v_cndmask_b32_e64 v14, v3, v14, s[14:15]
	v_lshlrev_b32_e32 v14, 2, v14
	ds_bpermute_b32 v15, v14, v2
	s_mov_b32 s18, 0x3fb8aa3b
	s_mov_b32 s19, 0xc2ce8ed0
	;; [unrolled: 1-line block ×3, first 2 shown]
	s_waitcnt lgkmcnt(0)
	v_cmp_lt_f32_e64 s[14:15], v2, v15
	v_cndmask_b32_e64 v2, v2, v15, s[14:15]
	v_xor_b32_e32 v15, 16, v3
	v_cmp_lt_i32_e64 s[14:15], v15, v4
	v_cndmask_b32_e64 v15, v3, v15, s[14:15]
	v_lshlrev_b32_e32 v15, 2, v15
	ds_bpermute_b32 v16, v15, v2
	s_waitcnt lgkmcnt(0)
	v_cmp_lt_f32_e64 s[14:15], v2, v16
	v_cndmask_b32_e64 v2, v2, v16, s[14:15]
	v_xor_b32_e32 v16, 8, v3
	v_cmp_lt_i32_e64 s[14:15], v16, v4
	v_cndmask_b32_e64 v16, v3, v16, s[14:15]
	v_lshlrev_b32_e32 v16, 2, v16
	ds_bpermute_b32 v17, v16, v2
	;; [unrolled: 8-line block ×5, first 2 shown]
	s_waitcnt lgkmcnt(0)
	v_cmp_lt_f32_e64 s[14:15], v2, v3
	v_cndmask_b32_e64 v20, v2, v3, s[14:15]
	v_sub_f32_e32 v2, v13, v20
	v_mul_f32_e32 v3, 0x3fb8aa3b, v2
	v_fma_f32 v4, v2, s18, -v3
	v_rndne_f32_e32 v13, v3
	v_fmac_f32_e32 v4, 0x32a5705f, v2
	v_sub_f32_e32 v3, v3, v13
	v_add_f32_e32 v3, v3, v4
	v_exp_f32_e32 v3, v3
	v_cvt_i32_f32_e32 v4, v13
	v_cmp_ngt_f32_e64 s[14:15], s19, v2
	v_sub_f32_e32 v8, v8, v20
	v_sub_f32_e32 v7, v7, v20
	v_ldexp_f32 v3, v3, v4
	v_cndmask_b32_e64 v4, 0, v3, s[14:15]
	v_sub_f32_e32 v3, v10, v20
	v_mul_f32_e32 v10, 0x3fb8aa3b, v3
	v_fma_f32 v13, v3, s18, -v10
	v_rndne_f32_e32 v21, v10
	v_fmac_f32_e32 v13, 0x32a5705f, v3
	v_sub_f32_e32 v10, v10, v21
	v_add_f32_e32 v10, v10, v13
	v_exp_f32_e32 v10, v10
	v_cvt_i32_f32_e32 v13, v21
	v_mov_b32_e32 v21, 0x7f800000
	v_cmp_nlt_f32_e64 s[14:15], s20, v2
	v_cndmask_b32_e64 v22, v21, v4, s[14:15]
	v_ldexp_f32 v4, v10, v13
	v_cmp_ngt_f32_e64 s[14:15], s19, v3
	v_cndmask_b32_e64 v10, 0, v4, s[14:15]
	v_sub_f32_e32 v4, v12, v20
	v_mul_f32_e32 v12, 0x3fb8aa3b, v4
	v_fma_f32 v13, v4, s18, -v12
	v_rndne_f32_e32 v23, v12
	v_fmac_f32_e32 v13, 0x32a5705f, v4
	v_sub_f32_e32 v12, v12, v23
	v_add_f32_e32 v12, v12, v13
	v_exp_f32_e32 v12, v12
	v_cvt_i32_f32_e32 v13, v23
	v_cmp_nlt_f32_e64 s[14:15], s20, v3
	v_cndmask_b32_e64 v10, v21, v10, s[14:15]
	v_add_f32_e32 v10, v22, v10
	v_ldexp_f32 v12, v12, v13
	v_mul_f32_e32 v13, 0x3fb8aa3b, v8
	v_fma_f32 v22, v8, s18, -v13
	v_rndne_f32_e32 v23, v13
	v_fmac_f32_e32 v22, 0x32a5705f, v8
	v_sub_f32_e32 v13, v13, v23
	v_add_f32_e32 v13, v13, v22
	v_exp_f32_e32 v13, v13
	v_cvt_i32_f32_e32 v22, v23
	v_cmp_ngt_f32_e64 s[14:15], s19, v4
	v_cndmask_b32_e64 v12, 0, v12, s[14:15]
	v_cmp_nlt_f32_e64 s[14:15], s20, v4
	v_cndmask_b32_e64 v12, v21, v12, s[14:15]
	v_add_f32_e32 v12, v10, v12
	v_ldexp_f32 v10, v13, v22
	v_cmp_ngt_f32_e64 s[14:15], s19, v8
	v_cndmask_b32_e64 v13, 0, v10, s[14:15]
	v_sub_f32_e32 v10, v11, v20
	v_mul_f32_e32 v11, 0x3fb8aa3b, v10
	v_fma_f32 v22, v10, s18, -v11
	v_rndne_f32_e32 v23, v11
	v_fmac_f32_e32 v22, 0x32a5705f, v10
	v_sub_f32_e32 v11, v11, v23
	v_add_f32_e32 v11, v11, v22
	v_exp_f32_e32 v11, v11
	v_cvt_i32_f32_e32 v22, v23
	v_cmp_nlt_f32_e64 s[14:15], s20, v8
	v_cndmask_b32_e64 v13, v21, v13, s[14:15]
	v_add_f32_e32 v12, v12, v13
	v_mul_f32_e32 v13, 0x3fb8aa3b, v7
	v_ldexp_f32 v11, v11, v22
	v_fma_f32 v22, v7, s18, -v13
	v_rndne_f32_e32 v23, v13
	v_fmac_f32_e32 v22, 0x32a5705f, v7
	v_sub_f32_e32 v13, v13, v23
	v_add_f32_e32 v13, v13, v22
	v_exp_f32_e32 v13, v13
	v_cvt_i32_f32_e32 v22, v23
	v_cmp_ngt_f32_e64 s[14:15], s19, v10
	v_cndmask_b32_e64 v11, 0, v11, s[14:15]
	v_cmp_nlt_f32_e64 s[14:15], s20, v10
	v_cndmask_b32_e64 v11, v21, v11, s[14:15]
	v_sub_f32_e32 v9, v9, v20
	v_add_f32_e32 v11, v12, v11
	v_ldexp_f32 v12, v13, v22
	v_mul_f32_e32 v13, 0x3fb8aa3b, v9
	v_fma_f32 v22, v9, s18, -v13
	v_rndne_f32_e32 v23, v13
	v_fmac_f32_e32 v22, 0x32a5705f, v9
	v_sub_f32_e32 v13, v13, v23
	v_add_f32_e32 v13, v13, v22
	v_exp_f32_e32 v13, v13
	v_cvt_i32_f32_e32 v22, v23
	v_cmp_ngt_f32_e64 s[14:15], s19, v7
	v_cndmask_b32_e64 v12, 0, v12, s[14:15]
	v_cmp_nlt_f32_e64 s[14:15], s20, v7
	v_cndmask_b32_e64 v12, v21, v12, s[14:15]
	v_sub_f32_e32 v6, v6, v20
	v_add_f32_e32 v11, v11, v12
	v_ldexp_f32 v12, v13, v22
	v_mul_f32_e32 v13, 0x3fb8aa3b, v6
	v_fma_f32 v20, v6, s18, -v13
	v_rndne_f32_e32 v22, v13
	v_fmac_f32_e32 v20, 0x32a5705f, v6
	v_sub_f32_e32 v13, v13, v22
	v_add_f32_e32 v13, v13, v20
	v_exp_f32_e32 v13, v13
	v_cvt_i32_f32_e32 v20, v22
	v_cmp_ngt_f32_e64 s[14:15], s19, v9
	v_cndmask_b32_e64 v12, 0, v12, s[14:15]
	v_cmp_nlt_f32_e64 s[14:15], s20, v9
	v_cndmask_b32_e64 v12, v21, v12, s[14:15]
	v_add_f32_e32 v11, v11, v12
	v_ldexp_f32 v12, v13, v20
	v_cmp_ngt_f32_e64 s[14:15], s19, v6
	v_cndmask_b32_e64 v12, 0, v12, s[14:15]
	v_cmp_nlt_f32_e64 s[14:15], s20, v6
	v_cndmask_b32_e64 v12, v21, v12, s[14:15]
	v_add_f32_e32 v11, v11, v12
	ds_bpermute_b32 v12, v14, v11
	v_cmp_lt_i32_e64 s[14:15], 0, v5
	s_waitcnt lgkmcnt(0)
	v_add_f32_e32 v11, v11, v12
	ds_bpermute_b32 v12, v15, v11
	s_waitcnt lgkmcnt(0)
	v_add_f32_e32 v11, v11, v12
	ds_bpermute_b32 v12, v16, v11
	;; [unrolled: 3-line block ×5, first 2 shown]
	s_and_saveexec_b64 s[18:19], s[14:15]
	s_cbranch_execz .LBB53_26
; %bb.17:
	s_and_b64 exec, exec, s[4:5]
	s_cbranch_execz .LBB53_26
; %bb.18:
	s_waitcnt lgkmcnt(0)
	v_add_f32_e32 v5, v11, v12
	s_mov_b32 s4, 0x800000
	v_mov_b32_e32 v11, 0x4f800000
	v_cmp_gt_f32_e64 s[4:5], s4, v5
	v_cndmask_b32_e64 v11, 1.0, v11, s[4:5]
	v_mul_f32_e32 v5, v5, v11
	v_log_f32_e32 v5, v5
	s_mov_b32 s14, 0x3f317217
	v_mul_f32_e32 v11, 0x3f317217, v5
	v_fma_f32 v12, v5, s14, -v11
	v_fmac_f32_e32 v12, 0x3377d1cf, v5
	s_mov_b32 s14, 0x7f800000
	v_add_f32_e32 v11, v11, v12
	v_cmp_lt_f32_e64 s[14:15], |v5|, s14
	v_cndmask_b32_e64 v5, v5, v11, s[14:15]
	v_mov_b32_e32 v11, 0x41b17218
	v_cndmask_b32_e64 v11, 0, v11, s[4:5]
	v_sub_f32_e32 v5, v5, v11
	v_mov_b32_e32 v11, s17
	v_add_co_u32_e64 v0, s[4:5], s16, v0
	v_addc_co_u32_e64 v1, s[4:5], v11, v1, s[4:5]
	v_sub_f32_e32 v2, v2, v5
	global_store_dword v[0:1], v2, off
	s_and_b64 exec, exec, vcc
	s_cbranch_execz .LBB53_26
; %bb.19:
	v_sub_f32_e32 v2, v3, v5
	global_store_dword v[0:1], v2, off offset:256
	s_and_b64 exec, exec, s[0:1]
	s_cbranch_execz .LBB53_26
; %bb.20:
	v_sub_f32_e32 v2, v4, v5
	global_store_dword v[0:1], v2, off offset:512
	s_and_b64 exec, exec, s[2:3]
	;; [unrolled: 5-line block ×6, first 2 shown]
	s_cbranch_execz .LBB53_26
; %bb.25:
	v_sub_f32_e32 v2, v6, v5
	global_store_dword v[0:1], v2, off offset:1792
.LBB53_26:
	s_endpgm
	.section	.rodata,"a",@progbits
	.p2align	6, 0x0
	.amdhsa_kernel _ZN12_GLOBAL__N_120softmax_warp_forwardIfffLi9ELb1ELb0ELi64EEEvPT0_PKT_iiiPKbib
		.amdhsa_group_segment_fixed_size 0
		.amdhsa_private_segment_fixed_size 0
		.amdhsa_kernarg_size 304
		.amdhsa_user_sgpr_count 6
		.amdhsa_user_sgpr_private_segment_buffer 1
		.amdhsa_user_sgpr_dispatch_ptr 0
		.amdhsa_user_sgpr_queue_ptr 0
		.amdhsa_user_sgpr_kernarg_segment_ptr 1
		.amdhsa_user_sgpr_dispatch_id 0
		.amdhsa_user_sgpr_flat_scratch_init 0
		.amdhsa_user_sgpr_kernarg_preload_length 0
		.amdhsa_user_sgpr_kernarg_preload_offset 0
		.amdhsa_user_sgpr_private_segment_size 0
		.amdhsa_uses_dynamic_stack 0
		.amdhsa_system_sgpr_private_segment_wavefront_offset 0
		.amdhsa_system_sgpr_workgroup_id_x 1
		.amdhsa_system_sgpr_workgroup_id_y 0
		.amdhsa_system_sgpr_workgroup_id_z 0
		.amdhsa_system_sgpr_workgroup_info 0
		.amdhsa_system_vgpr_workitem_id 1
		.amdhsa_next_free_vgpr 24
		.amdhsa_next_free_sgpr 24
		.amdhsa_accum_offset 24
		.amdhsa_reserve_vcc 1
		.amdhsa_reserve_flat_scratch 0
		.amdhsa_float_round_mode_32 0
		.amdhsa_float_round_mode_16_64 0
		.amdhsa_float_denorm_mode_32 3
		.amdhsa_float_denorm_mode_16_64 3
		.amdhsa_dx10_clamp 1
		.amdhsa_ieee_mode 1
		.amdhsa_fp16_overflow 0
		.amdhsa_tg_split 0
		.amdhsa_exception_fp_ieee_invalid_op 0
		.amdhsa_exception_fp_denorm_src 0
		.amdhsa_exception_fp_ieee_div_zero 0
		.amdhsa_exception_fp_ieee_overflow 0
		.amdhsa_exception_fp_ieee_underflow 0
		.amdhsa_exception_fp_ieee_inexact 0
		.amdhsa_exception_int_div_zero 0
	.end_amdhsa_kernel
	.section	.text._ZN12_GLOBAL__N_120softmax_warp_forwardIfffLi9ELb1ELb0ELi64EEEvPT0_PKT_iiiPKbib,"axG",@progbits,_ZN12_GLOBAL__N_120softmax_warp_forwardIfffLi9ELb1ELb0ELi64EEEvPT0_PKT_iiiPKbib,comdat
.Lfunc_end53:
	.size	_ZN12_GLOBAL__N_120softmax_warp_forwardIfffLi9ELb1ELb0ELi64EEEvPT0_PKT_iiiPKbib, .Lfunc_end53-_ZN12_GLOBAL__N_120softmax_warp_forwardIfffLi9ELb1ELb0ELi64EEEvPT0_PKT_iiiPKbib
                                        ; -- End function
	.section	.AMDGPU.csdata,"",@progbits
; Kernel info:
; codeLenInByte = 2092
; NumSgprs: 28
; NumVgprs: 24
; NumAgprs: 0
; TotalNumVgprs: 24
; ScratchSize: 0
; MemoryBound: 0
; FloatMode: 240
; IeeeMode: 1
; LDSByteSize: 0 bytes/workgroup (compile time only)
; SGPRBlocks: 3
; VGPRBlocks: 2
; NumSGPRsForWavesPerEU: 28
; NumVGPRsForWavesPerEU: 24
; AccumOffset: 24
; Occupancy: 8
; WaveLimiterHint : 0
; COMPUTE_PGM_RSRC2:SCRATCH_EN: 0
; COMPUTE_PGM_RSRC2:USER_SGPR: 6
; COMPUTE_PGM_RSRC2:TRAP_HANDLER: 0
; COMPUTE_PGM_RSRC2:TGID_X_EN: 1
; COMPUTE_PGM_RSRC2:TGID_Y_EN: 0
; COMPUTE_PGM_RSRC2:TGID_Z_EN: 0
; COMPUTE_PGM_RSRC2:TIDIG_COMP_CNT: 1
; COMPUTE_PGM_RSRC3_GFX90A:ACCUM_OFFSET: 5
; COMPUTE_PGM_RSRC3_GFX90A:TG_SPLIT: 0
	.section	.text._ZN12_GLOBAL__N_120softmax_warp_forwardIfffLi9ELb1ELb0ELi32EEEvPT0_PKT_iiiPKbib,"axG",@progbits,_ZN12_GLOBAL__N_120softmax_warp_forwardIfffLi9ELb1ELb0ELi32EEEvPT0_PKT_iiiPKbib,comdat
	.globl	_ZN12_GLOBAL__N_120softmax_warp_forwardIfffLi9ELb1ELb0ELi32EEEvPT0_PKT_iiiPKbib ; -- Begin function _ZN12_GLOBAL__N_120softmax_warp_forwardIfffLi9ELb1ELb0ELi32EEEvPT0_PKT_iiiPKbib
	.p2align	8
	.type	_ZN12_GLOBAL__N_120softmax_warp_forwardIfffLi9ELb1ELb0ELi32EEEvPT0_PKT_iiiPKbib,@function
_ZN12_GLOBAL__N_120softmax_warp_forwardIfffLi9ELb1ELb0ELi32EEEvPT0_PKT_iiiPKbib: ; @_ZN12_GLOBAL__N_120softmax_warp_forwardIfffLi9ELb1ELb0ELi32EEEvPT0_PKT_iiiPKbib
; %bb.0:
	s_load_dword s0, s[4:5], 0x3c
	s_load_dwordx8 s[36:43], s[4:5], 0x0
	v_bfe_u32 v1, v0, 10, 10
	v_and_b32_e32 v4, 0x3ff, v0
	v_mov_b32_e32 v18, 0xff800000
	s_waitcnt lgkmcnt(0)
	s_lshr_b32 s0, s0, 16
	s_mul_i32 s6, s6, s0
	v_add_u32_e32 v1, s6, v1
	v_sub_u32_e32 v5, s40, v1
	v_mad_u64_u32 v[0:1], s[0:1], v1, s41, v[4:5]
	v_ashrrev_i32_e32 v1, 31, v0
	v_lshlrev_b64 v[0:1], 2, v[0:1]
	v_mov_b32_e32 v3, s39
	v_add_co_u32_e32 v2, vcc, s38, v0
	v_cmp_lt_i32_e64 s[30:31], 0, v5
	v_cmp_gt_i32_e64 s[4:5], s42, v4
	v_addc_co_u32_e32 v3, vcc, v3, v1, vcc
	s_and_b64 s[2:3], s[30:31], s[4:5]
	v_mov_b32_e32 v25, 0xff800000
	s_and_saveexec_b64 s[0:1], s[2:3]
	s_cbranch_execz .LBB54_2
; %bb.1:
	global_load_dword v25, v[2:3], off
.LBB54_2:
	s_or_b64 exec, exec, s[0:1]
	v_add_u32_e32 v6, 32, v4
	v_cmp_gt_i32_e32 vcc, s42, v6
	s_and_b64 s[2:3], s[30:31], vcc
	s_and_saveexec_b64 s[0:1], s[2:3]
	s_cbranch_execz .LBB54_4
; %bb.3:
	global_load_dword v18, v[2:3], off offset:128
.LBB54_4:
	s_or_b64 exec, exec, s[0:1]
	v_add_u32_e32 v6, 64, v4
	v_cmp_gt_i32_e64 s[0:1], s42, v6
	s_and_b64 s[6:7], s[30:31], s[0:1]
	v_mov_b32_e32 v16, 0xff800000
	v_mov_b32_e32 v23, 0xff800000
	s_and_saveexec_b64 s[2:3], s[6:7]
	s_cbranch_execz .LBB54_6
; %bb.5:
	global_load_dword v23, v[2:3], off offset:256
.LBB54_6:
	s_or_b64 exec, exec, s[2:3]
	v_add_u32_e32 v6, 0x60, v4
	v_cmp_gt_i32_e64 s[2:3], s42, v6
	s_and_b64 s[8:9], s[30:31], s[2:3]
	s_and_saveexec_b64 s[6:7], s[8:9]
	s_cbranch_execz .LBB54_8
; %bb.7:
	global_load_dword v16, v[2:3], off offset:384
.LBB54_8:
	s_or_b64 exec, exec, s[6:7]
	v_add_u32_e32 v6, 0x80, v4
	v_cmp_gt_i32_e64 s[6:7], s42, v6
	s_and_b64 s[10:11], s[30:31], s[6:7]
	v_mov_b32_e32 v14, 0xff800000
	v_mov_b32_e32 v21, 0xff800000
	s_and_saveexec_b64 s[8:9], s[10:11]
	s_cbranch_execz .LBB54_10
; %bb.9:
	global_load_dword v21, v[2:3], off offset:512
.LBB54_10:
	s_or_b64 exec, exec, s[8:9]
	v_add_u32_e32 v6, 0xa0, v4
	v_cmp_gt_i32_e64 s[8:9], s42, v6
	s_and_b64 s[12:13], s[30:31], s[8:9]
	;; [unrolled: 20-line block ×7, first 2 shown]
	s_and_saveexec_b64 s[30:31], s[34:35]
	s_cbranch_execz .LBB54_32
; %bb.31:
	global_load_dword v6, v[2:3], off offset:1920
.LBB54_32:
	s_or_b64 exec, exec, s[30:31]
	s_waitcnt vmcnt(0)
	v_cmp_gt_f32_e64 s[30:31], v25, v18
	v_cndmask_b32_e64 v2, v18, v25, s[30:31]
	v_cmp_gt_f32_e64 s[30:31], v2, v23
	v_cndmask_b32_e64 v2, v23, v2, s[30:31]
	;; [unrolled: 2-line block ×13, first 2 shown]
	v_mbcnt_lo_u32_b32 v3, -1, 0
	v_cmp_gt_f32_e64 s[30:31], v2, v9
	v_mbcnt_hi_u32_b32 v3, -1, v3
	v_cndmask_b32_e64 v2, v9, v2, s[30:31]
	v_and_b32_e32 v4, 0x60, v3
	v_cmp_gt_f32_e64 s[30:31], v2, v6
	v_add_u32_e32 v24, 32, v4
	v_xor_b32_e32 v4, 16, v3
	v_cndmask_b32_e64 v2, v6, v2, s[30:31]
	v_cmp_lt_i32_e64 s[30:31], v4, v24
	v_cndmask_b32_e64 v4, v3, v4, s[30:31]
	v_lshlrev_b32_e32 v4, 2, v4
	ds_bpermute_b32 v19, v4, v2
	s_mov_b32 s34, 0x3fb8aa3b
	s_mov_b32 s33, 0xc2ce8ed0
	;; [unrolled: 1-line block ×3, first 2 shown]
	s_waitcnt lgkmcnt(0)
	v_cmp_lt_f32_e64 s[30:31], v2, v19
	v_cndmask_b32_e64 v2, v2, v19, s[30:31]
	v_xor_b32_e32 v19, 8, v3
	v_cmp_lt_i32_e64 s[30:31], v19, v24
	v_cndmask_b32_e64 v19, v3, v19, s[30:31]
	v_lshlrev_b32_e32 v19, 2, v19
	ds_bpermute_b32 v20, v19, v2
	s_waitcnt lgkmcnt(0)
	v_cmp_lt_f32_e64 s[30:31], v2, v20
	v_cndmask_b32_e64 v2, v2, v20, s[30:31]
	v_xor_b32_e32 v20, 4, v3
	v_cmp_lt_i32_e64 s[30:31], v20, v24
	v_cndmask_b32_e64 v20, v3, v20, s[30:31]
	v_lshlrev_b32_e32 v20, 2, v20
	ds_bpermute_b32 v22, v20, v2
	;; [unrolled: 8-line block ×4, first 2 shown]
	s_waitcnt lgkmcnt(0)
	v_cmp_lt_f32_e64 s[30:31], v2, v3
	v_cndmask_b32_e64 v26, v2, v3, s[30:31]
	v_sub_f32_e32 v2, v25, v26
	v_mul_f32_e32 v3, 0x3fb8aa3b, v2
	v_fma_f32 v25, v2, s34, -v3
	v_rndne_f32_e32 v27, v3
	v_fmac_f32_e32 v25, 0x32a5705f, v2
	v_sub_f32_e32 v3, v3, v27
	v_add_f32_e32 v3, v3, v25
	v_exp_f32_e32 v3, v3
	v_cvt_i32_f32_e32 v25, v27
	v_cmp_ngt_f32_e64 s[30:31], s33, v2
	v_sub_f32_e32 v16, v16, v26
	v_sub_f32_e32 v21, v21, v26
	v_ldexp_f32 v3, v3, v25
	v_cndmask_b32_e64 v27, 0, v3, s[30:31]
	v_sub_f32_e32 v3, v18, v26
	v_mul_f32_e32 v18, 0x3fb8aa3b, v3
	v_fma_f32 v25, v3, s34, -v18
	v_rndne_f32_e32 v28, v18
	v_fmac_f32_e32 v25, 0x32a5705f, v3
	v_sub_f32_e32 v18, v18, v28
	v_add_f32_e32 v18, v18, v25
	v_exp_f32_e32 v18, v18
	v_cvt_i32_f32_e32 v28, v28
	v_mov_b32_e32 v25, 0x7f800000
	v_cmp_nlt_f32_e64 s[30:31], s35, v2
	v_cndmask_b32_e64 v27, v25, v27, s[30:31]
	v_ldexp_f32 v18, v18, v28
	v_cmp_ngt_f32_e64 s[30:31], s33, v3
	v_cndmask_b32_e64 v28, 0, v18, s[30:31]
	v_sub_f32_e32 v18, v23, v26
	v_mul_f32_e32 v23, 0x3fb8aa3b, v18
	v_fma_f32 v29, v18, s34, -v23
	v_rndne_f32_e32 v30, v23
	v_fmac_f32_e32 v29, 0x32a5705f, v18
	v_sub_f32_e32 v23, v23, v30
	v_add_f32_e32 v23, v23, v29
	v_exp_f32_e32 v23, v23
	v_cvt_i32_f32_e32 v29, v30
	v_cmp_nlt_f32_e64 s[30:31], s35, v3
	v_cndmask_b32_e64 v28, v25, v28, s[30:31]
	v_add_f32_e32 v27, v27, v28
	v_mul_f32_e32 v28, 0x3fb8aa3b, v16
	v_ldexp_f32 v23, v23, v29
	v_fma_f32 v29, v16, s34, -v28
	v_rndne_f32_e32 v30, v28
	v_fmac_f32_e32 v29, 0x32a5705f, v16
	v_sub_f32_e32 v28, v28, v30
	v_add_f32_e32 v28, v28, v29
	v_exp_f32_e32 v28, v28
	v_cvt_i32_f32_e32 v29, v30
	v_cmp_ngt_f32_e64 s[30:31], s33, v18
	v_cndmask_b32_e64 v23, 0, v23, s[30:31]
	v_cmp_nlt_f32_e64 s[30:31], s35, v18
	v_cndmask_b32_e64 v23, v25, v23, s[30:31]
	v_add_f32_e32 v23, v27, v23
	v_ldexp_f32 v27, v28, v29
	v_mul_f32_e32 v28, 0x3fb8aa3b, v21
	v_fma_f32 v29, v21, s34, -v28
	v_rndne_f32_e32 v30, v28
	v_fmac_f32_e32 v29, 0x32a5705f, v21
	v_sub_f32_e32 v28, v28, v30
	v_add_f32_e32 v28, v28, v29
	v_exp_f32_e32 v28, v28
	v_cvt_i32_f32_e32 v29, v30
	v_cmp_ngt_f32_e64 s[30:31], s33, v16
	v_cndmask_b32_e64 v27, 0, v27, s[30:31]
	v_cmp_nlt_f32_e64 s[30:31], s35, v16
	v_cndmask_b32_e64 v27, v25, v27, s[30:31]
	v_sub_f32_e32 v14, v14, v26
	v_add_f32_e32 v23, v23, v27
	v_ldexp_f32 v27, v28, v29
	v_mul_f32_e32 v28, 0x3fb8aa3b, v14
	v_fma_f32 v29, v14, s34, -v28
	v_rndne_f32_e32 v30, v28
	v_fmac_f32_e32 v29, 0x32a5705f, v14
	v_sub_f32_e32 v28, v28, v30
	v_add_f32_e32 v28, v28, v29
	v_exp_f32_e32 v28, v28
	v_cvt_i32_f32_e32 v29, v30
	v_cmp_ngt_f32_e64 s[30:31], s33, v21
	v_cndmask_b32_e64 v27, 0, v27, s[30:31]
	v_cmp_nlt_f32_e64 s[30:31], s35, v21
	v_cndmask_b32_e64 v27, v25, v27, s[30:31]
	v_sub_f32_e32 v17, v17, v26
	;; [unrolled: 15-line block ×10, first 2 shown]
	v_add_f32_e32 v23, v23, v27
	v_ldexp_f32 v27, v28, v29
	v_mul_f32_e32 v28, 0x3fb8aa3b, v9
	v_fma_f32 v29, v9, s34, -v28
	v_rndne_f32_e32 v30, v28
	v_fmac_f32_e32 v29, 0x32a5705f, v9
	v_sub_f32_e32 v28, v28, v30
	v_add_f32_e32 v28, v28, v29
	v_exp_f32_e32 v28, v28
	v_cvt_i32_f32_e32 v29, v30
	v_cmp_ngt_f32_e64 s[30:31], s33, v7
	v_cndmask_b32_e64 v27, 0, v27, s[30:31]
	v_cmp_nlt_f32_e64 s[30:31], s35, v7
	v_sub_f32_e32 v6, v6, v26
	v_cndmask_b32_e64 v27, v25, v27, s[30:31]
	v_mul_f32_e32 v26, 0x3fb8aa3b, v6
	v_add_f32_e32 v23, v23, v27
	v_ldexp_f32 v27, v28, v29
	v_fma_f32 v28, v6, s34, -v26
	v_rndne_f32_e32 v29, v26
	v_fmac_f32_e32 v28, 0x32a5705f, v6
	v_sub_f32_e32 v26, v26, v29
	v_add_f32_e32 v26, v26, v28
	v_exp_f32_e32 v26, v26
	v_cvt_i32_f32_e32 v28, v29
	v_cmp_ngt_f32_e64 s[30:31], s33, v9
	v_cndmask_b32_e64 v27, 0, v27, s[30:31]
	v_cmp_nlt_f32_e64 s[30:31], s35, v9
	v_cndmask_b32_e64 v27, v25, v27, s[30:31]
	v_ldexp_f32 v26, v26, v28
	v_cmp_ngt_f32_e64 s[30:31], s33, v6
	v_cndmask_b32_e64 v26, 0, v26, s[30:31]
	v_cmp_nlt_f32_e64 s[30:31], s35, v6
	v_add_f32_e32 v23, v23, v27
	v_cndmask_b32_e64 v25, v25, v26, s[30:31]
	v_add_f32_e32 v23, v23, v25
	ds_bpermute_b32 v4, v4, v23
	v_cmp_lt_i32_e64 s[30:31], 0, v5
	s_waitcnt lgkmcnt(0)
	v_add_f32_e32 v4, v23, v4
	ds_bpermute_b32 v19, v19, v4
	s_waitcnt lgkmcnt(0)
	v_add_f32_e32 v4, v4, v19
	ds_bpermute_b32 v19, v20, v4
	;; [unrolled: 3-line block ×4, first 2 shown]
	s_and_saveexec_b64 s[34:35], s[30:31]
	s_cbranch_execz .LBB54_50
; %bb.33:
	s_and_b64 exec, exec, s[4:5]
	s_cbranch_execz .LBB54_50
; %bb.34:
	s_waitcnt lgkmcnt(0)
	v_add_f32_e32 v4, v4, v19
	s_mov_b32 s4, 0x800000
	v_mov_b32_e32 v5, 0x4f800000
	v_cmp_gt_f32_e64 s[4:5], s4, v4
	v_cndmask_b32_e64 v5, 1.0, v5, s[4:5]
	v_mul_f32_e32 v4, v4, v5
	v_log_f32_e32 v4, v4
	s_mov_b32 s30, 0x3f317217
	v_mul_f32_e32 v5, 0x3f317217, v4
	v_fma_f32 v19, v4, s30, -v5
	v_fmac_f32_e32 v19, 0x3377d1cf, v4
	s_mov_b32 s30, 0x7f800000
	v_add_f32_e32 v5, v5, v19
	v_cmp_lt_f32_e64 s[30:31], |v4|, s30
	v_cndmask_b32_e64 v4, v4, v5, s[30:31]
	v_mov_b32_e32 v5, 0x41b17218
	v_cndmask_b32_e64 v5, 0, v5, s[4:5]
	v_sub_f32_e32 v4, v4, v5
	v_mov_b32_e32 v5, s37
	v_add_co_u32_e64 v0, s[4:5], s36, v0
	v_addc_co_u32_e64 v1, s[4:5], v5, v1, s[4:5]
	v_sub_f32_e32 v2, v2, v4
	global_store_dword v[0:1], v2, off
	s_and_b64 exec, exec, vcc
	s_cbranch_execz .LBB54_50
; %bb.35:
	v_sub_f32_e32 v2, v3, v4
	global_store_dword v[0:1], v2, off offset:128
	s_and_b64 exec, exec, s[0:1]
	s_cbranch_execz .LBB54_50
; %bb.36:
	v_sub_f32_e32 v2, v18, v4
	global_store_dword v[0:1], v2, off offset:256
	s_and_b64 exec, exec, s[2:3]
	;; [unrolled: 5-line block ×14, first 2 shown]
	s_cbranch_execz .LBB54_50
; %bb.49:
	v_sub_f32_e32 v2, v6, v4
	global_store_dword v[0:1], v2, off offset:1920
.LBB54_50:
	s_endpgm
	.section	.rodata,"a",@progbits
	.p2align	6, 0x0
	.amdhsa_kernel _ZN12_GLOBAL__N_120softmax_warp_forwardIfffLi9ELb1ELb0ELi32EEEvPT0_PKT_iiiPKbib
		.amdhsa_group_segment_fixed_size 0
		.amdhsa_private_segment_fixed_size 0
		.amdhsa_kernarg_size 304
		.amdhsa_user_sgpr_count 6
		.amdhsa_user_sgpr_private_segment_buffer 1
		.amdhsa_user_sgpr_dispatch_ptr 0
		.amdhsa_user_sgpr_queue_ptr 0
		.amdhsa_user_sgpr_kernarg_segment_ptr 1
		.amdhsa_user_sgpr_dispatch_id 0
		.amdhsa_user_sgpr_flat_scratch_init 0
		.amdhsa_user_sgpr_kernarg_preload_length 0
		.amdhsa_user_sgpr_kernarg_preload_offset 0
		.amdhsa_user_sgpr_private_segment_size 0
		.amdhsa_uses_dynamic_stack 0
		.amdhsa_system_sgpr_private_segment_wavefront_offset 0
		.amdhsa_system_sgpr_workgroup_id_x 1
		.amdhsa_system_sgpr_workgroup_id_y 0
		.amdhsa_system_sgpr_workgroup_id_z 0
		.amdhsa_system_sgpr_workgroup_info 0
		.amdhsa_system_vgpr_workitem_id 1
		.amdhsa_next_free_vgpr 31
		.amdhsa_next_free_sgpr 44
		.amdhsa_accum_offset 32
		.amdhsa_reserve_vcc 1
		.amdhsa_reserve_flat_scratch 0
		.amdhsa_float_round_mode_32 0
		.amdhsa_float_round_mode_16_64 0
		.amdhsa_float_denorm_mode_32 3
		.amdhsa_float_denorm_mode_16_64 3
		.amdhsa_dx10_clamp 1
		.amdhsa_ieee_mode 1
		.amdhsa_fp16_overflow 0
		.amdhsa_tg_split 0
		.amdhsa_exception_fp_ieee_invalid_op 0
		.amdhsa_exception_fp_denorm_src 0
		.amdhsa_exception_fp_ieee_div_zero 0
		.amdhsa_exception_fp_ieee_overflow 0
		.amdhsa_exception_fp_ieee_underflow 0
		.amdhsa_exception_fp_ieee_inexact 0
		.amdhsa_exception_int_div_zero 0
	.end_amdhsa_kernel
	.section	.text._ZN12_GLOBAL__N_120softmax_warp_forwardIfffLi9ELb1ELb0ELi32EEEvPT0_PKT_iiiPKbib,"axG",@progbits,_ZN12_GLOBAL__N_120softmax_warp_forwardIfffLi9ELb1ELb0ELi32EEEvPT0_PKT_iiiPKbib,comdat
.Lfunc_end54:
	.size	_ZN12_GLOBAL__N_120softmax_warp_forwardIfffLi9ELb1ELb0ELi32EEEvPT0_PKT_iiiPKbib, .Lfunc_end54-_ZN12_GLOBAL__N_120softmax_warp_forwardIfffLi9ELb1ELb0ELi32EEEvPT0_PKT_iiiPKbib
                                        ; -- End function
	.section	.AMDGPU.csdata,"",@progbits
; Kernel info:
; codeLenInByte = 3432
; NumSgprs: 48
; NumVgprs: 31
; NumAgprs: 0
; TotalNumVgprs: 31
; ScratchSize: 0
; MemoryBound: 0
; FloatMode: 240
; IeeeMode: 1
; LDSByteSize: 0 bytes/workgroup (compile time only)
; SGPRBlocks: 5
; VGPRBlocks: 3
; NumSGPRsForWavesPerEU: 48
; NumVGPRsForWavesPerEU: 31
; AccumOffset: 32
; Occupancy: 8
; WaveLimiterHint : 0
; COMPUTE_PGM_RSRC2:SCRATCH_EN: 0
; COMPUTE_PGM_RSRC2:USER_SGPR: 6
; COMPUTE_PGM_RSRC2:TRAP_HANDLER: 0
; COMPUTE_PGM_RSRC2:TGID_X_EN: 1
; COMPUTE_PGM_RSRC2:TGID_Y_EN: 0
; COMPUTE_PGM_RSRC2:TGID_Z_EN: 0
; COMPUTE_PGM_RSRC2:TIDIG_COMP_CNT: 1
; COMPUTE_PGM_RSRC3_GFX90A:ACCUM_OFFSET: 7
; COMPUTE_PGM_RSRC3_GFX90A:TG_SPLIT: 0
	.section	.text._ZN12_GLOBAL__N_120softmax_warp_forwardIfffLi10ELb1ELb0ELi64EEEvPT0_PKT_iiiPKbib,"axG",@progbits,_ZN12_GLOBAL__N_120softmax_warp_forwardIfffLi10ELb1ELb0ELi64EEEvPT0_PKT_iiiPKbib,comdat
	.globl	_ZN12_GLOBAL__N_120softmax_warp_forwardIfffLi10ELb1ELb0ELi64EEEvPT0_PKT_iiiPKbib ; -- Begin function _ZN12_GLOBAL__N_120softmax_warp_forwardIfffLi10ELb1ELb0ELi64EEEvPT0_PKT_iiiPKbib
	.p2align	8
	.type	_ZN12_GLOBAL__N_120softmax_warp_forwardIfffLi10ELb1ELb0ELi64EEEvPT0_PKT_iiiPKbib,@function
_ZN12_GLOBAL__N_120softmax_warp_forwardIfffLi10ELb1ELb0ELi64EEEvPT0_PKT_iiiPKbib: ; @_ZN12_GLOBAL__N_120softmax_warp_forwardIfffLi10ELb1ELb0ELi64EEEvPT0_PKT_iiiPKbib
; %bb.0:
	s_load_dword s0, s[4:5], 0x3c
	s_load_dwordx8 s[36:43], s[4:5], 0x0
	v_bfe_u32 v1, v0, 10, 10
	v_and_b32_e32 v4, 0x3ff, v0
	v_mov_b32_e32 v18, 0xff800000
	s_waitcnt lgkmcnt(0)
	s_lshr_b32 s0, s0, 16
	s_mul_i32 s6, s6, s0
	v_add_u32_e32 v1, s6, v1
	v_sub_u32_e32 v5, s40, v1
	v_mad_u64_u32 v[0:1], s[0:1], v1, s41, v[4:5]
	v_ashrrev_i32_e32 v1, 31, v0
	v_lshlrev_b64 v[0:1], 2, v[0:1]
	v_mov_b32_e32 v3, s39
	v_add_co_u32_e32 v2, vcc, s38, v0
	v_cmp_lt_i32_e64 s[30:31], 0, v5
	v_cmp_gt_i32_e64 s[4:5], s42, v4
	v_addc_co_u32_e32 v3, vcc, v3, v1, vcc
	s_and_b64 s[2:3], s[30:31], s[4:5]
	v_mov_b32_e32 v25, 0xff800000
	s_and_saveexec_b64 s[0:1], s[2:3]
	s_cbranch_execz .LBB55_2
; %bb.1:
	global_load_dword v25, v[2:3], off
.LBB55_2:
	s_or_b64 exec, exec, s[0:1]
	v_add_u32_e32 v6, 64, v4
	v_cmp_gt_i32_e32 vcc, s42, v6
	s_and_b64 s[2:3], s[30:31], vcc
	s_and_saveexec_b64 s[0:1], s[2:3]
	s_cbranch_execz .LBB55_4
; %bb.3:
	global_load_dword v18, v[2:3], off offset:256
.LBB55_4:
	s_or_b64 exec, exec, s[0:1]
	v_add_u32_e32 v6, 0x80, v4
	v_cmp_gt_i32_e64 s[0:1], s42, v6
	s_and_b64 s[6:7], s[30:31], s[0:1]
	v_mov_b32_e32 v16, 0xff800000
	v_mov_b32_e32 v23, 0xff800000
	s_and_saveexec_b64 s[2:3], s[6:7]
	s_cbranch_execz .LBB55_6
; %bb.5:
	global_load_dword v23, v[2:3], off offset:512
.LBB55_6:
	s_or_b64 exec, exec, s[2:3]
	v_add_u32_e32 v6, 0xc0, v4
	v_cmp_gt_i32_e64 s[2:3], s42, v6
	s_and_b64 s[8:9], s[30:31], s[2:3]
	s_and_saveexec_b64 s[6:7], s[8:9]
	s_cbranch_execz .LBB55_8
; %bb.7:
	global_load_dword v16, v[2:3], off offset:768
.LBB55_8:
	s_or_b64 exec, exec, s[6:7]
	v_add_u32_e32 v6, 0x100, v4
	v_cmp_gt_i32_e64 s[6:7], s42, v6
	s_and_b64 s[10:11], s[30:31], s[6:7]
	v_mov_b32_e32 v14, 0xff800000
	v_mov_b32_e32 v21, 0xff800000
	s_and_saveexec_b64 s[8:9], s[10:11]
	s_cbranch_execz .LBB55_10
; %bb.9:
	global_load_dword v21, v[2:3], off offset:1024
.LBB55_10:
	s_or_b64 exec, exec, s[8:9]
	v_add_u32_e32 v6, 0x140, v4
	v_cmp_gt_i32_e64 s[8:9], s42, v6
	s_and_b64 s[12:13], s[30:31], s[8:9]
	;; [unrolled: 20-line block ×7, first 2 shown]
	s_and_saveexec_b64 s[30:31], s[34:35]
	s_cbranch_execz .LBB55_32
; %bb.31:
	global_load_dword v6, v[2:3], off offset:3840
.LBB55_32:
	s_or_b64 exec, exec, s[30:31]
	s_waitcnt vmcnt(0)
	v_cmp_gt_f32_e64 s[30:31], v25, v18
	v_cndmask_b32_e64 v2, v18, v25, s[30:31]
	v_cmp_gt_f32_e64 s[30:31], v2, v23
	v_cndmask_b32_e64 v2, v23, v2, s[30:31]
	;; [unrolled: 2-line block ×13, first 2 shown]
	v_mbcnt_lo_u32_b32 v3, -1, 0
	v_cmp_gt_f32_e64 s[30:31], v2, v9
	v_mbcnt_hi_u32_b32 v3, -1, v3
	v_cndmask_b32_e64 v2, v9, v2, s[30:31]
	v_and_b32_e32 v4, 64, v3
	v_cmp_gt_f32_e64 s[30:31], v2, v6
	v_add_u32_e32 v26, 64, v4
	v_xor_b32_e32 v4, 32, v3
	v_cndmask_b32_e64 v2, v6, v2, s[30:31]
	v_cmp_lt_i32_e64 s[30:31], v4, v26
	v_cndmask_b32_e64 v4, v3, v4, s[30:31]
	v_lshlrev_b32_e32 v4, 2, v4
	ds_bpermute_b32 v19, v4, v2
	s_mov_b32 s34, 0x3fb8aa3b
	s_mov_b32 s33, 0xc2ce8ed0
	;; [unrolled: 1-line block ×3, first 2 shown]
	s_waitcnt lgkmcnt(0)
	v_cmp_lt_f32_e64 s[30:31], v2, v19
	v_cndmask_b32_e64 v2, v2, v19, s[30:31]
	v_xor_b32_e32 v19, 16, v3
	v_cmp_lt_i32_e64 s[30:31], v19, v26
	v_cndmask_b32_e64 v19, v3, v19, s[30:31]
	v_lshlrev_b32_e32 v19, 2, v19
	ds_bpermute_b32 v20, v19, v2
	s_waitcnt lgkmcnt(0)
	v_cmp_lt_f32_e64 s[30:31], v2, v20
	v_cndmask_b32_e64 v2, v2, v20, s[30:31]
	v_xor_b32_e32 v20, 8, v3
	v_cmp_lt_i32_e64 s[30:31], v20, v26
	v_cndmask_b32_e64 v20, v3, v20, s[30:31]
	v_lshlrev_b32_e32 v20, 2, v20
	ds_bpermute_b32 v22, v20, v2
	;; [unrolled: 8-line block ×5, first 2 shown]
	s_waitcnt lgkmcnt(0)
	v_cmp_lt_f32_e64 s[30:31], v2, v3
	v_cndmask_b32_e64 v27, v2, v3, s[30:31]
	v_sub_f32_e32 v2, v25, v27
	v_mul_f32_e32 v3, 0x3fb8aa3b, v2
	v_fma_f32 v25, v2, s34, -v3
	v_rndne_f32_e32 v28, v3
	v_fmac_f32_e32 v25, 0x32a5705f, v2
	v_sub_f32_e32 v3, v3, v28
	v_add_f32_e32 v3, v3, v25
	v_exp_f32_e32 v3, v3
	v_cvt_i32_f32_e32 v25, v28
	v_cmp_ngt_f32_e64 s[30:31], s33, v2
	v_sub_f32_e32 v16, v16, v27
	v_sub_f32_e32 v21, v21, v27
	v_ldexp_f32 v3, v3, v25
	v_cndmask_b32_e64 v28, 0, v3, s[30:31]
	v_sub_f32_e32 v3, v18, v27
	v_mul_f32_e32 v18, 0x3fb8aa3b, v3
	v_fma_f32 v25, v3, s34, -v18
	v_rndne_f32_e32 v29, v18
	v_fmac_f32_e32 v25, 0x32a5705f, v3
	v_sub_f32_e32 v18, v18, v29
	v_add_f32_e32 v18, v18, v25
	v_exp_f32_e32 v18, v18
	v_cvt_i32_f32_e32 v29, v29
	v_mov_b32_e32 v25, 0x7f800000
	v_cmp_nlt_f32_e64 s[30:31], s35, v2
	v_cndmask_b32_e64 v28, v25, v28, s[30:31]
	v_ldexp_f32 v18, v18, v29
	v_cmp_ngt_f32_e64 s[30:31], s33, v3
	v_cndmask_b32_e64 v29, 0, v18, s[30:31]
	v_sub_f32_e32 v18, v23, v27
	v_mul_f32_e32 v23, 0x3fb8aa3b, v18
	v_fma_f32 v30, v18, s34, -v23
	v_rndne_f32_e32 v31, v23
	v_fmac_f32_e32 v30, 0x32a5705f, v18
	v_sub_f32_e32 v23, v23, v31
	v_add_f32_e32 v23, v23, v30
	v_exp_f32_e32 v23, v23
	v_cvt_i32_f32_e32 v30, v31
	v_cmp_nlt_f32_e64 s[30:31], s35, v3
	v_cndmask_b32_e64 v29, v25, v29, s[30:31]
	v_add_f32_e32 v28, v28, v29
	v_mul_f32_e32 v29, 0x3fb8aa3b, v16
	v_ldexp_f32 v23, v23, v30
	v_fma_f32 v30, v16, s34, -v29
	v_rndne_f32_e32 v31, v29
	v_fmac_f32_e32 v30, 0x32a5705f, v16
	v_sub_f32_e32 v29, v29, v31
	v_add_f32_e32 v29, v29, v30
	v_exp_f32_e32 v29, v29
	v_cvt_i32_f32_e32 v30, v31
	v_cmp_ngt_f32_e64 s[30:31], s33, v18
	v_cndmask_b32_e64 v23, 0, v23, s[30:31]
	v_cmp_nlt_f32_e64 s[30:31], s35, v18
	v_cndmask_b32_e64 v23, v25, v23, s[30:31]
	v_add_f32_e32 v23, v28, v23
	v_ldexp_f32 v28, v29, v30
	v_mul_f32_e32 v29, 0x3fb8aa3b, v21
	v_fma_f32 v30, v21, s34, -v29
	v_rndne_f32_e32 v31, v29
	v_fmac_f32_e32 v30, 0x32a5705f, v21
	v_sub_f32_e32 v29, v29, v31
	v_add_f32_e32 v29, v29, v30
	v_exp_f32_e32 v29, v29
	v_cvt_i32_f32_e32 v30, v31
	v_cmp_ngt_f32_e64 s[30:31], s33, v16
	v_cndmask_b32_e64 v28, 0, v28, s[30:31]
	v_cmp_nlt_f32_e64 s[30:31], s35, v16
	v_cndmask_b32_e64 v28, v25, v28, s[30:31]
	v_sub_f32_e32 v14, v14, v27
	v_add_f32_e32 v23, v23, v28
	v_ldexp_f32 v28, v29, v30
	v_mul_f32_e32 v29, 0x3fb8aa3b, v14
	v_fma_f32 v30, v14, s34, -v29
	v_rndne_f32_e32 v31, v29
	v_fmac_f32_e32 v30, 0x32a5705f, v14
	v_sub_f32_e32 v29, v29, v31
	v_add_f32_e32 v29, v29, v30
	v_exp_f32_e32 v29, v29
	v_cvt_i32_f32_e32 v30, v31
	v_cmp_ngt_f32_e64 s[30:31], s33, v21
	v_cndmask_b32_e64 v28, 0, v28, s[30:31]
	v_cmp_nlt_f32_e64 s[30:31], s35, v21
	v_cndmask_b32_e64 v28, v25, v28, s[30:31]
	v_sub_f32_e32 v17, v17, v27
	;; [unrolled: 15-line block ×10, first 2 shown]
	v_add_f32_e32 v23, v23, v28
	v_ldexp_f32 v28, v29, v30
	v_mul_f32_e32 v29, 0x3fb8aa3b, v9
	v_fma_f32 v30, v9, s34, -v29
	v_rndne_f32_e32 v31, v29
	v_fmac_f32_e32 v30, 0x32a5705f, v9
	v_sub_f32_e32 v29, v29, v31
	v_add_f32_e32 v29, v29, v30
	v_exp_f32_e32 v29, v29
	v_cvt_i32_f32_e32 v30, v31
	v_cmp_ngt_f32_e64 s[30:31], s33, v7
	v_cndmask_b32_e64 v28, 0, v28, s[30:31]
	v_cmp_nlt_f32_e64 s[30:31], s35, v7
	v_sub_f32_e32 v6, v6, v27
	v_cndmask_b32_e64 v28, v25, v28, s[30:31]
	v_mul_f32_e32 v27, 0x3fb8aa3b, v6
	v_add_f32_e32 v23, v23, v28
	v_ldexp_f32 v28, v29, v30
	v_fma_f32 v29, v6, s34, -v27
	v_rndne_f32_e32 v30, v27
	v_fmac_f32_e32 v29, 0x32a5705f, v6
	v_sub_f32_e32 v27, v27, v30
	v_add_f32_e32 v27, v27, v29
	v_exp_f32_e32 v27, v27
	v_cvt_i32_f32_e32 v29, v30
	v_cmp_ngt_f32_e64 s[30:31], s33, v9
	v_cndmask_b32_e64 v28, 0, v28, s[30:31]
	v_cmp_nlt_f32_e64 s[30:31], s35, v9
	v_cndmask_b32_e64 v28, v25, v28, s[30:31]
	v_ldexp_f32 v27, v27, v29
	v_cmp_ngt_f32_e64 s[30:31], s33, v6
	v_cndmask_b32_e64 v27, 0, v27, s[30:31]
	v_cmp_nlt_f32_e64 s[30:31], s35, v6
	v_add_f32_e32 v23, v23, v28
	v_cndmask_b32_e64 v25, v25, v27, s[30:31]
	v_add_f32_e32 v23, v23, v25
	ds_bpermute_b32 v4, v4, v23
	v_cmp_lt_i32_e64 s[30:31], 0, v5
	s_waitcnt lgkmcnt(0)
	v_add_f32_e32 v4, v23, v4
	ds_bpermute_b32 v19, v19, v4
	s_waitcnt lgkmcnt(0)
	v_add_f32_e32 v4, v4, v19
	ds_bpermute_b32 v19, v20, v4
	;; [unrolled: 3-line block ×5, first 2 shown]
	s_and_saveexec_b64 s[34:35], s[30:31]
	s_cbranch_execz .LBB55_50
; %bb.33:
	s_and_b64 exec, exec, s[4:5]
	s_cbranch_execz .LBB55_50
; %bb.34:
	s_waitcnt lgkmcnt(0)
	v_add_f32_e32 v4, v4, v19
	s_mov_b32 s4, 0x800000
	v_mov_b32_e32 v5, 0x4f800000
	v_cmp_gt_f32_e64 s[4:5], s4, v4
	v_cndmask_b32_e64 v5, 1.0, v5, s[4:5]
	v_mul_f32_e32 v4, v4, v5
	v_log_f32_e32 v4, v4
	s_mov_b32 s30, 0x3f317217
	v_mul_f32_e32 v5, 0x3f317217, v4
	v_fma_f32 v19, v4, s30, -v5
	v_fmac_f32_e32 v19, 0x3377d1cf, v4
	s_mov_b32 s30, 0x7f800000
	v_add_f32_e32 v5, v5, v19
	v_cmp_lt_f32_e64 s[30:31], |v4|, s30
	v_cndmask_b32_e64 v4, v4, v5, s[30:31]
	v_mov_b32_e32 v5, 0x41b17218
	v_cndmask_b32_e64 v5, 0, v5, s[4:5]
	v_sub_f32_e32 v4, v4, v5
	v_mov_b32_e32 v5, s37
	v_add_co_u32_e64 v0, s[4:5], s36, v0
	v_addc_co_u32_e64 v1, s[4:5], v5, v1, s[4:5]
	v_sub_f32_e32 v2, v2, v4
	global_store_dword v[0:1], v2, off
	s_and_b64 exec, exec, vcc
	s_cbranch_execz .LBB55_50
; %bb.35:
	v_sub_f32_e32 v2, v3, v4
	global_store_dword v[0:1], v2, off offset:256
	s_and_b64 exec, exec, s[0:1]
	s_cbranch_execz .LBB55_50
; %bb.36:
	v_sub_f32_e32 v2, v18, v4
	global_store_dword v[0:1], v2, off offset:512
	s_and_b64 exec, exec, s[2:3]
	;; [unrolled: 5-line block ×14, first 2 shown]
	s_cbranch_execz .LBB55_50
; %bb.49:
	v_sub_f32_e32 v2, v6, v4
	global_store_dword v[0:1], v2, off offset:3840
.LBB55_50:
	s_endpgm
	.section	.rodata,"a",@progbits
	.p2align	6, 0x0
	.amdhsa_kernel _ZN12_GLOBAL__N_120softmax_warp_forwardIfffLi10ELb1ELb0ELi64EEEvPT0_PKT_iiiPKbib
		.amdhsa_group_segment_fixed_size 0
		.amdhsa_private_segment_fixed_size 0
		.amdhsa_kernarg_size 304
		.amdhsa_user_sgpr_count 6
		.amdhsa_user_sgpr_private_segment_buffer 1
		.amdhsa_user_sgpr_dispatch_ptr 0
		.amdhsa_user_sgpr_queue_ptr 0
		.amdhsa_user_sgpr_kernarg_segment_ptr 1
		.amdhsa_user_sgpr_dispatch_id 0
		.amdhsa_user_sgpr_flat_scratch_init 0
		.amdhsa_user_sgpr_kernarg_preload_length 0
		.amdhsa_user_sgpr_kernarg_preload_offset 0
		.amdhsa_user_sgpr_private_segment_size 0
		.amdhsa_uses_dynamic_stack 0
		.amdhsa_system_sgpr_private_segment_wavefront_offset 0
		.amdhsa_system_sgpr_workgroup_id_x 1
		.amdhsa_system_sgpr_workgroup_id_y 0
		.amdhsa_system_sgpr_workgroup_id_z 0
		.amdhsa_system_sgpr_workgroup_info 0
		.amdhsa_system_vgpr_workitem_id 1
		.amdhsa_next_free_vgpr 32
		.amdhsa_next_free_sgpr 44
		.amdhsa_accum_offset 32
		.amdhsa_reserve_vcc 1
		.amdhsa_reserve_flat_scratch 0
		.amdhsa_float_round_mode_32 0
		.amdhsa_float_round_mode_16_64 0
		.amdhsa_float_denorm_mode_32 3
		.amdhsa_float_denorm_mode_16_64 3
		.amdhsa_dx10_clamp 1
		.amdhsa_ieee_mode 1
		.amdhsa_fp16_overflow 0
		.amdhsa_tg_split 0
		.amdhsa_exception_fp_ieee_invalid_op 0
		.amdhsa_exception_fp_denorm_src 0
		.amdhsa_exception_fp_ieee_div_zero 0
		.amdhsa_exception_fp_ieee_overflow 0
		.amdhsa_exception_fp_ieee_underflow 0
		.amdhsa_exception_fp_ieee_inexact 0
		.amdhsa_exception_int_div_zero 0
	.end_amdhsa_kernel
	.section	.text._ZN12_GLOBAL__N_120softmax_warp_forwardIfffLi10ELb1ELb0ELi64EEEvPT0_PKT_iiiPKbib,"axG",@progbits,_ZN12_GLOBAL__N_120softmax_warp_forwardIfffLi10ELb1ELb0ELi64EEEvPT0_PKT_iiiPKbib,comdat
.Lfunc_end55:
	.size	_ZN12_GLOBAL__N_120softmax_warp_forwardIfffLi10ELb1ELb0ELi64EEEvPT0_PKT_iiiPKbib, .Lfunc_end55-_ZN12_GLOBAL__N_120softmax_warp_forwardIfffLi10ELb1ELb0ELi64EEEvPT0_PKT_iiiPKbib
                                        ; -- End function
	.section	.AMDGPU.csdata,"",@progbits
; Kernel info:
; codeLenInByte = 3500
; NumSgprs: 48
; NumVgprs: 32
; NumAgprs: 0
; TotalNumVgprs: 32
; ScratchSize: 0
; MemoryBound: 0
; FloatMode: 240
; IeeeMode: 1
; LDSByteSize: 0 bytes/workgroup (compile time only)
; SGPRBlocks: 5
; VGPRBlocks: 3
; NumSGPRsForWavesPerEU: 48
; NumVGPRsForWavesPerEU: 32
; AccumOffset: 32
; Occupancy: 8
; WaveLimiterHint : 0
; COMPUTE_PGM_RSRC2:SCRATCH_EN: 0
; COMPUTE_PGM_RSRC2:USER_SGPR: 6
; COMPUTE_PGM_RSRC2:TRAP_HANDLER: 0
; COMPUTE_PGM_RSRC2:TGID_X_EN: 1
; COMPUTE_PGM_RSRC2:TGID_Y_EN: 0
; COMPUTE_PGM_RSRC2:TGID_Z_EN: 0
; COMPUTE_PGM_RSRC2:TIDIG_COMP_CNT: 1
; COMPUTE_PGM_RSRC3_GFX90A:ACCUM_OFFSET: 7
; COMPUTE_PGM_RSRC3_GFX90A:TG_SPLIT: 0
	.section	.text._ZN12_GLOBAL__N_120softmax_warp_forwardIfffLi10ELb1ELb0ELi32EEEvPT0_PKT_iiiPKbib,"axG",@progbits,_ZN12_GLOBAL__N_120softmax_warp_forwardIfffLi10ELb1ELb0ELi32EEEvPT0_PKT_iiiPKbib,comdat
	.globl	_ZN12_GLOBAL__N_120softmax_warp_forwardIfffLi10ELb1ELb0ELi32EEEvPT0_PKT_iiiPKbib ; -- Begin function _ZN12_GLOBAL__N_120softmax_warp_forwardIfffLi10ELb1ELb0ELi32EEEvPT0_PKT_iiiPKbib
	.p2align	8
	.type	_ZN12_GLOBAL__N_120softmax_warp_forwardIfffLi10ELb1ELb0ELi32EEEvPT0_PKT_iiiPKbib,@function
_ZN12_GLOBAL__N_120softmax_warp_forwardIfffLi10ELb1ELb0ELi32EEEvPT0_PKT_iiiPKbib: ; @_ZN12_GLOBAL__N_120softmax_warp_forwardIfffLi10ELb1ELb0ELi32EEEvPT0_PKT_iiiPKbib
; %bb.0:
	s_load_dword s0, s[4:5], 0x3c
	s_load_dwordx8 s[68:75], s[4:5], 0x0
	v_bfe_u32 v1, v0, 10, 10
	v_and_b32_e32 v4, 0x3ff, v0
	v_mov_b32_e32 v28, 0xff800000
	s_waitcnt lgkmcnt(0)
	s_lshr_b32 s0, s0, 16
	s_mul_i32 s6, s6, s0
	v_add_u32_e32 v1, s6, v1
	v_sub_u32_e32 v5, s72, v1
	v_mad_u64_u32 v[0:1], s[0:1], v1, s73, v[4:5]
	v_ashrrev_i32_e32 v1, 31, v0
	v_lshlrev_b64 v[0:1], 2, v[0:1]
	v_mov_b32_e32 v3, s71
	v_add_co_u32_e32 v2, vcc, s70, v0
	v_cmp_lt_i32_e64 s[64:65], 0, v5
	v_cmp_gt_i32_e64 s[4:5], s74, v4
	v_addc_co_u32_e32 v3, vcc, v3, v1, vcc
	s_and_b64 s[2:3], s[64:65], s[4:5]
	v_mov_b32_e32 v41, 0xff800000
	s_and_saveexec_b64 s[0:1], s[2:3]
	s_cbranch_execz .LBB56_2
; %bb.1:
	global_load_dword v41, v[2:3], off
.LBB56_2:
	s_or_b64 exec, exec, s[0:1]
	v_add_u32_e32 v6, 32, v4
	v_cmp_gt_i32_e32 vcc, s74, v6
	s_and_b64 s[2:3], s[64:65], vcc
	s_and_saveexec_b64 s[0:1], s[2:3]
	s_cbranch_execz .LBB56_4
; %bb.3:
	global_load_dword v28, v[2:3], off offset:128
.LBB56_4:
	s_or_b64 exec, exec, s[0:1]
	v_add_u32_e32 v6, 64, v4
	v_cmp_gt_i32_e64 s[0:1], s74, v6
	s_and_b64 s[6:7], s[64:65], s[0:1]
	v_mov_b32_e32 v35, 0xff800000
	v_mov_b32_e32 v40, 0xff800000
	s_and_saveexec_b64 s[2:3], s[6:7]
	s_cbranch_execz .LBB56_6
; %bb.5:
	global_load_dword v40, v[2:3], off offset:256
.LBB56_6:
	s_or_b64 exec, exec, s[2:3]
	v_add_u32_e32 v6, 0x60, v4
	v_cmp_gt_i32_e64 s[2:3], s74, v6
	s_and_b64 s[8:9], s[64:65], s[2:3]
	s_and_saveexec_b64 s[6:7], s[8:9]
	s_cbranch_execz .LBB56_8
; %bb.7:
	global_load_dword v35, v[2:3], off offset:384
.LBB56_8:
	s_or_b64 exec, exec, s[6:7]
	v_add_u32_e32 v6, 0x80, v4
	v_cmp_gt_i32_e64 s[6:7], s74, v6
	s_and_b64 s[10:11], s[64:65], s[6:7]
	v_mov_b32_e32 v33, 0xff800000
	v_mov_b32_e32 v39, 0xff800000
	s_and_saveexec_b64 s[8:9], s[10:11]
	s_cbranch_execz .LBB56_10
; %bb.9:
	global_load_dword v39, v[2:3], off offset:512
.LBB56_10:
	s_or_b64 exec, exec, s[8:9]
	v_add_u32_e32 v6, 0xa0, v4
	v_cmp_gt_i32_e64 s[8:9], s74, v6
	s_and_b64 s[12:13], s[64:65], s[8:9]
	;; [unrolled: 20-line block ×15, first 2 shown]
	s_and_saveexec_b64 s[64:65], s[66:67]
	s_cbranch_execz .LBB56_64
; %bb.63:
	global_load_dword v6, v[2:3], off offset:3968
.LBB56_64:
	s_or_b64 exec, exec, s[64:65]
	s_waitcnt vmcnt(0)
	v_cmp_gt_f32_e64 s[64:65], v41, v28
	v_cndmask_b32_e64 v2, v28, v41, s[64:65]
	v_cmp_gt_f32_e64 s[64:65], v2, v40
	v_cndmask_b32_e64 v2, v40, v2, s[64:65]
	;; [unrolled: 2-line block ×29, first 2 shown]
	v_mbcnt_lo_u32_b32 v3, -1, 0
	v_cmp_gt_f32_e64 s[64:65], v2, v9
	v_mbcnt_hi_u32_b32 v3, -1, v3
	v_cndmask_b32_e64 v2, v9, v2, s[64:65]
	v_and_b32_e32 v4, 0x60, v3
	v_cmp_gt_f32_e64 s[64:65], v2, v6
	v_add_u32_e32 v36, 32, v4
	v_xor_b32_e32 v4, 16, v3
	v_cndmask_b32_e64 v2, v6, v2, s[64:65]
	v_cmp_lt_i32_e64 s[64:65], v4, v36
	v_cndmask_b32_e64 v4, v3, v4, s[64:65]
	v_lshlrev_b32_e32 v4, 2, v4
	ds_bpermute_b32 v27, v4, v2
	s_mov_b32 s66, 0x3fb8aa3b
	s_mov_b32 s33, 0xc2ce8ed0
	;; [unrolled: 1-line block ×3, first 2 shown]
	s_waitcnt lgkmcnt(0)
	v_cmp_lt_f32_e64 s[64:65], v2, v27
	v_cndmask_b32_e64 v2, v2, v27, s[64:65]
	v_xor_b32_e32 v27, 8, v3
	v_cmp_lt_i32_e64 s[64:65], v27, v36
	v_cndmask_b32_e64 v27, v3, v27, s[64:65]
	v_lshlrev_b32_e32 v27, 2, v27
	ds_bpermute_b32 v31, v27, v2
	s_waitcnt lgkmcnt(0)
	v_cmp_lt_f32_e64 s[64:65], v2, v31
	v_cndmask_b32_e64 v2, v2, v31, s[64:65]
	v_xor_b32_e32 v31, 4, v3
	v_cmp_lt_i32_e64 s[64:65], v31, v36
	v_cndmask_b32_e64 v31, v3, v31, s[64:65]
	v_lshlrev_b32_e32 v31, 2, v31
	ds_bpermute_b32 v34, v31, v2
	;; [unrolled: 8-line block ×4, first 2 shown]
	s_waitcnt lgkmcnt(0)
	v_cmp_lt_f32_e64 s[64:65], v2, v3
	v_cndmask_b32_e64 v42, v2, v3, s[64:65]
	v_sub_f32_e32 v2, v41, v42
	v_mul_f32_e32 v3, 0x3fb8aa3b, v2
	v_fma_f32 v41, v2, s66, -v3
	v_rndne_f32_e32 v43, v3
	v_fmac_f32_e32 v41, 0x32a5705f, v2
	v_sub_f32_e32 v3, v3, v43
	v_add_f32_e32 v3, v3, v41
	v_exp_f32_e32 v3, v3
	v_cvt_i32_f32_e32 v41, v43
	v_cmp_ngt_f32_e64 s[64:65], s33, v2
	v_sub_f32_e32 v35, v35, v42
	v_sub_f32_e32 v39, v39, v42
	v_ldexp_f32 v3, v3, v41
	v_cndmask_b32_e64 v43, 0, v3, s[64:65]
	v_sub_f32_e32 v3, v28, v42
	v_mul_f32_e32 v28, 0x3fb8aa3b, v3
	v_fma_f32 v41, v3, s66, -v28
	v_rndne_f32_e32 v44, v28
	v_fmac_f32_e32 v41, 0x32a5705f, v3
	v_sub_f32_e32 v28, v28, v44
	v_add_f32_e32 v28, v28, v41
	v_exp_f32_e32 v28, v28
	v_cvt_i32_f32_e32 v44, v44
	v_mov_b32_e32 v41, 0x7f800000
	v_cmp_nlt_f32_e64 s[64:65], s67, v2
	v_cndmask_b32_e64 v43, v41, v43, s[64:65]
	v_ldexp_f32 v28, v28, v44
	v_cmp_ngt_f32_e64 s[64:65], s33, v3
	v_cndmask_b32_e64 v44, 0, v28, s[64:65]
	v_sub_f32_e32 v28, v40, v42
	v_mul_f32_e32 v40, 0x3fb8aa3b, v28
	v_fma_f32 v45, v28, s66, -v40
	v_rndne_f32_e32 v46, v40
	v_fmac_f32_e32 v45, 0x32a5705f, v28
	v_sub_f32_e32 v40, v40, v46
	v_add_f32_e32 v40, v40, v45
	v_exp_f32_e32 v40, v40
	v_cvt_i32_f32_e32 v45, v46
	v_cmp_nlt_f32_e64 s[64:65], s67, v3
	v_cndmask_b32_e64 v44, v41, v44, s[64:65]
	v_add_f32_e32 v43, v43, v44
	v_mul_f32_e32 v44, 0x3fb8aa3b, v35
	v_ldexp_f32 v40, v40, v45
	v_fma_f32 v45, v35, s66, -v44
	v_rndne_f32_e32 v46, v44
	v_fmac_f32_e32 v45, 0x32a5705f, v35
	v_sub_f32_e32 v44, v44, v46
	v_add_f32_e32 v44, v44, v45
	v_exp_f32_e32 v44, v44
	v_cvt_i32_f32_e32 v45, v46
	v_cmp_ngt_f32_e64 s[64:65], s33, v28
	v_cndmask_b32_e64 v40, 0, v40, s[64:65]
	v_cmp_nlt_f32_e64 s[64:65], s67, v28
	v_cndmask_b32_e64 v40, v41, v40, s[64:65]
	v_add_f32_e32 v40, v43, v40
	v_ldexp_f32 v43, v44, v45
	v_mul_f32_e32 v44, 0x3fb8aa3b, v39
	v_fma_f32 v45, v39, s66, -v44
	v_rndne_f32_e32 v46, v44
	v_fmac_f32_e32 v45, 0x32a5705f, v39
	v_sub_f32_e32 v44, v44, v46
	v_add_f32_e32 v44, v44, v45
	v_exp_f32_e32 v44, v44
	v_cvt_i32_f32_e32 v45, v46
	v_cmp_ngt_f32_e64 s[64:65], s33, v35
	v_cndmask_b32_e64 v43, 0, v43, s[64:65]
	v_cmp_nlt_f32_e64 s[64:65], s67, v35
	v_cndmask_b32_e64 v43, v41, v43, s[64:65]
	v_sub_f32_e32 v33, v33, v42
	v_add_f32_e32 v40, v40, v43
	v_ldexp_f32 v43, v44, v45
	v_mul_f32_e32 v44, 0x3fb8aa3b, v33
	v_fma_f32 v45, v33, s66, -v44
	v_rndne_f32_e32 v46, v44
	v_fmac_f32_e32 v45, 0x32a5705f, v33
	v_sub_f32_e32 v44, v44, v46
	v_add_f32_e32 v44, v44, v45
	v_exp_f32_e32 v44, v44
	v_cvt_i32_f32_e32 v45, v46
	v_cmp_ngt_f32_e64 s[64:65], s33, v39
	v_cndmask_b32_e64 v43, 0, v43, s[64:65]
	v_cmp_nlt_f32_e64 s[64:65], s67, v39
	v_cndmask_b32_e64 v43, v41, v43, s[64:65]
	v_sub_f32_e32 v38, v38, v42
	;; [unrolled: 15-line block ×26, first 2 shown]
	v_add_f32_e32 v40, v40, v43
	v_ldexp_f32 v43, v44, v45
	v_mul_f32_e32 v44, 0x3fb8aa3b, v9
	v_fma_f32 v45, v9, s66, -v44
	v_rndne_f32_e32 v46, v44
	v_fmac_f32_e32 v45, 0x32a5705f, v9
	v_sub_f32_e32 v44, v44, v46
	v_add_f32_e32 v44, v44, v45
	v_exp_f32_e32 v44, v44
	v_cvt_i32_f32_e32 v45, v46
	v_cmp_ngt_f32_e64 s[64:65], s33, v7
	v_cndmask_b32_e64 v43, 0, v43, s[64:65]
	v_cmp_nlt_f32_e64 s[64:65], s67, v7
	v_sub_f32_e32 v6, v6, v42
	v_cndmask_b32_e64 v43, v41, v43, s[64:65]
	v_mul_f32_e32 v42, 0x3fb8aa3b, v6
	v_add_f32_e32 v40, v40, v43
	v_ldexp_f32 v43, v44, v45
	v_fma_f32 v44, v6, s66, -v42
	v_rndne_f32_e32 v45, v42
	v_fmac_f32_e32 v44, 0x32a5705f, v6
	v_sub_f32_e32 v42, v42, v45
	v_add_f32_e32 v42, v42, v44
	v_exp_f32_e32 v42, v42
	v_cvt_i32_f32_e32 v44, v45
	v_cmp_ngt_f32_e64 s[64:65], s33, v9
	v_cndmask_b32_e64 v43, 0, v43, s[64:65]
	v_cmp_nlt_f32_e64 s[64:65], s67, v9
	v_cndmask_b32_e64 v43, v41, v43, s[64:65]
	v_ldexp_f32 v42, v42, v44
	v_cmp_ngt_f32_e64 s[64:65], s33, v6
	v_cndmask_b32_e64 v42, 0, v42, s[64:65]
	v_cmp_nlt_f32_e64 s[64:65], s67, v6
	v_add_f32_e32 v40, v40, v43
	v_cndmask_b32_e64 v41, v41, v42, s[64:65]
	v_add_f32_e32 v40, v40, v41
	ds_bpermute_b32 v4, v4, v40
	v_cmp_lt_i32_e64 s[64:65], 0, v5
	s_waitcnt lgkmcnt(0)
	v_add_f32_e32 v4, v40, v4
	ds_bpermute_b32 v27, v27, v4
	s_waitcnt lgkmcnt(0)
	v_add_f32_e32 v4, v4, v27
	ds_bpermute_b32 v27, v31, v4
	;; [unrolled: 3-line block ×4, first 2 shown]
	s_and_saveexec_b64 s[66:67], s[64:65]
	s_cbranch_execz .LBB56_98
; %bb.65:
	s_and_b64 exec, exec, s[4:5]
	s_cbranch_execz .LBB56_98
; %bb.66:
	s_waitcnt lgkmcnt(0)
	v_add_f32_e32 v4, v4, v27
	s_mov_b32 s4, 0x800000
	v_mov_b32_e32 v5, 0x4f800000
	v_cmp_gt_f32_e64 s[4:5], s4, v4
	v_cndmask_b32_e64 v5, 1.0, v5, s[4:5]
	v_mul_f32_e32 v4, v4, v5
	v_log_f32_e32 v4, v4
	s_mov_b32 s33, 0x3f317217
	v_mul_f32_e32 v5, 0x3f317217, v4
	v_fma_f32 v27, v4, s33, -v5
	v_fmac_f32_e32 v27, 0x3377d1cf, v4
	s_mov_b32 s33, 0x7f800000
	v_add_f32_e32 v5, v5, v27
	v_cmp_lt_f32_e64 s[64:65], |v4|, s33
	v_cndmask_b32_e64 v4, v4, v5, s[64:65]
	v_mov_b32_e32 v5, 0x41b17218
	v_cndmask_b32_e64 v5, 0, v5, s[4:5]
	v_sub_f32_e32 v4, v4, v5
	v_mov_b32_e32 v5, s69
	v_add_co_u32_e64 v0, s[4:5], s68, v0
	v_addc_co_u32_e64 v1, s[4:5], v5, v1, s[4:5]
	v_sub_f32_e32 v2, v2, v4
	global_store_dword v[0:1], v2, off
	s_and_b64 exec, exec, vcc
	s_cbranch_execz .LBB56_98
; %bb.67:
	v_sub_f32_e32 v2, v3, v4
	global_store_dword v[0:1], v2, off offset:128
	s_and_b64 exec, exec, s[0:1]
	s_cbranch_execz .LBB56_98
; %bb.68:
	v_sub_f32_e32 v2, v28, v4
	global_store_dword v[0:1], v2, off offset:256
	s_and_b64 exec, exec, s[2:3]
	;; [unrolled: 5-line block ×30, first 2 shown]
	s_cbranch_execz .LBB56_98
; %bb.97:
	v_sub_f32_e32 v2, v6, v4
	global_store_dword v[0:1], v2, off offset:3968
.LBB56_98:
	s_endpgm
	.section	.rodata,"a",@progbits
	.p2align	6, 0x0
	.amdhsa_kernel _ZN12_GLOBAL__N_120softmax_warp_forwardIfffLi10ELb1ELb0ELi32EEEvPT0_PKT_iiiPKbib
		.amdhsa_group_segment_fixed_size 0
		.amdhsa_private_segment_fixed_size 0
		.amdhsa_kernarg_size 304
		.amdhsa_user_sgpr_count 6
		.amdhsa_user_sgpr_private_segment_buffer 1
		.amdhsa_user_sgpr_dispatch_ptr 0
		.amdhsa_user_sgpr_queue_ptr 0
		.amdhsa_user_sgpr_kernarg_segment_ptr 1
		.amdhsa_user_sgpr_dispatch_id 0
		.amdhsa_user_sgpr_flat_scratch_init 0
		.amdhsa_user_sgpr_kernarg_preload_length 0
		.amdhsa_user_sgpr_kernarg_preload_offset 0
		.amdhsa_user_sgpr_private_segment_size 0
		.amdhsa_uses_dynamic_stack 0
		.amdhsa_system_sgpr_private_segment_wavefront_offset 0
		.amdhsa_system_sgpr_workgroup_id_x 1
		.amdhsa_system_sgpr_workgroup_id_y 0
		.amdhsa_system_sgpr_workgroup_id_z 0
		.amdhsa_system_sgpr_workgroup_info 0
		.amdhsa_system_vgpr_workitem_id 1
		.amdhsa_next_free_vgpr 47
		.amdhsa_next_free_sgpr 76
		.amdhsa_accum_offset 48
		.amdhsa_reserve_vcc 1
		.amdhsa_reserve_flat_scratch 0
		.amdhsa_float_round_mode_32 0
		.amdhsa_float_round_mode_16_64 0
		.amdhsa_float_denorm_mode_32 3
		.amdhsa_float_denorm_mode_16_64 3
		.amdhsa_dx10_clamp 1
		.amdhsa_ieee_mode 1
		.amdhsa_fp16_overflow 0
		.amdhsa_tg_split 0
		.amdhsa_exception_fp_ieee_invalid_op 0
		.amdhsa_exception_fp_denorm_src 0
		.amdhsa_exception_fp_ieee_div_zero 0
		.amdhsa_exception_fp_ieee_overflow 0
		.amdhsa_exception_fp_ieee_underflow 0
		.amdhsa_exception_fp_ieee_inexact 0
		.amdhsa_exception_int_div_zero 0
	.end_amdhsa_kernel
	.section	.text._ZN12_GLOBAL__N_120softmax_warp_forwardIfffLi10ELb1ELb0ELi32EEEvPT0_PKT_iiiPKbib,"axG",@progbits,_ZN12_GLOBAL__N_120softmax_warp_forwardIfffLi10ELb1ELb0ELi32EEEvPT0_PKT_iiiPKbib,comdat
.Lfunc_end56:
	.size	_ZN12_GLOBAL__N_120softmax_warp_forwardIfffLi10ELb1ELb0ELi32EEEvPT0_PKT_iiiPKbib, .Lfunc_end56-_ZN12_GLOBAL__N_120softmax_warp_forwardIfffLi10ELb1ELb0ELi32EEEvPT0_PKT_iiiPKbib
                                        ; -- End function
	.section	.AMDGPU.csdata,"",@progbits
; Kernel info:
; codeLenInByte = 6248
; NumSgprs: 80
; NumVgprs: 47
; NumAgprs: 0
; TotalNumVgprs: 47
; ScratchSize: 0
; MemoryBound: 0
; FloatMode: 240
; IeeeMode: 1
; LDSByteSize: 0 bytes/workgroup (compile time only)
; SGPRBlocks: 9
; VGPRBlocks: 5
; NumSGPRsForWavesPerEU: 80
; NumVGPRsForWavesPerEU: 47
; AccumOffset: 48
; Occupancy: 8
; WaveLimiterHint : 0
; COMPUTE_PGM_RSRC2:SCRATCH_EN: 0
; COMPUTE_PGM_RSRC2:USER_SGPR: 6
; COMPUTE_PGM_RSRC2:TRAP_HANDLER: 0
; COMPUTE_PGM_RSRC2:TGID_X_EN: 1
; COMPUTE_PGM_RSRC2:TGID_Y_EN: 0
; COMPUTE_PGM_RSRC2:TGID_Z_EN: 0
; COMPUTE_PGM_RSRC2:TIDIG_COMP_CNT: 1
; COMPUTE_PGM_RSRC3_GFX90A:ACCUM_OFFSET: 11
; COMPUTE_PGM_RSRC3_GFX90A:TG_SPLIT: 0
	.section	.text._ZN12_GLOBAL__N_120softmax_warp_forwardIfffLi11ELb1ELb0ELi64EEEvPT0_PKT_iiiPKbib,"axG",@progbits,_ZN12_GLOBAL__N_120softmax_warp_forwardIfffLi11ELb1ELb0ELi64EEEvPT0_PKT_iiiPKbib,comdat
	.globl	_ZN12_GLOBAL__N_120softmax_warp_forwardIfffLi11ELb1ELb0ELi64EEEvPT0_PKT_iiiPKbib ; -- Begin function _ZN12_GLOBAL__N_120softmax_warp_forwardIfffLi11ELb1ELb0ELi64EEEvPT0_PKT_iiiPKbib
	.p2align	8
	.type	_ZN12_GLOBAL__N_120softmax_warp_forwardIfffLi11ELb1ELb0ELi64EEEvPT0_PKT_iiiPKbib,@function
_ZN12_GLOBAL__N_120softmax_warp_forwardIfffLi11ELb1ELb0ELi64EEEvPT0_PKT_iiiPKbib: ; @_ZN12_GLOBAL__N_120softmax_warp_forwardIfffLi11ELb1ELb0ELi64EEEvPT0_PKT_iiiPKbib
; %bb.0:
	s_load_dword s0, s[4:5], 0x3c
	s_load_dwordx8 s[68:75], s[4:5], 0x0
	v_bfe_u32 v1, v0, 10, 10
	v_and_b32_e32 v4, 0x3ff, v0
	v_mov_b32_e32 v32, 0xff800000
	s_waitcnt lgkmcnt(0)
	s_lshr_b32 s0, s0, 16
	s_mul_i32 s6, s6, s0
	v_add_u32_e32 v1, s6, v1
	v_sub_u32_e32 v5, s72, v1
	v_mad_u64_u32 v[0:1], s[0:1], v1, s73, v[4:5]
	v_ashrrev_i32_e32 v1, 31, v0
	v_lshlrev_b64 v[0:1], 2, v[0:1]
	v_mov_b32_e32 v3, s71
	v_add_co_u32_e32 v2, vcc, s70, v0
	v_cmp_lt_i32_e64 s[66:67], 0, v5
	v_cmp_gt_i32_e64 s[6:7], s74, v4
	v_addc_co_u32_e32 v3, vcc, v3, v1, vcc
	s_and_b64 s[2:3], s[66:67], s[6:7]
	v_mov_b32_e32 v37, 0xff800000
	s_and_saveexec_b64 s[0:1], s[2:3]
	s_cbranch_execz .LBB57_2
; %bb.1:
	global_load_dword v37, v[2:3], off
.LBB57_2:
	s_or_b64 exec, exec, s[0:1]
	v_add_u32_e32 v6, 64, v4
	v_cmp_gt_i32_e64 s[0:1], s74, v6
	s_and_b64 s[4:5], s[66:67], s[0:1]
	s_and_saveexec_b64 s[2:3], s[4:5]
	s_cbranch_execz .LBB57_4
; %bb.3:
	global_load_dword v32, v[2:3], off offset:256
.LBB57_4:
	s_or_b64 exec, exec, s[2:3]
	v_add_u32_e32 v6, 0x80, v4
	v_cmp_gt_i32_e64 s[2:3], s74, v6
	s_and_b64 s[8:9], s[66:67], s[2:3]
	v_mov_b32_e32 v29, 0xff800000
	v_mov_b32_e32 v36, 0xff800000
	s_and_saveexec_b64 s[4:5], s[8:9]
	s_cbranch_execz .LBB57_6
; %bb.5:
	global_load_dword v36, v[2:3], off offset:512
.LBB57_6:
	s_or_b64 exec, exec, s[4:5]
	v_add_u32_e32 v6, 0xc0, v4
	v_cmp_gt_i32_e64 s[4:5], s74, v6
	s_and_b64 s[10:11], s[66:67], s[4:5]
	s_and_saveexec_b64 s[8:9], s[10:11]
	s_cbranch_execz .LBB57_8
; %bb.7:
	global_load_dword v29, v[2:3], off offset:768
.LBB57_8:
	s_or_b64 exec, exec, s[8:9]
	v_add_u32_e32 v6, 0x100, v4
	v_cmp_gt_i32_e64 s[8:9], s74, v6
	s_and_b64 s[12:13], s[66:67], s[8:9]
	v_mov_b32_e32 v26, 0xff800000
	v_mov_b32_e32 v35, 0xff800000
	s_and_saveexec_b64 s[10:11], s[12:13]
	s_cbranch_execz .LBB57_10
; %bb.9:
	global_load_dword v35, v[2:3], off offset:1024
.LBB57_10:
	;; [unrolled: 20-line block ×7, first 2 shown]
	s_or_b64 exec, exec, s[30:31]
	v_add_u32_e32 v6, 0x3c0, v4
	v_cmp_gt_i32_e64 s[30:31], s74, v6
	s_and_b64 s[36:37], s[66:67], s[30:31]
	s_and_saveexec_b64 s[34:35], s[36:37]
	s_cbranch_execz .LBB57_32
; %bb.31:
	global_load_dword v7, v[2:3], off offset:3840
.LBB57_32:
	s_or_b64 exec, exec, s[34:35]
	v_or_b32_e32 v6, 0x400, v4
	v_cmp_gt_i32_e64 s[34:35], s74, v6
	s_and_b64 s[38:39], s[66:67], s[34:35]
	v_mov_b32_e32 v6, 0xff800000
	v_mov_b32_e32 v13, 0xff800000
	s_and_saveexec_b64 s[36:37], s[38:39]
	s_cbranch_execz .LBB57_34
; %bb.33:
	v_add_co_u32_e32 v12, vcc, 0x1000, v2
	v_addc_co_u32_e32 v13, vcc, 0, v3, vcc
	global_load_dword v13, v[12:13], off
.LBB57_34:
	s_or_b64 exec, exec, s[36:37]
	v_add_u32_e32 v8, 0x440, v4
	v_cmp_gt_i32_e64 s[36:37], s74, v8
	s_and_b64 s[40:41], s[66:67], s[36:37]
	s_and_saveexec_b64 s[38:39], s[40:41]
	s_cbranch_execz .LBB57_36
; %bb.35:
	v_add_co_u32_e32 v24, vcc, 0x1000, v2
	v_addc_co_u32_e32 v25, vcc, 0, v3, vcc
	global_load_dword v6, v[24:25], off offset:256
.LBB57_36:
	s_or_b64 exec, exec, s[38:39]
	v_add_u32_e32 v8, 0x480, v4
	v_cmp_gt_i32_e64 s[38:39], s74, v8
	s_and_b64 s[42:43], s[66:67], s[38:39]
	v_mov_b32_e32 v8, 0xff800000
	v_mov_b32_e32 v17, 0xff800000
	s_and_saveexec_b64 s[40:41], s[42:43]
	s_cbranch_execz .LBB57_38
; %bb.37:
	v_add_co_u32_e32 v24, vcc, 0x1000, v2
	v_addc_co_u32_e32 v25, vcc, 0, v3, vcc
	global_load_dword v17, v[24:25], off offset:512
.LBB57_38:
	s_or_b64 exec, exec, s[40:41]
	v_add_u32_e32 v10, 0x4c0, v4
	v_cmp_gt_i32_e64 s[40:41], s74, v10
	s_and_b64 s[44:45], s[66:67], s[40:41]
	s_and_saveexec_b64 s[42:43], s[44:45]
	s_cbranch_execz .LBB57_40
; %bb.39:
	v_add_co_u32_e32 v24, vcc, 0x1000, v2
	v_addc_co_u32_e32 v25, vcc, 0, v3, vcc
	global_load_dword v8, v[24:25], off offset:768
.LBB57_40:
	s_or_b64 exec, exec, s[42:43]
	v_add_u32_e32 v10, 0x500, v4
	v_cmp_gt_i32_e64 s[42:43], s74, v10
	s_and_b64 s[46:47], s[66:67], s[42:43]
	v_mov_b32_e32 v10, 0xff800000
	v_mov_b32_e32 v21, 0xff800000
	s_and_saveexec_b64 s[44:45], s[46:47]
	s_cbranch_execz .LBB57_42
; %bb.41:
	v_add_co_u32_e32 v24, vcc, 0x1000, v2
	v_addc_co_u32_e32 v25, vcc, 0, v3, vcc
	global_load_dword v21, v[24:25], off offset:1024
.LBB57_42:
	;; [unrolled: 24-line block ×7, first 2 shown]
	s_or_b64 exec, exec, s[64:65]
	v_add_u32_e32 v4, 0x7c0, v4
	v_cmp_gt_i32_e64 s[64:65], s74, v4
	s_and_b64 s[70:71], s[66:67], s[64:65]
	s_and_saveexec_b64 s[66:67], s[70:71]
	s_cbranch_execz .LBB57_64
; %bb.63:
	v_add_co_u32_e32 v2, vcc, 0x1000, v2
	v_addc_co_u32_e32 v3, vcc, 0, v3, vcc
	global_load_dword v25, v[2:3], off offset:3840
.LBB57_64:
	s_or_b64 exec, exec, s[66:67]
	s_waitcnt vmcnt(0)
	v_cmp_gt_f32_e32 vcc, v37, v32
	v_cndmask_b32_e32 v2, v32, v37, vcc
	v_cmp_gt_f32_e32 vcc, v2, v36
	v_cndmask_b32_e32 v2, v36, v2, vcc
	v_cmp_gt_f32_e32 vcc, v2, v29
	v_cndmask_b32_e32 v2, v29, v2, vcc
	v_cmp_gt_f32_e32 vcc, v2, v35
	v_cndmask_b32_e32 v2, v35, v2, vcc
	v_cmp_gt_f32_e32 vcc, v2, v26
	v_cndmask_b32_e32 v2, v26, v2, vcc
	v_cmp_gt_f32_e32 vcc, v2, v31
	v_cndmask_b32_e32 v2, v31, v2, vcc
	v_cmp_gt_f32_e32 vcc, v2, v20
	v_cndmask_b32_e32 v2, v20, v2, vcc
	v_cmp_gt_f32_e32 vcc, v2, v28
	v_cndmask_b32_e32 v2, v28, v2, vcc
	v_cmp_gt_f32_e32 vcc, v2, v16
	v_cndmask_b32_e32 v2, v16, v2, vcc
	v_cmp_gt_f32_e32 vcc, v2, v23
	v_cndmask_b32_e32 v2, v23, v2, vcc
	v_cmp_gt_f32_e32 vcc, v2, v11
	v_cndmask_b32_e32 v2, v11, v2, vcc
	v_cmp_gt_f32_e32 vcc, v2, v19
	v_cndmask_b32_e32 v2, v19, v2, vcc
	v_cmp_gt_f32_e32 vcc, v2, v9
	v_cndmask_b32_e32 v2, v9, v2, vcc
	v_cmp_gt_f32_e32 vcc, v2, v15
	v_cndmask_b32_e32 v2, v15, v2, vcc
	v_cmp_gt_f32_e32 vcc, v2, v7
	v_cndmask_b32_e32 v2, v7, v2, vcc
	v_cmp_gt_f32_e32 vcc, v2, v13
	v_cndmask_b32_e32 v2, v13, v2, vcc
	v_cmp_gt_f32_e32 vcc, v2, v6
	v_cndmask_b32_e32 v2, v6, v2, vcc
	v_cmp_gt_f32_e32 vcc, v2, v17
	v_cndmask_b32_e32 v2, v17, v2, vcc
	v_cmp_gt_f32_e32 vcc, v2, v8
	v_cndmask_b32_e32 v2, v8, v2, vcc
	v_cmp_gt_f32_e32 vcc, v2, v21
	v_cndmask_b32_e32 v2, v21, v2, vcc
	v_cmp_gt_f32_e32 vcc, v2, v10
	v_cndmask_b32_e32 v2, v10, v2, vcc
	v_cmp_gt_f32_e32 vcc, v2, v24
	v_cndmask_b32_e32 v2, v24, v2, vcc
	v_cmp_gt_f32_e32 vcc, v2, v12
	v_cndmask_b32_e32 v2, v12, v2, vcc
	v_cmp_gt_f32_e32 vcc, v2, v27
	v_cndmask_b32_e32 v2, v27, v2, vcc
	v_cmp_gt_f32_e32 vcc, v2, v14
	v_cndmask_b32_e32 v2, v14, v2, vcc
	v_cmp_gt_f32_e32 vcc, v2, v30
	v_cndmask_b32_e32 v2, v30, v2, vcc
	v_cmp_gt_f32_e32 vcc, v2, v18
	v_cndmask_b32_e32 v2, v18, v2, vcc
	v_cmp_gt_f32_e32 vcc, v2, v33
	v_cndmask_b32_e32 v2, v33, v2, vcc
	v_cmp_gt_f32_e32 vcc, v2, v22
	v_cndmask_b32_e32 v2, v22, v2, vcc
	v_mbcnt_lo_u32_b32 v3, -1, 0
	v_cmp_gt_f32_e32 vcc, v2, v34
	v_mbcnt_hi_u32_b32 v3, -1, v3
	v_cndmask_b32_e32 v2, v34, v2, vcc
	v_and_b32_e32 v4, 64, v3
	v_cmp_gt_f32_e32 vcc, v2, v25
	v_add_u32_e32 v42, 64, v4
	v_xor_b32_e32 v4, 32, v3
	v_cndmask_b32_e32 v2, v25, v2, vcc
	v_cmp_lt_i32_e32 vcc, v4, v42
	v_cndmask_b32_e32 v4, v3, v4, vcc
	v_lshlrev_b32_e32 v4, 2, v4
	ds_bpermute_b32 v38, v4, v2
	s_mov_b32 s66, 0x3fb8aa3b
	s_mov_b32 s33, 0xc2ce8ed0
	;; [unrolled: 1-line block ×3, first 2 shown]
	s_waitcnt lgkmcnt(0)
	v_cmp_lt_f32_e32 vcc, v2, v38
	v_cndmask_b32_e32 v2, v2, v38, vcc
	v_xor_b32_e32 v38, 16, v3
	v_cmp_lt_i32_e32 vcc, v38, v42
	v_cndmask_b32_e32 v38, v3, v38, vcc
	v_lshlrev_b32_e32 v38, 2, v38
	ds_bpermute_b32 v39, v38, v2
	s_waitcnt lgkmcnt(0)
	v_cmp_lt_f32_e32 vcc, v2, v39
	v_cndmask_b32_e32 v2, v2, v39, vcc
	v_xor_b32_e32 v39, 8, v3
	v_cmp_lt_i32_e32 vcc, v39, v42
	v_cndmask_b32_e32 v39, v3, v39, vcc
	v_lshlrev_b32_e32 v39, 2, v39
	ds_bpermute_b32 v40, v39, v2
	s_waitcnt lgkmcnt(0)
	v_cmp_lt_f32_e32 vcc, v2, v40
	v_cndmask_b32_e32 v2, v2, v40, vcc
	v_xor_b32_e32 v40, 4, v3
	v_cmp_lt_i32_e32 vcc, v40, v42
	v_cndmask_b32_e32 v40, v3, v40, vcc
	v_lshlrev_b32_e32 v40, 2, v40
	ds_bpermute_b32 v41, v40, v2
	s_waitcnt lgkmcnt(0)
	v_cmp_lt_f32_e32 vcc, v2, v41
	v_cndmask_b32_e32 v2, v2, v41, vcc
	v_xor_b32_e32 v41, 2, v3
	v_cmp_lt_i32_e32 vcc, v41, v42
	v_cndmask_b32_e32 v41, v3, v41, vcc
	v_lshlrev_b32_e32 v41, 2, v41
	ds_bpermute_b32 v43, v41, v2
	s_waitcnt lgkmcnt(0)
	v_cmp_lt_f32_e32 vcc, v2, v43
	v_cndmask_b32_e32 v2, v2, v43, vcc
	v_xor_b32_e32 v43, 1, v3
	v_cmp_lt_i32_e32 vcc, v43, v42
	v_cndmask_b32_e32 v3, v3, v43, vcc
	v_lshlrev_b32_e32 v42, 2, v3
	ds_bpermute_b32 v3, v42, v2
	s_waitcnt lgkmcnt(0)
	v_cmp_lt_f32_e32 vcc, v2, v3
	v_cndmask_b32_e32 v43, v2, v3, vcc
	v_sub_f32_e32 v2, v37, v43
	v_mul_f32_e32 v3, 0x3fb8aa3b, v2
	v_fma_f32 v37, v2, s66, -v3
	v_rndne_f32_e32 v44, v3
	v_fmac_f32_e32 v37, 0x32a5705f, v2
	v_sub_f32_e32 v3, v3, v44
	v_add_f32_e32 v3, v3, v37
	v_exp_f32_e32 v3, v3
	v_cvt_i32_f32_e32 v37, v44
	v_cmp_ngt_f32_e32 vcc, s33, v2
	v_sub_f32_e32 v29, v29, v43
	v_sub_f32_e32 v35, v35, v43
	v_ldexp_f32 v3, v3, v37
	v_cndmask_b32_e32 v44, 0, v3, vcc
	v_sub_f32_e32 v3, v32, v43
	v_mul_f32_e32 v32, 0x3fb8aa3b, v3
	v_fma_f32 v37, v3, s66, -v32
	v_rndne_f32_e32 v45, v32
	v_fmac_f32_e32 v37, 0x32a5705f, v3
	v_sub_f32_e32 v32, v32, v45
	v_add_f32_e32 v32, v32, v37
	v_exp_f32_e32 v32, v32
	v_cvt_i32_f32_e32 v45, v45
	v_mov_b32_e32 v37, 0x7f800000
	v_cmp_nlt_f32_e32 vcc, s67, v2
	v_cndmask_b32_e32 v44, v37, v44, vcc
	v_ldexp_f32 v32, v32, v45
	v_cmp_ngt_f32_e32 vcc, s33, v3
	v_cndmask_b32_e32 v45, 0, v32, vcc
	v_sub_f32_e32 v32, v36, v43
	v_mul_f32_e32 v36, 0x3fb8aa3b, v32
	v_fma_f32 v46, v32, s66, -v36
	v_rndne_f32_e32 v47, v36
	v_fmac_f32_e32 v46, 0x32a5705f, v32
	v_sub_f32_e32 v36, v36, v47
	v_add_f32_e32 v36, v36, v46
	v_exp_f32_e32 v36, v36
	v_cvt_i32_f32_e32 v46, v47
	v_cmp_nlt_f32_e32 vcc, s67, v3
	v_cndmask_b32_e32 v45, v37, v45, vcc
	v_add_f32_e32 v44, v44, v45
	v_mul_f32_e32 v45, 0x3fb8aa3b, v29
	v_ldexp_f32 v36, v36, v46
	v_fma_f32 v46, v29, s66, -v45
	v_rndne_f32_e32 v47, v45
	v_fmac_f32_e32 v46, 0x32a5705f, v29
	v_sub_f32_e32 v45, v45, v47
	v_add_f32_e32 v45, v45, v46
	v_exp_f32_e32 v45, v45
	v_cvt_i32_f32_e32 v46, v47
	v_cmp_ngt_f32_e32 vcc, s33, v32
	v_cndmask_b32_e32 v36, 0, v36, vcc
	v_cmp_nlt_f32_e32 vcc, s67, v32
	v_cndmask_b32_e32 v36, v37, v36, vcc
	v_add_f32_e32 v36, v44, v36
	v_ldexp_f32 v44, v45, v46
	v_mul_f32_e32 v45, 0x3fb8aa3b, v35
	v_fma_f32 v46, v35, s66, -v45
	v_rndne_f32_e32 v47, v45
	v_fmac_f32_e32 v46, 0x32a5705f, v35
	v_sub_f32_e32 v45, v45, v47
	v_add_f32_e32 v45, v45, v46
	v_exp_f32_e32 v45, v45
	v_cvt_i32_f32_e32 v46, v47
	v_cmp_ngt_f32_e32 vcc, s33, v29
	v_cndmask_b32_e32 v44, 0, v44, vcc
	v_cmp_nlt_f32_e32 vcc, s67, v29
	v_cndmask_b32_e32 v44, v37, v44, vcc
	v_sub_f32_e32 v26, v26, v43
	v_add_f32_e32 v36, v36, v44
	v_ldexp_f32 v44, v45, v46
	v_mul_f32_e32 v45, 0x3fb8aa3b, v26
	v_fma_f32 v46, v26, s66, -v45
	v_rndne_f32_e32 v47, v45
	v_fmac_f32_e32 v46, 0x32a5705f, v26
	v_sub_f32_e32 v45, v45, v47
	v_add_f32_e32 v45, v45, v46
	v_exp_f32_e32 v45, v45
	v_cvt_i32_f32_e32 v46, v47
	v_cmp_ngt_f32_e32 vcc, s33, v35
	v_cndmask_b32_e32 v44, 0, v44, vcc
	v_cmp_nlt_f32_e32 vcc, s67, v35
	v_cndmask_b32_e32 v44, v37, v44, vcc
	v_sub_f32_e32 v31, v31, v43
	v_add_f32_e32 v36, v36, v44
	v_ldexp_f32 v44, v45, v46
	v_mul_f32_e32 v45, 0x3fb8aa3b, v31
	v_fma_f32 v46, v31, s66, -v45
	v_rndne_f32_e32 v47, v45
	v_fmac_f32_e32 v46, 0x32a5705f, v31
	v_sub_f32_e32 v45, v45, v47
	v_add_f32_e32 v45, v45, v46
	v_exp_f32_e32 v45, v45
	v_cvt_i32_f32_e32 v46, v47
	v_cmp_ngt_f32_e32 vcc, s33, v26
	v_cndmask_b32_e32 v44, 0, v44, vcc
	v_cmp_nlt_f32_e32 vcc, s67, v26
	v_cndmask_b32_e32 v44, v37, v44, vcc
	v_sub_f32_e32 v20, v20, v43
	v_add_f32_e32 v36, v36, v44
	v_ldexp_f32 v44, v45, v46
	v_mul_f32_e32 v45, 0x3fb8aa3b, v20
	v_fma_f32 v46, v20, s66, -v45
	v_rndne_f32_e32 v47, v45
	v_fmac_f32_e32 v46, 0x32a5705f, v20
	v_sub_f32_e32 v45, v45, v47
	v_add_f32_e32 v45, v45, v46
	v_exp_f32_e32 v45, v45
	v_cvt_i32_f32_e32 v46, v47
	v_cmp_ngt_f32_e32 vcc, s33, v31
	v_cndmask_b32_e32 v44, 0, v44, vcc
	v_cmp_nlt_f32_e32 vcc, s67, v31
	v_cndmask_b32_e32 v44, v37, v44, vcc
	v_sub_f32_e32 v28, v28, v43
	v_add_f32_e32 v36, v36, v44
	v_ldexp_f32 v44, v45, v46
	v_mul_f32_e32 v45, 0x3fb8aa3b, v28
	v_fma_f32 v46, v28, s66, -v45
	v_rndne_f32_e32 v47, v45
	v_fmac_f32_e32 v46, 0x32a5705f, v28
	v_sub_f32_e32 v45, v45, v47
	v_add_f32_e32 v45, v45, v46
	v_exp_f32_e32 v45, v45
	v_cvt_i32_f32_e32 v46, v47
	v_cmp_ngt_f32_e32 vcc, s33, v20
	v_cndmask_b32_e32 v44, 0, v44, vcc
	v_cmp_nlt_f32_e32 vcc, s67, v20
	v_cndmask_b32_e32 v44, v37, v44, vcc
	v_sub_f32_e32 v16, v16, v43
	v_add_f32_e32 v36, v36, v44
	v_ldexp_f32 v44, v45, v46
	v_mul_f32_e32 v45, 0x3fb8aa3b, v16
	v_fma_f32 v46, v16, s66, -v45
	v_rndne_f32_e32 v47, v45
	v_fmac_f32_e32 v46, 0x32a5705f, v16
	v_sub_f32_e32 v45, v45, v47
	v_add_f32_e32 v45, v45, v46
	v_exp_f32_e32 v45, v45
	v_cvt_i32_f32_e32 v46, v47
	v_cmp_ngt_f32_e32 vcc, s33, v28
	v_cndmask_b32_e32 v44, 0, v44, vcc
	v_cmp_nlt_f32_e32 vcc, s67, v28
	v_cndmask_b32_e32 v44, v37, v44, vcc
	v_sub_f32_e32 v23, v23, v43
	v_add_f32_e32 v36, v36, v44
	v_ldexp_f32 v44, v45, v46
	v_mul_f32_e32 v45, 0x3fb8aa3b, v23
	v_fma_f32 v46, v23, s66, -v45
	v_rndne_f32_e32 v47, v45
	v_fmac_f32_e32 v46, 0x32a5705f, v23
	v_sub_f32_e32 v45, v45, v47
	v_add_f32_e32 v45, v45, v46
	v_exp_f32_e32 v45, v45
	v_cvt_i32_f32_e32 v46, v47
	v_cmp_ngt_f32_e32 vcc, s33, v16
	v_cndmask_b32_e32 v44, 0, v44, vcc
	v_cmp_nlt_f32_e32 vcc, s67, v16
	v_cndmask_b32_e32 v44, v37, v44, vcc
	v_sub_f32_e32 v11, v11, v43
	v_add_f32_e32 v36, v36, v44
	v_ldexp_f32 v44, v45, v46
	v_mul_f32_e32 v45, 0x3fb8aa3b, v11
	v_fma_f32 v46, v11, s66, -v45
	v_rndne_f32_e32 v47, v45
	v_fmac_f32_e32 v46, 0x32a5705f, v11
	v_sub_f32_e32 v45, v45, v47
	v_add_f32_e32 v45, v45, v46
	v_exp_f32_e32 v45, v45
	v_cvt_i32_f32_e32 v46, v47
	v_cmp_ngt_f32_e32 vcc, s33, v23
	v_cndmask_b32_e32 v44, 0, v44, vcc
	v_cmp_nlt_f32_e32 vcc, s67, v23
	v_cndmask_b32_e32 v44, v37, v44, vcc
	v_sub_f32_e32 v19, v19, v43
	v_add_f32_e32 v36, v36, v44
	v_ldexp_f32 v44, v45, v46
	v_mul_f32_e32 v45, 0x3fb8aa3b, v19
	v_fma_f32 v46, v19, s66, -v45
	v_rndne_f32_e32 v47, v45
	v_fmac_f32_e32 v46, 0x32a5705f, v19
	v_sub_f32_e32 v45, v45, v47
	v_add_f32_e32 v45, v45, v46
	v_exp_f32_e32 v45, v45
	v_cvt_i32_f32_e32 v46, v47
	v_cmp_ngt_f32_e32 vcc, s33, v11
	v_cndmask_b32_e32 v44, 0, v44, vcc
	v_cmp_nlt_f32_e32 vcc, s67, v11
	v_cndmask_b32_e32 v44, v37, v44, vcc
	v_sub_f32_e32 v9, v9, v43
	v_add_f32_e32 v36, v36, v44
	v_ldexp_f32 v44, v45, v46
	v_mul_f32_e32 v45, 0x3fb8aa3b, v9
	v_fma_f32 v46, v9, s66, -v45
	v_rndne_f32_e32 v47, v45
	v_fmac_f32_e32 v46, 0x32a5705f, v9
	v_sub_f32_e32 v45, v45, v47
	v_add_f32_e32 v45, v45, v46
	v_exp_f32_e32 v45, v45
	v_cvt_i32_f32_e32 v46, v47
	v_cmp_ngt_f32_e32 vcc, s33, v19
	v_cndmask_b32_e32 v44, 0, v44, vcc
	v_cmp_nlt_f32_e32 vcc, s67, v19
	v_cndmask_b32_e32 v44, v37, v44, vcc
	v_sub_f32_e32 v15, v15, v43
	v_add_f32_e32 v36, v36, v44
	v_ldexp_f32 v44, v45, v46
	v_mul_f32_e32 v45, 0x3fb8aa3b, v15
	v_fma_f32 v46, v15, s66, -v45
	v_rndne_f32_e32 v47, v45
	v_fmac_f32_e32 v46, 0x32a5705f, v15
	v_sub_f32_e32 v45, v45, v47
	v_add_f32_e32 v45, v45, v46
	v_exp_f32_e32 v45, v45
	v_cvt_i32_f32_e32 v46, v47
	v_cmp_ngt_f32_e32 vcc, s33, v9
	v_cndmask_b32_e32 v44, 0, v44, vcc
	v_cmp_nlt_f32_e32 vcc, s67, v9
	v_cndmask_b32_e32 v44, v37, v44, vcc
	v_sub_f32_e32 v7, v7, v43
	v_add_f32_e32 v36, v36, v44
	v_ldexp_f32 v44, v45, v46
	v_mul_f32_e32 v45, 0x3fb8aa3b, v7
	v_fma_f32 v46, v7, s66, -v45
	v_rndne_f32_e32 v47, v45
	v_fmac_f32_e32 v46, 0x32a5705f, v7
	v_sub_f32_e32 v45, v45, v47
	v_add_f32_e32 v45, v45, v46
	v_exp_f32_e32 v45, v45
	v_cvt_i32_f32_e32 v46, v47
	v_cmp_ngt_f32_e32 vcc, s33, v15
	v_cndmask_b32_e32 v44, 0, v44, vcc
	v_cmp_nlt_f32_e32 vcc, s67, v15
	v_cndmask_b32_e32 v44, v37, v44, vcc
	v_sub_f32_e32 v13, v13, v43
	v_add_f32_e32 v36, v36, v44
	v_ldexp_f32 v44, v45, v46
	v_mul_f32_e32 v45, 0x3fb8aa3b, v13
	v_fma_f32 v46, v13, s66, -v45
	v_rndne_f32_e32 v47, v45
	v_fmac_f32_e32 v46, 0x32a5705f, v13
	v_sub_f32_e32 v45, v45, v47
	v_add_f32_e32 v45, v45, v46
	v_exp_f32_e32 v45, v45
	v_cvt_i32_f32_e32 v46, v47
	v_cmp_ngt_f32_e32 vcc, s33, v7
	v_cndmask_b32_e32 v44, 0, v44, vcc
	v_cmp_nlt_f32_e32 vcc, s67, v7
	v_cndmask_b32_e32 v44, v37, v44, vcc
	v_sub_f32_e32 v6, v6, v43
	v_add_f32_e32 v36, v36, v44
	v_ldexp_f32 v44, v45, v46
	v_mul_f32_e32 v45, 0x3fb8aa3b, v6
	v_fma_f32 v46, v6, s66, -v45
	v_rndne_f32_e32 v47, v45
	v_fmac_f32_e32 v46, 0x32a5705f, v6
	v_sub_f32_e32 v45, v45, v47
	v_add_f32_e32 v45, v45, v46
	v_exp_f32_e32 v45, v45
	v_cvt_i32_f32_e32 v46, v47
	v_cmp_ngt_f32_e32 vcc, s33, v13
	v_cndmask_b32_e32 v44, 0, v44, vcc
	v_cmp_nlt_f32_e32 vcc, s67, v13
	v_cndmask_b32_e32 v44, v37, v44, vcc
	v_sub_f32_e32 v17, v17, v43
	v_add_f32_e32 v36, v36, v44
	v_ldexp_f32 v44, v45, v46
	v_mul_f32_e32 v45, 0x3fb8aa3b, v17
	v_fma_f32 v46, v17, s66, -v45
	v_rndne_f32_e32 v47, v45
	v_fmac_f32_e32 v46, 0x32a5705f, v17
	v_sub_f32_e32 v45, v45, v47
	v_add_f32_e32 v45, v45, v46
	v_exp_f32_e32 v45, v45
	v_cvt_i32_f32_e32 v46, v47
	v_cmp_ngt_f32_e32 vcc, s33, v6
	v_cndmask_b32_e32 v44, 0, v44, vcc
	v_cmp_nlt_f32_e32 vcc, s67, v6
	v_cndmask_b32_e32 v44, v37, v44, vcc
	v_sub_f32_e32 v8, v8, v43
	v_add_f32_e32 v36, v36, v44
	v_ldexp_f32 v44, v45, v46
	v_mul_f32_e32 v45, 0x3fb8aa3b, v8
	v_fma_f32 v46, v8, s66, -v45
	v_rndne_f32_e32 v47, v45
	v_fmac_f32_e32 v46, 0x32a5705f, v8
	v_sub_f32_e32 v45, v45, v47
	v_add_f32_e32 v45, v45, v46
	v_exp_f32_e32 v45, v45
	v_cvt_i32_f32_e32 v46, v47
	v_cmp_ngt_f32_e32 vcc, s33, v17
	v_cndmask_b32_e32 v44, 0, v44, vcc
	v_cmp_nlt_f32_e32 vcc, s67, v17
	v_cndmask_b32_e32 v44, v37, v44, vcc
	v_sub_f32_e32 v21, v21, v43
	v_add_f32_e32 v36, v36, v44
	v_ldexp_f32 v44, v45, v46
	v_mul_f32_e32 v45, 0x3fb8aa3b, v21
	v_fma_f32 v46, v21, s66, -v45
	v_rndne_f32_e32 v47, v45
	v_fmac_f32_e32 v46, 0x32a5705f, v21
	v_sub_f32_e32 v45, v45, v47
	v_add_f32_e32 v45, v45, v46
	v_exp_f32_e32 v45, v45
	v_cvt_i32_f32_e32 v46, v47
	v_cmp_ngt_f32_e32 vcc, s33, v8
	v_cndmask_b32_e32 v44, 0, v44, vcc
	v_cmp_nlt_f32_e32 vcc, s67, v8
	v_cndmask_b32_e32 v44, v37, v44, vcc
	v_sub_f32_e32 v10, v10, v43
	v_add_f32_e32 v36, v36, v44
	v_ldexp_f32 v44, v45, v46
	v_mul_f32_e32 v45, 0x3fb8aa3b, v10
	v_fma_f32 v46, v10, s66, -v45
	v_rndne_f32_e32 v47, v45
	v_fmac_f32_e32 v46, 0x32a5705f, v10
	v_sub_f32_e32 v45, v45, v47
	v_add_f32_e32 v45, v45, v46
	v_exp_f32_e32 v45, v45
	v_cvt_i32_f32_e32 v46, v47
	v_cmp_ngt_f32_e32 vcc, s33, v21
	v_cndmask_b32_e32 v44, 0, v44, vcc
	v_cmp_nlt_f32_e32 vcc, s67, v21
	v_cndmask_b32_e32 v44, v37, v44, vcc
	v_sub_f32_e32 v24, v24, v43
	v_add_f32_e32 v36, v36, v44
	v_ldexp_f32 v44, v45, v46
	v_mul_f32_e32 v45, 0x3fb8aa3b, v24
	v_fma_f32 v46, v24, s66, -v45
	v_rndne_f32_e32 v47, v45
	v_fmac_f32_e32 v46, 0x32a5705f, v24
	v_sub_f32_e32 v45, v45, v47
	v_add_f32_e32 v45, v45, v46
	v_exp_f32_e32 v45, v45
	v_cvt_i32_f32_e32 v46, v47
	v_cmp_ngt_f32_e32 vcc, s33, v10
	v_cndmask_b32_e32 v44, 0, v44, vcc
	v_cmp_nlt_f32_e32 vcc, s67, v10
	v_cndmask_b32_e32 v44, v37, v44, vcc
	v_sub_f32_e32 v12, v12, v43
	v_add_f32_e32 v36, v36, v44
	v_ldexp_f32 v44, v45, v46
	v_mul_f32_e32 v45, 0x3fb8aa3b, v12
	v_fma_f32 v46, v12, s66, -v45
	v_rndne_f32_e32 v47, v45
	v_fmac_f32_e32 v46, 0x32a5705f, v12
	v_sub_f32_e32 v45, v45, v47
	v_add_f32_e32 v45, v45, v46
	v_exp_f32_e32 v45, v45
	v_cvt_i32_f32_e32 v46, v47
	v_cmp_ngt_f32_e32 vcc, s33, v24
	v_cndmask_b32_e32 v44, 0, v44, vcc
	v_cmp_nlt_f32_e32 vcc, s67, v24
	v_cndmask_b32_e32 v44, v37, v44, vcc
	v_sub_f32_e32 v27, v27, v43
	v_add_f32_e32 v36, v36, v44
	v_ldexp_f32 v44, v45, v46
	v_mul_f32_e32 v45, 0x3fb8aa3b, v27
	v_fma_f32 v46, v27, s66, -v45
	v_rndne_f32_e32 v47, v45
	v_fmac_f32_e32 v46, 0x32a5705f, v27
	v_sub_f32_e32 v45, v45, v47
	v_add_f32_e32 v45, v45, v46
	v_exp_f32_e32 v45, v45
	v_cvt_i32_f32_e32 v46, v47
	v_cmp_ngt_f32_e32 vcc, s33, v12
	v_cndmask_b32_e32 v44, 0, v44, vcc
	v_cmp_nlt_f32_e32 vcc, s67, v12
	v_cndmask_b32_e32 v44, v37, v44, vcc
	v_sub_f32_e32 v14, v14, v43
	v_add_f32_e32 v36, v36, v44
	v_ldexp_f32 v44, v45, v46
	v_mul_f32_e32 v45, 0x3fb8aa3b, v14
	v_fma_f32 v46, v14, s66, -v45
	v_rndne_f32_e32 v47, v45
	v_fmac_f32_e32 v46, 0x32a5705f, v14
	v_sub_f32_e32 v45, v45, v47
	v_add_f32_e32 v45, v45, v46
	v_exp_f32_e32 v45, v45
	v_cvt_i32_f32_e32 v46, v47
	v_cmp_ngt_f32_e32 vcc, s33, v27
	v_cndmask_b32_e32 v44, 0, v44, vcc
	v_cmp_nlt_f32_e32 vcc, s67, v27
	v_cndmask_b32_e32 v44, v37, v44, vcc
	v_sub_f32_e32 v30, v30, v43
	v_add_f32_e32 v36, v36, v44
	v_ldexp_f32 v44, v45, v46
	v_mul_f32_e32 v45, 0x3fb8aa3b, v30
	v_fma_f32 v46, v30, s66, -v45
	v_rndne_f32_e32 v47, v45
	v_fmac_f32_e32 v46, 0x32a5705f, v30
	v_sub_f32_e32 v45, v45, v47
	v_add_f32_e32 v45, v45, v46
	v_exp_f32_e32 v45, v45
	v_cvt_i32_f32_e32 v46, v47
	v_cmp_ngt_f32_e32 vcc, s33, v14
	v_cndmask_b32_e32 v44, 0, v44, vcc
	v_cmp_nlt_f32_e32 vcc, s67, v14
	v_cndmask_b32_e32 v44, v37, v44, vcc
	v_sub_f32_e32 v18, v18, v43
	v_add_f32_e32 v36, v36, v44
	v_ldexp_f32 v44, v45, v46
	v_mul_f32_e32 v45, 0x3fb8aa3b, v18
	v_fma_f32 v46, v18, s66, -v45
	v_rndne_f32_e32 v47, v45
	v_fmac_f32_e32 v46, 0x32a5705f, v18
	v_sub_f32_e32 v45, v45, v47
	v_add_f32_e32 v45, v45, v46
	v_exp_f32_e32 v45, v45
	v_cvt_i32_f32_e32 v46, v47
	v_cmp_ngt_f32_e32 vcc, s33, v30
	v_cndmask_b32_e32 v44, 0, v44, vcc
	v_cmp_nlt_f32_e32 vcc, s67, v30
	v_cndmask_b32_e32 v44, v37, v44, vcc
	v_sub_f32_e32 v33, v33, v43
	v_add_f32_e32 v36, v36, v44
	v_ldexp_f32 v44, v45, v46
	v_mul_f32_e32 v45, 0x3fb8aa3b, v33
	v_fma_f32 v46, v33, s66, -v45
	v_rndne_f32_e32 v47, v45
	v_fmac_f32_e32 v46, 0x32a5705f, v33
	v_sub_f32_e32 v45, v45, v47
	v_add_f32_e32 v45, v45, v46
	v_exp_f32_e32 v45, v45
	v_cvt_i32_f32_e32 v46, v47
	v_cmp_ngt_f32_e32 vcc, s33, v18
	v_cndmask_b32_e32 v44, 0, v44, vcc
	v_cmp_nlt_f32_e32 vcc, s67, v18
	v_cndmask_b32_e32 v44, v37, v44, vcc
	v_sub_f32_e32 v22, v22, v43
	v_add_f32_e32 v36, v36, v44
	v_ldexp_f32 v44, v45, v46
	v_mul_f32_e32 v45, 0x3fb8aa3b, v22
	v_fma_f32 v46, v22, s66, -v45
	v_rndne_f32_e32 v47, v45
	v_fmac_f32_e32 v46, 0x32a5705f, v22
	v_sub_f32_e32 v45, v45, v47
	v_add_f32_e32 v45, v45, v46
	v_exp_f32_e32 v45, v45
	v_cvt_i32_f32_e32 v46, v47
	v_cmp_ngt_f32_e32 vcc, s33, v33
	v_cndmask_b32_e32 v44, 0, v44, vcc
	v_cmp_nlt_f32_e32 vcc, s67, v33
	v_cndmask_b32_e32 v44, v37, v44, vcc
	v_sub_f32_e32 v34, v34, v43
	v_add_f32_e32 v36, v36, v44
	v_ldexp_f32 v44, v45, v46
	v_mul_f32_e32 v45, 0x3fb8aa3b, v34
	v_fma_f32 v46, v34, s66, -v45
	v_rndne_f32_e32 v47, v45
	v_fmac_f32_e32 v46, 0x32a5705f, v34
	v_sub_f32_e32 v45, v45, v47
	v_add_f32_e32 v45, v45, v46
	v_exp_f32_e32 v45, v45
	v_cvt_i32_f32_e32 v46, v47
	v_cmp_ngt_f32_e32 vcc, s33, v22
	v_cndmask_b32_e32 v44, 0, v44, vcc
	v_cmp_nlt_f32_e32 vcc, s67, v22
	v_sub_f32_e32 v25, v25, v43
	v_cndmask_b32_e32 v44, v37, v44, vcc
	v_mul_f32_e32 v43, 0x3fb8aa3b, v25
	v_add_f32_e32 v36, v36, v44
	v_ldexp_f32 v44, v45, v46
	v_fma_f32 v45, v25, s66, -v43
	v_rndne_f32_e32 v46, v43
	v_fmac_f32_e32 v45, 0x32a5705f, v25
	v_sub_f32_e32 v43, v43, v46
	v_add_f32_e32 v43, v43, v45
	v_exp_f32_e32 v43, v43
	v_cvt_i32_f32_e32 v45, v46
	v_cmp_ngt_f32_e32 vcc, s33, v34
	v_cndmask_b32_e32 v44, 0, v44, vcc
	v_cmp_nlt_f32_e32 vcc, s67, v34
	v_cndmask_b32_e32 v44, v37, v44, vcc
	v_ldexp_f32 v43, v43, v45
	v_cmp_ngt_f32_e32 vcc, s33, v25
	v_cndmask_b32_e32 v43, 0, v43, vcc
	v_cmp_nlt_f32_e32 vcc, s67, v25
	v_add_f32_e32 v36, v36, v44
	v_cndmask_b32_e32 v37, v37, v43, vcc
	v_add_f32_e32 v36, v36, v37
	ds_bpermute_b32 v4, v4, v36
	v_cmp_lt_i32_e32 vcc, 0, v5
	s_waitcnt lgkmcnt(0)
	v_add_f32_e32 v4, v36, v4
	ds_bpermute_b32 v36, v38, v4
	s_waitcnt lgkmcnt(0)
	v_add_f32_e32 v4, v4, v36
	ds_bpermute_b32 v36, v39, v4
	;; [unrolled: 3-line block ×5, first 2 shown]
	s_and_saveexec_b64 s[66:67], vcc
	s_cbranch_execz .LBB57_98
; %bb.65:
	s_and_b64 exec, exec, s[6:7]
	s_cbranch_execz .LBB57_98
; %bb.66:
	s_waitcnt lgkmcnt(0)
	v_add_f32_e32 v4, v4, v36
	s_mov_b32 s6, 0x800000
	v_mov_b32_e32 v5, 0x4f800000
	v_cmp_gt_f32_e32 vcc, s6, v4
	v_cndmask_b32_e32 v5, 1.0, v5, vcc
	v_mul_f32_e32 v4, v4, v5
	v_log_f32_e32 v4, v4
	s_mov_b32 s6, 0x3f317217
	v_mul_f32_e32 v5, 0x3f317217, v4
	v_fma_f32 v36, v4, s6, -v5
	v_fmac_f32_e32 v36, 0x3377d1cf, v4
	s_mov_b32 s6, 0x7f800000
	v_add_f32_e32 v5, v5, v36
	v_cmp_lt_f32_e64 s[6:7], |v4|, s6
	v_cndmask_b32_e64 v4, v4, v5, s[6:7]
	v_mov_b32_e32 v5, 0x41b17218
	v_cndmask_b32_e32 v5, 0, v5, vcc
	v_sub_f32_e32 v4, v4, v5
	v_mov_b32_e32 v5, s69
	v_add_co_u32_e32 v0, vcc, s68, v0
	v_addc_co_u32_e32 v1, vcc, v5, v1, vcc
	v_sub_f32_e32 v2, v2, v4
	global_store_dword v[0:1], v2, off
	s_and_b64 exec, exec, s[0:1]
	s_cbranch_execz .LBB57_98
; %bb.67:
	v_sub_f32_e32 v2, v3, v4
	global_store_dword v[0:1], v2, off offset:256
	s_and_b64 exec, exec, s[2:3]
	s_cbranch_execz .LBB57_98
; %bb.68:
	v_sub_f32_e32 v2, v32, v4
	global_store_dword v[0:1], v2, off offset:512
	;; [unrolled: 5-line block ×15, first 2 shown]
	s_and_b64 exec, exec, s[34:35]
	s_cbranch_execz .LBB57_98
; %bb.82:
	v_add_co_u32_e32 v2, vcc, 0x1000, v0
	v_sub_f32_e32 v5, v13, v4
	v_addc_co_u32_e32 v3, vcc, 0, v1, vcc
	global_store_dword v[2:3], v5, off
	s_and_b64 exec, exec, s[36:37]
	s_cbranch_execz .LBB57_98
; %bb.83:
	v_add_co_u32_e32 v2, vcc, 0x1000, v0
	v_sub_f32_e32 v5, v6, v4
	v_addc_co_u32_e32 v3, vcc, 0, v1, vcc
	global_store_dword v[2:3], v5, off offset:256
	s_and_b64 exec, exec, s[38:39]
	s_cbranch_execz .LBB57_98
; %bb.84:
	v_add_co_u32_e32 v2, vcc, 0x1000, v0
	v_sub_f32_e32 v5, v17, v4
	v_addc_co_u32_e32 v3, vcc, 0, v1, vcc
	global_store_dword v[2:3], v5, off offset:512
	;; [unrolled: 7-line block ×15, first 2 shown]
.LBB57_98:
	s_endpgm
	.section	.rodata,"a",@progbits
	.p2align	6, 0x0
	.amdhsa_kernel _ZN12_GLOBAL__N_120softmax_warp_forwardIfffLi11ELb1ELb0ELi64EEEvPT0_PKT_iiiPKbib
		.amdhsa_group_segment_fixed_size 0
		.amdhsa_private_segment_fixed_size 0
		.amdhsa_kernarg_size 304
		.amdhsa_user_sgpr_count 6
		.amdhsa_user_sgpr_private_segment_buffer 1
		.amdhsa_user_sgpr_dispatch_ptr 0
		.amdhsa_user_sgpr_queue_ptr 0
		.amdhsa_user_sgpr_kernarg_segment_ptr 1
		.amdhsa_user_sgpr_dispatch_id 0
		.amdhsa_user_sgpr_flat_scratch_init 0
		.amdhsa_user_sgpr_kernarg_preload_length 0
		.amdhsa_user_sgpr_kernarg_preload_offset 0
		.amdhsa_user_sgpr_private_segment_size 0
		.amdhsa_uses_dynamic_stack 0
		.amdhsa_system_sgpr_private_segment_wavefront_offset 0
		.amdhsa_system_sgpr_workgroup_id_x 1
		.amdhsa_system_sgpr_workgroup_id_y 0
		.amdhsa_system_sgpr_workgroup_id_z 0
		.amdhsa_system_sgpr_workgroup_info 0
		.amdhsa_system_vgpr_workitem_id 1
		.amdhsa_next_free_vgpr 48
		.amdhsa_next_free_sgpr 76
		.amdhsa_accum_offset 48
		.amdhsa_reserve_vcc 1
		.amdhsa_reserve_flat_scratch 0
		.amdhsa_float_round_mode_32 0
		.amdhsa_float_round_mode_16_64 0
		.amdhsa_float_denorm_mode_32 3
		.amdhsa_float_denorm_mode_16_64 3
		.amdhsa_dx10_clamp 1
		.amdhsa_ieee_mode 1
		.amdhsa_fp16_overflow 0
		.amdhsa_tg_split 0
		.amdhsa_exception_fp_ieee_invalid_op 0
		.amdhsa_exception_fp_denorm_src 0
		.amdhsa_exception_fp_ieee_div_zero 0
		.amdhsa_exception_fp_ieee_overflow 0
		.amdhsa_exception_fp_ieee_underflow 0
		.amdhsa_exception_fp_ieee_inexact 0
		.amdhsa_exception_int_div_zero 0
	.end_amdhsa_kernel
	.section	.text._ZN12_GLOBAL__N_120softmax_warp_forwardIfffLi11ELb1ELb0ELi64EEEvPT0_PKT_iiiPKbib,"axG",@progbits,_ZN12_GLOBAL__N_120softmax_warp_forwardIfffLi11ELb1ELb0ELi64EEEvPT0_PKT_iiiPKbib,comdat
.Lfunc_end57:
	.size	_ZN12_GLOBAL__N_120softmax_warp_forwardIfffLi11ELb1ELb0ELi64EEEvPT0_PKT_iiiPKbib, .Lfunc_end57-_ZN12_GLOBAL__N_120softmax_warp_forwardIfffLi11ELb1ELb0ELi64EEEvPT0_PKT_iiiPKbib
                                        ; -- End function
	.section	.AMDGPU.csdata,"",@progbits
; Kernel info:
; codeLenInByte = 5824
; NumSgprs: 80
; NumVgprs: 48
; NumAgprs: 0
; TotalNumVgprs: 48
; ScratchSize: 0
; MemoryBound: 0
; FloatMode: 240
; IeeeMode: 1
; LDSByteSize: 0 bytes/workgroup (compile time only)
; SGPRBlocks: 9
; VGPRBlocks: 5
; NumSGPRsForWavesPerEU: 80
; NumVGPRsForWavesPerEU: 48
; AccumOffset: 48
; Occupancy: 8
; WaveLimiterHint : 0
; COMPUTE_PGM_RSRC2:SCRATCH_EN: 0
; COMPUTE_PGM_RSRC2:USER_SGPR: 6
; COMPUTE_PGM_RSRC2:TRAP_HANDLER: 0
; COMPUTE_PGM_RSRC2:TGID_X_EN: 1
; COMPUTE_PGM_RSRC2:TGID_Y_EN: 0
; COMPUTE_PGM_RSRC2:TGID_Z_EN: 0
; COMPUTE_PGM_RSRC2:TIDIG_COMP_CNT: 1
; COMPUTE_PGM_RSRC3_GFX90A:ACCUM_OFFSET: 11
; COMPUTE_PGM_RSRC3_GFX90A:TG_SPLIT: 0
	.section	.text._ZN12_GLOBAL__N_120softmax_warp_forwardIfffLi11ELb1ELb0ELi32EEEvPT0_PKT_iiiPKbib,"axG",@progbits,_ZN12_GLOBAL__N_120softmax_warp_forwardIfffLi11ELb1ELb0ELi32EEEvPT0_PKT_iiiPKbib,comdat
	.globl	_ZN12_GLOBAL__N_120softmax_warp_forwardIfffLi11ELb1ELb0ELi32EEEvPT0_PKT_iiiPKbib ; -- Begin function _ZN12_GLOBAL__N_120softmax_warp_forwardIfffLi11ELb1ELb0ELi32EEEvPT0_PKT_iiiPKbib
	.p2align	8
	.type	_ZN12_GLOBAL__N_120softmax_warp_forwardIfffLi11ELb1ELb0ELi32EEEvPT0_PKT_iiiPKbib,@function
_ZN12_GLOBAL__N_120softmax_warp_forwardIfffLi11ELb1ELb0ELi32EEEvPT0_PKT_iiiPKbib: ; @_ZN12_GLOBAL__N_120softmax_warp_forwardIfffLi11ELb1ELb0ELi32EEEvPT0_PKT_iiiPKbib
; %bb.0:
	s_load_dword s0, s[4:5], 0x3c
	s_load_dwordx8 s[44:51], s[4:5], 0x0
	v_bfe_u32 v1, v0, 10, 10
	v_and_b32_e32 v4, 0x3ff, v0
	v_mov_b32_e32 v66, 0xff800000
	s_waitcnt lgkmcnt(0)
	s_lshr_b32 s0, s0, 16
	s_mul_i32 s6, s6, s0
	v_add_u32_e32 v1, s6, v1
	v_sub_u32_e32 v5, s48, v1
	v_mad_u64_u32 v[0:1], s[0:1], v1, s49, v[4:5]
	v_ashrrev_i32_e32 v1, 31, v0
	v_lshlrev_b64 v[0:1], 2, v[0:1]
	v_mov_b32_e32 v3, s47
	v_add_co_u32_e32 v2, vcc, s46, v0
	v_cmp_lt_i32_e64 s[42:43], 0, v5
	v_cmp_gt_i32_e64 s[6:7], s50, v4
	v_addc_co_u32_e32 v3, vcc, v3, v1, vcc
	s_and_b64 s[2:3], s[42:43], s[6:7]
	v_mov_b32_e32 v69, 0xff800000
	s_and_saveexec_b64 s[0:1], s[2:3]
	s_cbranch_execz .LBB58_2
; %bb.1:
	global_load_dword v69, v[2:3], off
.LBB58_2:
	s_or_b64 exec, exec, s[0:1]
	v_add_u32_e32 v6, 32, v4
	v_cmp_gt_i32_e64 s[0:1], s50, v6
	s_and_b64 s[4:5], s[42:43], s[0:1]
	s_and_saveexec_b64 s[2:3], s[4:5]
	s_cbranch_execz .LBB58_4
; %bb.3:
	global_load_dword v66, v[2:3], off offset:128
.LBB58_4:
	s_or_b64 exec, exec, s[2:3]
	v_add_u32_e32 v6, 64, v4
	v_cmp_gt_i32_e64 s[2:3], s50, v6
                                        ; implicit-def: $vgpr79 : SGPR spill to VGPR lane
	v_mov_b32_e32 v63, 0xff800000
	v_writelane_b32 v79, s2, 0
	s_and_b64 s[4:5], s[42:43], s[2:3]
	v_mov_b32_e32 v68, 0xff800000
	v_writelane_b32 v79, s3, 1
	s_and_saveexec_b64 s[2:3], s[4:5]
	s_cbranch_execz .LBB58_6
; %bb.5:
	global_load_dword v68, v[2:3], off offset:256
.LBB58_6:
	s_or_b64 exec, exec, s[2:3]
	v_add_u32_e32 v6, 0x60, v4
	v_cmp_gt_i32_e64 s[2:3], s50, v6
	v_writelane_b32 v79, s2, 2
	s_and_b64 s[4:5], s[42:43], s[2:3]
	v_writelane_b32 v79, s3, 3
	s_and_saveexec_b64 s[2:3], s[4:5]
	s_cbranch_execz .LBB58_8
; %bb.7:
	global_load_dword v63, v[2:3], off offset:384
.LBB58_8:
	s_or_b64 exec, exec, s[2:3]
	v_add_u32_e32 v6, 0x80, v4
	v_cmp_gt_i32_e64 s[2:3], s50, v6
	v_writelane_b32 v79, s2, 4
	s_and_b64 s[4:5], s[42:43], s[2:3]
	v_mov_b32_e32 v61, 0xff800000
	v_mov_b32_e32 v67, 0xff800000
	v_writelane_b32 v79, s3, 5
	s_and_saveexec_b64 s[2:3], s[4:5]
	s_cbranch_execz .LBB58_10
; %bb.9:
	global_load_dword v67, v[2:3], off offset:512
.LBB58_10:
	s_or_b64 exec, exec, s[2:3]
	v_add_u32_e32 v6, 0xa0, v4
	v_cmp_gt_i32_e64 s[2:3], s50, v6
	v_writelane_b32 v79, s2, 6
	s_and_b64 s[4:5], s[42:43], s[2:3]
	v_writelane_b32 v79, s3, 7
	s_and_saveexec_b64 s[2:3], s[4:5]
	s_cbranch_execz .LBB58_12
; %bb.11:
	global_load_dword v61, v[2:3], off offset:640
.LBB58_12:
	s_or_b64 exec, exec, s[2:3]
	v_add_u32_e32 v6, 0xc0, v4
	v_cmp_gt_i32_e64 s[2:3], s50, v6
	v_writelane_b32 v79, s2, 8
	s_and_b64 s[4:5], s[42:43], s[2:3]
	v_mov_b32_e32 v59, 0xff800000
	;; [unrolled: 24-line block ×9, first 2 shown]
	v_mov_b32_e32 v52, 0xff800000
	v_writelane_b32 v79, s3, 37
	s_and_saveexec_b64 s[2:3], s[4:5]
	s_cbranch_execz .LBB58_42
; %bb.41:
	global_load_dword v52, v[2:3], off offset:2560
.LBB58_42:
	s_or_b64 exec, exec, s[2:3]
	v_add_u32_e32 v6, 0x2a0, v4
	v_cmp_gt_i32_e64 s[46:47], s50, v6
	s_and_b64 s[4:5], s[42:43], s[46:47]
	s_and_saveexec_b64 s[2:3], s[4:5]
	s_cbranch_execz .LBB58_44
; %bb.43:
	global_load_dword v42, v[2:3], off offset:2688
.LBB58_44:
	s_or_b64 exec, exec, s[2:3]
	v_add_u32_e32 v6, 0x2c0, v4
	v_cmp_gt_i32_e64 s[48:49], s50, v6
	s_and_b64 s[4:5], s[42:43], s[48:49]
	v_mov_b32_e32 v37, 0xff800000
	v_mov_b32_e32 v48, 0xff800000
	s_and_saveexec_b64 s[2:3], s[4:5]
	s_cbranch_execz .LBB58_46
; %bb.45:
	global_load_dword v48, v[2:3], off offset:2816
.LBB58_46:
	s_or_b64 exec, exec, s[2:3]
	v_add_u32_e32 v6, 0x2e0, v4
	v_cmp_gt_i32_e64 s[2:3], s50, v6
	v_writelane_b32 v79, s2, 38
	s_and_b64 s[4:5], s[42:43], s[2:3]
	v_writelane_b32 v79, s3, 39
	s_and_saveexec_b64 s[2:3], s[4:5]
	s_cbranch_execz .LBB58_48
; %bb.47:
	global_load_dword v37, v[2:3], off offset:2944
.LBB58_48:
	s_or_b64 exec, exec, s[2:3]
	v_add_u32_e32 v6, 0x300, v4
	v_cmp_gt_i32_e64 s[2:3], s50, v6
	s_and_b64 s[8:9], s[42:43], s[2:3]
	v_mov_b32_e32 v31, 0xff800000
	v_mov_b32_e32 v44, 0xff800000
	s_and_saveexec_b64 s[4:5], s[8:9]
	s_cbranch_execz .LBB58_50
; %bb.49:
	global_load_dword v44, v[2:3], off offset:3072
.LBB58_50:
	s_or_b64 exec, exec, s[4:5]
	v_add_u32_e32 v6, 0x320, v4
	v_cmp_gt_i32_e64 s[52:53], s50, v6
	s_and_b64 s[8:9], s[42:43], s[52:53]
	s_and_saveexec_b64 s[4:5], s[8:9]
	s_cbranch_execz .LBB58_52
; %bb.51:
	global_load_dword v31, v[2:3], off offset:3200
.LBB58_52:
	s_or_b64 exec, exec, s[4:5]
	v_add_u32_e32 v6, 0x340, v4
	v_cmp_gt_i32_e64 s[54:55], s50, v6
	s_and_b64 s[8:9], s[42:43], s[54:55]
	v_mov_b32_e32 v24, 0xff800000
	v_mov_b32_e32 v39, 0xff800000
	s_and_saveexec_b64 s[4:5], s[8:9]
	s_cbranch_execz .LBB58_54
; %bb.53:
	global_load_dword v39, v[2:3], off offset:3328
.LBB58_54:
	s_or_b64 exec, exec, s[4:5]
	v_add_u32_e32 v6, 0x360, v4
	v_cmp_gt_i32_e64 s[56:57], s50, v6
	s_and_b64 s[8:9], s[42:43], s[56:57]
	;; [unrolled: 20-line block ×4, first 2 shown]
	s_and_saveexec_b64 s[4:5], s[8:9]
	s_cbranch_execz .LBB58_64
; %bb.63:
	global_load_dword v11, v[2:3], off offset:3968
.LBB58_64:
	s_or_b64 exec, exec, s[4:5]
	v_or_b32_e32 v6, 0x400, v4
	v_cmp_gt_i32_e64 s[66:67], s50, v6
	s_and_b64 s[8:9], s[42:43], s[66:67]
	v_mov_b32_e32 v6, 0xff800000
	v_mov_b32_e32 v18, 0xff800000
	s_and_saveexec_b64 s[4:5], s[8:9]
	s_cbranch_execz .LBB58_66
; %bb.65:
	v_add_co_u32_e32 v8, vcc, 0x1000, v2
	v_addc_co_u32_e32 v9, vcc, 0, v3, vcc
	global_load_dword v18, v[8:9], off
.LBB58_66:
	s_or_b64 exec, exec, s[4:5]
	v_add_u32_e32 v7, 0x420, v4
	v_cmp_gt_i32_e64 s[68:69], s50, v7
	s_and_b64 s[8:9], s[42:43], s[68:69]
	s_and_saveexec_b64 s[4:5], s[8:9]
	s_cbranch_execz .LBB58_68
; %bb.67:
	v_add_co_u32_e32 v6, vcc, 0x1000, v2
	v_addc_co_u32_e32 v7, vcc, 0, v3, vcc
	global_load_dword v6, v[6:7], off offset:128
.LBB58_68:
	s_or_b64 exec, exec, s[4:5]
	v_add_u32_e32 v7, 0x440, v4
	v_cmp_gt_i32_e64 s[70:71], s50, v7
	s_and_b64 s[8:9], s[42:43], s[70:71]
	v_mov_b32_e32 v7, 0xff800000
	v_mov_b32_e32 v19, 0xff800000
	s_and_saveexec_b64 s[4:5], s[8:9]
	s_cbranch_execz .LBB58_70
; %bb.69:
	v_add_co_u32_e32 v8, vcc, 0x1000, v2
	v_addc_co_u32_e32 v9, vcc, 0, v3, vcc
	global_load_dword v19, v[8:9], off offset:256
.LBB58_70:
	s_or_b64 exec, exec, s[4:5]
	v_add_u32_e32 v8, 0x460, v4
	v_cmp_gt_i32_e64 s[72:73], s50, v8
	s_and_b64 s[8:9], s[42:43], s[72:73]
	s_and_saveexec_b64 s[4:5], s[8:9]
	s_cbranch_execz .LBB58_72
; %bb.71:
	v_add_co_u32_e32 v8, vcc, 0x1000, v2
	v_addc_co_u32_e32 v9, vcc, 0, v3, vcc
	global_load_dword v7, v[8:9], off offset:384
.LBB58_72:
	s_or_b64 exec, exec, s[4:5]
	v_add_u32_e32 v8, 0x480, v4
	v_cmp_gt_i32_e64 s[74:75], s50, v8
	s_and_b64 s[8:9], s[42:43], s[74:75]
	v_mov_b32_e32 v8, 0xff800000
	v_mov_b32_e32 v20, 0xff800000
	s_and_saveexec_b64 s[4:5], s[8:9]
	s_cbranch_execz .LBB58_74
; %bb.73:
	v_add_co_u32_e32 v12, vcc, 0x1000, v2
	v_addc_co_u32_e32 v13, vcc, 0, v3, vcc
	global_load_dword v20, v[12:13], off offset:512
.LBB58_74:
	;; [unrolled: 24-line block ×14, first 2 shown]
	s_or_b64 exec, exec, s[36:37]
	v_add_u32_e32 v40, 0x7a0, v4
	v_cmp_gt_i32_e64 s[36:37], s50, v40
	s_and_b64 s[40:41], s[42:43], s[36:37]
	s_and_saveexec_b64 s[38:39], s[40:41]
	s_cbranch_execz .LBB58_124
; %bb.123:
	v_add_co_u32_e32 v70, vcc, 0x1000, v2
	v_addc_co_u32_e32 v71, vcc, 0, v3, vcc
	global_load_dword v36, v[70:71], off offset:3712
.LBB58_124:
	s_or_b64 exec, exec, s[38:39]
	v_add_u32_e32 v40, 0x7c0, v4
	v_cmp_gt_i32_e64 s[38:39], s50, v40
	s_and_b64 vcc, s[42:43], s[38:39]
	v_mov_b32_e32 v40, 0xff800000
	v_mov_b32_e32 v50, 0xff800000
	s_and_saveexec_b64 s[40:41], vcc
	s_cbranch_execz .LBB58_126
; %bb.125:
	v_add_co_u32_e32 v70, vcc, 0x1000, v2
	v_addc_co_u32_e32 v71, vcc, 0, v3, vcc
	global_load_dword v50, v[70:71], off offset:3840
.LBB58_126:
	s_or_b64 exec, exec, s[40:41]
	v_add_u32_e32 v4, 0x7e0, v4
	v_cmp_gt_i32_e64 s[40:41], s50, v4
	s_and_b64 s[50:51], s[42:43], s[40:41]
	s_and_saveexec_b64 s[42:43], s[50:51]
	s_cbranch_execz .LBB58_128
; %bb.127:
	v_add_co_u32_e32 v2, vcc, 0x1000, v2
	v_addc_co_u32_e32 v3, vcc, 0, v3, vcc
	global_load_dword v40, v[2:3], off offset:3968
.LBB58_128:
	s_or_b64 exec, exec, s[42:43]
	s_waitcnt vmcnt(0)
	v_cmp_gt_f32_e32 vcc, v69, v66
	v_cndmask_b32_e32 v2, v66, v69, vcc
	v_cmp_gt_f32_e32 vcc, v2, v68
	v_cndmask_b32_e32 v2, v68, v2, vcc
	;; [unrolled: 2-line block ×61, first 2 shown]
	v_mbcnt_lo_u32_b32 v3, -1, 0
	v_cmp_gt_f32_e32 vcc, v2, v50
	v_mbcnt_hi_u32_b32 v3, -1, v3
	v_cndmask_b32_e32 v2, v50, v2, vcc
	v_and_b32_e32 v4, 0x60, v3
	v_cmp_gt_f32_e32 vcc, v2, v40
	v_add_u32_e32 v73, 32, v4
	v_xor_b32_e32 v4, 16, v3
	v_cndmask_b32_e32 v2, v40, v2, vcc
	v_cmp_lt_i32_e32 vcc, v4, v73
	v_cndmask_b32_e32 v4, v3, v4, vcc
	v_lshlrev_b32_e32 v4, 2, v4
	ds_bpermute_b32 v70, v4, v2
	s_mov_b32 s33, 0x3fb8aa3b
	s_mov_b32 s42, 0xc2ce8ed0
	;; [unrolled: 1-line block ×3, first 2 shown]
	s_waitcnt lgkmcnt(0)
	v_cmp_lt_f32_e32 vcc, v2, v70
	v_cndmask_b32_e32 v2, v2, v70, vcc
	v_xor_b32_e32 v70, 8, v3
	v_cmp_lt_i32_e32 vcc, v70, v73
	v_cndmask_b32_e32 v70, v3, v70, vcc
	v_lshlrev_b32_e32 v70, 2, v70
	ds_bpermute_b32 v71, v70, v2
	s_waitcnt lgkmcnt(0)
	v_cmp_lt_f32_e32 vcc, v2, v71
	v_cndmask_b32_e32 v2, v2, v71, vcc
	v_xor_b32_e32 v71, 4, v3
	v_cmp_lt_i32_e32 vcc, v71, v73
	v_cndmask_b32_e32 v71, v3, v71, vcc
	v_lshlrev_b32_e32 v71, 2, v71
	ds_bpermute_b32 v72, v71, v2
	;; [unrolled: 8-line block ×4, first 2 shown]
	s_waitcnt lgkmcnt(0)
	v_cmp_lt_f32_e32 vcc, v2, v3
	v_cndmask_b32_e32 v74, v2, v3, vcc
	v_sub_f32_e32 v2, v69, v74
	v_mul_f32_e32 v3, 0x3fb8aa3b, v2
	v_fma_f32 v69, v2, s33, -v3
	v_rndne_f32_e32 v75, v3
	v_fmac_f32_e32 v69, 0x32a5705f, v2
	v_sub_f32_e32 v3, v3, v75
	v_add_f32_e32 v3, v3, v69
	v_exp_f32_e32 v69, v3
	v_sub_f32_e32 v3, v66, v74
	v_mul_f32_e32 v66, 0x3fb8aa3b, v3
	v_fma_f32 v76, v3, s33, -v66
	v_rndne_f32_e32 v77, v66
	v_fmac_f32_e32 v76, 0x32a5705f, v3
	v_sub_f32_e32 v66, v66, v77
	v_add_f32_e32 v66, v66, v76
	v_cvt_i32_f32_e32 v75, v75
	v_exp_f32_e32 v66, v66
	v_cvt_i32_f32_e32 v76, v77
	v_cmp_ngt_f32_e32 vcc, s42, v2
	v_ldexp_f32 v69, v69, v75
	v_cndmask_b32_e32 v69, 0, v69, vcc
	v_ldexp_f32 v75, v66, v76
	v_sub_f32_e32 v66, v68, v74
	v_mul_f32_e32 v68, 0x3fb8aa3b, v66
	v_fma_f32 v76, v66, s33, -v68
	v_rndne_f32_e32 v77, v68
	v_fmac_f32_e32 v76, 0x32a5705f, v66
	v_sub_f32_e32 v68, v68, v77
	v_add_f32_e32 v76, v68, v76
	v_mov_b32_e32 v68, 0x7f800000
	v_cmp_nlt_f32_e32 vcc, s43, v2
	v_exp_f32_e32 v76, v76
	v_cvt_i32_f32_e32 v77, v77
	v_cndmask_b32_e32 v69, v68, v69, vcc
	v_cmp_ngt_f32_e32 vcc, s42, v3
	v_cndmask_b32_e32 v75, 0, v75, vcc
	v_cmp_nlt_f32_e32 vcc, s43, v3
	v_cndmask_b32_e32 v75, v68, v75, vcc
	v_sub_f32_e32 v63, v63, v74
	v_add_f32_e32 v69, v69, v75
	v_ldexp_f32 v75, v76, v77
	v_mul_f32_e32 v76, 0x3fb8aa3b, v63
	v_fma_f32 v77, v63, s33, -v76
	v_rndne_f32_e32 v78, v76
	v_fmac_f32_e32 v77, 0x32a5705f, v63
	v_sub_f32_e32 v76, v76, v78
	v_add_f32_e32 v76, v76, v77
	v_exp_f32_e32 v76, v76
	v_cvt_i32_f32_e32 v77, v78
	v_cmp_ngt_f32_e32 vcc, s42, v66
	v_cndmask_b32_e32 v75, 0, v75, vcc
	v_cmp_nlt_f32_e32 vcc, s43, v66
	v_cndmask_b32_e32 v75, v68, v75, vcc
	v_sub_f32_e32 v67, v67, v74
	v_add_f32_e32 v69, v69, v75
	v_ldexp_f32 v75, v76, v77
	v_mul_f32_e32 v76, 0x3fb8aa3b, v67
	v_fma_f32 v77, v67, s33, -v76
	v_rndne_f32_e32 v78, v76
	v_fmac_f32_e32 v77, 0x32a5705f, v67
	v_sub_f32_e32 v76, v76, v78
	v_add_f32_e32 v76, v76, v77
	v_exp_f32_e32 v76, v76
	v_cvt_i32_f32_e32 v77, v78
	;; [unrolled: 15-line block ×60, first 2 shown]
	v_cmp_ngt_f32_e32 vcc, s42, v36
	v_cndmask_b32_e32 v75, 0, v75, vcc
	v_cmp_nlt_f32_e32 vcc, s43, v36
	v_sub_f32_e32 v40, v40, v74
	v_cndmask_b32_e32 v75, v68, v75, vcc
	v_mul_f32_e32 v74, 0x3fb8aa3b, v40
	v_add_f32_e32 v69, v69, v75
	v_ldexp_f32 v75, v76, v77
	v_fma_f32 v76, v40, s33, -v74
	v_rndne_f32_e32 v77, v74
	v_fmac_f32_e32 v76, 0x32a5705f, v40
	v_sub_f32_e32 v74, v74, v77
	v_add_f32_e32 v74, v74, v76
	v_exp_f32_e32 v74, v74
	v_cvt_i32_f32_e32 v76, v77
	v_cmp_ngt_f32_e32 vcc, s42, v50
	v_cndmask_b32_e32 v75, 0, v75, vcc
	v_cmp_nlt_f32_e32 vcc, s43, v50
	v_cndmask_b32_e32 v75, v68, v75, vcc
	v_ldexp_f32 v74, v74, v76
	v_cmp_ngt_f32_e32 vcc, s42, v40
	v_cndmask_b32_e32 v74, 0, v74, vcc
	v_cmp_nlt_f32_e32 vcc, s43, v40
	v_add_f32_e32 v69, v69, v75
	v_cndmask_b32_e32 v68, v68, v74, vcc
	v_add_f32_e32 v68, v69, v68
	ds_bpermute_b32 v4, v4, v68
	v_cmp_lt_i32_e32 vcc, 0, v5
	s_waitcnt lgkmcnt(0)
	v_add_f32_e32 v4, v68, v4
	ds_bpermute_b32 v68, v70, v4
	s_waitcnt lgkmcnt(0)
	v_add_f32_e32 v4, v4, v68
	ds_bpermute_b32 v68, v71, v4
	;; [unrolled: 3-line block ×4, first 2 shown]
	s_and_saveexec_b64 s[42:43], vcc
	s_cbranch_execz .LBB58_194
; %bb.129:
	s_and_b64 exec, exec, s[6:7]
	s_cbranch_execz .LBB58_194
; %bb.130:
	s_waitcnt lgkmcnt(0)
	v_add_f32_e32 v4, v4, v68
	s_mov_b32 s6, 0x800000
	v_mov_b32_e32 v5, 0x4f800000
	v_cmp_gt_f32_e32 vcc, s6, v4
	v_cndmask_b32_e32 v5, 1.0, v5, vcc
	v_mul_f32_e32 v4, v4, v5
	v_log_f32_e32 v4, v4
	s_mov_b32 s6, 0x3f317217
	v_mul_f32_e32 v5, 0x3f317217, v4
	v_fma_f32 v68, v4, s6, -v5
	v_fmac_f32_e32 v68, 0x3377d1cf, v4
	s_mov_b32 s6, 0x7f800000
	v_add_f32_e32 v5, v5, v68
	v_cmp_lt_f32_e64 s[6:7], |v4|, s6
	v_cndmask_b32_e64 v4, v4, v5, s[6:7]
	v_mov_b32_e32 v5, 0x41b17218
	v_cndmask_b32_e32 v5, 0, v5, vcc
	v_sub_f32_e32 v4, v4, v5
	v_mov_b32_e32 v5, s45
	v_add_co_u32_e32 v0, vcc, s44, v0
	v_addc_co_u32_e32 v1, vcc, v5, v1, vcc
	v_sub_f32_e32 v2, v2, v4
	global_store_dword v[0:1], v2, off
	s_and_b64 exec, exec, s[0:1]
	s_cbranch_execz .LBB58_194
; %bb.131:
	v_readlane_b32 s0, v79, 0
	v_sub_f32_e32 v2, v3, v4
	v_readlane_b32 s1, v79, 1
	global_store_dword v[0:1], v2, off offset:128
	s_and_b64 exec, exec, s[0:1]
	s_cbranch_execz .LBB58_194
; %bb.132:
	v_readlane_b32 s0, v79, 2
	v_sub_f32_e32 v2, v66, v4
	v_readlane_b32 s1, v79, 3
	global_store_dword v[0:1], v2, off offset:256
	;; [unrolled: 7-line block ×19, first 2 shown]
	s_and_b64 exec, exec, s[0:1]
	s_cbranch_execz .LBB58_194
; %bb.150:
	v_sub_f32_e32 v2, v52, v4
	global_store_dword v[0:1], v2, off offset:2560
	s_and_b64 exec, exec, s[46:47]
	s_cbranch_execz .LBB58_194
; %bb.151:
	v_sub_f32_e32 v2, v42, v4
	global_store_dword v[0:1], v2, off offset:2688
	s_and_b64 exec, exec, s[48:49]
	s_cbranch_execz .LBB58_194
; %bb.152:
	v_readlane_b32 s0, v79, 38
	v_sub_f32_e32 v2, v48, v4
	v_readlane_b32 s1, v79, 39
	global_store_dword v[0:1], v2, off offset:2816
	s_and_b64 exec, exec, s[0:1]
	s_cbranch_execz .LBB58_194
; %bb.153:
	v_sub_f32_e32 v2, v37, v4
	global_store_dword v[0:1], v2, off offset:2944
	s_and_b64 exec, exec, s[2:3]
	s_cbranch_execz .LBB58_194
; %bb.154:
	v_sub_f32_e32 v2, v44, v4
	;; [unrolled: 5-line block ×9, first 2 shown]
	global_store_dword v[0:1], v2, off offset:3968
	s_and_b64 exec, exec, s[66:67]
	s_cbranch_execz .LBB58_194
; %bb.162:
	v_add_co_u32_e32 v2, vcc, 0x1000, v0
	v_sub_f32_e32 v5, v18, v4
	v_addc_co_u32_e32 v3, vcc, 0, v1, vcc
	global_store_dword v[2:3], v5, off
	s_and_b64 exec, exec, s[68:69]
	s_cbranch_execz .LBB58_194
; %bb.163:
	v_add_co_u32_e32 v2, vcc, 0x1000, v0
	v_sub_f32_e32 v5, v6, v4
	v_addc_co_u32_e32 v3, vcc, 0, v1, vcc
	global_store_dword v[2:3], v5, off offset:128
	s_and_b64 exec, exec, s[70:71]
	s_cbranch_execz .LBB58_194
; %bb.164:
	v_add_co_u32_e32 v2, vcc, 0x1000, v0
	v_sub_f32_e32 v5, v19, v4
	v_addc_co_u32_e32 v3, vcc, 0, v1, vcc
	global_store_dword v[2:3], v5, off offset:256
	;; [unrolled: 7-line block ×31, first 2 shown]
.LBB58_194:
	s_endpgm
	.section	.rodata,"a",@progbits
	.p2align	6, 0x0
	.amdhsa_kernel _ZN12_GLOBAL__N_120softmax_warp_forwardIfffLi11ELb1ELb0ELi32EEEvPT0_PKT_iiiPKbib
		.amdhsa_group_segment_fixed_size 0
		.amdhsa_private_segment_fixed_size 0
		.amdhsa_kernarg_size 304
		.amdhsa_user_sgpr_count 6
		.amdhsa_user_sgpr_private_segment_buffer 1
		.amdhsa_user_sgpr_dispatch_ptr 0
		.amdhsa_user_sgpr_queue_ptr 0
		.amdhsa_user_sgpr_kernarg_segment_ptr 1
		.amdhsa_user_sgpr_dispatch_id 0
		.amdhsa_user_sgpr_flat_scratch_init 0
		.amdhsa_user_sgpr_kernarg_preload_length 0
		.amdhsa_user_sgpr_kernarg_preload_offset 0
		.amdhsa_user_sgpr_private_segment_size 0
		.amdhsa_uses_dynamic_stack 0
		.amdhsa_system_sgpr_private_segment_wavefront_offset 0
		.amdhsa_system_sgpr_workgroup_id_x 1
		.amdhsa_system_sgpr_workgroup_id_y 0
		.amdhsa_system_sgpr_workgroup_id_z 0
		.amdhsa_system_sgpr_workgroup_info 0
		.amdhsa_system_vgpr_workitem_id 1
		.amdhsa_next_free_vgpr 80
		.amdhsa_next_free_sgpr 96
		.amdhsa_accum_offset 80
		.amdhsa_reserve_vcc 1
		.amdhsa_reserve_flat_scratch 0
		.amdhsa_float_round_mode_32 0
		.amdhsa_float_round_mode_16_64 0
		.amdhsa_float_denorm_mode_32 3
		.amdhsa_float_denorm_mode_16_64 3
		.amdhsa_dx10_clamp 1
		.amdhsa_ieee_mode 1
		.amdhsa_fp16_overflow 0
		.amdhsa_tg_split 0
		.amdhsa_exception_fp_ieee_invalid_op 0
		.amdhsa_exception_fp_denorm_src 0
		.amdhsa_exception_fp_ieee_div_zero 0
		.amdhsa_exception_fp_ieee_overflow 0
		.amdhsa_exception_fp_ieee_underflow 0
		.amdhsa_exception_fp_ieee_inexact 0
		.amdhsa_exception_int_div_zero 0
	.end_amdhsa_kernel
	.section	.text._ZN12_GLOBAL__N_120softmax_warp_forwardIfffLi11ELb1ELb0ELi32EEEvPT0_PKT_iiiPKbib,"axG",@progbits,_ZN12_GLOBAL__N_120softmax_warp_forwardIfffLi11ELb1ELb0ELi32EEEvPT0_PKT_iiiPKbib,comdat
.Lfunc_end58:
	.size	_ZN12_GLOBAL__N_120softmax_warp_forwardIfffLi11ELb1ELb0ELi32EEEvPT0_PKT_iiiPKbib, .Lfunc_end58-_ZN12_GLOBAL__N_120softmax_warp_forwardIfffLi11ELb1ELb0ELi32EEEvPT0_PKT_iiiPKbib
                                        ; -- End function
	.section	.AMDGPU.csdata,"",@progbits
; Kernel info:
; codeLenInByte = 11660
; NumSgprs: 100
; NumVgprs: 80
; NumAgprs: 0
; TotalNumVgprs: 80
; ScratchSize: 0
; MemoryBound: 0
; FloatMode: 240
; IeeeMode: 1
; LDSByteSize: 0 bytes/workgroup (compile time only)
; SGPRBlocks: 12
; VGPRBlocks: 9
; NumSGPRsForWavesPerEU: 100
; NumVGPRsForWavesPerEU: 80
; AccumOffset: 80
; Occupancy: 6
; WaveLimiterHint : 0
; COMPUTE_PGM_RSRC2:SCRATCH_EN: 0
; COMPUTE_PGM_RSRC2:USER_SGPR: 6
; COMPUTE_PGM_RSRC2:TRAP_HANDLER: 0
; COMPUTE_PGM_RSRC2:TGID_X_EN: 1
; COMPUTE_PGM_RSRC2:TGID_Y_EN: 0
; COMPUTE_PGM_RSRC2:TGID_Z_EN: 0
; COMPUTE_PGM_RSRC2:TIDIG_COMP_CNT: 1
; COMPUTE_PGM_RSRC3_GFX90A:ACCUM_OFFSET: 19
; COMPUTE_PGM_RSRC3_GFX90A:TG_SPLIT: 0
	.section	.text._ZN2at6native12_GLOBAL__N_122cunn_SoftMaxForwardRegIfffNS1_25LogSoftMaxForwardEpilogueElLi1EEEvPT1_PKT_T3_,"axG",@progbits,_ZN2at6native12_GLOBAL__N_122cunn_SoftMaxForwardRegIfffNS1_25LogSoftMaxForwardEpilogueElLi1EEEvPT1_PKT_T3_,comdat
	.globl	_ZN2at6native12_GLOBAL__N_122cunn_SoftMaxForwardRegIfffNS1_25LogSoftMaxForwardEpilogueElLi1EEEvPT1_PKT_T3_ ; -- Begin function _ZN2at6native12_GLOBAL__N_122cunn_SoftMaxForwardRegIfffNS1_25LogSoftMaxForwardEpilogueElLi1EEEvPT1_PKT_T3_
	.p2align	8
	.type	_ZN2at6native12_GLOBAL__N_122cunn_SoftMaxForwardRegIfffNS1_25LogSoftMaxForwardEpilogueElLi1EEEvPT1_PKT_T3_,@function
_ZN2at6native12_GLOBAL__N_122cunn_SoftMaxForwardRegIfffNS1_25LogSoftMaxForwardEpilogueElLi1EEEvPT1_PKT_T3_: ; @_ZN2at6native12_GLOBAL__N_122cunn_SoftMaxForwardRegIfffNS1_25LogSoftMaxForwardEpilogueElLi1EEEvPT1_PKT_T3_
; %bb.0:
	s_load_dwordx2 s[0:1], s[4:5], 0x10
	s_load_dwordx4 s[12:15], s[4:5], 0x0
	v_mov_b32_e32 v1, 0
	v_mov_b32_e32 v3, 0xff7fffff
                                        ; implicit-def: $vgpr8
	s_waitcnt lgkmcnt(0)
	s_mul_i32 s2, s6, s1
	s_mul_hi_u32 s3, s6, s0
	s_add_i32 s11, s3, s2
	s_mul_i32 s10, s6, s0
	v_cmp_gt_i64_e32 vcc, s[0:1], v[0:1]
	v_lshlrev_b32_e32 v1, 2, v0
	s_and_saveexec_b64 s[0:1], vcc
	s_cbranch_execz .LBB59_2
; %bb.1:
	s_lshl_b64 s[2:3], s[10:11], 2
	s_add_u32 s2, s14, s2
	s_addc_u32 s3, s15, s3
	global_load_dword v8, v1, s[2:3]
	s_waitcnt vmcnt(0)
	v_max_f32_e32 v2, v8, v8
	v_max_f32_e32 v3, 0xff7fffff, v2
.LBB59_2:
	s_or_b64 exec, exec, s[0:1]
	v_mbcnt_lo_u32_b32 v2, -1, 0
	v_mbcnt_hi_u32_b32 v7, -1, v2
	v_and_b32_e32 v9, 63, v7
	v_cmp_gt_u32_e64 s[0:1], 32, v9
	v_cndmask_b32_e64 v2, 0, 1, s[0:1]
	v_lshlrev_b32_e32 v2, 5, v2
	v_add_lshl_u32 v2, v2, v7, 2
	ds_bpermute_b32 v4, v2, v3
	v_cmp_gt_u32_e64 s[0:1], 48, v9
	v_cndmask_b32_e64 v5, 0, 1, s[0:1]
	s_waitcnt lgkmcnt(0)
	s_barrier
	v_cmp_lt_f32_e64 s[0:1], v3, v4
	v_cndmask_b32_e64 v4, v3, v4, s[0:1]
	v_lshlrev_b32_e32 v3, 4, v5
	v_add_lshl_u32 v3, v3, v7, 2
	ds_bpermute_b32 v5, v3, v4
	s_waitcnt lgkmcnt(0)
	v_cmp_lt_f32_e64 s[0:1], v4, v5
	v_cndmask_b32_e64 v5, v4, v5, s[0:1]
	v_cmp_gt_u32_e64 s[0:1], 56, v9
	v_cndmask_b32_e64 v4, 0, 1, s[0:1]
	v_lshlrev_b32_e32 v4, 3, v4
	v_add_lshl_u32 v4, v4, v7, 2
	ds_bpermute_b32 v6, v4, v5
	s_waitcnt lgkmcnt(0)
	v_cmp_lt_f32_e64 s[0:1], v5, v6
	v_cndmask_b32_e64 v6, v5, v6, s[0:1]
	v_cmp_gt_u32_e64 s[0:1], 60, v9
	;; [unrolled: 8-line block ×3, first 2 shown]
	v_cndmask_b32_e64 v6, 0, 1, s[0:1]
	v_lshlrev_b32_e32 v6, 1, v6
	v_add_lshl_u32 v6, v6, v7, 2
	ds_bpermute_b32 v12, v6, v11
	v_and_b32_e32 v10, 63, v0
	s_waitcnt lgkmcnt(0)
	v_cmp_lt_f32_e64 s[0:1], v11, v12
	v_cndmask_b32_e64 v11, v11, v12, s[0:1]
	v_cmp_ne_u32_e64 s[0:1], 63, v9
	v_addc_co_u32_e64 v7, s[0:1], 0, v7, s[0:1]
	v_lshlrev_b32_e32 v7, 2, v7
	ds_bpermute_b32 v12, v7, v11
	v_cmp_eq_u32_e64 s[0:1], 0, v10
	v_lshrrev_b32_e32 v9, 4, v0
	s_and_saveexec_b64 s[2:3], s[0:1]
	s_xor_b64 s[6:7], exec, s[2:3]
	s_cbranch_execz .LBB59_4
; %bb.3:
	s_waitcnt lgkmcnt(0)
	v_cmp_lt_f32_e64 s[2:3], v11, v12
	v_add_u32_e32 v13, 0, v9
	v_cndmask_b32_e64 v11, v11, v12, s[2:3]
	ds_write_b32 v13, v11
.LBB59_4:
	s_or_b64 exec, exec, s[6:7]
	s_waitcnt lgkmcnt(0)
	s_barrier
	s_load_dword s2, s[4:5], 0x24
	v_mov_b32_e32 v11, 0xff7fffff
	v_lshl_add_u32 v10, v10, 2, 0
	s_waitcnt lgkmcnt(0)
	s_bfe_u32 s2, s2, 0xa0006
	v_cmp_gt_u32_e64 s[2:3], s2, v0
	s_and_saveexec_b64 s[4:5], s[2:3]
	s_cbranch_execnz .LBB59_17
; %bb.5:
	s_or_b64 exec, exec, s[4:5]
	v_cmp_gt_u32_e64 s[4:5], 64, v0
	s_and_saveexec_b64 s[8:9], s[4:5]
	s_cbranch_execnz .LBB59_18
.LBB59_6:
	s_or_b64 exec, exec, s[8:9]
	v_cmp_eq_u32_e64 s[6:7], 0, v0
	s_and_saveexec_b64 s[8:9], s[6:7]
	s_cbranch_execz .LBB59_8
.LBB59_7:
	v_mov_b32_e32 v0, 0
	s_waitcnt lgkmcnt(0)
	ds_write_b32 v0, v11
.LBB59_8:
	s_or_b64 exec, exec, s[8:9]
	s_waitcnt lgkmcnt(0)
	v_mov_b32_e32 v11, 0
	s_barrier
	ds_read_b32 v0, v11
	s_mov_b32 s8, 0x3fb8aa3b
	s_waitcnt lgkmcnt(0)
	s_barrier
	v_sub_f32_e32 v0, v8, v0
	v_mul_f32_e32 v8, 0x3fb8aa3b, v0
	v_fma_f32 v12, v0, s8, -v8
	v_rndne_f32_e32 v13, v8
	v_fmac_f32_e32 v12, 0x32a5705f, v0
	v_sub_f32_e32 v8, v8, v13
	v_add_f32_e32 v8, v8, v12
	v_cvt_i32_f32_e32 v12, v13
	v_exp_f32_e32 v8, v8
	s_mov_b32 s8, 0xc2ce8ed0
	v_cmp_ngt_f32_e64 s[8:9], s8, v0
	v_ldexp_f32 v8, v8, v12
	v_cndmask_b32_e64 v8, 0, v8, s[8:9]
	s_mov_b32 s8, 0x42b17218
	v_mov_b32_e32 v12, 0x7f800000
	v_cmp_nlt_f32_e64 s[8:9], s8, v0
	v_cndmask_b32_e64 v8, v12, v8, s[8:9]
	v_cndmask_b32_e32 v8, 0, v8, vcc
	ds_bpermute_b32 v12, v2, v8
	s_waitcnt lgkmcnt(0)
	v_add_f32_e32 v8, v8, v12
	ds_bpermute_b32 v12, v3, v8
	s_waitcnt lgkmcnt(0)
	v_add_f32_e32 v8, v8, v12
	;; [unrolled: 3-line block ×5, first 2 shown]
	ds_bpermute_b32 v12, v7, v8
	s_and_saveexec_b64 s[8:9], s[0:1]
	s_cbranch_execz .LBB59_10
; %bb.9:
	v_add_u32_e32 v9, 0, v9
	s_waitcnt lgkmcnt(0)
	v_add_f32_e32 v8, v8, v12
	ds_write_b32 v9, v8
.LBB59_10:
	s_or_b64 exec, exec, s[8:9]
	s_waitcnt lgkmcnt(0)
	s_barrier
	s_and_saveexec_b64 s[0:1], s[2:3]
	s_cbranch_execnz .LBB59_19
; %bb.11:
	s_or_b64 exec, exec, s[0:1]
	s_and_saveexec_b64 s[0:1], s[4:5]
	s_cbranch_execnz .LBB59_20
.LBB59_12:
	s_or_b64 exec, exec, s[0:1]
	s_and_saveexec_b64 s[0:1], s[6:7]
	s_cbranch_execz .LBB59_14
.LBB59_13:
	v_mov_b32_e32 v2, 0
	s_waitcnt lgkmcnt(0)
	ds_write_b32 v2, v11
.LBB59_14:
	s_or_b64 exec, exec, s[0:1]
	s_waitcnt lgkmcnt(0)
	s_barrier
	s_and_saveexec_b64 s[0:1], vcc
	s_cbranch_execz .LBB59_16
; %bb.15:
	v_mov_b32_e32 v2, 0
	ds_read_b32 v2, v2
	s_mov_b32 s2, 0x800000
	v_mov_b32_e32 v3, 0x4f800000
	s_mov_b32 s4, 0x3f317217
	s_lshl_b64 s[0:1], s[10:11], 2
	s_waitcnt lgkmcnt(0)
	v_cmp_gt_f32_e32 vcc, s2, v2
	v_cndmask_b32_e32 v3, 1.0, v3, vcc
	v_mul_f32_e32 v2, v2, v3
	v_log_f32_e32 v2, v2
	s_add_u32 s2, s12, s0
	s_mov_b32 s0, 0x7f800000
	s_addc_u32 s3, s13, s1
	v_mul_f32_e32 v3, 0x3f317217, v2
	v_fma_f32 v4, v2, s4, -v3
	v_fmac_f32_e32 v4, 0x3377d1cf, v2
	v_add_f32_e32 v3, v3, v4
	v_cmp_lt_f32_e64 s[0:1], |v2|, s0
	v_cndmask_b32_e64 v2, v2, v3, s[0:1]
	v_mov_b32_e32 v3, 0x41b17218
	v_cndmask_b32_e32 v3, 0, v3, vcc
	v_sub_f32_e32 v2, v2, v3
	v_sub_f32_e32 v0, v0, v2
	global_store_dword v1, v0, s[2:3]
.LBB59_16:
	s_endpgm
.LBB59_17:
	ds_read_b32 v11, v10
	s_or_b64 exec, exec, s[4:5]
	v_cmp_gt_u32_e64 s[4:5], 64, v0
	s_and_saveexec_b64 s[8:9], s[4:5]
	s_cbranch_execz .LBB59_6
.LBB59_18:
	s_waitcnt lgkmcnt(0)
	ds_bpermute_b32 v12, v2, v11
	s_waitcnt lgkmcnt(0)
	v_cmp_lt_f32_e64 s[6:7], v11, v12
	v_cndmask_b32_e64 v11, v11, v12, s[6:7]
	ds_bpermute_b32 v12, v3, v11
	s_waitcnt lgkmcnt(0)
	v_cmp_lt_f32_e64 s[6:7], v11, v12
	v_cndmask_b32_e64 v11, v11, v12, s[6:7]
	;; [unrolled: 4-line block ×6, first 2 shown]
	s_or_b64 exec, exec, s[8:9]
	v_cmp_eq_u32_e64 s[6:7], 0, v0
	s_and_saveexec_b64 s[8:9], s[6:7]
	s_cbranch_execnz .LBB59_7
	s_branch .LBB59_8
.LBB59_19:
	ds_read_b32 v11, v10
	s_or_b64 exec, exec, s[0:1]
	s_and_saveexec_b64 s[0:1], s[4:5]
	s_cbranch_execz .LBB59_12
.LBB59_20:
	s_waitcnt lgkmcnt(0)
	ds_bpermute_b32 v2, v2, v11
	s_waitcnt lgkmcnt(0)
	v_add_f32_e32 v2, v11, v2
	ds_bpermute_b32 v3, v3, v2
	s_waitcnt lgkmcnt(0)
	v_add_f32_e32 v2, v2, v3
	ds_bpermute_b32 v3, v4, v2
	s_waitcnt lgkmcnt(0)
	v_add_f32_e32 v2, v2, v3
	ds_bpermute_b32 v3, v5, v2
	s_waitcnt lgkmcnt(0)
	v_add_f32_e32 v2, v2, v3
	ds_bpermute_b32 v3, v6, v2
	s_waitcnt lgkmcnt(0)
	v_add_f32_e32 v2, v2, v3
	ds_bpermute_b32 v3, v7, v2
	s_waitcnt lgkmcnt(0)
	v_add_f32_e32 v11, v2, v3
	s_or_b64 exec, exec, s[0:1]
	s_and_saveexec_b64 s[0:1], s[6:7]
	s_cbranch_execnz .LBB59_13
	s_branch .LBB59_14
	.section	.rodata,"a",@progbits
	.p2align	6, 0x0
	.amdhsa_kernel _ZN2at6native12_GLOBAL__N_122cunn_SoftMaxForwardRegIfffNS1_25LogSoftMaxForwardEpilogueElLi1EEEvPT1_PKT_T3_
		.amdhsa_group_segment_fixed_size 0
		.amdhsa_private_segment_fixed_size 0
		.amdhsa_kernarg_size 280
		.amdhsa_user_sgpr_count 6
		.amdhsa_user_sgpr_private_segment_buffer 1
		.amdhsa_user_sgpr_dispatch_ptr 0
		.amdhsa_user_sgpr_queue_ptr 0
		.amdhsa_user_sgpr_kernarg_segment_ptr 1
		.amdhsa_user_sgpr_dispatch_id 0
		.amdhsa_user_sgpr_flat_scratch_init 0
		.amdhsa_user_sgpr_kernarg_preload_length 0
		.amdhsa_user_sgpr_kernarg_preload_offset 0
		.amdhsa_user_sgpr_private_segment_size 0
		.amdhsa_uses_dynamic_stack 0
		.amdhsa_system_sgpr_private_segment_wavefront_offset 0
		.amdhsa_system_sgpr_workgroup_id_x 1
		.amdhsa_system_sgpr_workgroup_id_y 0
		.amdhsa_system_sgpr_workgroup_id_z 0
		.amdhsa_system_sgpr_workgroup_info 0
		.amdhsa_system_vgpr_workitem_id 0
		.amdhsa_next_free_vgpr 14
		.amdhsa_next_free_sgpr 16
		.amdhsa_accum_offset 16
		.amdhsa_reserve_vcc 1
		.amdhsa_reserve_flat_scratch 0
		.amdhsa_float_round_mode_32 0
		.amdhsa_float_round_mode_16_64 0
		.amdhsa_float_denorm_mode_32 3
		.amdhsa_float_denorm_mode_16_64 3
		.amdhsa_dx10_clamp 1
		.amdhsa_ieee_mode 1
		.amdhsa_fp16_overflow 0
		.amdhsa_tg_split 0
		.amdhsa_exception_fp_ieee_invalid_op 0
		.amdhsa_exception_fp_denorm_src 0
		.amdhsa_exception_fp_ieee_div_zero 0
		.amdhsa_exception_fp_ieee_overflow 0
		.amdhsa_exception_fp_ieee_underflow 0
		.amdhsa_exception_fp_ieee_inexact 0
		.amdhsa_exception_int_div_zero 0
	.end_amdhsa_kernel
	.section	.text._ZN2at6native12_GLOBAL__N_122cunn_SoftMaxForwardRegIfffNS1_25LogSoftMaxForwardEpilogueElLi1EEEvPT1_PKT_T3_,"axG",@progbits,_ZN2at6native12_GLOBAL__N_122cunn_SoftMaxForwardRegIfffNS1_25LogSoftMaxForwardEpilogueElLi1EEEvPT1_PKT_T3_,comdat
.Lfunc_end59:
	.size	_ZN2at6native12_GLOBAL__N_122cunn_SoftMaxForwardRegIfffNS1_25LogSoftMaxForwardEpilogueElLi1EEEvPT1_PKT_T3_, .Lfunc_end59-_ZN2at6native12_GLOBAL__N_122cunn_SoftMaxForwardRegIfffNS1_25LogSoftMaxForwardEpilogueElLi1EEEvPT1_PKT_T3_
                                        ; -- End function
	.section	.AMDGPU.csdata,"",@progbits
; Kernel info:
; codeLenInByte = 1480
; NumSgprs: 20
; NumVgprs: 14
; NumAgprs: 0
; TotalNumVgprs: 14
; ScratchSize: 0
; MemoryBound: 0
; FloatMode: 240
; IeeeMode: 1
; LDSByteSize: 0 bytes/workgroup (compile time only)
; SGPRBlocks: 2
; VGPRBlocks: 1
; NumSGPRsForWavesPerEU: 20
; NumVGPRsForWavesPerEU: 14
; AccumOffset: 16
; Occupancy: 8
; WaveLimiterHint : 0
; COMPUTE_PGM_RSRC2:SCRATCH_EN: 0
; COMPUTE_PGM_RSRC2:USER_SGPR: 6
; COMPUTE_PGM_RSRC2:TRAP_HANDLER: 0
; COMPUTE_PGM_RSRC2:TGID_X_EN: 1
; COMPUTE_PGM_RSRC2:TGID_Y_EN: 0
; COMPUTE_PGM_RSRC2:TGID_Z_EN: 0
; COMPUTE_PGM_RSRC2:TIDIG_COMP_CNT: 0
; COMPUTE_PGM_RSRC3_GFX90A:ACCUM_OFFSET: 3
; COMPUTE_PGM_RSRC3_GFX90A:TG_SPLIT: 0
	.section	.text._ZN2at6native12_GLOBAL__N_122cunn_SoftMaxForwardRegIfffNS1_25LogSoftMaxForwardEpilogueElLi2EEEvPT1_PKT_T3_,"axG",@progbits,_ZN2at6native12_GLOBAL__N_122cunn_SoftMaxForwardRegIfffNS1_25LogSoftMaxForwardEpilogueElLi2EEEvPT1_PKT_T3_,comdat
	.globl	_ZN2at6native12_GLOBAL__N_122cunn_SoftMaxForwardRegIfffNS1_25LogSoftMaxForwardEpilogueElLi2EEEvPT1_PKT_T3_ ; -- Begin function _ZN2at6native12_GLOBAL__N_122cunn_SoftMaxForwardRegIfffNS1_25LogSoftMaxForwardEpilogueElLi2EEEvPT1_PKT_T3_
	.p2align	8
	.type	_ZN2at6native12_GLOBAL__N_122cunn_SoftMaxForwardRegIfffNS1_25LogSoftMaxForwardEpilogueElLi2EEEvPT1_PKT_T3_,@function
_ZN2at6native12_GLOBAL__N_122cunn_SoftMaxForwardRegIfffNS1_25LogSoftMaxForwardEpilogueElLi2EEEvPT1_PKT_T3_: ; @_ZN2at6native12_GLOBAL__N_122cunn_SoftMaxForwardRegIfffNS1_25LogSoftMaxForwardEpilogueElLi2EEEvPT1_PKT_T3_
; %bb.0:
	s_load_dwordx2 s[0:1], s[4:5], 0x10
	s_load_dwordx4 s[12:15], s[4:5], 0x0
	s_load_dword s7, s[4:5], 0x24
	v_mov_b32_e32 v1, 0
	v_mov_b32_e32 v6, 0xff7fffff
	s_waitcnt lgkmcnt(0)
	s_mul_i32 s2, s6, s1
	s_mul_hi_u32 s3, s6, s0
	s_add_i32 s3, s3, s2
	s_mul_i32 s2, s6, s0
	s_lshl_b64 s[16:17], s[2:3], 2
	s_add_u32 s2, s14, s16
	s_addc_u32 s3, s15, s17
	v_cmp_gt_i64_e32 vcc, s[0:1], v[0:1]
	v_lshlrev_b32_e32 v4, 2, v0
                                        ; implicit-def: $vgpr2_vgpr3
	s_and_saveexec_b64 s[4:5], vcc
	s_cbranch_execz .LBB60_2
; %bb.1:
	global_load_dword v2, v4, s[2:3]
	s_waitcnt vmcnt(0)
	v_max_f32_e32 v3, v2, v2
	v_max_f32_e32 v6, 0xff7fffff, v3
.LBB60_2:
	s_or_b64 exec, exec, s[4:5]
	s_and_b32 s8, 0xffff, s7
	v_add_u32_e32 v8, s8, v0
	v_mov_b32_e32 v9, v1
	v_cmp_gt_i64_e64 s[0:1], s[0:1], v[8:9]
	v_lshlrev_b32_e32 v1, 2, v8
	s_and_saveexec_b64 s[4:5], s[0:1]
	s_cbranch_execz .LBB60_4
; %bb.3:
	global_load_dword v3, v1, s[2:3]
	v_max_f32_e32 v6, v6, v6
	s_waitcnt vmcnt(0)
	v_max_f32_e32 v5, v3, v3
	v_max_f32_e32 v6, v6, v5
.LBB60_4:
	s_or_b64 exec, exec, s[4:5]
	v_mbcnt_lo_u32_b32 v5, -1, 0
	v_mbcnt_hi_u32_b32 v10, -1, v5
	v_and_b32_e32 v11, 63, v10
	v_cmp_gt_u32_e64 s[2:3], 32, v11
	v_cndmask_b32_e64 v5, 0, 1, s[2:3]
	v_lshlrev_b32_e32 v5, 5, v5
	v_add_lshl_u32 v5, v5, v10, 2
	ds_bpermute_b32 v7, v5, v6
	v_cmp_gt_u32_e64 s[2:3], 48, v11
	v_cndmask_b32_e64 v8, 0, 1, s[2:3]
	s_waitcnt lgkmcnt(0)
	s_barrier
	v_cmp_lt_f32_e64 s[2:3], v6, v7
	v_cndmask_b32_e64 v7, v6, v7, s[2:3]
	v_lshlrev_b32_e32 v6, 4, v8
	v_add_lshl_u32 v6, v6, v10, 2
	ds_bpermute_b32 v8, v6, v7
	s_waitcnt lgkmcnt(0)
	v_cmp_lt_f32_e64 s[2:3], v7, v8
	v_cndmask_b32_e64 v8, v7, v8, s[2:3]
	v_cmp_gt_u32_e64 s[2:3], 56, v11
	v_cndmask_b32_e64 v7, 0, 1, s[2:3]
	v_lshlrev_b32_e32 v7, 3, v7
	v_add_lshl_u32 v7, v7, v10, 2
	ds_bpermute_b32 v9, v7, v8
	s_waitcnt lgkmcnt(0)
	v_cmp_lt_f32_e64 s[2:3], v8, v9
	v_cndmask_b32_e64 v9, v8, v9, s[2:3]
	v_cmp_gt_u32_e64 s[2:3], 60, v11
	;; [unrolled: 8-line block ×3, first 2 shown]
	v_cndmask_b32_e64 v9, 0, 1, s[2:3]
	v_lshlrev_b32_e32 v9, 1, v9
	v_add_lshl_u32 v9, v9, v10, 2
	ds_bpermute_b32 v14, v9, v13
	v_and_b32_e32 v12, 63, v0
	s_waitcnt lgkmcnt(0)
	v_cmp_lt_f32_e64 s[2:3], v13, v14
	v_cndmask_b32_e64 v13, v13, v14, s[2:3]
	v_cmp_ne_u32_e64 s[2:3], 63, v11
	v_addc_co_u32_e64 v10, s[2:3], 0, v10, s[2:3]
	v_lshlrev_b32_e32 v10, 2, v10
	ds_bpermute_b32 v14, v10, v13
	v_cmp_eq_u32_e64 s[2:3], 0, v12
	v_lshrrev_b32_e32 v11, 4, v0
	s_and_saveexec_b64 s[4:5], s[2:3]
	s_xor_b64 s[6:7], exec, s[4:5]
	s_cbranch_execz .LBB60_6
; %bb.5:
	s_waitcnt lgkmcnt(0)
	v_cmp_lt_f32_e64 s[4:5], v13, v14
	v_add_u32_e32 v15, 0, v11
	v_cndmask_b32_e64 v13, v13, v14, s[4:5]
	ds_write_b32 v15, v13
.LBB60_6:
	s_or_b64 exec, exec, s[6:7]
	s_lshr_b32 s4, s8, 6
	v_cmp_gt_u32_e64 s[4:5], s4, v0
	v_mov_b32_e32 v13, 0xff7fffff
	v_lshl_add_u32 v12, v12, 2, 0
	s_waitcnt lgkmcnt(0)
	s_barrier
	s_and_saveexec_b64 s[6:7], s[4:5]
	s_cbranch_execnz .LBB60_19
; %bb.7:
	s_or_b64 exec, exec, s[6:7]
	v_cmp_gt_u32_e64 s[6:7], 64, v0
	s_and_saveexec_b64 s[10:11], s[6:7]
	s_cbranch_execnz .LBB60_20
.LBB60_8:
	s_or_b64 exec, exec, s[10:11]
	v_cmp_eq_u32_e64 s[8:9], 0, v0
	s_and_saveexec_b64 s[10:11], s[8:9]
	s_cbranch_execz .LBB60_10
.LBB60_9:
	v_mov_b32_e32 v0, 0
	s_waitcnt lgkmcnt(0)
	ds_write_b32 v0, v13
.LBB60_10:
	s_or_b64 exec, exec, s[10:11]
	s_waitcnt lgkmcnt(0)
	v_mov_b32_e32 v13, 0
	s_barrier
	ds_read_b32 v14, v13
	s_mov_b32 s14, 0x3fb8aa3b
	s_mov_b32 s15, 0xc2ce8ed0
	;; [unrolled: 1-line block ×3, first 2 shown]
	s_waitcnt lgkmcnt(0)
	v_sub_f32_e32 v0, v2, v14
	v_mul_f32_e32 v2, 0x3fb8aa3b, v0
	v_fma_f32 v15, v0, s14, -v2
	v_rndne_f32_e32 v16, v2
	v_fmac_f32_e32 v15, 0x32a5705f, v0
	v_sub_f32_e32 v2, v2, v16
	v_add_f32_e32 v2, v2, v15
	v_cvt_i32_f32_e32 v15, v16
	v_exp_f32_e32 v2, v2
	v_cmp_ngt_f32_e64 s[10:11], s15, v0
	v_mov_b32_e32 v16, 0x7f800000
	s_barrier
	v_ldexp_f32 v2, v2, v15
	v_cndmask_b32_e64 v15, 0, v2, s[10:11]
	v_sub_f32_e32 v2, v3, v14
	v_mul_f32_e32 v3, 0x3fb8aa3b, v2
	v_fma_f32 v14, v2, s14, -v3
	v_rndne_f32_e32 v17, v3
	v_fmac_f32_e32 v14, 0x32a5705f, v2
	v_sub_f32_e32 v3, v3, v17
	v_add_f32_e32 v3, v3, v14
	v_exp_f32_e32 v3, v3
	v_cvt_i32_f32_e32 v14, v17
	v_cmp_nlt_f32_e64 s[10:11], s18, v0
	v_cndmask_b32_e64 v15, v16, v15, s[10:11]
	v_cmp_ngt_f32_e64 s[10:11], s15, v2
	v_ldexp_f32 v3, v3, v14
	v_cndmask_b32_e64 v3, 0, v3, s[10:11]
	v_cmp_nlt_f32_e64 s[10:11], s18, v2
	v_cndmask_b32_e32 v15, 0, v15, vcc
	v_cndmask_b32_e64 v3, v16, v3, s[10:11]
	v_add_f32_e32 v3, v15, v3
	v_cndmask_b32_e64 v3, v15, v3, s[0:1]
	ds_bpermute_b32 v14, v5, v3
	s_waitcnt lgkmcnt(0)
	v_add_f32_e32 v3, v3, v14
	ds_bpermute_b32 v14, v6, v3
	s_waitcnt lgkmcnt(0)
	v_add_f32_e32 v3, v3, v14
	;; [unrolled: 3-line block ×5, first 2 shown]
	ds_bpermute_b32 v14, v10, v3
	s_and_saveexec_b64 s[10:11], s[2:3]
	s_cbranch_execz .LBB60_12
; %bb.11:
	v_add_u32_e32 v11, 0, v11
	s_waitcnt lgkmcnt(0)
	v_add_f32_e32 v3, v3, v14
	ds_write_b32 v11, v3
.LBB60_12:
	s_or_b64 exec, exec, s[10:11]
	s_waitcnt lgkmcnt(0)
	s_barrier
	s_and_saveexec_b64 s[2:3], s[4:5]
	s_cbranch_execnz .LBB60_21
; %bb.13:
	s_or_b64 exec, exec, s[2:3]
	s_and_saveexec_b64 s[2:3], s[6:7]
	s_cbranch_execnz .LBB60_22
.LBB60_14:
	s_or_b64 exec, exec, s[2:3]
	s_and_saveexec_b64 s[2:3], s[8:9]
	s_cbranch_execz .LBB60_16
.LBB60_15:
	v_mov_b32_e32 v3, 0
	s_waitcnt lgkmcnt(0)
	ds_write_b32 v3, v13
.LBB60_16:
	s_or_b64 exec, exec, s[2:3]
	v_mov_b32_e32 v3, 0
	s_waitcnt lgkmcnt(0)
	s_barrier
	ds_read_b32 v3, v3
	s_mov_b32 s2, 0x800000
	v_mov_b32_e32 v5, 0x4f800000
	s_mov_b32 s4, 0x3f317217
	s_add_u32 s6, s12, s16
	s_waitcnt lgkmcnt(0)
	v_cmp_gt_f32_e64 s[2:3], s2, v3
	v_cndmask_b32_e64 v5, 1.0, v5, s[2:3]
	v_mul_f32_e32 v3, v3, v5
	v_log_f32_e32 v3, v3
	s_addc_u32 s7, s13, s17
	v_mul_f32_e32 v5, 0x3f317217, v3
	v_fma_f32 v6, v3, s4, -v5
	v_fmac_f32_e32 v6, 0x3377d1cf, v3
	s_mov_b32 s4, 0x7f800000
	v_add_f32_e32 v5, v5, v6
	v_cmp_lt_f32_e64 s[4:5], |v3|, s4
	v_cndmask_b32_e64 v3, v3, v5, s[4:5]
	v_mov_b32_e32 v5, 0x41b17218
	v_cndmask_b32_e64 v5, 0, v5, s[2:3]
	v_sub_f32_e32 v3, v3, v5
	s_and_saveexec_b64 s[2:3], vcc
	s_cbranch_execnz .LBB60_23
; %bb.17:
	s_or_b64 exec, exec, s[2:3]
	s_and_saveexec_b64 s[2:3], s[0:1]
	s_cbranch_execnz .LBB60_24
.LBB60_18:
	s_endpgm
.LBB60_19:
	ds_read_b32 v13, v12
	s_or_b64 exec, exec, s[6:7]
	v_cmp_gt_u32_e64 s[6:7], 64, v0
	s_and_saveexec_b64 s[10:11], s[6:7]
	s_cbranch_execz .LBB60_8
.LBB60_20:
	s_waitcnt lgkmcnt(0)
	ds_bpermute_b32 v14, v5, v13
	s_waitcnt lgkmcnt(0)
	v_cmp_lt_f32_e64 s[8:9], v13, v14
	v_cndmask_b32_e64 v13, v13, v14, s[8:9]
	ds_bpermute_b32 v14, v6, v13
	s_waitcnt lgkmcnt(0)
	v_cmp_lt_f32_e64 s[8:9], v13, v14
	v_cndmask_b32_e64 v13, v13, v14, s[8:9]
	;; [unrolled: 4-line block ×6, first 2 shown]
	s_or_b64 exec, exec, s[10:11]
	v_cmp_eq_u32_e64 s[8:9], 0, v0
	s_and_saveexec_b64 s[10:11], s[8:9]
	s_cbranch_execnz .LBB60_9
	s_branch .LBB60_10
.LBB60_21:
	ds_read_b32 v13, v12
	s_or_b64 exec, exec, s[2:3]
	s_and_saveexec_b64 s[2:3], s[6:7]
	s_cbranch_execz .LBB60_14
.LBB60_22:
	s_waitcnt lgkmcnt(0)
	ds_bpermute_b32 v3, v5, v13
	s_waitcnt lgkmcnt(0)
	v_add_f32_e32 v3, v13, v3
	ds_bpermute_b32 v5, v6, v3
	s_waitcnt lgkmcnt(0)
	v_add_f32_e32 v3, v3, v5
	;; [unrolled: 3-line block ×6, first 2 shown]
	s_or_b64 exec, exec, s[2:3]
	s_and_saveexec_b64 s[2:3], s[8:9]
	s_cbranch_execnz .LBB60_15
	s_branch .LBB60_16
.LBB60_23:
	v_sub_f32_e32 v0, v0, v3
	global_store_dword v4, v0, s[6:7]
	s_or_b64 exec, exec, s[2:3]
	s_and_saveexec_b64 s[2:3], s[0:1]
	s_cbranch_execz .LBB60_18
.LBB60_24:
	v_sub_f32_e32 v0, v2, v3
	global_store_dword v1, v0, s[6:7]
	s_endpgm
	.section	.rodata,"a",@progbits
	.p2align	6, 0x0
	.amdhsa_kernel _ZN2at6native12_GLOBAL__N_122cunn_SoftMaxForwardRegIfffNS1_25LogSoftMaxForwardEpilogueElLi2EEEvPT1_PKT_T3_
		.amdhsa_group_segment_fixed_size 0
		.amdhsa_private_segment_fixed_size 0
		.amdhsa_kernarg_size 280
		.amdhsa_user_sgpr_count 6
		.amdhsa_user_sgpr_private_segment_buffer 1
		.amdhsa_user_sgpr_dispatch_ptr 0
		.amdhsa_user_sgpr_queue_ptr 0
		.amdhsa_user_sgpr_kernarg_segment_ptr 1
		.amdhsa_user_sgpr_dispatch_id 0
		.amdhsa_user_sgpr_flat_scratch_init 0
		.amdhsa_user_sgpr_kernarg_preload_length 0
		.amdhsa_user_sgpr_kernarg_preload_offset 0
		.amdhsa_user_sgpr_private_segment_size 0
		.amdhsa_uses_dynamic_stack 0
		.amdhsa_system_sgpr_private_segment_wavefront_offset 0
		.amdhsa_system_sgpr_workgroup_id_x 1
		.amdhsa_system_sgpr_workgroup_id_y 0
		.amdhsa_system_sgpr_workgroup_id_z 0
		.amdhsa_system_sgpr_workgroup_info 0
		.amdhsa_system_vgpr_workitem_id 0
		.amdhsa_next_free_vgpr 18
		.amdhsa_next_free_sgpr 19
		.amdhsa_accum_offset 20
		.amdhsa_reserve_vcc 1
		.amdhsa_reserve_flat_scratch 0
		.amdhsa_float_round_mode_32 0
		.amdhsa_float_round_mode_16_64 0
		.amdhsa_float_denorm_mode_32 3
		.amdhsa_float_denorm_mode_16_64 3
		.amdhsa_dx10_clamp 1
		.amdhsa_ieee_mode 1
		.amdhsa_fp16_overflow 0
		.amdhsa_tg_split 0
		.amdhsa_exception_fp_ieee_invalid_op 0
		.amdhsa_exception_fp_denorm_src 0
		.amdhsa_exception_fp_ieee_div_zero 0
		.amdhsa_exception_fp_ieee_overflow 0
		.amdhsa_exception_fp_ieee_underflow 0
		.amdhsa_exception_fp_ieee_inexact 0
		.amdhsa_exception_int_div_zero 0
	.end_amdhsa_kernel
	.section	.text._ZN2at6native12_GLOBAL__N_122cunn_SoftMaxForwardRegIfffNS1_25LogSoftMaxForwardEpilogueElLi2EEEvPT1_PKT_T3_,"axG",@progbits,_ZN2at6native12_GLOBAL__N_122cunn_SoftMaxForwardRegIfffNS1_25LogSoftMaxForwardEpilogueElLi2EEEvPT1_PKT_T3_,comdat
.Lfunc_end60:
	.size	_ZN2at6native12_GLOBAL__N_122cunn_SoftMaxForwardRegIfffNS1_25LogSoftMaxForwardEpilogueElLi2EEEvPT1_PKT_T3_, .Lfunc_end60-_ZN2at6native12_GLOBAL__N_122cunn_SoftMaxForwardRegIfffNS1_25LogSoftMaxForwardEpilogueElLi2EEEvPT1_PKT_T3_
                                        ; -- End function
	.section	.AMDGPU.csdata,"",@progbits
; Kernel info:
; codeLenInByte = 1684
; NumSgprs: 23
; NumVgprs: 18
; NumAgprs: 0
; TotalNumVgprs: 18
; ScratchSize: 0
; MemoryBound: 0
; FloatMode: 240
; IeeeMode: 1
; LDSByteSize: 0 bytes/workgroup (compile time only)
; SGPRBlocks: 2
; VGPRBlocks: 2
; NumSGPRsForWavesPerEU: 23
; NumVGPRsForWavesPerEU: 18
; AccumOffset: 20
; Occupancy: 8
; WaveLimiterHint : 0
; COMPUTE_PGM_RSRC2:SCRATCH_EN: 0
; COMPUTE_PGM_RSRC2:USER_SGPR: 6
; COMPUTE_PGM_RSRC2:TRAP_HANDLER: 0
; COMPUTE_PGM_RSRC2:TGID_X_EN: 1
; COMPUTE_PGM_RSRC2:TGID_Y_EN: 0
; COMPUTE_PGM_RSRC2:TGID_Z_EN: 0
; COMPUTE_PGM_RSRC2:TIDIG_COMP_CNT: 0
; COMPUTE_PGM_RSRC3_GFX90A:ACCUM_OFFSET: 4
; COMPUTE_PGM_RSRC3_GFX90A:TG_SPLIT: 0
	.section	.text._ZN2at6native12_GLOBAL__N_122cunn_SoftMaxForwardRegIfffNS1_25LogSoftMaxForwardEpilogueElLi3EEEvPT1_PKT_T3_,"axG",@progbits,_ZN2at6native12_GLOBAL__N_122cunn_SoftMaxForwardRegIfffNS1_25LogSoftMaxForwardEpilogueElLi3EEEvPT1_PKT_T3_,comdat
	.globl	_ZN2at6native12_GLOBAL__N_122cunn_SoftMaxForwardRegIfffNS1_25LogSoftMaxForwardEpilogueElLi3EEEvPT1_PKT_T3_ ; -- Begin function _ZN2at6native12_GLOBAL__N_122cunn_SoftMaxForwardRegIfffNS1_25LogSoftMaxForwardEpilogueElLi3EEEvPT1_PKT_T3_
	.p2align	8
	.type	_ZN2at6native12_GLOBAL__N_122cunn_SoftMaxForwardRegIfffNS1_25LogSoftMaxForwardEpilogueElLi3EEEvPT1_PKT_T3_,@function
_ZN2at6native12_GLOBAL__N_122cunn_SoftMaxForwardRegIfffNS1_25LogSoftMaxForwardEpilogueElLi3EEEvPT1_PKT_T3_: ; @_ZN2at6native12_GLOBAL__N_122cunn_SoftMaxForwardRegIfffNS1_25LogSoftMaxForwardEpilogueElLi3EEEvPT1_PKT_T3_
; %bb.0:
	s_load_dwordx2 s[2:3], s[4:5], 0x10
	s_load_dwordx4 s[16:19], s[4:5], 0x0
	s_load_dword s7, s[4:5], 0x24
	v_mov_b32_e32 v7, 0
	v_mov_b32_e32 v1, v7
	s_waitcnt lgkmcnt(0)
	s_mul_i32 s0, s6, s3
	s_mul_hi_u32 s1, s6, s2
	s_add_i32 s1, s1, s0
	s_mul_i32 s0, s6, s2
	s_lshl_b64 s[14:15], s[0:1], 2
	s_add_u32 s4, s18, s14
	s_addc_u32 s5, s19, s15
	v_cmp_gt_i64_e32 vcc, s[2:3], v[0:1]
	v_mov_b32_e32 v8, 0xff7fffff
	v_lshlrev_b32_e32 v1, 2, v0
                                        ; implicit-def: $vgpr2_vgpr3_vgpr4
	s_and_saveexec_b64 s[0:1], vcc
	s_cbranch_execz .LBB61_2
; %bb.1:
	global_load_dword v2, v1, s[4:5]
	s_waitcnt vmcnt(0)
	v_max_f32_e32 v3, v2, v2
	v_max_f32_e32 v8, 0xff7fffff, v3
.LBB61_2:
	s_or_b64 exec, exec, s[0:1]
	s_and_b32 s10, 0xffff, s7
	v_add_u32_e32 v6, s10, v0
	v_cmp_gt_i64_e64 s[0:1], s[2:3], v[6:7]
	v_lshlrev_b32_e32 v5, 2, v6
	s_and_saveexec_b64 s[6:7], s[0:1]
	s_cbranch_execz .LBB61_4
; %bb.3:
	global_load_dword v3, v5, s[4:5]
	v_max_f32_e32 v8, v8, v8
	s_waitcnt vmcnt(0)
	v_max_f32_e32 v7, v3, v3
	v_max_f32_e32 v8, v8, v7
.LBB61_4:
	s_or_b64 exec, exec, s[6:7]
	v_add_u32_e32 v6, s10, v6
	v_mov_b32_e32 v7, 0
	v_cmp_gt_i64_e64 s[2:3], s[2:3], v[6:7]
	v_lshlrev_b32_e32 v6, 2, v6
	s_and_saveexec_b64 s[6:7], s[2:3]
	s_cbranch_execz .LBB61_6
; %bb.5:
	global_load_dword v4, v6, s[4:5]
	v_max_f32_e32 v8, v8, v8
	s_waitcnt vmcnt(0)
	v_max_f32_e32 v7, v4, v4
	v_max_f32_e32 v8, v8, v7
.LBB61_6:
	s_or_b64 exec, exec, s[6:7]
	v_mbcnt_lo_u32_b32 v7, -1, 0
	v_mbcnt_hi_u32_b32 v12, -1, v7
	v_and_b32_e32 v13, 63, v12
	v_cmp_gt_u32_e64 s[4:5], 32, v13
	v_cndmask_b32_e64 v7, 0, 1, s[4:5]
	v_lshlrev_b32_e32 v7, 5, v7
	v_add_lshl_u32 v7, v7, v12, 2
	ds_bpermute_b32 v9, v7, v8
	v_cmp_gt_u32_e64 s[4:5], 48, v13
	v_cndmask_b32_e64 v10, 0, 1, s[4:5]
	s_waitcnt lgkmcnt(0)
	s_barrier
	v_cmp_lt_f32_e64 s[4:5], v8, v9
	v_cndmask_b32_e64 v9, v8, v9, s[4:5]
	v_lshlrev_b32_e32 v8, 4, v10
	v_add_lshl_u32 v8, v8, v12, 2
	ds_bpermute_b32 v10, v8, v9
	s_waitcnt lgkmcnt(0)
	v_cmp_lt_f32_e64 s[4:5], v9, v10
	v_cndmask_b32_e64 v10, v9, v10, s[4:5]
	v_cmp_gt_u32_e64 s[4:5], 56, v13
	v_cndmask_b32_e64 v9, 0, 1, s[4:5]
	v_lshlrev_b32_e32 v9, 3, v9
	v_add_lshl_u32 v9, v9, v12, 2
	ds_bpermute_b32 v11, v9, v10
	s_waitcnt lgkmcnt(0)
	v_cmp_lt_f32_e64 s[4:5], v10, v11
	v_cndmask_b32_e64 v11, v10, v11, s[4:5]
	v_cmp_gt_u32_e64 s[4:5], 60, v13
	;; [unrolled: 8-line block ×3, first 2 shown]
	v_cndmask_b32_e64 v11, 0, 1, s[4:5]
	v_lshlrev_b32_e32 v11, 1, v11
	v_add_lshl_u32 v11, v11, v12, 2
	ds_bpermute_b32 v16, v11, v15
	v_and_b32_e32 v14, 63, v0
	s_waitcnt lgkmcnt(0)
	v_cmp_lt_f32_e64 s[4:5], v15, v16
	v_cndmask_b32_e64 v15, v15, v16, s[4:5]
	v_cmp_ne_u32_e64 s[4:5], 63, v13
	v_addc_co_u32_e64 v12, s[4:5], 0, v12, s[4:5]
	v_lshlrev_b32_e32 v12, 2, v12
	ds_bpermute_b32 v16, v12, v15
	v_cmp_eq_u32_e64 s[4:5], 0, v14
	v_lshrrev_b32_e32 v13, 4, v0
	s_and_saveexec_b64 s[6:7], s[4:5]
	s_xor_b64 s[8:9], exec, s[6:7]
	s_cbranch_execz .LBB61_8
; %bb.7:
	s_waitcnt lgkmcnt(0)
	v_cmp_lt_f32_e64 s[6:7], v15, v16
	v_add_u32_e32 v17, 0, v13
	v_cndmask_b32_e64 v15, v15, v16, s[6:7]
	ds_write_b32 v17, v15
.LBB61_8:
	s_or_b64 exec, exec, s[8:9]
	s_lshr_b32 s6, s10, 6
	v_cmp_gt_u32_e64 s[6:7], s6, v0
	v_mov_b32_e32 v15, 0xff7fffff
	v_lshl_add_u32 v14, v14, 2, 0
	s_waitcnt lgkmcnt(0)
	s_barrier
	s_and_saveexec_b64 s[8:9], s[6:7]
	s_cbranch_execnz .LBB61_22
; %bb.9:
	s_or_b64 exec, exec, s[8:9]
	v_cmp_gt_u32_e64 s[8:9], 64, v0
	s_and_saveexec_b64 s[12:13], s[8:9]
	s_cbranch_execnz .LBB61_23
.LBB61_10:
	s_or_b64 exec, exec, s[12:13]
	v_cmp_eq_u32_e64 s[10:11], 0, v0
	s_and_saveexec_b64 s[12:13], s[10:11]
	s_cbranch_execz .LBB61_12
.LBB61_11:
	v_mov_b32_e32 v0, 0
	s_waitcnt lgkmcnt(0)
	ds_write_b32 v0, v15
.LBB61_12:
	s_or_b64 exec, exec, s[12:13]
	s_waitcnt lgkmcnt(0)
	v_mov_b32_e32 v15, 0
	s_barrier
	ds_read_b32 v16, v15
	s_mov_b32 s18, 0x3fb8aa3b
	s_mov_b32 s19, 0xc2ce8ed0
	;; [unrolled: 1-line block ×3, first 2 shown]
	s_waitcnt lgkmcnt(0)
	v_sub_f32_e32 v0, v2, v16
	v_mul_f32_e32 v2, 0x3fb8aa3b, v0
	v_fma_f32 v17, v0, s18, -v2
	v_rndne_f32_e32 v18, v2
	v_fmac_f32_e32 v17, 0x32a5705f, v0
	v_sub_f32_e32 v2, v2, v18
	v_add_f32_e32 v2, v2, v17
	v_cvt_i32_f32_e32 v17, v18
	v_exp_f32_e32 v2, v2
	v_cmp_ngt_f32_e64 s[12:13], s19, v0
	v_mov_b32_e32 v18, 0x7f800000
	s_barrier
	v_ldexp_f32 v2, v2, v17
	v_cndmask_b32_e64 v17, 0, v2, s[12:13]
	v_sub_f32_e32 v2, v3, v16
	v_mul_f32_e32 v3, 0x3fb8aa3b, v2
	v_fma_f32 v19, v2, s18, -v3
	v_rndne_f32_e32 v20, v3
	v_fmac_f32_e32 v19, 0x32a5705f, v2
	v_sub_f32_e32 v3, v3, v20
	v_add_f32_e32 v3, v3, v19
	v_exp_f32_e32 v3, v3
	v_cvt_i32_f32_e32 v19, v20
	v_cmp_nlt_f32_e64 s[12:13], s20, v0
	v_cndmask_b32_e64 v17, v18, v17, s[12:13]
	v_cmp_ngt_f32_e64 s[12:13], s19, v2
	v_ldexp_f32 v3, v3, v19
	v_cndmask_b32_e64 v19, 0, v3, s[12:13]
	v_sub_f32_e32 v3, v4, v16
	v_mul_f32_e32 v4, 0x3fb8aa3b, v3
	v_fma_f32 v16, v3, s18, -v4
	v_rndne_f32_e32 v20, v4
	v_fmac_f32_e32 v16, 0x32a5705f, v3
	v_sub_f32_e32 v4, v4, v20
	v_add_f32_e32 v4, v4, v16
	v_exp_f32_e32 v4, v4
	v_cvt_i32_f32_e32 v16, v20
	v_cmp_nlt_f32_e64 s[12:13], s20, v2
	v_cndmask_b32_e32 v17, 0, v17, vcc
	v_cndmask_b32_e64 v19, v18, v19, s[12:13]
	v_ldexp_f32 v4, v4, v16
	v_cmp_ngt_f32_e64 s[12:13], s19, v3
	v_add_f32_e32 v19, v17, v19
	v_cndmask_b32_e64 v4, 0, v4, s[12:13]
	v_cmp_nlt_f32_e64 s[12:13], s20, v3
	v_cndmask_b32_e64 v17, v17, v19, s[0:1]
	v_cndmask_b32_e64 v4, v18, v4, s[12:13]
	v_add_f32_e32 v4, v17, v4
	v_cndmask_b32_e64 v4, v17, v4, s[2:3]
	ds_bpermute_b32 v16, v7, v4
	s_waitcnt lgkmcnt(0)
	v_add_f32_e32 v4, v4, v16
	ds_bpermute_b32 v16, v8, v4
	s_waitcnt lgkmcnt(0)
	v_add_f32_e32 v4, v4, v16
	;; [unrolled: 3-line block ×5, first 2 shown]
	ds_bpermute_b32 v16, v12, v4
	s_and_saveexec_b64 s[12:13], s[4:5]
	s_cbranch_execz .LBB61_14
; %bb.13:
	v_add_u32_e32 v13, 0, v13
	s_waitcnt lgkmcnt(0)
	v_add_f32_e32 v4, v4, v16
	ds_write_b32 v13, v4
.LBB61_14:
	s_or_b64 exec, exec, s[12:13]
	s_waitcnt lgkmcnt(0)
	s_barrier
	s_and_saveexec_b64 s[4:5], s[6:7]
	s_cbranch_execnz .LBB61_24
; %bb.15:
	s_or_b64 exec, exec, s[4:5]
	s_and_saveexec_b64 s[4:5], s[8:9]
	s_cbranch_execnz .LBB61_25
.LBB61_16:
	s_or_b64 exec, exec, s[4:5]
	s_and_saveexec_b64 s[4:5], s[10:11]
	s_cbranch_execz .LBB61_18
.LBB61_17:
	v_mov_b32_e32 v4, 0
	s_waitcnt lgkmcnt(0)
	ds_write_b32 v4, v15
.LBB61_18:
	s_or_b64 exec, exec, s[4:5]
	v_mov_b32_e32 v4, 0
	s_waitcnt lgkmcnt(0)
	s_barrier
	ds_read_b32 v4, v4
	s_mov_b32 s4, 0x800000
	v_mov_b32_e32 v7, 0x4f800000
	s_mov_b32 s6, 0x3f317217
	s_add_u32 s8, s16, s14
	s_waitcnt lgkmcnt(0)
	v_cmp_gt_f32_e64 s[4:5], s4, v4
	v_cndmask_b32_e64 v7, 1.0, v7, s[4:5]
	v_mul_f32_e32 v4, v4, v7
	v_log_f32_e32 v4, v4
	s_addc_u32 s9, s17, s15
	v_mul_f32_e32 v7, 0x3f317217, v4
	v_fma_f32 v8, v4, s6, -v7
	v_fmac_f32_e32 v8, 0x3377d1cf, v4
	s_mov_b32 s6, 0x7f800000
	v_add_f32_e32 v7, v7, v8
	v_cmp_lt_f32_e64 s[6:7], |v4|, s6
	v_cndmask_b32_e64 v4, v4, v7, s[6:7]
	v_mov_b32_e32 v7, 0x41b17218
	v_cndmask_b32_e64 v7, 0, v7, s[4:5]
	v_sub_f32_e32 v4, v4, v7
	s_and_saveexec_b64 s[4:5], vcc
	s_cbranch_execnz .LBB61_26
; %bb.19:
	s_or_b64 exec, exec, s[4:5]
	s_and_saveexec_b64 s[4:5], s[0:1]
	s_cbranch_execnz .LBB61_27
.LBB61_20:
	s_or_b64 exec, exec, s[4:5]
	s_and_saveexec_b64 s[0:1], s[2:3]
	s_cbranch_execnz .LBB61_28
.LBB61_21:
	s_endpgm
.LBB61_22:
	ds_read_b32 v15, v14
	s_or_b64 exec, exec, s[8:9]
	v_cmp_gt_u32_e64 s[8:9], 64, v0
	s_and_saveexec_b64 s[12:13], s[8:9]
	s_cbranch_execz .LBB61_10
.LBB61_23:
	s_waitcnt lgkmcnt(0)
	ds_bpermute_b32 v16, v7, v15
	s_waitcnt lgkmcnt(0)
	v_cmp_lt_f32_e64 s[10:11], v15, v16
	v_cndmask_b32_e64 v15, v15, v16, s[10:11]
	ds_bpermute_b32 v16, v8, v15
	s_waitcnt lgkmcnt(0)
	v_cmp_lt_f32_e64 s[10:11], v15, v16
	v_cndmask_b32_e64 v15, v15, v16, s[10:11]
	;; [unrolled: 4-line block ×6, first 2 shown]
	s_or_b64 exec, exec, s[12:13]
	v_cmp_eq_u32_e64 s[10:11], 0, v0
	s_and_saveexec_b64 s[12:13], s[10:11]
	s_cbranch_execnz .LBB61_11
	s_branch .LBB61_12
.LBB61_24:
	ds_read_b32 v15, v14
	s_or_b64 exec, exec, s[4:5]
	s_and_saveexec_b64 s[4:5], s[8:9]
	s_cbranch_execz .LBB61_16
.LBB61_25:
	s_waitcnt lgkmcnt(0)
	ds_bpermute_b32 v4, v7, v15
	s_waitcnt lgkmcnt(0)
	v_add_f32_e32 v4, v15, v4
	ds_bpermute_b32 v7, v8, v4
	s_waitcnt lgkmcnt(0)
	v_add_f32_e32 v4, v4, v7
	;; [unrolled: 3-line block ×6, first 2 shown]
	s_or_b64 exec, exec, s[4:5]
	s_and_saveexec_b64 s[4:5], s[10:11]
	s_cbranch_execnz .LBB61_17
	s_branch .LBB61_18
.LBB61_26:
	v_sub_f32_e32 v0, v0, v4
	global_store_dword v1, v0, s[8:9]
	s_or_b64 exec, exec, s[4:5]
	s_and_saveexec_b64 s[4:5], s[0:1]
	s_cbranch_execz .LBB61_20
.LBB61_27:
	v_sub_f32_e32 v0, v2, v4
	global_store_dword v5, v0, s[8:9]
	s_or_b64 exec, exec, s[4:5]
	s_and_saveexec_b64 s[0:1], s[2:3]
	s_cbranch_execz .LBB61_21
.LBB61_28:
	v_sub_f32_e32 v0, v3, v4
	global_store_dword v6, v0, s[8:9]
	s_endpgm
	.section	.rodata,"a",@progbits
	.p2align	6, 0x0
	.amdhsa_kernel _ZN2at6native12_GLOBAL__N_122cunn_SoftMaxForwardRegIfffNS1_25LogSoftMaxForwardEpilogueElLi3EEEvPT1_PKT_T3_
		.amdhsa_group_segment_fixed_size 0
		.amdhsa_private_segment_fixed_size 0
		.amdhsa_kernarg_size 280
		.amdhsa_user_sgpr_count 6
		.amdhsa_user_sgpr_private_segment_buffer 1
		.amdhsa_user_sgpr_dispatch_ptr 0
		.amdhsa_user_sgpr_queue_ptr 0
		.amdhsa_user_sgpr_kernarg_segment_ptr 1
		.amdhsa_user_sgpr_dispatch_id 0
		.amdhsa_user_sgpr_flat_scratch_init 0
		.amdhsa_user_sgpr_kernarg_preload_length 0
		.amdhsa_user_sgpr_kernarg_preload_offset 0
		.amdhsa_user_sgpr_private_segment_size 0
		.amdhsa_uses_dynamic_stack 0
		.amdhsa_system_sgpr_private_segment_wavefront_offset 0
		.amdhsa_system_sgpr_workgroup_id_x 1
		.amdhsa_system_sgpr_workgroup_id_y 0
		.amdhsa_system_sgpr_workgroup_id_z 0
		.amdhsa_system_sgpr_workgroup_info 0
		.amdhsa_system_vgpr_workitem_id 0
		.amdhsa_next_free_vgpr 21
		.amdhsa_next_free_sgpr 21
		.amdhsa_accum_offset 24
		.amdhsa_reserve_vcc 1
		.amdhsa_reserve_flat_scratch 0
		.amdhsa_float_round_mode_32 0
		.amdhsa_float_round_mode_16_64 0
		.amdhsa_float_denorm_mode_32 3
		.amdhsa_float_denorm_mode_16_64 3
		.amdhsa_dx10_clamp 1
		.amdhsa_ieee_mode 1
		.amdhsa_fp16_overflow 0
		.amdhsa_tg_split 0
		.amdhsa_exception_fp_ieee_invalid_op 0
		.amdhsa_exception_fp_denorm_src 0
		.amdhsa_exception_fp_ieee_div_zero 0
		.amdhsa_exception_fp_ieee_overflow 0
		.amdhsa_exception_fp_ieee_underflow 0
		.amdhsa_exception_fp_ieee_inexact 0
		.amdhsa_exception_int_div_zero 0
	.end_amdhsa_kernel
	.section	.text._ZN2at6native12_GLOBAL__N_122cunn_SoftMaxForwardRegIfffNS1_25LogSoftMaxForwardEpilogueElLi3EEEvPT1_PKT_T3_,"axG",@progbits,_ZN2at6native12_GLOBAL__N_122cunn_SoftMaxForwardRegIfffNS1_25LogSoftMaxForwardEpilogueElLi3EEEvPT1_PKT_T3_,comdat
.Lfunc_end61:
	.size	_ZN2at6native12_GLOBAL__N_122cunn_SoftMaxForwardRegIfffNS1_25LogSoftMaxForwardEpilogueElLi3EEEvPT1_PKT_T3_, .Lfunc_end61-_ZN2at6native12_GLOBAL__N_122cunn_SoftMaxForwardRegIfffNS1_25LogSoftMaxForwardEpilogueElLi3EEEvPT1_PKT_T3_
                                        ; -- End function
	.section	.AMDGPU.csdata,"",@progbits
; Kernel info:
; codeLenInByte = 1876
; NumSgprs: 25
; NumVgprs: 21
; NumAgprs: 0
; TotalNumVgprs: 21
; ScratchSize: 0
; MemoryBound: 0
; FloatMode: 240
; IeeeMode: 1
; LDSByteSize: 0 bytes/workgroup (compile time only)
; SGPRBlocks: 3
; VGPRBlocks: 2
; NumSGPRsForWavesPerEU: 25
; NumVGPRsForWavesPerEU: 21
; AccumOffset: 24
; Occupancy: 8
; WaveLimiterHint : 0
; COMPUTE_PGM_RSRC2:SCRATCH_EN: 0
; COMPUTE_PGM_RSRC2:USER_SGPR: 6
; COMPUTE_PGM_RSRC2:TRAP_HANDLER: 0
; COMPUTE_PGM_RSRC2:TGID_X_EN: 1
; COMPUTE_PGM_RSRC2:TGID_Y_EN: 0
; COMPUTE_PGM_RSRC2:TGID_Z_EN: 0
; COMPUTE_PGM_RSRC2:TIDIG_COMP_CNT: 0
; COMPUTE_PGM_RSRC3_GFX90A:ACCUM_OFFSET: 5
; COMPUTE_PGM_RSRC3_GFX90A:TG_SPLIT: 0
	.section	.text._ZN2at6native12_GLOBAL__N_122cunn_SoftMaxForwardRegIfffNS1_25LogSoftMaxForwardEpilogueElLi4EEEvPT1_PKT_T3_,"axG",@progbits,_ZN2at6native12_GLOBAL__N_122cunn_SoftMaxForwardRegIfffNS1_25LogSoftMaxForwardEpilogueElLi4EEEvPT1_PKT_T3_,comdat
	.globl	_ZN2at6native12_GLOBAL__N_122cunn_SoftMaxForwardRegIfffNS1_25LogSoftMaxForwardEpilogueElLi4EEEvPT1_PKT_T3_ ; -- Begin function _ZN2at6native12_GLOBAL__N_122cunn_SoftMaxForwardRegIfffNS1_25LogSoftMaxForwardEpilogueElLi4EEEvPT1_PKT_T3_
	.p2align	8
	.type	_ZN2at6native12_GLOBAL__N_122cunn_SoftMaxForwardRegIfffNS1_25LogSoftMaxForwardEpilogueElLi4EEEvPT1_PKT_T3_,@function
_ZN2at6native12_GLOBAL__N_122cunn_SoftMaxForwardRegIfffNS1_25LogSoftMaxForwardEpilogueElLi4EEEvPT1_PKT_T3_: ; @_ZN2at6native12_GLOBAL__N_122cunn_SoftMaxForwardRegIfffNS1_25LogSoftMaxForwardEpilogueElLi4EEEvPT1_PKT_T3_
; %bb.0:
	s_load_dwordx2 s[8:9], s[4:5], 0x10
	s_load_dwordx4 s[16:19], s[4:5], 0x0
	s_load_dword s2, s[4:5], 0x24
	v_mov_b32_e32 v7, 0
	v_mov_b32_e32 v1, v7
	s_waitcnt lgkmcnt(0)
	s_mul_i32 s0, s6, s9
	s_mul_hi_u32 s1, s6, s8
	s_add_i32 s1, s1, s0
	s_mul_i32 s0, s6, s8
	s_lshl_b64 s[20:21], s[0:1], 2
	s_add_u32 s6, s18, s20
	s_addc_u32 s7, s19, s21
	v_cmp_gt_i64_e32 vcc, s[8:9], v[0:1]
	v_mov_b32_e32 v10, 0xff7fffff
	v_lshlrev_b32_e32 v1, 2, v0
                                        ; implicit-def: $vgpr2_vgpr3_vgpr4_vgpr5
	s_and_saveexec_b64 s[0:1], vcc
	s_cbranch_execz .LBB62_2
; %bb.1:
	global_load_dword v2, v1, s[6:7]
	s_waitcnt vmcnt(0)
	v_max_f32_e32 v3, v2, v2
	v_max_f32_e32 v10, 0xff7fffff, v3
.LBB62_2:
	s_or_b64 exec, exec, s[0:1]
	s_and_b32 s12, 0xffff, s2
	v_add_u32_e32 v6, s12, v0
	v_cmp_gt_i64_e64 s[0:1], s[8:9], v[6:7]
	v_lshlrev_b32_e32 v8, 2, v6
	s_and_saveexec_b64 s[2:3], s[0:1]
	s_cbranch_execz .LBB62_4
; %bb.3:
	global_load_dword v3, v8, s[6:7]
	v_max_f32_e32 v9, v10, v10
	s_waitcnt vmcnt(0)
	v_max_f32_e32 v7, v3, v3
	v_max_f32_e32 v10, v9, v7
.LBB62_4:
	s_or_b64 exec, exec, s[2:3]
	v_add_u32_e32 v6, s12, v6
	v_mov_b32_e32 v7, 0
	v_cmp_gt_i64_e64 s[2:3], s[8:9], v[6:7]
	v_lshlrev_b32_e32 v9, 2, v6
	s_and_saveexec_b64 s[4:5], s[2:3]
	s_cbranch_execz .LBB62_6
; %bb.5:
	global_load_dword v4, v9, s[6:7]
	v_max_f32_e32 v10, v10, v10
	s_waitcnt vmcnt(0)
	v_max_f32_e32 v11, v4, v4
	v_max_f32_e32 v10, v10, v11
.LBB62_6:
	s_or_b64 exec, exec, s[4:5]
	v_add_u32_e32 v6, s12, v6
	v_cmp_gt_i64_e64 s[4:5], s[8:9], v[6:7]
	v_lshlrev_b32_e32 v6, 2, v6
	s_and_saveexec_b64 s[8:9], s[4:5]
	s_cbranch_execz .LBB62_8
; %bb.7:
	global_load_dword v5, v6, s[6:7]
	v_max_f32_e32 v10, v10, v10
	s_waitcnt vmcnt(0)
	v_max_f32_e32 v7, v5, v5
	v_max_f32_e32 v10, v10, v7
.LBB62_8:
	s_or_b64 exec, exec, s[8:9]
	v_mbcnt_lo_u32_b32 v7, -1, 0
	v_mbcnt_hi_u32_b32 v14, -1, v7
	v_and_b32_e32 v15, 63, v14
	v_cmp_gt_u32_e64 s[6:7], 32, v15
	v_cndmask_b32_e64 v7, 0, 1, s[6:7]
	v_lshlrev_b32_e32 v7, 5, v7
	v_add_lshl_u32 v7, v7, v14, 2
	ds_bpermute_b32 v11, v7, v10
	v_cmp_gt_u32_e64 s[6:7], 48, v15
	v_cndmask_b32_e64 v12, 0, 1, s[6:7]
	s_waitcnt lgkmcnt(0)
	s_barrier
	v_cmp_lt_f32_e64 s[6:7], v10, v11
	v_cndmask_b32_e64 v11, v10, v11, s[6:7]
	v_lshlrev_b32_e32 v10, 4, v12
	v_add_lshl_u32 v10, v10, v14, 2
	ds_bpermute_b32 v12, v10, v11
	s_waitcnt lgkmcnt(0)
	v_cmp_lt_f32_e64 s[6:7], v11, v12
	v_cndmask_b32_e64 v12, v11, v12, s[6:7]
	v_cmp_gt_u32_e64 s[6:7], 56, v15
	v_cndmask_b32_e64 v11, 0, 1, s[6:7]
	v_lshlrev_b32_e32 v11, 3, v11
	v_add_lshl_u32 v11, v11, v14, 2
	ds_bpermute_b32 v13, v11, v12
	s_waitcnt lgkmcnt(0)
	v_cmp_lt_f32_e64 s[6:7], v12, v13
	v_cndmask_b32_e64 v13, v12, v13, s[6:7]
	v_cmp_gt_u32_e64 s[6:7], 60, v15
	;; [unrolled: 8-line block ×3, first 2 shown]
	v_cndmask_b32_e64 v13, 0, 1, s[6:7]
	v_lshlrev_b32_e32 v13, 1, v13
	v_add_lshl_u32 v13, v13, v14, 2
	ds_bpermute_b32 v18, v13, v17
	v_and_b32_e32 v16, 63, v0
	s_waitcnt lgkmcnt(0)
	v_cmp_lt_f32_e64 s[6:7], v17, v18
	v_cndmask_b32_e64 v17, v17, v18, s[6:7]
	v_cmp_ne_u32_e64 s[6:7], 63, v15
	v_addc_co_u32_e64 v14, s[6:7], 0, v14, s[6:7]
	v_lshlrev_b32_e32 v14, 2, v14
	ds_bpermute_b32 v18, v14, v17
	v_cmp_eq_u32_e64 s[6:7], 0, v16
	v_lshrrev_b32_e32 v15, 4, v0
	s_and_saveexec_b64 s[8:9], s[6:7]
	s_xor_b64 s[10:11], exec, s[8:9]
	s_cbranch_execz .LBB62_10
; %bb.9:
	s_waitcnt lgkmcnt(0)
	v_cmp_lt_f32_e64 s[8:9], v17, v18
	v_add_u32_e32 v19, 0, v15
	v_cndmask_b32_e64 v17, v17, v18, s[8:9]
	ds_write_b32 v19, v17
.LBB62_10:
	s_or_b64 exec, exec, s[10:11]
	s_lshr_b32 s8, s12, 6
	v_cmp_gt_u32_e64 s[8:9], s8, v0
	v_mov_b32_e32 v17, 0xff7fffff
	v_lshl_add_u32 v16, v16, 2, 0
	s_waitcnt lgkmcnt(0)
	s_barrier
	s_and_saveexec_b64 s[10:11], s[8:9]
	s_cbranch_execnz .LBB62_25
; %bb.11:
	s_or_b64 exec, exec, s[10:11]
	v_cmp_gt_u32_e64 s[10:11], 64, v0
	s_and_saveexec_b64 s[14:15], s[10:11]
	s_cbranch_execnz .LBB62_26
.LBB62_12:
	s_or_b64 exec, exec, s[14:15]
	v_cmp_eq_u32_e64 s[12:13], 0, v0
	s_and_saveexec_b64 s[14:15], s[12:13]
	s_cbranch_execz .LBB62_14
.LBB62_13:
	v_mov_b32_e32 v0, 0
	s_waitcnt lgkmcnt(0)
	ds_write_b32 v0, v17
.LBB62_14:
	s_or_b64 exec, exec, s[14:15]
	s_waitcnt lgkmcnt(0)
	v_mov_b32_e32 v17, 0
	s_barrier
	ds_read_b32 v18, v17
	s_mov_b32 s18, 0x3fb8aa3b
	s_mov_b32 s19, 0xc2ce8ed0
	s_mov_b32 s22, 0x42b17218
	s_waitcnt lgkmcnt(0)
	v_sub_f32_e32 v0, v2, v18
	v_mul_f32_e32 v2, 0x3fb8aa3b, v0
	v_fma_f32 v19, v0, s18, -v2
	v_rndne_f32_e32 v20, v2
	v_fmac_f32_e32 v19, 0x32a5705f, v0
	v_sub_f32_e32 v2, v2, v20
	v_add_f32_e32 v2, v2, v19
	v_cvt_i32_f32_e32 v19, v20
	v_exp_f32_e32 v2, v2
	v_cmp_ngt_f32_e64 s[14:15], s19, v0
	v_mov_b32_e32 v20, 0x7f800000
	s_barrier
	v_ldexp_f32 v2, v2, v19
	v_cndmask_b32_e64 v19, 0, v2, s[14:15]
	v_sub_f32_e32 v2, v3, v18
	v_mul_f32_e32 v3, 0x3fb8aa3b, v2
	v_fma_f32 v21, v2, s18, -v3
	v_rndne_f32_e32 v22, v3
	v_fmac_f32_e32 v21, 0x32a5705f, v2
	v_sub_f32_e32 v3, v3, v22
	v_add_f32_e32 v3, v3, v21
	v_exp_f32_e32 v3, v3
	v_cvt_i32_f32_e32 v21, v22
	v_cmp_nlt_f32_e64 s[14:15], s22, v0
	v_cndmask_b32_e64 v19, v20, v19, s[14:15]
	v_cmp_ngt_f32_e64 s[14:15], s19, v2
	v_ldexp_f32 v3, v3, v21
	v_cndmask_b32_e64 v21, 0, v3, s[14:15]
	v_sub_f32_e32 v3, v4, v18
	v_mul_f32_e32 v4, 0x3fb8aa3b, v3
	v_fma_f32 v22, v3, s18, -v4
	v_rndne_f32_e32 v23, v4
	v_fmac_f32_e32 v22, 0x32a5705f, v3
	v_sub_f32_e32 v4, v4, v23
	v_add_f32_e32 v4, v4, v22
	v_exp_f32_e32 v4, v4
	v_cvt_i32_f32_e32 v22, v23
	v_cmp_nlt_f32_e64 s[14:15], s22, v2
	v_cndmask_b32_e32 v19, 0, v19, vcc
	v_cndmask_b32_e64 v21, v20, v21, s[14:15]
	v_add_f32_e32 v21, v19, v21
	v_ldexp_f32 v4, v4, v22
	v_cmp_ngt_f32_e64 s[14:15], s19, v3
	v_cndmask_b32_e64 v19, v19, v21, s[0:1]
	v_cndmask_b32_e64 v21, 0, v4, s[14:15]
	v_sub_f32_e32 v4, v5, v18
	v_mul_f32_e32 v5, 0x3fb8aa3b, v4
	v_fma_f32 v18, v4, s18, -v5
	v_rndne_f32_e32 v22, v5
	v_fmac_f32_e32 v18, 0x32a5705f, v4
	v_sub_f32_e32 v5, v5, v22
	v_add_f32_e32 v5, v5, v18
	v_exp_f32_e32 v5, v5
	v_cvt_i32_f32_e32 v18, v22
	v_cmp_nlt_f32_e64 s[14:15], s22, v3
	v_cndmask_b32_e64 v21, v20, v21, s[14:15]
	v_cmp_ngt_f32_e64 s[14:15], s19, v4
	v_ldexp_f32 v5, v5, v18
	v_add_f32_e32 v21, v19, v21
	v_cndmask_b32_e64 v5, 0, v5, s[14:15]
	v_cmp_nlt_f32_e64 s[14:15], s22, v4
	v_cndmask_b32_e64 v19, v19, v21, s[2:3]
	v_cndmask_b32_e64 v5, v20, v5, s[14:15]
	v_add_f32_e32 v5, v19, v5
	v_cndmask_b32_e64 v5, v19, v5, s[4:5]
	ds_bpermute_b32 v18, v7, v5
	s_waitcnt lgkmcnt(0)
	v_add_f32_e32 v5, v5, v18
	ds_bpermute_b32 v18, v10, v5
	s_waitcnt lgkmcnt(0)
	v_add_f32_e32 v5, v5, v18
	;; [unrolled: 3-line block ×5, first 2 shown]
	ds_bpermute_b32 v18, v14, v5
	s_and_saveexec_b64 s[14:15], s[6:7]
	s_cbranch_execz .LBB62_16
; %bb.15:
	v_add_u32_e32 v15, 0, v15
	s_waitcnt lgkmcnt(0)
	v_add_f32_e32 v5, v5, v18
	ds_write_b32 v15, v5
.LBB62_16:
	s_or_b64 exec, exec, s[14:15]
	s_waitcnt lgkmcnt(0)
	s_barrier
	s_and_saveexec_b64 s[6:7], s[8:9]
	s_cbranch_execnz .LBB62_27
; %bb.17:
	s_or_b64 exec, exec, s[6:7]
	s_and_saveexec_b64 s[6:7], s[10:11]
	s_cbranch_execnz .LBB62_28
.LBB62_18:
	s_or_b64 exec, exec, s[6:7]
	s_and_saveexec_b64 s[6:7], s[12:13]
	s_cbranch_execz .LBB62_20
.LBB62_19:
	v_mov_b32_e32 v5, 0
	s_waitcnt lgkmcnt(0)
	ds_write_b32 v5, v17
.LBB62_20:
	s_or_b64 exec, exec, s[6:7]
	v_mov_b32_e32 v5, 0
	s_waitcnt lgkmcnt(0)
	s_barrier
	ds_read_b32 v5, v5
	s_mov_b32 s6, 0x800000
	v_mov_b32_e32 v7, 0x4f800000
	s_mov_b32 s8, 0x3f317217
	s_add_u32 s10, s16, s20
	s_waitcnt lgkmcnt(0)
	v_cmp_gt_f32_e64 s[6:7], s6, v5
	v_cndmask_b32_e64 v7, 1.0, v7, s[6:7]
	v_mul_f32_e32 v5, v5, v7
	v_log_f32_e32 v5, v5
	s_addc_u32 s11, s17, s21
	v_mul_f32_e32 v7, 0x3f317217, v5
	v_fma_f32 v10, v5, s8, -v7
	v_fmac_f32_e32 v10, 0x3377d1cf, v5
	s_mov_b32 s8, 0x7f800000
	v_add_f32_e32 v7, v7, v10
	v_cmp_lt_f32_e64 s[8:9], |v5|, s8
	v_cndmask_b32_e64 v5, v5, v7, s[8:9]
	v_mov_b32_e32 v7, 0x41b17218
	v_cndmask_b32_e64 v7, 0, v7, s[6:7]
	v_sub_f32_e32 v5, v5, v7
	s_and_saveexec_b64 s[6:7], vcc
	s_cbranch_execnz .LBB62_29
; %bb.21:
	s_or_b64 exec, exec, s[6:7]
	s_and_saveexec_b64 s[6:7], s[0:1]
	s_cbranch_execnz .LBB62_30
.LBB62_22:
	s_or_b64 exec, exec, s[6:7]
	s_and_saveexec_b64 s[0:1], s[2:3]
	s_cbranch_execnz .LBB62_31
.LBB62_23:
	s_or_b64 exec, exec, s[0:1]
	s_and_saveexec_b64 s[0:1], s[4:5]
	s_cbranch_execnz .LBB62_32
.LBB62_24:
	s_endpgm
.LBB62_25:
	ds_read_b32 v17, v16
	s_or_b64 exec, exec, s[10:11]
	v_cmp_gt_u32_e64 s[10:11], 64, v0
	s_and_saveexec_b64 s[14:15], s[10:11]
	s_cbranch_execz .LBB62_12
.LBB62_26:
	s_waitcnt lgkmcnt(0)
	ds_bpermute_b32 v18, v7, v17
	s_waitcnt lgkmcnt(0)
	v_cmp_lt_f32_e64 s[12:13], v17, v18
	v_cndmask_b32_e64 v17, v17, v18, s[12:13]
	ds_bpermute_b32 v18, v10, v17
	s_waitcnt lgkmcnt(0)
	v_cmp_lt_f32_e64 s[12:13], v17, v18
	v_cndmask_b32_e64 v17, v17, v18, s[12:13]
	;; [unrolled: 4-line block ×6, first 2 shown]
	s_or_b64 exec, exec, s[14:15]
	v_cmp_eq_u32_e64 s[12:13], 0, v0
	s_and_saveexec_b64 s[14:15], s[12:13]
	s_cbranch_execnz .LBB62_13
	s_branch .LBB62_14
.LBB62_27:
	ds_read_b32 v17, v16
	s_or_b64 exec, exec, s[6:7]
	s_and_saveexec_b64 s[6:7], s[10:11]
	s_cbranch_execz .LBB62_18
.LBB62_28:
	s_waitcnt lgkmcnt(0)
	ds_bpermute_b32 v5, v7, v17
	s_waitcnt lgkmcnt(0)
	v_add_f32_e32 v5, v17, v5
	ds_bpermute_b32 v7, v10, v5
	s_waitcnt lgkmcnt(0)
	v_add_f32_e32 v5, v5, v7
	;; [unrolled: 3-line block ×6, first 2 shown]
	s_or_b64 exec, exec, s[6:7]
	s_and_saveexec_b64 s[6:7], s[12:13]
	s_cbranch_execnz .LBB62_19
	s_branch .LBB62_20
.LBB62_29:
	v_sub_f32_e32 v0, v0, v5
	global_store_dword v1, v0, s[10:11]
	s_or_b64 exec, exec, s[6:7]
	s_and_saveexec_b64 s[6:7], s[0:1]
	s_cbranch_execz .LBB62_22
.LBB62_30:
	v_sub_f32_e32 v0, v2, v5
	global_store_dword v8, v0, s[10:11]
	s_or_b64 exec, exec, s[6:7]
	s_and_saveexec_b64 s[0:1], s[2:3]
	s_cbranch_execz .LBB62_23
.LBB62_31:
	v_sub_f32_e32 v0, v3, v5
	global_store_dword v9, v0, s[10:11]
	s_or_b64 exec, exec, s[0:1]
	s_and_saveexec_b64 s[0:1], s[4:5]
	s_cbranch_execz .LBB62_24
.LBB62_32:
	v_sub_f32_e32 v0, v4, v5
	global_store_dword v6, v0, s[10:11]
	s_endpgm
	.section	.rodata,"a",@progbits
	.p2align	6, 0x0
	.amdhsa_kernel _ZN2at6native12_GLOBAL__N_122cunn_SoftMaxForwardRegIfffNS1_25LogSoftMaxForwardEpilogueElLi4EEEvPT1_PKT_T3_
		.amdhsa_group_segment_fixed_size 0
		.amdhsa_private_segment_fixed_size 0
		.amdhsa_kernarg_size 280
		.amdhsa_user_sgpr_count 6
		.amdhsa_user_sgpr_private_segment_buffer 1
		.amdhsa_user_sgpr_dispatch_ptr 0
		.amdhsa_user_sgpr_queue_ptr 0
		.amdhsa_user_sgpr_kernarg_segment_ptr 1
		.amdhsa_user_sgpr_dispatch_id 0
		.amdhsa_user_sgpr_flat_scratch_init 0
		.amdhsa_user_sgpr_kernarg_preload_length 0
		.amdhsa_user_sgpr_kernarg_preload_offset 0
		.amdhsa_user_sgpr_private_segment_size 0
		.amdhsa_uses_dynamic_stack 0
		.amdhsa_system_sgpr_private_segment_wavefront_offset 0
		.amdhsa_system_sgpr_workgroup_id_x 1
		.amdhsa_system_sgpr_workgroup_id_y 0
		.amdhsa_system_sgpr_workgroup_id_z 0
		.amdhsa_system_sgpr_workgroup_info 0
		.amdhsa_system_vgpr_workitem_id 0
		.amdhsa_next_free_vgpr 24
		.amdhsa_next_free_sgpr 23
		.amdhsa_accum_offset 24
		.amdhsa_reserve_vcc 1
		.amdhsa_reserve_flat_scratch 0
		.amdhsa_float_round_mode_32 0
		.amdhsa_float_round_mode_16_64 0
		.amdhsa_float_denorm_mode_32 3
		.amdhsa_float_denorm_mode_16_64 3
		.amdhsa_dx10_clamp 1
		.amdhsa_ieee_mode 1
		.amdhsa_fp16_overflow 0
		.amdhsa_tg_split 0
		.amdhsa_exception_fp_ieee_invalid_op 0
		.amdhsa_exception_fp_denorm_src 0
		.amdhsa_exception_fp_ieee_div_zero 0
		.amdhsa_exception_fp_ieee_overflow 0
		.amdhsa_exception_fp_ieee_underflow 0
		.amdhsa_exception_fp_ieee_inexact 0
		.amdhsa_exception_int_div_zero 0
	.end_amdhsa_kernel
	.section	.text._ZN2at6native12_GLOBAL__N_122cunn_SoftMaxForwardRegIfffNS1_25LogSoftMaxForwardEpilogueElLi4EEEvPT1_PKT_T3_,"axG",@progbits,_ZN2at6native12_GLOBAL__N_122cunn_SoftMaxForwardRegIfffNS1_25LogSoftMaxForwardEpilogueElLi4EEEvPT1_PKT_T3_,comdat
.Lfunc_end62:
	.size	_ZN2at6native12_GLOBAL__N_122cunn_SoftMaxForwardRegIfffNS1_25LogSoftMaxForwardEpilogueElLi4EEEvPT1_PKT_T3_, .Lfunc_end62-_ZN2at6native12_GLOBAL__N_122cunn_SoftMaxForwardRegIfffNS1_25LogSoftMaxForwardEpilogueElLi4EEEvPT1_PKT_T3_
                                        ; -- End function
	.section	.AMDGPU.csdata,"",@progbits
; Kernel info:
; codeLenInByte = 2064
; NumSgprs: 27
; NumVgprs: 24
; NumAgprs: 0
; TotalNumVgprs: 24
; ScratchSize: 0
; MemoryBound: 0
; FloatMode: 240
; IeeeMode: 1
; LDSByteSize: 0 bytes/workgroup (compile time only)
; SGPRBlocks: 3
; VGPRBlocks: 2
; NumSGPRsForWavesPerEU: 27
; NumVGPRsForWavesPerEU: 24
; AccumOffset: 24
; Occupancy: 8
; WaveLimiterHint : 0
; COMPUTE_PGM_RSRC2:SCRATCH_EN: 0
; COMPUTE_PGM_RSRC2:USER_SGPR: 6
; COMPUTE_PGM_RSRC2:TRAP_HANDLER: 0
; COMPUTE_PGM_RSRC2:TGID_X_EN: 1
; COMPUTE_PGM_RSRC2:TGID_Y_EN: 0
; COMPUTE_PGM_RSRC2:TGID_Z_EN: 0
; COMPUTE_PGM_RSRC2:TIDIG_COMP_CNT: 0
; COMPUTE_PGM_RSRC3_GFX90A:ACCUM_OFFSET: 5
; COMPUTE_PGM_RSRC3_GFX90A:TG_SPLIT: 0
	.section	.text._ZN2at6native12_GLOBAL__N_122cunn_SoftMaxForwardRegIfffNS1_25LogSoftMaxForwardEpilogueElLi5EEEvPT1_PKT_T3_,"axG",@progbits,_ZN2at6native12_GLOBAL__N_122cunn_SoftMaxForwardRegIfffNS1_25LogSoftMaxForwardEpilogueElLi5EEEvPT1_PKT_T3_,comdat
	.globl	_ZN2at6native12_GLOBAL__N_122cunn_SoftMaxForwardRegIfffNS1_25LogSoftMaxForwardEpilogueElLi5EEEvPT1_PKT_T3_ ; -- Begin function _ZN2at6native12_GLOBAL__N_122cunn_SoftMaxForwardRegIfffNS1_25LogSoftMaxForwardEpilogueElLi5EEEvPT1_PKT_T3_
	.p2align	8
	.type	_ZN2at6native12_GLOBAL__N_122cunn_SoftMaxForwardRegIfffNS1_25LogSoftMaxForwardEpilogueElLi5EEEvPT1_PKT_T3_,@function
_ZN2at6native12_GLOBAL__N_122cunn_SoftMaxForwardRegIfffNS1_25LogSoftMaxForwardEpilogueElLi5EEEvPT1_PKT_T3_: ; @_ZN2at6native12_GLOBAL__N_122cunn_SoftMaxForwardRegIfffNS1_25LogSoftMaxForwardEpilogueElLi5EEEvPT1_PKT_T3_
; %bb.0:
	s_load_dwordx2 s[8:9], s[4:5], 0x10
	s_load_dwordx4 s[20:23], s[4:5], 0x0
	s_load_dword s2, s[4:5], 0x24
	v_mov_b32_e32 v9, 0
	v_mov_b32_e32 v1, v9
	s_waitcnt lgkmcnt(0)
	s_mul_i32 s0, s6, s9
	s_mul_hi_u32 s1, s6, s8
	s_add_i32 s1, s1, s0
	s_mul_i32 s0, s6, s8
	s_lshl_b64 s[18:19], s[0:1], 2
	s_add_u32 s10, s22, s18
	s_addc_u32 s11, s23, s19
	v_cmp_gt_i64_e32 vcc, s[8:9], v[0:1]
	v_mov_b32_e32 v12, 0xff7fffff
	v_lshlrev_b32_e32 v1, 2, v0
                                        ; implicit-def: $vgpr2_vgpr3_vgpr4_vgpr5_vgpr6
	s_and_saveexec_b64 s[0:1], vcc
	s_cbranch_execz .LBB63_2
; %bb.1:
	global_load_dword v2, v1, s[10:11]
	s_waitcnt vmcnt(0)
	v_max_f32_e32 v3, v2, v2
	v_max_f32_e32 v12, 0xff7fffff, v3
.LBB63_2:
	s_or_b64 exec, exec, s[0:1]
	s_and_b32 s14, 0xffff, s2
	v_add_u32_e32 v8, s14, v0
	v_cmp_gt_i64_e64 s[0:1], s[8:9], v[8:9]
	v_lshlrev_b32_e32 v7, 2, v8
	s_and_saveexec_b64 s[2:3], s[0:1]
	s_cbranch_execz .LBB63_4
; %bb.3:
	global_load_dword v3, v7, s[10:11]
	v_max_f32_e32 v10, v12, v12
	s_waitcnt vmcnt(0)
	v_max_f32_e32 v9, v3, v3
	v_max_f32_e32 v12, v10, v9
.LBB63_4:
	s_or_b64 exec, exec, s[2:3]
	v_add_u32_e32 v8, s14, v8
	v_mov_b32_e32 v9, 0
	v_cmp_gt_i64_e64 s[2:3], s[8:9], v[8:9]
	v_lshlrev_b32_e32 v10, 2, v8
	s_and_saveexec_b64 s[4:5], s[2:3]
	s_cbranch_execz .LBB63_6
; %bb.5:
	global_load_dword v4, v10, s[10:11]
	v_max_f32_e32 v12, v12, v12
	s_waitcnt vmcnt(0)
	v_max_f32_e32 v11, v4, v4
	v_max_f32_e32 v12, v12, v11
.LBB63_6:
	s_or_b64 exec, exec, s[4:5]
	v_add_u32_e32 v8, s14, v8
	v_cmp_gt_i64_e64 s[4:5], s[8:9], v[8:9]
	v_lshlrev_b32_e32 v9, 2, v8
	s_and_saveexec_b64 s[6:7], s[4:5]
	s_cbranch_execz .LBB63_8
; %bb.7:
	global_load_dword v5, v9, s[10:11]
	v_max_f32_e32 v12, v12, v12
	s_waitcnt vmcnt(0)
	v_max_f32_e32 v11, v5, v5
	v_max_f32_e32 v12, v12, v11
.LBB63_8:
	s_or_b64 exec, exec, s[6:7]
	v_add_u32_e32 v14, s14, v8
	v_mov_b32_e32 v15, 0
	v_cmp_gt_i64_e64 s[6:7], s[8:9], v[14:15]
	v_lshlrev_b32_e32 v8, 2, v14
	s_and_saveexec_b64 s[8:9], s[6:7]
	s_cbranch_execz .LBB63_10
; %bb.9:
	global_load_dword v6, v8, s[10:11]
	v_max_f32_e32 v12, v12, v12
	s_waitcnt vmcnt(0)
	v_max_f32_e32 v11, v6, v6
	v_max_f32_e32 v12, v12, v11
.LBB63_10:
	s_or_b64 exec, exec, s[8:9]
	v_mbcnt_lo_u32_b32 v11, -1, 0
	v_mbcnt_hi_u32_b32 v16, -1, v11
	v_and_b32_e32 v17, 63, v16
	v_cmp_gt_u32_e64 s[8:9], 32, v17
	v_cndmask_b32_e64 v11, 0, 1, s[8:9]
	v_lshlrev_b32_e32 v11, 5, v11
	v_add_lshl_u32 v11, v11, v16, 2
	ds_bpermute_b32 v13, v11, v12
	v_cmp_gt_u32_e64 s[8:9], 48, v17
	v_cndmask_b32_e64 v14, 0, 1, s[8:9]
	s_waitcnt lgkmcnt(0)
	s_barrier
	v_cmp_lt_f32_e64 s[8:9], v12, v13
	v_cndmask_b32_e64 v13, v12, v13, s[8:9]
	v_lshlrev_b32_e32 v12, 4, v14
	v_add_lshl_u32 v12, v12, v16, 2
	ds_bpermute_b32 v14, v12, v13
	s_waitcnt lgkmcnt(0)
	v_cmp_lt_f32_e64 s[8:9], v13, v14
	v_cndmask_b32_e64 v14, v13, v14, s[8:9]
	v_cmp_gt_u32_e64 s[8:9], 56, v17
	v_cndmask_b32_e64 v13, 0, 1, s[8:9]
	v_lshlrev_b32_e32 v13, 3, v13
	v_add_lshl_u32 v13, v13, v16, 2
	ds_bpermute_b32 v15, v13, v14
	s_waitcnt lgkmcnt(0)
	v_cmp_lt_f32_e64 s[8:9], v14, v15
	v_cndmask_b32_e64 v15, v14, v15, s[8:9]
	v_cmp_gt_u32_e64 s[8:9], 60, v17
	;; [unrolled: 8-line block ×3, first 2 shown]
	v_cndmask_b32_e64 v15, 0, 1, s[8:9]
	v_lshlrev_b32_e32 v15, 1, v15
	v_add_lshl_u32 v15, v15, v16, 2
	ds_bpermute_b32 v20, v15, v19
	v_and_b32_e32 v18, 63, v0
	s_waitcnt lgkmcnt(0)
	v_cmp_lt_f32_e64 s[8:9], v19, v20
	v_cndmask_b32_e64 v19, v19, v20, s[8:9]
	v_cmp_ne_u32_e64 s[8:9], 63, v17
	v_addc_co_u32_e64 v16, s[8:9], 0, v16, s[8:9]
	v_lshlrev_b32_e32 v16, 2, v16
	ds_bpermute_b32 v20, v16, v19
	v_cmp_eq_u32_e64 s[8:9], 0, v18
	v_lshrrev_b32_e32 v17, 4, v0
	s_and_saveexec_b64 s[10:11], s[8:9]
	s_xor_b64 s[12:13], exec, s[10:11]
	s_cbranch_execz .LBB63_12
; %bb.11:
	s_waitcnt lgkmcnt(0)
	v_cmp_lt_f32_e64 s[10:11], v19, v20
	v_add_u32_e32 v21, 0, v17
	v_cndmask_b32_e64 v19, v19, v20, s[10:11]
	ds_write_b32 v21, v19
.LBB63_12:
	s_or_b64 exec, exec, s[12:13]
	s_lshr_b32 s10, s14, 6
	v_cmp_gt_u32_e64 s[10:11], s10, v0
	v_mov_b32_e32 v19, 0xff7fffff
	v_lshl_add_u32 v18, v18, 2, 0
	s_waitcnt lgkmcnt(0)
	s_barrier
	s_and_saveexec_b64 s[12:13], s[10:11]
	s_cbranch_execnz .LBB63_28
; %bb.13:
	s_or_b64 exec, exec, s[12:13]
	v_cmp_gt_u32_e64 s[12:13], 64, v0
	s_and_saveexec_b64 s[16:17], s[12:13]
	s_cbranch_execnz .LBB63_29
.LBB63_14:
	s_or_b64 exec, exec, s[16:17]
	v_cmp_eq_u32_e64 s[14:15], 0, v0
	s_and_saveexec_b64 s[16:17], s[14:15]
	s_cbranch_execz .LBB63_16
.LBB63_15:
	v_mov_b32_e32 v0, 0
	s_waitcnt lgkmcnt(0)
	ds_write_b32 v0, v19
.LBB63_16:
	s_or_b64 exec, exec, s[16:17]
	s_waitcnt lgkmcnt(0)
	v_mov_b32_e32 v19, 0
	s_barrier
	ds_read_b32 v20, v19
	s_mov_b32 s22, 0x3fb8aa3b
	s_mov_b32 s23, 0xc2ce8ed0
	;; [unrolled: 1-line block ×3, first 2 shown]
	s_waitcnt lgkmcnt(0)
	v_sub_f32_e32 v0, v2, v20
	v_mul_f32_e32 v2, 0x3fb8aa3b, v0
	v_fma_f32 v21, v0, s22, -v2
	v_rndne_f32_e32 v22, v2
	v_fmac_f32_e32 v21, 0x32a5705f, v0
	v_sub_f32_e32 v2, v2, v22
	v_add_f32_e32 v2, v2, v21
	v_cvt_i32_f32_e32 v21, v22
	v_exp_f32_e32 v2, v2
	v_cmp_ngt_f32_e64 s[16:17], s23, v0
	v_mov_b32_e32 v22, 0x7f800000
	s_barrier
	v_ldexp_f32 v2, v2, v21
	v_cndmask_b32_e64 v21, 0, v2, s[16:17]
	v_sub_f32_e32 v2, v3, v20
	v_mul_f32_e32 v3, 0x3fb8aa3b, v2
	v_fma_f32 v23, v2, s22, -v3
	v_rndne_f32_e32 v24, v3
	v_fmac_f32_e32 v23, 0x32a5705f, v2
	v_sub_f32_e32 v3, v3, v24
	v_add_f32_e32 v3, v3, v23
	v_exp_f32_e32 v3, v3
	v_cvt_i32_f32_e32 v23, v24
	v_cmp_nlt_f32_e64 s[16:17], s24, v0
	v_cndmask_b32_e64 v21, v22, v21, s[16:17]
	v_cmp_ngt_f32_e64 s[16:17], s23, v2
	v_ldexp_f32 v3, v3, v23
	v_cndmask_b32_e64 v23, 0, v3, s[16:17]
	v_sub_f32_e32 v3, v4, v20
	v_mul_f32_e32 v4, 0x3fb8aa3b, v3
	v_fma_f32 v24, v3, s22, -v4
	v_rndne_f32_e32 v25, v4
	v_fmac_f32_e32 v24, 0x32a5705f, v3
	v_sub_f32_e32 v4, v4, v25
	v_add_f32_e32 v4, v4, v24
	v_exp_f32_e32 v4, v4
	v_cvt_i32_f32_e32 v24, v25
	v_cmp_nlt_f32_e64 s[16:17], s24, v2
	v_cndmask_b32_e32 v21, 0, v21, vcc
	v_cndmask_b32_e64 v23, v22, v23, s[16:17]
	v_add_f32_e32 v23, v21, v23
	v_ldexp_f32 v4, v4, v24
	v_cmp_ngt_f32_e64 s[16:17], s23, v3
	v_cndmask_b32_e64 v21, v21, v23, s[0:1]
	v_cndmask_b32_e64 v23, 0, v4, s[16:17]
	v_sub_f32_e32 v4, v5, v20
	v_mul_f32_e32 v5, 0x3fb8aa3b, v4
	v_fma_f32 v24, v4, s22, -v5
	v_rndne_f32_e32 v25, v5
	v_fmac_f32_e32 v24, 0x32a5705f, v4
	v_sub_f32_e32 v5, v5, v25
	v_add_f32_e32 v5, v5, v24
	v_exp_f32_e32 v5, v5
	v_cvt_i32_f32_e32 v24, v25
	v_cmp_nlt_f32_e64 s[16:17], s24, v3
	v_cndmask_b32_e64 v23, v22, v23, s[16:17]
	v_add_f32_e32 v23, v21, v23
	v_ldexp_f32 v5, v5, v24
	v_cmp_ngt_f32_e64 s[16:17], s23, v4
	v_cndmask_b32_e64 v21, v21, v23, s[2:3]
	v_cndmask_b32_e64 v23, 0, v5, s[16:17]
	v_sub_f32_e32 v5, v6, v20
	v_mul_f32_e32 v6, 0x3fb8aa3b, v5
	v_fma_f32 v20, v5, s22, -v6
	v_rndne_f32_e32 v24, v6
	v_fmac_f32_e32 v20, 0x32a5705f, v5
	v_sub_f32_e32 v6, v6, v24
	v_add_f32_e32 v6, v6, v20
	v_exp_f32_e32 v6, v6
	v_cvt_i32_f32_e32 v20, v24
	v_cmp_nlt_f32_e64 s[16:17], s24, v4
	v_cndmask_b32_e64 v23, v22, v23, s[16:17]
	v_cmp_ngt_f32_e64 s[16:17], s23, v5
	v_ldexp_f32 v6, v6, v20
	v_add_f32_e32 v23, v21, v23
	v_cndmask_b32_e64 v6, 0, v6, s[16:17]
	v_cmp_nlt_f32_e64 s[16:17], s24, v5
	v_cndmask_b32_e64 v21, v21, v23, s[4:5]
	v_cndmask_b32_e64 v6, v22, v6, s[16:17]
	v_add_f32_e32 v6, v21, v6
	v_cndmask_b32_e64 v6, v21, v6, s[6:7]
	ds_bpermute_b32 v20, v11, v6
	s_waitcnt lgkmcnt(0)
	v_add_f32_e32 v6, v6, v20
	ds_bpermute_b32 v20, v12, v6
	s_waitcnt lgkmcnt(0)
	v_add_f32_e32 v6, v6, v20
	;; [unrolled: 3-line block ×5, first 2 shown]
	ds_bpermute_b32 v20, v16, v6
	s_and_saveexec_b64 s[16:17], s[8:9]
	s_cbranch_execz .LBB63_18
; %bb.17:
	v_add_u32_e32 v17, 0, v17
	s_waitcnt lgkmcnt(0)
	v_add_f32_e32 v6, v6, v20
	ds_write_b32 v17, v6
.LBB63_18:
	s_or_b64 exec, exec, s[16:17]
	s_waitcnt lgkmcnt(0)
	s_barrier
	s_and_saveexec_b64 s[8:9], s[10:11]
	s_cbranch_execnz .LBB63_30
; %bb.19:
	s_or_b64 exec, exec, s[8:9]
	s_and_saveexec_b64 s[8:9], s[12:13]
	s_cbranch_execnz .LBB63_31
.LBB63_20:
	s_or_b64 exec, exec, s[8:9]
	s_and_saveexec_b64 s[8:9], s[14:15]
	s_cbranch_execz .LBB63_22
.LBB63_21:
	v_mov_b32_e32 v6, 0
	s_waitcnt lgkmcnt(0)
	ds_write_b32 v6, v19
.LBB63_22:
	s_or_b64 exec, exec, s[8:9]
	v_mov_b32_e32 v6, 0
	s_waitcnt lgkmcnt(0)
	s_barrier
	ds_read_b32 v6, v6
	s_mov_b32 s8, 0x800000
	v_mov_b32_e32 v11, 0x4f800000
	s_mov_b32 s10, 0x3f317217
	s_add_u32 s12, s20, s18
	s_waitcnt lgkmcnt(0)
	v_cmp_gt_f32_e64 s[8:9], s8, v6
	v_cndmask_b32_e64 v11, 1.0, v11, s[8:9]
	v_mul_f32_e32 v6, v6, v11
	v_log_f32_e32 v6, v6
	s_addc_u32 s13, s21, s19
	v_mul_f32_e32 v11, 0x3f317217, v6
	v_fma_f32 v12, v6, s10, -v11
	v_fmac_f32_e32 v12, 0x3377d1cf, v6
	s_mov_b32 s10, 0x7f800000
	v_add_f32_e32 v11, v11, v12
	v_cmp_lt_f32_e64 s[10:11], |v6|, s10
	v_cndmask_b32_e64 v6, v6, v11, s[10:11]
	v_mov_b32_e32 v11, 0x41b17218
	v_cndmask_b32_e64 v11, 0, v11, s[8:9]
	v_sub_f32_e32 v6, v6, v11
	s_and_saveexec_b64 s[8:9], vcc
	s_cbranch_execnz .LBB63_32
; %bb.23:
	s_or_b64 exec, exec, s[8:9]
	s_and_saveexec_b64 s[8:9], s[0:1]
	s_cbranch_execnz .LBB63_33
.LBB63_24:
	s_or_b64 exec, exec, s[8:9]
	s_and_saveexec_b64 s[0:1], s[2:3]
	s_cbranch_execnz .LBB63_34
.LBB63_25:
	s_or_b64 exec, exec, s[0:1]
	s_and_saveexec_b64 s[0:1], s[4:5]
	s_cbranch_execnz .LBB63_35
.LBB63_26:
	s_or_b64 exec, exec, s[0:1]
	s_and_saveexec_b64 s[0:1], s[6:7]
	s_cbranch_execnz .LBB63_36
.LBB63_27:
	s_endpgm
.LBB63_28:
	ds_read_b32 v19, v18
	s_or_b64 exec, exec, s[12:13]
	v_cmp_gt_u32_e64 s[12:13], 64, v0
	s_and_saveexec_b64 s[16:17], s[12:13]
	s_cbranch_execz .LBB63_14
.LBB63_29:
	s_waitcnt lgkmcnt(0)
	ds_bpermute_b32 v20, v11, v19
	s_waitcnt lgkmcnt(0)
	v_cmp_lt_f32_e64 s[14:15], v19, v20
	v_cndmask_b32_e64 v19, v19, v20, s[14:15]
	ds_bpermute_b32 v20, v12, v19
	s_waitcnt lgkmcnt(0)
	v_cmp_lt_f32_e64 s[14:15], v19, v20
	v_cndmask_b32_e64 v19, v19, v20, s[14:15]
	;; [unrolled: 4-line block ×6, first 2 shown]
	s_or_b64 exec, exec, s[16:17]
	v_cmp_eq_u32_e64 s[14:15], 0, v0
	s_and_saveexec_b64 s[16:17], s[14:15]
	s_cbranch_execnz .LBB63_15
	s_branch .LBB63_16
.LBB63_30:
	ds_read_b32 v19, v18
	s_or_b64 exec, exec, s[8:9]
	s_and_saveexec_b64 s[8:9], s[12:13]
	s_cbranch_execz .LBB63_20
.LBB63_31:
	s_waitcnt lgkmcnt(0)
	ds_bpermute_b32 v6, v11, v19
	s_waitcnt lgkmcnt(0)
	v_add_f32_e32 v6, v19, v6
	ds_bpermute_b32 v11, v12, v6
	s_waitcnt lgkmcnt(0)
	v_add_f32_e32 v6, v6, v11
	;; [unrolled: 3-line block ×6, first 2 shown]
	s_or_b64 exec, exec, s[8:9]
	s_and_saveexec_b64 s[8:9], s[14:15]
	s_cbranch_execnz .LBB63_21
	s_branch .LBB63_22
.LBB63_32:
	v_sub_f32_e32 v0, v0, v6
	global_store_dword v1, v0, s[12:13]
	s_or_b64 exec, exec, s[8:9]
	s_and_saveexec_b64 s[8:9], s[0:1]
	s_cbranch_execz .LBB63_24
.LBB63_33:
	v_sub_f32_e32 v0, v2, v6
	global_store_dword v7, v0, s[12:13]
	s_or_b64 exec, exec, s[8:9]
	s_and_saveexec_b64 s[0:1], s[2:3]
	s_cbranch_execz .LBB63_25
.LBB63_34:
	v_sub_f32_e32 v0, v3, v6
	global_store_dword v10, v0, s[12:13]
	s_or_b64 exec, exec, s[0:1]
	s_and_saveexec_b64 s[0:1], s[4:5]
	s_cbranch_execz .LBB63_26
.LBB63_35:
	v_sub_f32_e32 v0, v4, v6
	global_store_dword v9, v0, s[12:13]
	s_or_b64 exec, exec, s[0:1]
	s_and_saveexec_b64 s[0:1], s[6:7]
	s_cbranch_execz .LBB63_27
.LBB63_36:
	v_sub_f32_e32 v0, v5, v6
	global_store_dword v8, v0, s[12:13]
	s_endpgm
	.section	.rodata,"a",@progbits
	.p2align	6, 0x0
	.amdhsa_kernel _ZN2at6native12_GLOBAL__N_122cunn_SoftMaxForwardRegIfffNS1_25LogSoftMaxForwardEpilogueElLi5EEEvPT1_PKT_T3_
		.amdhsa_group_segment_fixed_size 0
		.amdhsa_private_segment_fixed_size 0
		.amdhsa_kernarg_size 280
		.amdhsa_user_sgpr_count 6
		.amdhsa_user_sgpr_private_segment_buffer 1
		.amdhsa_user_sgpr_dispatch_ptr 0
		.amdhsa_user_sgpr_queue_ptr 0
		.amdhsa_user_sgpr_kernarg_segment_ptr 1
		.amdhsa_user_sgpr_dispatch_id 0
		.amdhsa_user_sgpr_flat_scratch_init 0
		.amdhsa_user_sgpr_kernarg_preload_length 0
		.amdhsa_user_sgpr_kernarg_preload_offset 0
		.amdhsa_user_sgpr_private_segment_size 0
		.amdhsa_uses_dynamic_stack 0
		.amdhsa_system_sgpr_private_segment_wavefront_offset 0
		.amdhsa_system_sgpr_workgroup_id_x 1
		.amdhsa_system_sgpr_workgroup_id_y 0
		.amdhsa_system_sgpr_workgroup_id_z 0
		.amdhsa_system_sgpr_workgroup_info 0
		.amdhsa_system_vgpr_workitem_id 0
		.amdhsa_next_free_vgpr 26
		.amdhsa_next_free_sgpr 25
		.amdhsa_accum_offset 28
		.amdhsa_reserve_vcc 1
		.amdhsa_reserve_flat_scratch 0
		.amdhsa_float_round_mode_32 0
		.amdhsa_float_round_mode_16_64 0
		.amdhsa_float_denorm_mode_32 3
		.amdhsa_float_denorm_mode_16_64 3
		.amdhsa_dx10_clamp 1
		.amdhsa_ieee_mode 1
		.amdhsa_fp16_overflow 0
		.amdhsa_tg_split 0
		.amdhsa_exception_fp_ieee_invalid_op 0
		.amdhsa_exception_fp_denorm_src 0
		.amdhsa_exception_fp_ieee_div_zero 0
		.amdhsa_exception_fp_ieee_overflow 0
		.amdhsa_exception_fp_ieee_underflow 0
		.amdhsa_exception_fp_ieee_inexact 0
		.amdhsa_exception_int_div_zero 0
	.end_amdhsa_kernel
	.section	.text._ZN2at6native12_GLOBAL__N_122cunn_SoftMaxForwardRegIfffNS1_25LogSoftMaxForwardEpilogueElLi5EEEvPT1_PKT_T3_,"axG",@progbits,_ZN2at6native12_GLOBAL__N_122cunn_SoftMaxForwardRegIfffNS1_25LogSoftMaxForwardEpilogueElLi5EEEvPT1_PKT_T3_,comdat
.Lfunc_end63:
	.size	_ZN2at6native12_GLOBAL__N_122cunn_SoftMaxForwardRegIfffNS1_25LogSoftMaxForwardEpilogueElLi5EEEvPT1_PKT_T3_, .Lfunc_end63-_ZN2at6native12_GLOBAL__N_122cunn_SoftMaxForwardRegIfffNS1_25LogSoftMaxForwardEpilogueElLi5EEEvPT1_PKT_T3_
                                        ; -- End function
	.section	.AMDGPU.csdata,"",@progbits
; Kernel info:
; codeLenInByte = 2256
; NumSgprs: 29
; NumVgprs: 26
; NumAgprs: 0
; TotalNumVgprs: 26
; ScratchSize: 0
; MemoryBound: 0
; FloatMode: 240
; IeeeMode: 1
; LDSByteSize: 0 bytes/workgroup (compile time only)
; SGPRBlocks: 3
; VGPRBlocks: 3
; NumSGPRsForWavesPerEU: 29
; NumVGPRsForWavesPerEU: 26
; AccumOffset: 28
; Occupancy: 8
; WaveLimiterHint : 0
; COMPUTE_PGM_RSRC2:SCRATCH_EN: 0
; COMPUTE_PGM_RSRC2:USER_SGPR: 6
; COMPUTE_PGM_RSRC2:TRAP_HANDLER: 0
; COMPUTE_PGM_RSRC2:TGID_X_EN: 1
; COMPUTE_PGM_RSRC2:TGID_Y_EN: 0
; COMPUTE_PGM_RSRC2:TGID_Z_EN: 0
; COMPUTE_PGM_RSRC2:TIDIG_COMP_CNT: 0
; COMPUTE_PGM_RSRC3_GFX90A:ACCUM_OFFSET: 6
; COMPUTE_PGM_RSRC3_GFX90A:TG_SPLIT: 0
	.section	.text._ZN2at6native12_GLOBAL__N_122cunn_SoftMaxForwardRegIfffNS1_25LogSoftMaxForwardEpilogueElLi6EEEvPT1_PKT_T3_,"axG",@progbits,_ZN2at6native12_GLOBAL__N_122cunn_SoftMaxForwardRegIfffNS1_25LogSoftMaxForwardEpilogueElLi6EEEvPT1_PKT_T3_,comdat
	.globl	_ZN2at6native12_GLOBAL__N_122cunn_SoftMaxForwardRegIfffNS1_25LogSoftMaxForwardEpilogueElLi6EEEvPT1_PKT_T3_ ; -- Begin function _ZN2at6native12_GLOBAL__N_122cunn_SoftMaxForwardRegIfffNS1_25LogSoftMaxForwardEpilogueElLi6EEEvPT1_PKT_T3_
	.p2align	8
	.type	_ZN2at6native12_GLOBAL__N_122cunn_SoftMaxForwardRegIfffNS1_25LogSoftMaxForwardEpilogueElLi6EEEvPT1_PKT_T3_,@function
_ZN2at6native12_GLOBAL__N_122cunn_SoftMaxForwardRegIfffNS1_25LogSoftMaxForwardEpilogueElLi6EEEvPT1_PKT_T3_: ; @_ZN2at6native12_GLOBAL__N_122cunn_SoftMaxForwardRegIfffNS1_25LogSoftMaxForwardEpilogueElLi6EEEvPT1_PKT_T3_
; %bb.0:
	s_load_dwordx2 s[8:9], s[4:5], 0x10
	s_load_dwordx4 s[20:23], s[4:5], 0x0
	s_load_dword s2, s[4:5], 0x24
	v_mov_b32_e32 v9, 0
	v_mov_b32_e32 v1, v9
	s_waitcnt lgkmcnt(0)
	s_mul_i32 s0, s6, s9
	s_mul_hi_u32 s1, s6, s8
	s_add_i32 s1, s1, s0
	s_mul_i32 s0, s6, s8
	s_lshl_b64 s[24:25], s[0:1], 2
	s_add_u32 s10, s22, s24
	s_addc_u32 s11, s23, s25
	v_cmp_gt_i64_e32 vcc, s[8:9], v[0:1]
	v_mov_b32_e32 v14, 0xff7fffff
	v_lshlrev_b32_e32 v1, 2, v0
                                        ; implicit-def: $vgpr2_vgpr3_vgpr4_vgpr5_vgpr6_vgpr7
	s_and_saveexec_b64 s[0:1], vcc
	s_cbranch_execz .LBB64_2
; %bb.1:
	global_load_dword v2, v1, s[10:11]
	s_waitcnt vmcnt(0)
	v_max_f32_e32 v3, v2, v2
	v_max_f32_e32 v14, 0xff7fffff, v3
.LBB64_2:
	s_or_b64 exec, exec, s[0:1]
	s_and_b32 s16, 0xffff, s2
	v_add_u32_e32 v8, s16, v0
	v_cmp_gt_i64_e64 s[0:1], s[8:9], v[8:9]
	v_lshlrev_b32_e32 v10, 2, v8
	s_and_saveexec_b64 s[2:3], s[0:1]
	s_cbranch_execz .LBB64_4
; %bb.3:
	global_load_dword v3, v10, s[10:11]
	v_max_f32_e32 v11, v14, v14
	s_waitcnt vmcnt(0)
	v_max_f32_e32 v9, v3, v3
	v_max_f32_e32 v14, v11, v9
.LBB64_4:
	s_or_b64 exec, exec, s[2:3]
	v_add_u32_e32 v8, s16, v8
	v_mov_b32_e32 v9, 0
	v_cmp_gt_i64_e64 s[2:3], s[8:9], v[8:9]
	v_lshlrev_b32_e32 v11, 2, v8
	s_and_saveexec_b64 s[4:5], s[2:3]
	s_cbranch_execz .LBB64_6
; %bb.5:
	global_load_dword v4, v11, s[10:11]
	v_max_f32_e32 v13, v14, v14
	s_waitcnt vmcnt(0)
	v_max_f32_e32 v12, v4, v4
	v_max_f32_e32 v14, v13, v12
.LBB64_6:
	s_or_b64 exec, exec, s[4:5]
	v_add_u32_e32 v8, s16, v8
	v_cmp_gt_i64_e64 s[4:5], s[8:9], v[8:9]
	v_lshlrev_b32_e32 v12, 2, v8
	s_and_saveexec_b64 s[6:7], s[4:5]
	s_cbranch_execz .LBB64_8
; %bb.7:
	global_load_dword v5, v12, s[10:11]
	v_max_f32_e32 v13, v14, v14
	s_waitcnt vmcnt(0)
	v_max_f32_e32 v9, v5, v5
	v_max_f32_e32 v14, v13, v9
.LBB64_8:
	s_or_b64 exec, exec, s[6:7]
	v_add_u32_e32 v8, s16, v8
	v_mov_b32_e32 v9, 0
	v_cmp_gt_i64_e64 s[6:7], s[8:9], v[8:9]
	v_lshlrev_b32_e32 v13, 2, v8
	s_and_saveexec_b64 s[12:13], s[6:7]
	s_cbranch_execz .LBB64_10
; %bb.9:
	global_load_dword v6, v13, s[10:11]
	v_max_f32_e32 v14, v14, v14
	s_waitcnt vmcnt(0)
	v_max_f32_e32 v15, v6, v6
	v_max_f32_e32 v14, v14, v15
.LBB64_10:
	s_or_b64 exec, exec, s[12:13]
	v_add_u32_e32 v8, s16, v8
	v_cmp_gt_i64_e64 s[8:9], s[8:9], v[8:9]
	v_lshlrev_b32_e32 v8, 2, v8
	s_and_saveexec_b64 s[12:13], s[8:9]
	s_cbranch_execz .LBB64_12
; %bb.11:
	global_load_dword v7, v8, s[10:11]
	v_max_f32_e32 v14, v14, v14
	s_waitcnt vmcnt(0)
	v_max_f32_e32 v9, v7, v7
	v_max_f32_e32 v14, v14, v9
.LBB64_12:
	s_or_b64 exec, exec, s[12:13]
	v_mbcnt_lo_u32_b32 v9, -1, 0
	v_mbcnt_hi_u32_b32 v18, -1, v9
	v_and_b32_e32 v19, 63, v18
	v_cmp_gt_u32_e64 s[10:11], 32, v19
	v_cndmask_b32_e64 v9, 0, 1, s[10:11]
	v_lshlrev_b32_e32 v9, 5, v9
	v_add_lshl_u32 v9, v9, v18, 2
	ds_bpermute_b32 v15, v9, v14
	v_cmp_gt_u32_e64 s[10:11], 48, v19
	v_cndmask_b32_e64 v16, 0, 1, s[10:11]
	s_waitcnt lgkmcnt(0)
	s_barrier
	v_cmp_lt_f32_e64 s[10:11], v14, v15
	v_cndmask_b32_e64 v15, v14, v15, s[10:11]
	v_lshlrev_b32_e32 v14, 4, v16
	v_add_lshl_u32 v14, v14, v18, 2
	ds_bpermute_b32 v16, v14, v15
	s_waitcnt lgkmcnt(0)
	v_cmp_lt_f32_e64 s[10:11], v15, v16
	v_cndmask_b32_e64 v16, v15, v16, s[10:11]
	v_cmp_gt_u32_e64 s[10:11], 56, v19
	v_cndmask_b32_e64 v15, 0, 1, s[10:11]
	v_lshlrev_b32_e32 v15, 3, v15
	v_add_lshl_u32 v15, v15, v18, 2
	ds_bpermute_b32 v17, v15, v16
	s_waitcnt lgkmcnt(0)
	v_cmp_lt_f32_e64 s[10:11], v16, v17
	v_cndmask_b32_e64 v17, v16, v17, s[10:11]
	v_cmp_gt_u32_e64 s[10:11], 60, v19
	;; [unrolled: 8-line block ×3, first 2 shown]
	v_cndmask_b32_e64 v17, 0, 1, s[10:11]
	v_lshlrev_b32_e32 v17, 1, v17
	v_add_lshl_u32 v17, v17, v18, 2
	ds_bpermute_b32 v22, v17, v21
	v_and_b32_e32 v20, 63, v0
	s_waitcnt lgkmcnt(0)
	v_cmp_lt_f32_e64 s[10:11], v21, v22
	v_cndmask_b32_e64 v21, v21, v22, s[10:11]
	v_cmp_ne_u32_e64 s[10:11], 63, v19
	v_addc_co_u32_e64 v18, s[10:11], 0, v18, s[10:11]
	v_lshlrev_b32_e32 v18, 2, v18
	ds_bpermute_b32 v22, v18, v21
	v_cmp_eq_u32_e64 s[10:11], 0, v20
	v_lshrrev_b32_e32 v19, 4, v0
	s_and_saveexec_b64 s[12:13], s[10:11]
	s_xor_b64 s[14:15], exec, s[12:13]
	s_cbranch_execz .LBB64_14
; %bb.13:
	s_waitcnt lgkmcnt(0)
	v_cmp_lt_f32_e64 s[12:13], v21, v22
	v_add_u32_e32 v23, 0, v19
	v_cndmask_b32_e64 v21, v21, v22, s[12:13]
	ds_write_b32 v23, v21
.LBB64_14:
	s_or_b64 exec, exec, s[14:15]
	s_lshr_b32 s12, s16, 6
	v_cmp_gt_u32_e64 s[12:13], s12, v0
	v_mov_b32_e32 v21, 0xff7fffff
	v_lshl_add_u32 v20, v20, 2, 0
	s_waitcnt lgkmcnt(0)
	s_barrier
	s_and_saveexec_b64 s[14:15], s[12:13]
	s_cbranch_execnz .LBB64_31
; %bb.15:
	s_or_b64 exec, exec, s[14:15]
	v_cmp_gt_u32_e64 s[14:15], 64, v0
	s_and_saveexec_b64 s[18:19], s[14:15]
	s_cbranch_execnz .LBB64_32
.LBB64_16:
	s_or_b64 exec, exec, s[18:19]
	v_cmp_eq_u32_e64 s[16:17], 0, v0
	s_and_saveexec_b64 s[18:19], s[16:17]
	s_cbranch_execz .LBB64_18
.LBB64_17:
	v_mov_b32_e32 v0, 0
	s_waitcnt lgkmcnt(0)
	ds_write_b32 v0, v21
.LBB64_18:
	s_or_b64 exec, exec, s[18:19]
	s_waitcnt lgkmcnt(0)
	v_mov_b32_e32 v21, 0
	s_barrier
	ds_read_b32 v22, v21
	s_mov_b32 s22, 0x3fb8aa3b
	s_mov_b32 s23, 0xc2ce8ed0
	;; [unrolled: 1-line block ×3, first 2 shown]
	s_waitcnt lgkmcnt(0)
	v_sub_f32_e32 v0, v2, v22
	v_mul_f32_e32 v2, 0x3fb8aa3b, v0
	v_fma_f32 v23, v0, s22, -v2
	v_rndne_f32_e32 v24, v2
	v_fmac_f32_e32 v23, 0x32a5705f, v0
	v_sub_f32_e32 v2, v2, v24
	v_add_f32_e32 v2, v2, v23
	v_cvt_i32_f32_e32 v23, v24
	v_exp_f32_e32 v2, v2
	v_cmp_ngt_f32_e64 s[18:19], s23, v0
	v_mov_b32_e32 v24, 0x7f800000
	s_barrier
	v_ldexp_f32 v2, v2, v23
	v_cndmask_b32_e64 v23, 0, v2, s[18:19]
	v_sub_f32_e32 v2, v3, v22
	v_mul_f32_e32 v3, 0x3fb8aa3b, v2
	v_fma_f32 v25, v2, s22, -v3
	v_rndne_f32_e32 v26, v3
	v_fmac_f32_e32 v25, 0x32a5705f, v2
	v_sub_f32_e32 v3, v3, v26
	v_add_f32_e32 v3, v3, v25
	v_exp_f32_e32 v3, v3
	v_cvt_i32_f32_e32 v25, v26
	v_cmp_nlt_f32_e64 s[18:19], s26, v0
	v_cndmask_b32_e64 v23, v24, v23, s[18:19]
	v_cmp_ngt_f32_e64 s[18:19], s23, v2
	v_ldexp_f32 v3, v3, v25
	v_cndmask_b32_e64 v25, 0, v3, s[18:19]
	v_sub_f32_e32 v3, v4, v22
	v_mul_f32_e32 v4, 0x3fb8aa3b, v3
	v_fma_f32 v26, v3, s22, -v4
	v_rndne_f32_e32 v27, v4
	v_fmac_f32_e32 v26, 0x32a5705f, v3
	v_sub_f32_e32 v4, v4, v27
	v_add_f32_e32 v4, v4, v26
	v_exp_f32_e32 v4, v4
	v_cvt_i32_f32_e32 v26, v27
	v_cmp_nlt_f32_e64 s[18:19], s26, v2
	v_cndmask_b32_e32 v23, 0, v23, vcc
	v_cndmask_b32_e64 v25, v24, v25, s[18:19]
	v_add_f32_e32 v25, v23, v25
	v_ldexp_f32 v4, v4, v26
	v_cmp_ngt_f32_e64 s[18:19], s23, v3
	v_cndmask_b32_e64 v23, v23, v25, s[0:1]
	v_cndmask_b32_e64 v25, 0, v4, s[18:19]
	v_sub_f32_e32 v4, v5, v22
	v_mul_f32_e32 v5, 0x3fb8aa3b, v4
	v_fma_f32 v26, v4, s22, -v5
	v_rndne_f32_e32 v27, v5
	v_fmac_f32_e32 v26, 0x32a5705f, v4
	v_sub_f32_e32 v5, v5, v27
	v_add_f32_e32 v5, v5, v26
	v_exp_f32_e32 v5, v5
	v_cvt_i32_f32_e32 v26, v27
	v_cmp_nlt_f32_e64 s[18:19], s26, v3
	v_cndmask_b32_e64 v25, v24, v25, s[18:19]
	v_add_f32_e32 v25, v23, v25
	v_ldexp_f32 v5, v5, v26
	v_cmp_ngt_f32_e64 s[18:19], s23, v4
	v_cndmask_b32_e64 v23, v23, v25, s[2:3]
	v_cndmask_b32_e64 v25, 0, v5, s[18:19]
	v_sub_f32_e32 v5, v6, v22
	v_mul_f32_e32 v6, 0x3fb8aa3b, v5
	v_fma_f32 v26, v5, s22, -v6
	v_rndne_f32_e32 v27, v6
	v_fmac_f32_e32 v26, 0x32a5705f, v5
	v_sub_f32_e32 v6, v6, v27
	v_add_f32_e32 v6, v6, v26
	v_exp_f32_e32 v6, v6
	v_cvt_i32_f32_e32 v26, v27
	v_cmp_nlt_f32_e64 s[18:19], s26, v4
	;; [unrolled: 16-line block ×3, first 2 shown]
	v_cndmask_b32_e64 v25, v24, v25, s[18:19]
	v_cmp_ngt_f32_e64 s[18:19], s23, v6
	v_ldexp_f32 v7, v7, v22
	v_add_f32_e32 v25, v23, v25
	v_cndmask_b32_e64 v7, 0, v7, s[18:19]
	v_cmp_nlt_f32_e64 s[18:19], s26, v6
	v_cndmask_b32_e64 v23, v23, v25, s[6:7]
	v_cndmask_b32_e64 v7, v24, v7, s[18:19]
	v_add_f32_e32 v7, v23, v7
	v_cndmask_b32_e64 v7, v23, v7, s[8:9]
	ds_bpermute_b32 v22, v9, v7
	s_waitcnt lgkmcnt(0)
	v_add_f32_e32 v7, v7, v22
	ds_bpermute_b32 v22, v14, v7
	s_waitcnt lgkmcnt(0)
	v_add_f32_e32 v7, v7, v22
	;; [unrolled: 3-line block ×5, first 2 shown]
	ds_bpermute_b32 v22, v18, v7
	s_and_saveexec_b64 s[18:19], s[10:11]
	s_cbranch_execz .LBB64_20
; %bb.19:
	v_add_u32_e32 v19, 0, v19
	s_waitcnt lgkmcnt(0)
	v_add_f32_e32 v7, v7, v22
	ds_write_b32 v19, v7
.LBB64_20:
	s_or_b64 exec, exec, s[18:19]
	s_waitcnt lgkmcnt(0)
	s_barrier
	s_and_saveexec_b64 s[10:11], s[12:13]
	s_cbranch_execnz .LBB64_33
; %bb.21:
	s_or_b64 exec, exec, s[10:11]
	s_and_saveexec_b64 s[10:11], s[14:15]
	s_cbranch_execnz .LBB64_34
.LBB64_22:
	s_or_b64 exec, exec, s[10:11]
	s_and_saveexec_b64 s[10:11], s[16:17]
	s_cbranch_execz .LBB64_24
.LBB64_23:
	v_mov_b32_e32 v7, 0
	s_waitcnt lgkmcnt(0)
	ds_write_b32 v7, v21
.LBB64_24:
	s_or_b64 exec, exec, s[10:11]
	v_mov_b32_e32 v7, 0
	s_waitcnt lgkmcnt(0)
	s_barrier
	ds_read_b32 v7, v7
	s_mov_b32 s10, 0x800000
	v_mov_b32_e32 v9, 0x4f800000
	s_mov_b32 s12, 0x3f317217
	s_add_u32 s14, s20, s24
	s_waitcnt lgkmcnt(0)
	v_cmp_gt_f32_e64 s[10:11], s10, v7
	v_cndmask_b32_e64 v9, 1.0, v9, s[10:11]
	v_mul_f32_e32 v7, v7, v9
	v_log_f32_e32 v7, v7
	s_addc_u32 s15, s21, s25
	v_mul_f32_e32 v9, 0x3f317217, v7
	v_fma_f32 v14, v7, s12, -v9
	v_fmac_f32_e32 v14, 0x3377d1cf, v7
	s_mov_b32 s12, 0x7f800000
	v_add_f32_e32 v9, v9, v14
	v_cmp_lt_f32_e64 s[12:13], |v7|, s12
	v_cndmask_b32_e64 v7, v7, v9, s[12:13]
	v_mov_b32_e32 v9, 0x41b17218
	v_cndmask_b32_e64 v9, 0, v9, s[10:11]
	v_sub_f32_e32 v7, v7, v9
	s_and_saveexec_b64 s[10:11], vcc
	s_cbranch_execnz .LBB64_35
; %bb.25:
	s_or_b64 exec, exec, s[10:11]
	s_and_saveexec_b64 s[10:11], s[0:1]
	s_cbranch_execnz .LBB64_36
.LBB64_26:
	s_or_b64 exec, exec, s[10:11]
	s_and_saveexec_b64 s[0:1], s[2:3]
	s_cbranch_execnz .LBB64_37
.LBB64_27:
	s_or_b64 exec, exec, s[0:1]
	s_and_saveexec_b64 s[0:1], s[4:5]
	s_cbranch_execnz .LBB64_38
.LBB64_28:
	s_or_b64 exec, exec, s[0:1]
	s_and_saveexec_b64 s[0:1], s[6:7]
	s_cbranch_execnz .LBB64_39
.LBB64_29:
	s_or_b64 exec, exec, s[0:1]
	s_and_saveexec_b64 s[0:1], s[8:9]
	s_cbranch_execnz .LBB64_40
.LBB64_30:
	s_endpgm
.LBB64_31:
	ds_read_b32 v21, v20
	s_or_b64 exec, exec, s[14:15]
	v_cmp_gt_u32_e64 s[14:15], 64, v0
	s_and_saveexec_b64 s[18:19], s[14:15]
	s_cbranch_execz .LBB64_16
.LBB64_32:
	s_waitcnt lgkmcnt(0)
	ds_bpermute_b32 v22, v9, v21
	s_waitcnt lgkmcnt(0)
	v_cmp_lt_f32_e64 s[16:17], v21, v22
	v_cndmask_b32_e64 v21, v21, v22, s[16:17]
	ds_bpermute_b32 v22, v14, v21
	s_waitcnt lgkmcnt(0)
	v_cmp_lt_f32_e64 s[16:17], v21, v22
	v_cndmask_b32_e64 v21, v21, v22, s[16:17]
	;; [unrolled: 4-line block ×6, first 2 shown]
	s_or_b64 exec, exec, s[18:19]
	v_cmp_eq_u32_e64 s[16:17], 0, v0
	s_and_saveexec_b64 s[18:19], s[16:17]
	s_cbranch_execnz .LBB64_17
	s_branch .LBB64_18
.LBB64_33:
	ds_read_b32 v21, v20
	s_or_b64 exec, exec, s[10:11]
	s_and_saveexec_b64 s[10:11], s[14:15]
	s_cbranch_execz .LBB64_22
.LBB64_34:
	s_waitcnt lgkmcnt(0)
	ds_bpermute_b32 v7, v9, v21
	s_waitcnt lgkmcnt(0)
	v_add_f32_e32 v7, v21, v7
	ds_bpermute_b32 v9, v14, v7
	s_waitcnt lgkmcnt(0)
	v_add_f32_e32 v7, v7, v9
	;; [unrolled: 3-line block ×6, first 2 shown]
	s_or_b64 exec, exec, s[10:11]
	s_and_saveexec_b64 s[10:11], s[16:17]
	s_cbranch_execnz .LBB64_23
	s_branch .LBB64_24
.LBB64_35:
	v_sub_f32_e32 v0, v0, v7
	global_store_dword v1, v0, s[14:15]
	s_or_b64 exec, exec, s[10:11]
	s_and_saveexec_b64 s[10:11], s[0:1]
	s_cbranch_execz .LBB64_26
.LBB64_36:
	v_sub_f32_e32 v0, v2, v7
	global_store_dword v10, v0, s[14:15]
	s_or_b64 exec, exec, s[10:11]
	s_and_saveexec_b64 s[0:1], s[2:3]
	s_cbranch_execz .LBB64_27
.LBB64_37:
	v_sub_f32_e32 v0, v3, v7
	global_store_dword v11, v0, s[14:15]
	s_or_b64 exec, exec, s[0:1]
	s_and_saveexec_b64 s[0:1], s[4:5]
	s_cbranch_execz .LBB64_28
.LBB64_38:
	v_sub_f32_e32 v0, v4, v7
	global_store_dword v12, v0, s[14:15]
	s_or_b64 exec, exec, s[0:1]
	s_and_saveexec_b64 s[0:1], s[6:7]
	s_cbranch_execz .LBB64_29
.LBB64_39:
	v_sub_f32_e32 v0, v5, v7
	global_store_dword v13, v0, s[14:15]
	s_or_b64 exec, exec, s[0:1]
	s_and_saveexec_b64 s[0:1], s[8:9]
	s_cbranch_execz .LBB64_30
.LBB64_40:
	v_sub_f32_e32 v0, v6, v7
	global_store_dword v8, v0, s[14:15]
	s_endpgm
	.section	.rodata,"a",@progbits
	.p2align	6, 0x0
	.amdhsa_kernel _ZN2at6native12_GLOBAL__N_122cunn_SoftMaxForwardRegIfffNS1_25LogSoftMaxForwardEpilogueElLi6EEEvPT1_PKT_T3_
		.amdhsa_group_segment_fixed_size 0
		.amdhsa_private_segment_fixed_size 0
		.amdhsa_kernarg_size 280
		.amdhsa_user_sgpr_count 6
		.amdhsa_user_sgpr_private_segment_buffer 1
		.amdhsa_user_sgpr_dispatch_ptr 0
		.amdhsa_user_sgpr_queue_ptr 0
		.amdhsa_user_sgpr_kernarg_segment_ptr 1
		.amdhsa_user_sgpr_dispatch_id 0
		.amdhsa_user_sgpr_flat_scratch_init 0
		.amdhsa_user_sgpr_kernarg_preload_length 0
		.amdhsa_user_sgpr_kernarg_preload_offset 0
		.amdhsa_user_sgpr_private_segment_size 0
		.amdhsa_uses_dynamic_stack 0
		.amdhsa_system_sgpr_private_segment_wavefront_offset 0
		.amdhsa_system_sgpr_workgroup_id_x 1
		.amdhsa_system_sgpr_workgroup_id_y 0
		.amdhsa_system_sgpr_workgroup_id_z 0
		.amdhsa_system_sgpr_workgroup_info 0
		.amdhsa_system_vgpr_workitem_id 0
		.amdhsa_next_free_vgpr 28
		.amdhsa_next_free_sgpr 27
		.amdhsa_accum_offset 28
		.amdhsa_reserve_vcc 1
		.amdhsa_reserve_flat_scratch 0
		.amdhsa_float_round_mode_32 0
		.amdhsa_float_round_mode_16_64 0
		.amdhsa_float_denorm_mode_32 3
		.amdhsa_float_denorm_mode_16_64 3
		.amdhsa_dx10_clamp 1
		.amdhsa_ieee_mode 1
		.amdhsa_fp16_overflow 0
		.amdhsa_tg_split 0
		.amdhsa_exception_fp_ieee_invalid_op 0
		.amdhsa_exception_fp_denorm_src 0
		.amdhsa_exception_fp_ieee_div_zero 0
		.amdhsa_exception_fp_ieee_overflow 0
		.amdhsa_exception_fp_ieee_underflow 0
		.amdhsa_exception_fp_ieee_inexact 0
		.amdhsa_exception_int_div_zero 0
	.end_amdhsa_kernel
	.section	.text._ZN2at6native12_GLOBAL__N_122cunn_SoftMaxForwardRegIfffNS1_25LogSoftMaxForwardEpilogueElLi6EEEvPT1_PKT_T3_,"axG",@progbits,_ZN2at6native12_GLOBAL__N_122cunn_SoftMaxForwardRegIfffNS1_25LogSoftMaxForwardEpilogueElLi6EEEvPT1_PKT_T3_,comdat
.Lfunc_end64:
	.size	_ZN2at6native12_GLOBAL__N_122cunn_SoftMaxForwardRegIfffNS1_25LogSoftMaxForwardEpilogueElLi6EEEvPT1_PKT_T3_, .Lfunc_end64-_ZN2at6native12_GLOBAL__N_122cunn_SoftMaxForwardRegIfffNS1_25LogSoftMaxForwardEpilogueElLi6EEEvPT1_PKT_T3_
                                        ; -- End function
	.section	.AMDGPU.csdata,"",@progbits
; Kernel info:
; codeLenInByte = 2444
; NumSgprs: 31
; NumVgprs: 28
; NumAgprs: 0
; TotalNumVgprs: 28
; ScratchSize: 0
; MemoryBound: 0
; FloatMode: 240
; IeeeMode: 1
; LDSByteSize: 0 bytes/workgroup (compile time only)
; SGPRBlocks: 3
; VGPRBlocks: 3
; NumSGPRsForWavesPerEU: 31
; NumVGPRsForWavesPerEU: 28
; AccumOffset: 28
; Occupancy: 8
; WaveLimiterHint : 0
; COMPUTE_PGM_RSRC2:SCRATCH_EN: 0
; COMPUTE_PGM_RSRC2:USER_SGPR: 6
; COMPUTE_PGM_RSRC2:TRAP_HANDLER: 0
; COMPUTE_PGM_RSRC2:TGID_X_EN: 1
; COMPUTE_PGM_RSRC2:TGID_Y_EN: 0
; COMPUTE_PGM_RSRC2:TGID_Z_EN: 0
; COMPUTE_PGM_RSRC2:TIDIG_COMP_CNT: 0
; COMPUTE_PGM_RSRC3_GFX90A:ACCUM_OFFSET: 6
; COMPUTE_PGM_RSRC3_GFX90A:TG_SPLIT: 0
	.section	.text._ZN2at6native12_GLOBAL__N_122cunn_SoftMaxForwardRegIfffNS1_25LogSoftMaxForwardEpilogueElLi7EEEvPT1_PKT_T3_,"axG",@progbits,_ZN2at6native12_GLOBAL__N_122cunn_SoftMaxForwardRegIfffNS1_25LogSoftMaxForwardEpilogueElLi7EEEvPT1_PKT_T3_,comdat
	.globl	_ZN2at6native12_GLOBAL__N_122cunn_SoftMaxForwardRegIfffNS1_25LogSoftMaxForwardEpilogueElLi7EEEvPT1_PKT_T3_ ; -- Begin function _ZN2at6native12_GLOBAL__N_122cunn_SoftMaxForwardRegIfffNS1_25LogSoftMaxForwardEpilogueElLi7EEEvPT1_PKT_T3_
	.p2align	8
	.type	_ZN2at6native12_GLOBAL__N_122cunn_SoftMaxForwardRegIfffNS1_25LogSoftMaxForwardEpilogueElLi7EEEvPT1_PKT_T3_,@function
_ZN2at6native12_GLOBAL__N_122cunn_SoftMaxForwardRegIfffNS1_25LogSoftMaxForwardEpilogueElLi7EEEvPT1_PKT_T3_: ; @_ZN2at6native12_GLOBAL__N_122cunn_SoftMaxForwardRegIfffNS1_25LogSoftMaxForwardEpilogueElLi7EEEvPT1_PKT_T3_
; %bb.0:
	s_load_dwordx2 s[10:11], s[4:5], 0x10
	s_load_dwordx4 s[24:27], s[4:5], 0x0
	s_load_dword s2, s[4:5], 0x24
	v_mov_b32_e32 v11, 0
	v_mov_b32_e32 v1, v11
	s_waitcnt lgkmcnt(0)
	s_mul_i32 s0, s6, s11
	s_mul_hi_u32 s1, s6, s10
	s_add_i32 s1, s1, s0
	s_mul_i32 s0, s6, s10
	s_lshl_b64 s[22:23], s[0:1], 2
	s_add_u32 s12, s26, s22
	s_addc_u32 s13, s27, s23
	v_cmp_gt_i64_e32 vcc, s[10:11], v[0:1]
	v_mov_b32_e32 v16, 0xff7fffff
	v_lshlrev_b32_e32 v1, 2, v0
                                        ; implicit-def: $vgpr2_vgpr3_vgpr4_vgpr5_vgpr6_vgpr7_vgpr8
	s_and_saveexec_b64 s[0:1], vcc
	s_cbranch_execz .LBB65_2
; %bb.1:
	global_load_dword v2, v1, s[12:13]
	s_waitcnt vmcnt(0)
	v_max_f32_e32 v3, v2, v2
	v_max_f32_e32 v16, 0xff7fffff, v3
.LBB65_2:
	s_or_b64 exec, exec, s[0:1]
	s_and_b32 s18, 0xffff, s2
	v_add_u32_e32 v10, s18, v0
	v_cmp_gt_i64_e64 s[0:1], s[10:11], v[10:11]
	v_lshlrev_b32_e32 v9, 2, v10
	s_and_saveexec_b64 s[2:3], s[0:1]
	s_cbranch_execz .LBB65_4
; %bb.3:
	global_load_dword v3, v9, s[12:13]
	v_max_f32_e32 v12, v16, v16
	s_waitcnt vmcnt(0)
	v_max_f32_e32 v11, v3, v3
	v_max_f32_e32 v16, v12, v11
.LBB65_4:
	s_or_b64 exec, exec, s[2:3]
	v_add_u32_e32 v10, s18, v10
	v_mov_b32_e32 v11, 0
	v_cmp_gt_i64_e64 s[2:3], s[10:11], v[10:11]
	v_lshlrev_b32_e32 v12, 2, v10
	s_and_saveexec_b64 s[4:5], s[2:3]
	s_cbranch_execz .LBB65_6
; %bb.5:
	global_load_dword v4, v12, s[12:13]
	v_max_f32_e32 v14, v16, v16
	s_waitcnt vmcnt(0)
	v_max_f32_e32 v13, v4, v4
	v_max_f32_e32 v16, v14, v13
.LBB65_6:
	s_or_b64 exec, exec, s[4:5]
	v_add_u32_e32 v10, s18, v10
	v_cmp_gt_i64_e64 s[4:5], s[10:11], v[10:11]
	v_lshlrev_b32_e32 v13, 2, v10
	s_and_saveexec_b64 s[6:7], s[4:5]
	s_cbranch_execz .LBB65_8
; %bb.7:
	global_load_dword v5, v13, s[12:13]
	v_max_f32_e32 v14, v16, v16
	s_waitcnt vmcnt(0)
	v_max_f32_e32 v11, v5, v5
	v_max_f32_e32 v16, v14, v11
.LBB65_8:
	s_or_b64 exec, exec, s[6:7]
	v_add_u32_e32 v10, s18, v10
	v_mov_b32_e32 v11, 0
	v_cmp_gt_i64_e64 s[6:7], s[10:11], v[10:11]
	v_lshlrev_b32_e32 v14, 2, v10
	s_and_saveexec_b64 s[8:9], s[6:7]
	s_cbranch_execz .LBB65_10
; %bb.9:
	global_load_dword v6, v14, s[12:13]
	v_max_f32_e32 v16, v16, v16
	s_waitcnt vmcnt(0)
	v_max_f32_e32 v15, v6, v6
	v_max_f32_e32 v16, v16, v15
.LBB65_10:
	s_or_b64 exec, exec, s[8:9]
	;; [unrolled: 27-line block ×3, first 2 shown]
	v_mbcnt_lo_u32_b32 v15, -1, 0
	v_mbcnt_hi_u32_b32 v20, -1, v15
	v_and_b32_e32 v21, 63, v20
	v_cmp_gt_u32_e64 s[12:13], 32, v21
	v_cndmask_b32_e64 v15, 0, 1, s[12:13]
	v_lshlrev_b32_e32 v15, 5, v15
	v_add_lshl_u32 v15, v15, v20, 2
	ds_bpermute_b32 v17, v15, v16
	v_cmp_gt_u32_e64 s[12:13], 48, v21
	v_cndmask_b32_e64 v18, 0, 1, s[12:13]
	s_waitcnt lgkmcnt(0)
	s_barrier
	v_cmp_lt_f32_e64 s[12:13], v16, v17
	v_cndmask_b32_e64 v17, v16, v17, s[12:13]
	v_lshlrev_b32_e32 v16, 4, v18
	v_add_lshl_u32 v16, v16, v20, 2
	ds_bpermute_b32 v18, v16, v17
	s_waitcnt lgkmcnt(0)
	v_cmp_lt_f32_e64 s[12:13], v17, v18
	v_cndmask_b32_e64 v18, v17, v18, s[12:13]
	v_cmp_gt_u32_e64 s[12:13], 56, v21
	v_cndmask_b32_e64 v17, 0, 1, s[12:13]
	v_lshlrev_b32_e32 v17, 3, v17
	v_add_lshl_u32 v17, v17, v20, 2
	ds_bpermute_b32 v19, v17, v18
	s_waitcnt lgkmcnt(0)
	v_cmp_lt_f32_e64 s[12:13], v18, v19
	v_cndmask_b32_e64 v19, v18, v19, s[12:13]
	v_cmp_gt_u32_e64 s[12:13], 60, v21
	;; [unrolled: 8-line block ×3, first 2 shown]
	v_cndmask_b32_e64 v19, 0, 1, s[12:13]
	v_lshlrev_b32_e32 v19, 1, v19
	v_add_lshl_u32 v19, v19, v20, 2
	ds_bpermute_b32 v24, v19, v23
	v_and_b32_e32 v22, 63, v0
	s_waitcnt lgkmcnt(0)
	v_cmp_lt_f32_e64 s[12:13], v23, v24
	v_cndmask_b32_e64 v23, v23, v24, s[12:13]
	v_cmp_ne_u32_e64 s[12:13], 63, v21
	v_addc_co_u32_e64 v20, s[12:13], 0, v20, s[12:13]
	v_lshlrev_b32_e32 v20, 2, v20
	ds_bpermute_b32 v24, v20, v23
	v_cmp_eq_u32_e64 s[12:13], 0, v22
	v_lshrrev_b32_e32 v21, 4, v0
	s_and_saveexec_b64 s[14:15], s[12:13]
	s_xor_b64 s[16:17], exec, s[14:15]
	s_cbranch_execz .LBB65_16
; %bb.15:
	s_waitcnt lgkmcnt(0)
	v_cmp_lt_f32_e64 s[14:15], v23, v24
	v_add_u32_e32 v25, 0, v21
	v_cndmask_b32_e64 v23, v23, v24, s[14:15]
	ds_write_b32 v25, v23
.LBB65_16:
	s_or_b64 exec, exec, s[16:17]
	s_lshr_b32 s14, s18, 6
	v_cmp_gt_u32_e64 s[14:15], s14, v0
	v_mov_b32_e32 v23, 0xff7fffff
	v_lshl_add_u32 v22, v22, 2, 0
	s_waitcnt lgkmcnt(0)
	s_barrier
	s_and_saveexec_b64 s[16:17], s[14:15]
	s_cbranch_execnz .LBB65_34
; %bb.17:
	s_or_b64 exec, exec, s[16:17]
	v_cmp_gt_u32_e64 s[16:17], 64, v0
	s_and_saveexec_b64 s[20:21], s[16:17]
	s_cbranch_execnz .LBB65_35
.LBB65_18:
	s_or_b64 exec, exec, s[20:21]
	v_cmp_eq_u32_e64 s[18:19], 0, v0
	s_and_saveexec_b64 s[20:21], s[18:19]
	s_cbranch_execz .LBB65_20
.LBB65_19:
	v_mov_b32_e32 v0, 0
	s_waitcnt lgkmcnt(0)
	ds_write_b32 v0, v23
.LBB65_20:
	s_or_b64 exec, exec, s[20:21]
	s_waitcnt lgkmcnt(0)
	v_mov_b32_e32 v23, 0
	s_barrier
	ds_read_b32 v24, v23
	s_mov_b32 s26, 0x3fb8aa3b
	s_mov_b32 s27, 0xc2ce8ed0
	;; [unrolled: 1-line block ×3, first 2 shown]
	s_waitcnt lgkmcnt(0)
	v_sub_f32_e32 v0, v2, v24
	v_mul_f32_e32 v2, 0x3fb8aa3b, v0
	v_fma_f32 v25, v0, s26, -v2
	v_rndne_f32_e32 v26, v2
	v_fmac_f32_e32 v25, 0x32a5705f, v0
	v_sub_f32_e32 v2, v2, v26
	v_add_f32_e32 v2, v2, v25
	v_cvt_i32_f32_e32 v25, v26
	v_exp_f32_e32 v2, v2
	v_cmp_ngt_f32_e64 s[20:21], s27, v0
	v_mov_b32_e32 v26, 0x7f800000
	s_barrier
	v_ldexp_f32 v2, v2, v25
	v_cndmask_b32_e64 v25, 0, v2, s[20:21]
	v_sub_f32_e32 v2, v3, v24
	v_mul_f32_e32 v3, 0x3fb8aa3b, v2
	v_fma_f32 v27, v2, s26, -v3
	v_rndne_f32_e32 v28, v3
	v_fmac_f32_e32 v27, 0x32a5705f, v2
	v_sub_f32_e32 v3, v3, v28
	v_add_f32_e32 v3, v3, v27
	v_exp_f32_e32 v3, v3
	v_cvt_i32_f32_e32 v27, v28
	v_cmp_nlt_f32_e64 s[20:21], s28, v0
	v_cndmask_b32_e64 v25, v26, v25, s[20:21]
	v_cmp_ngt_f32_e64 s[20:21], s27, v2
	v_ldexp_f32 v3, v3, v27
	v_cndmask_b32_e64 v27, 0, v3, s[20:21]
	v_sub_f32_e32 v3, v4, v24
	v_mul_f32_e32 v4, 0x3fb8aa3b, v3
	v_fma_f32 v28, v3, s26, -v4
	v_rndne_f32_e32 v29, v4
	v_fmac_f32_e32 v28, 0x32a5705f, v3
	v_sub_f32_e32 v4, v4, v29
	v_add_f32_e32 v4, v4, v28
	v_exp_f32_e32 v4, v4
	v_cvt_i32_f32_e32 v28, v29
	v_cmp_nlt_f32_e64 s[20:21], s28, v2
	v_cndmask_b32_e32 v25, 0, v25, vcc
	v_cndmask_b32_e64 v27, v26, v27, s[20:21]
	v_add_f32_e32 v27, v25, v27
	v_ldexp_f32 v4, v4, v28
	v_cmp_ngt_f32_e64 s[20:21], s27, v3
	v_cndmask_b32_e64 v25, v25, v27, s[0:1]
	v_cndmask_b32_e64 v27, 0, v4, s[20:21]
	v_sub_f32_e32 v4, v5, v24
	v_mul_f32_e32 v5, 0x3fb8aa3b, v4
	v_fma_f32 v28, v4, s26, -v5
	v_rndne_f32_e32 v29, v5
	v_fmac_f32_e32 v28, 0x32a5705f, v4
	v_sub_f32_e32 v5, v5, v29
	v_add_f32_e32 v5, v5, v28
	v_exp_f32_e32 v5, v5
	v_cvt_i32_f32_e32 v28, v29
	v_cmp_nlt_f32_e64 s[20:21], s28, v3
	v_cndmask_b32_e64 v27, v26, v27, s[20:21]
	v_add_f32_e32 v27, v25, v27
	v_ldexp_f32 v5, v5, v28
	v_cmp_ngt_f32_e64 s[20:21], s27, v4
	v_cndmask_b32_e64 v25, v25, v27, s[2:3]
	v_cndmask_b32_e64 v27, 0, v5, s[20:21]
	v_sub_f32_e32 v5, v6, v24
	v_mul_f32_e32 v6, 0x3fb8aa3b, v5
	v_fma_f32 v28, v5, s26, -v6
	v_rndne_f32_e32 v29, v6
	v_fmac_f32_e32 v28, 0x32a5705f, v5
	v_sub_f32_e32 v6, v6, v29
	v_add_f32_e32 v6, v6, v28
	v_exp_f32_e32 v6, v6
	v_cvt_i32_f32_e32 v28, v29
	v_cmp_nlt_f32_e64 s[20:21], s28, v4
	;; [unrolled: 16-line block ×4, first 2 shown]
	v_cndmask_b32_e64 v27, v26, v27, s[20:21]
	v_cmp_ngt_f32_e64 s[20:21], s27, v7
	v_ldexp_f32 v8, v8, v24
	v_add_f32_e32 v27, v25, v27
	v_cndmask_b32_e64 v8, 0, v8, s[20:21]
	v_cmp_nlt_f32_e64 s[20:21], s28, v7
	v_cndmask_b32_e64 v25, v25, v27, s[8:9]
	v_cndmask_b32_e64 v8, v26, v8, s[20:21]
	v_add_f32_e32 v8, v25, v8
	v_cndmask_b32_e64 v8, v25, v8, s[10:11]
	ds_bpermute_b32 v24, v15, v8
	s_waitcnt lgkmcnt(0)
	v_add_f32_e32 v8, v8, v24
	ds_bpermute_b32 v24, v16, v8
	s_waitcnt lgkmcnt(0)
	v_add_f32_e32 v8, v8, v24
	;; [unrolled: 3-line block ×5, first 2 shown]
	ds_bpermute_b32 v24, v20, v8
	s_and_saveexec_b64 s[20:21], s[12:13]
	s_cbranch_execz .LBB65_22
; %bb.21:
	v_add_u32_e32 v21, 0, v21
	s_waitcnt lgkmcnt(0)
	v_add_f32_e32 v8, v8, v24
	ds_write_b32 v21, v8
.LBB65_22:
	s_or_b64 exec, exec, s[20:21]
	s_waitcnt lgkmcnt(0)
	s_barrier
	s_and_saveexec_b64 s[12:13], s[14:15]
	s_cbranch_execnz .LBB65_36
; %bb.23:
	s_or_b64 exec, exec, s[12:13]
	s_and_saveexec_b64 s[12:13], s[16:17]
	s_cbranch_execnz .LBB65_37
.LBB65_24:
	s_or_b64 exec, exec, s[12:13]
	s_and_saveexec_b64 s[12:13], s[18:19]
	s_cbranch_execz .LBB65_26
.LBB65_25:
	v_mov_b32_e32 v8, 0
	s_waitcnt lgkmcnt(0)
	ds_write_b32 v8, v23
.LBB65_26:
	s_or_b64 exec, exec, s[12:13]
	v_mov_b32_e32 v8, 0
	s_waitcnt lgkmcnt(0)
	s_barrier
	ds_read_b32 v8, v8
	s_mov_b32 s12, 0x800000
	v_mov_b32_e32 v15, 0x4f800000
	s_mov_b32 s14, 0x3f317217
	s_add_u32 s16, s24, s22
	s_waitcnt lgkmcnt(0)
	v_cmp_gt_f32_e64 s[12:13], s12, v8
	v_cndmask_b32_e64 v15, 1.0, v15, s[12:13]
	v_mul_f32_e32 v8, v8, v15
	v_log_f32_e32 v8, v8
	s_addc_u32 s17, s25, s23
	v_mul_f32_e32 v15, 0x3f317217, v8
	v_fma_f32 v16, v8, s14, -v15
	v_fmac_f32_e32 v16, 0x3377d1cf, v8
	s_mov_b32 s14, 0x7f800000
	v_add_f32_e32 v15, v15, v16
	v_cmp_lt_f32_e64 s[14:15], |v8|, s14
	v_cndmask_b32_e64 v8, v8, v15, s[14:15]
	v_mov_b32_e32 v15, 0x41b17218
	v_cndmask_b32_e64 v15, 0, v15, s[12:13]
	v_sub_f32_e32 v8, v8, v15
	s_and_saveexec_b64 s[12:13], vcc
	s_cbranch_execnz .LBB65_38
; %bb.27:
	s_or_b64 exec, exec, s[12:13]
	s_and_saveexec_b64 s[12:13], s[0:1]
	s_cbranch_execnz .LBB65_39
.LBB65_28:
	s_or_b64 exec, exec, s[12:13]
	s_and_saveexec_b64 s[0:1], s[2:3]
	s_cbranch_execnz .LBB65_40
.LBB65_29:
	s_or_b64 exec, exec, s[0:1]
	s_and_saveexec_b64 s[0:1], s[4:5]
	s_cbranch_execnz .LBB65_41
.LBB65_30:
	s_or_b64 exec, exec, s[0:1]
	s_and_saveexec_b64 s[0:1], s[6:7]
	s_cbranch_execnz .LBB65_42
.LBB65_31:
	s_or_b64 exec, exec, s[0:1]
	s_and_saveexec_b64 s[0:1], s[8:9]
	s_cbranch_execnz .LBB65_43
.LBB65_32:
	s_or_b64 exec, exec, s[0:1]
	s_and_saveexec_b64 s[0:1], s[10:11]
	s_cbranch_execnz .LBB65_44
.LBB65_33:
	s_endpgm
.LBB65_34:
	ds_read_b32 v23, v22
	s_or_b64 exec, exec, s[16:17]
	v_cmp_gt_u32_e64 s[16:17], 64, v0
	s_and_saveexec_b64 s[20:21], s[16:17]
	s_cbranch_execz .LBB65_18
.LBB65_35:
	s_waitcnt lgkmcnt(0)
	ds_bpermute_b32 v24, v15, v23
	s_waitcnt lgkmcnt(0)
	v_cmp_lt_f32_e64 s[18:19], v23, v24
	v_cndmask_b32_e64 v23, v23, v24, s[18:19]
	ds_bpermute_b32 v24, v16, v23
	s_waitcnt lgkmcnt(0)
	v_cmp_lt_f32_e64 s[18:19], v23, v24
	v_cndmask_b32_e64 v23, v23, v24, s[18:19]
	;; [unrolled: 4-line block ×6, first 2 shown]
	s_or_b64 exec, exec, s[20:21]
	v_cmp_eq_u32_e64 s[18:19], 0, v0
	s_and_saveexec_b64 s[20:21], s[18:19]
	s_cbranch_execnz .LBB65_19
	s_branch .LBB65_20
.LBB65_36:
	ds_read_b32 v23, v22
	s_or_b64 exec, exec, s[12:13]
	s_and_saveexec_b64 s[12:13], s[16:17]
	s_cbranch_execz .LBB65_24
.LBB65_37:
	s_waitcnt lgkmcnt(0)
	ds_bpermute_b32 v8, v15, v23
	s_waitcnt lgkmcnt(0)
	v_add_f32_e32 v8, v23, v8
	ds_bpermute_b32 v15, v16, v8
	s_waitcnt lgkmcnt(0)
	v_add_f32_e32 v8, v8, v15
	;; [unrolled: 3-line block ×6, first 2 shown]
	s_or_b64 exec, exec, s[12:13]
	s_and_saveexec_b64 s[12:13], s[18:19]
	s_cbranch_execnz .LBB65_25
	s_branch .LBB65_26
.LBB65_38:
	v_sub_f32_e32 v0, v0, v8
	global_store_dword v1, v0, s[16:17]
	s_or_b64 exec, exec, s[12:13]
	s_and_saveexec_b64 s[12:13], s[0:1]
	s_cbranch_execz .LBB65_28
.LBB65_39:
	v_sub_f32_e32 v0, v2, v8
	global_store_dword v9, v0, s[16:17]
	s_or_b64 exec, exec, s[12:13]
	s_and_saveexec_b64 s[0:1], s[2:3]
	s_cbranch_execz .LBB65_29
.LBB65_40:
	v_sub_f32_e32 v0, v3, v8
	global_store_dword v12, v0, s[16:17]
	s_or_b64 exec, exec, s[0:1]
	s_and_saveexec_b64 s[0:1], s[4:5]
	s_cbranch_execz .LBB65_30
.LBB65_41:
	v_sub_f32_e32 v0, v4, v8
	global_store_dword v13, v0, s[16:17]
	s_or_b64 exec, exec, s[0:1]
	s_and_saveexec_b64 s[0:1], s[6:7]
	s_cbranch_execz .LBB65_31
.LBB65_42:
	v_sub_f32_e32 v0, v5, v8
	global_store_dword v14, v0, s[16:17]
	s_or_b64 exec, exec, s[0:1]
	s_and_saveexec_b64 s[0:1], s[8:9]
	s_cbranch_execz .LBB65_32
.LBB65_43:
	v_sub_f32_e32 v0, v6, v8
	global_store_dword v11, v0, s[16:17]
	s_or_b64 exec, exec, s[0:1]
	s_and_saveexec_b64 s[0:1], s[10:11]
	s_cbranch_execz .LBB65_33
.LBB65_44:
	v_sub_f32_e32 v0, v7, v8
	global_store_dword v10, v0, s[16:17]
	s_endpgm
	.section	.rodata,"a",@progbits
	.p2align	6, 0x0
	.amdhsa_kernel _ZN2at6native12_GLOBAL__N_122cunn_SoftMaxForwardRegIfffNS1_25LogSoftMaxForwardEpilogueElLi7EEEvPT1_PKT_T3_
		.amdhsa_group_segment_fixed_size 0
		.amdhsa_private_segment_fixed_size 0
		.amdhsa_kernarg_size 280
		.amdhsa_user_sgpr_count 6
		.amdhsa_user_sgpr_private_segment_buffer 1
		.amdhsa_user_sgpr_dispatch_ptr 0
		.amdhsa_user_sgpr_queue_ptr 0
		.amdhsa_user_sgpr_kernarg_segment_ptr 1
		.amdhsa_user_sgpr_dispatch_id 0
		.amdhsa_user_sgpr_flat_scratch_init 0
		.amdhsa_user_sgpr_kernarg_preload_length 0
		.amdhsa_user_sgpr_kernarg_preload_offset 0
		.amdhsa_user_sgpr_private_segment_size 0
		.amdhsa_uses_dynamic_stack 0
		.amdhsa_system_sgpr_private_segment_wavefront_offset 0
		.amdhsa_system_sgpr_workgroup_id_x 1
		.amdhsa_system_sgpr_workgroup_id_y 0
		.amdhsa_system_sgpr_workgroup_id_z 0
		.amdhsa_system_sgpr_workgroup_info 0
		.amdhsa_system_vgpr_workitem_id 0
		.amdhsa_next_free_vgpr 30
		.amdhsa_next_free_sgpr 29
		.amdhsa_accum_offset 32
		.amdhsa_reserve_vcc 1
		.amdhsa_reserve_flat_scratch 0
		.amdhsa_float_round_mode_32 0
		.amdhsa_float_round_mode_16_64 0
		.amdhsa_float_denorm_mode_32 3
		.amdhsa_float_denorm_mode_16_64 3
		.amdhsa_dx10_clamp 1
		.amdhsa_ieee_mode 1
		.amdhsa_fp16_overflow 0
		.amdhsa_tg_split 0
		.amdhsa_exception_fp_ieee_invalid_op 0
		.amdhsa_exception_fp_denorm_src 0
		.amdhsa_exception_fp_ieee_div_zero 0
		.amdhsa_exception_fp_ieee_overflow 0
		.amdhsa_exception_fp_ieee_underflow 0
		.amdhsa_exception_fp_ieee_inexact 0
		.amdhsa_exception_int_div_zero 0
	.end_amdhsa_kernel
	.section	.text._ZN2at6native12_GLOBAL__N_122cunn_SoftMaxForwardRegIfffNS1_25LogSoftMaxForwardEpilogueElLi7EEEvPT1_PKT_T3_,"axG",@progbits,_ZN2at6native12_GLOBAL__N_122cunn_SoftMaxForwardRegIfffNS1_25LogSoftMaxForwardEpilogueElLi7EEEvPT1_PKT_T3_,comdat
.Lfunc_end65:
	.size	_ZN2at6native12_GLOBAL__N_122cunn_SoftMaxForwardRegIfffNS1_25LogSoftMaxForwardEpilogueElLi7EEEvPT1_PKT_T3_, .Lfunc_end65-_ZN2at6native12_GLOBAL__N_122cunn_SoftMaxForwardRegIfffNS1_25LogSoftMaxForwardEpilogueElLi7EEEvPT1_PKT_T3_
                                        ; -- End function
	.section	.AMDGPU.csdata,"",@progbits
; Kernel info:
; codeLenInByte = 2636
; NumSgprs: 33
; NumVgprs: 30
; NumAgprs: 0
; TotalNumVgprs: 30
; ScratchSize: 0
; MemoryBound: 0
; FloatMode: 240
; IeeeMode: 1
; LDSByteSize: 0 bytes/workgroup (compile time only)
; SGPRBlocks: 4
; VGPRBlocks: 3
; NumSGPRsForWavesPerEU: 33
; NumVGPRsForWavesPerEU: 30
; AccumOffset: 32
; Occupancy: 8
; WaveLimiterHint : 0
; COMPUTE_PGM_RSRC2:SCRATCH_EN: 0
; COMPUTE_PGM_RSRC2:USER_SGPR: 6
; COMPUTE_PGM_RSRC2:TRAP_HANDLER: 0
; COMPUTE_PGM_RSRC2:TGID_X_EN: 1
; COMPUTE_PGM_RSRC2:TGID_Y_EN: 0
; COMPUTE_PGM_RSRC2:TGID_Z_EN: 0
; COMPUTE_PGM_RSRC2:TIDIG_COMP_CNT: 0
; COMPUTE_PGM_RSRC3_GFX90A:ACCUM_OFFSET: 7
; COMPUTE_PGM_RSRC3_GFX90A:TG_SPLIT: 0
	.section	.text._ZN2at6native12_GLOBAL__N_122cunn_SoftMaxForwardRegIfffNS1_25LogSoftMaxForwardEpilogueElLi8EEEvPT1_PKT_T3_,"axG",@progbits,_ZN2at6native12_GLOBAL__N_122cunn_SoftMaxForwardRegIfffNS1_25LogSoftMaxForwardEpilogueElLi8EEEvPT1_PKT_T3_,comdat
	.globl	_ZN2at6native12_GLOBAL__N_122cunn_SoftMaxForwardRegIfffNS1_25LogSoftMaxForwardEpilogueElLi8EEEvPT1_PKT_T3_ ; -- Begin function _ZN2at6native12_GLOBAL__N_122cunn_SoftMaxForwardRegIfffNS1_25LogSoftMaxForwardEpilogueElLi8EEEvPT1_PKT_T3_
	.p2align	8
	.type	_ZN2at6native12_GLOBAL__N_122cunn_SoftMaxForwardRegIfffNS1_25LogSoftMaxForwardEpilogueElLi8EEEvPT1_PKT_T3_,@function
_ZN2at6native12_GLOBAL__N_122cunn_SoftMaxForwardRegIfffNS1_25LogSoftMaxForwardEpilogueElLi8EEEvPT1_PKT_T3_: ; @_ZN2at6native12_GLOBAL__N_122cunn_SoftMaxForwardRegIfffNS1_25LogSoftMaxForwardEpilogueElLi8EEEvPT1_PKT_T3_
; %bb.0:
	s_load_dwordx2 s[12:13], s[4:5], 0x10
	s_load_dwordx4 s[24:27], s[4:5], 0x0
	s_load_dword s2, s[4:5], 0x24
	v_mov_b32_e32 v11, 0
	v_mov_b32_e32 v1, v11
	s_waitcnt lgkmcnt(0)
	s_mul_i32 s0, s6, s13
	s_mul_hi_u32 s1, s6, s12
	s_add_i32 s1, s1, s0
	s_mul_i32 s0, s6, s12
	s_lshl_b64 s[28:29], s[0:1], 2
	s_add_u32 s14, s26, s28
	s_addc_u32 s15, s27, s29
	v_cmp_gt_i64_e32 vcc, s[12:13], v[0:1]
	v_mov_b32_e32 v18, 0xff7fffff
	v_lshlrev_b32_e32 v1, 2, v0
                                        ; implicit-def: $vgpr2_vgpr3_vgpr4_vgpr5_vgpr6_vgpr7_vgpr8_vgpr9
	s_and_saveexec_b64 s[0:1], vcc
	s_cbranch_execz .LBB66_2
; %bb.1:
	global_load_dword v2, v1, s[14:15]
	s_waitcnt vmcnt(0)
	v_max_f32_e32 v3, v2, v2
	v_max_f32_e32 v18, 0xff7fffff, v3
.LBB66_2:
	s_or_b64 exec, exec, s[0:1]
	s_and_b32 s20, 0xffff, s2
	v_add_u32_e32 v10, s20, v0
	v_cmp_gt_i64_e64 s[0:1], s[12:13], v[10:11]
	v_lshlrev_b32_e32 v12, 2, v10
	s_and_saveexec_b64 s[2:3], s[0:1]
	s_cbranch_execz .LBB66_4
; %bb.3:
	global_load_dword v3, v12, s[14:15]
	v_max_f32_e32 v13, v18, v18
	s_waitcnt vmcnt(0)
	v_max_f32_e32 v11, v3, v3
	v_max_f32_e32 v18, v13, v11
.LBB66_4:
	s_or_b64 exec, exec, s[2:3]
	v_add_u32_e32 v10, s20, v10
	v_mov_b32_e32 v11, 0
	v_cmp_gt_i64_e64 s[2:3], s[12:13], v[10:11]
	v_lshlrev_b32_e32 v13, 2, v10
	s_and_saveexec_b64 s[4:5], s[2:3]
	s_cbranch_execz .LBB66_6
; %bb.5:
	global_load_dword v4, v13, s[14:15]
	v_max_f32_e32 v15, v18, v18
	s_waitcnt vmcnt(0)
	v_max_f32_e32 v14, v4, v4
	v_max_f32_e32 v18, v15, v14
.LBB66_6:
	s_or_b64 exec, exec, s[4:5]
	v_add_u32_e32 v10, s20, v10
	v_cmp_gt_i64_e64 s[4:5], s[12:13], v[10:11]
	v_lshlrev_b32_e32 v14, 2, v10
	s_and_saveexec_b64 s[6:7], s[4:5]
	s_cbranch_execz .LBB66_8
; %bb.7:
	global_load_dword v5, v14, s[14:15]
	v_max_f32_e32 v15, v18, v18
	s_waitcnt vmcnt(0)
	v_max_f32_e32 v11, v5, v5
	v_max_f32_e32 v18, v15, v11
.LBB66_8:
	s_or_b64 exec, exec, s[6:7]
	v_add_u32_e32 v10, s20, v10
	v_mov_b32_e32 v11, 0
	v_cmp_gt_i64_e64 s[6:7], s[12:13], v[10:11]
	v_lshlrev_b32_e32 v15, 2, v10
	s_and_saveexec_b64 s[8:9], s[6:7]
	s_cbranch_execz .LBB66_10
; %bb.9:
	global_load_dword v6, v15, s[14:15]
	v_max_f32_e32 v17, v18, v18
	s_waitcnt vmcnt(0)
	v_max_f32_e32 v16, v6, v6
	v_max_f32_e32 v18, v17, v16
.LBB66_10:
	s_or_b64 exec, exec, s[8:9]
	;; [unrolled: 27-line block ×3, first 2 shown]
	v_add_u32_e32 v10, s20, v10
	v_cmp_gt_i64_e64 s[12:13], s[12:13], v[10:11]
	v_lshlrev_b32_e32 v10, 2, v10
	s_and_saveexec_b64 s[16:17], s[12:13]
	s_cbranch_execz .LBB66_16
; %bb.15:
	global_load_dword v9, v10, s[14:15]
	v_max_f32_e32 v18, v18, v18
	s_waitcnt vmcnt(0)
	v_max_f32_e32 v11, v9, v9
	v_max_f32_e32 v18, v18, v11
.LBB66_16:
	s_or_b64 exec, exec, s[16:17]
	v_mbcnt_lo_u32_b32 v11, -1, 0
	v_mbcnt_hi_u32_b32 v22, -1, v11
	v_and_b32_e32 v23, 63, v22
	v_cmp_gt_u32_e64 s[14:15], 32, v23
	v_cndmask_b32_e64 v11, 0, 1, s[14:15]
	v_lshlrev_b32_e32 v11, 5, v11
	v_add_lshl_u32 v11, v11, v22, 2
	ds_bpermute_b32 v19, v11, v18
	v_cmp_gt_u32_e64 s[14:15], 48, v23
	v_cndmask_b32_e64 v20, 0, 1, s[14:15]
	s_waitcnt lgkmcnt(0)
	s_barrier
	v_cmp_lt_f32_e64 s[14:15], v18, v19
	v_cndmask_b32_e64 v19, v18, v19, s[14:15]
	v_lshlrev_b32_e32 v18, 4, v20
	v_add_lshl_u32 v18, v18, v22, 2
	ds_bpermute_b32 v20, v18, v19
	s_waitcnt lgkmcnt(0)
	v_cmp_lt_f32_e64 s[14:15], v19, v20
	v_cndmask_b32_e64 v20, v19, v20, s[14:15]
	v_cmp_gt_u32_e64 s[14:15], 56, v23
	v_cndmask_b32_e64 v19, 0, 1, s[14:15]
	v_lshlrev_b32_e32 v19, 3, v19
	v_add_lshl_u32 v19, v19, v22, 2
	ds_bpermute_b32 v21, v19, v20
	s_waitcnt lgkmcnt(0)
	v_cmp_lt_f32_e64 s[14:15], v20, v21
	v_cndmask_b32_e64 v21, v20, v21, s[14:15]
	v_cmp_gt_u32_e64 s[14:15], 60, v23
	;; [unrolled: 8-line block ×3, first 2 shown]
	v_cndmask_b32_e64 v21, 0, 1, s[14:15]
	v_lshlrev_b32_e32 v21, 1, v21
	v_add_lshl_u32 v21, v21, v22, 2
	ds_bpermute_b32 v26, v21, v25
	v_and_b32_e32 v24, 63, v0
	s_waitcnt lgkmcnt(0)
	v_cmp_lt_f32_e64 s[14:15], v25, v26
	v_cndmask_b32_e64 v25, v25, v26, s[14:15]
	v_cmp_ne_u32_e64 s[14:15], 63, v23
	v_addc_co_u32_e64 v22, s[14:15], 0, v22, s[14:15]
	v_lshlrev_b32_e32 v22, 2, v22
	ds_bpermute_b32 v26, v22, v25
	v_cmp_eq_u32_e64 s[14:15], 0, v24
	v_lshrrev_b32_e32 v23, 4, v0
	s_and_saveexec_b64 s[16:17], s[14:15]
	s_xor_b64 s[18:19], exec, s[16:17]
	s_cbranch_execz .LBB66_18
; %bb.17:
	s_waitcnt lgkmcnt(0)
	v_cmp_lt_f32_e64 s[16:17], v25, v26
	v_add_u32_e32 v27, 0, v23
	v_cndmask_b32_e64 v25, v25, v26, s[16:17]
	ds_write_b32 v27, v25
.LBB66_18:
	s_or_b64 exec, exec, s[18:19]
	s_lshr_b32 s16, s20, 6
	v_cmp_gt_u32_e64 s[16:17], s16, v0
	v_mov_b32_e32 v25, 0xff7fffff
	v_lshl_add_u32 v24, v24, 2, 0
	s_waitcnt lgkmcnt(0)
	s_barrier
	s_and_saveexec_b64 s[18:19], s[16:17]
	s_cbranch_execnz .LBB66_37
; %bb.19:
	s_or_b64 exec, exec, s[18:19]
	v_cmp_gt_u32_e64 s[18:19], 64, v0
	s_and_saveexec_b64 s[22:23], s[18:19]
	s_cbranch_execnz .LBB66_38
.LBB66_20:
	s_or_b64 exec, exec, s[22:23]
	v_cmp_eq_u32_e64 s[20:21], 0, v0
	s_and_saveexec_b64 s[22:23], s[20:21]
	s_cbranch_execz .LBB66_22
.LBB66_21:
	v_mov_b32_e32 v0, 0
	s_waitcnt lgkmcnt(0)
	ds_write_b32 v0, v25
.LBB66_22:
	s_or_b64 exec, exec, s[22:23]
	s_waitcnt lgkmcnt(0)
	v_mov_b32_e32 v25, 0
	s_barrier
	ds_read_b32 v26, v25
	s_mov_b32 s26, 0x3fb8aa3b
	s_mov_b32 s27, 0xc2ce8ed0
	;; [unrolled: 1-line block ×3, first 2 shown]
	s_waitcnt lgkmcnt(0)
	v_sub_f32_e32 v0, v2, v26
	v_mul_f32_e32 v2, 0x3fb8aa3b, v0
	v_fma_f32 v27, v0, s26, -v2
	v_rndne_f32_e32 v28, v2
	v_fmac_f32_e32 v27, 0x32a5705f, v0
	v_sub_f32_e32 v2, v2, v28
	v_add_f32_e32 v2, v2, v27
	v_cvt_i32_f32_e32 v27, v28
	v_exp_f32_e32 v2, v2
	v_cmp_ngt_f32_e64 s[22:23], s27, v0
	v_mov_b32_e32 v28, 0x7f800000
	s_barrier
	v_ldexp_f32 v2, v2, v27
	v_cndmask_b32_e64 v27, 0, v2, s[22:23]
	v_sub_f32_e32 v2, v3, v26
	v_mul_f32_e32 v3, 0x3fb8aa3b, v2
	v_fma_f32 v29, v2, s26, -v3
	v_rndne_f32_e32 v30, v3
	v_fmac_f32_e32 v29, 0x32a5705f, v2
	v_sub_f32_e32 v3, v3, v30
	v_add_f32_e32 v3, v3, v29
	v_exp_f32_e32 v3, v3
	v_cvt_i32_f32_e32 v29, v30
	v_cmp_nlt_f32_e64 s[22:23], s30, v0
	v_cndmask_b32_e64 v27, v28, v27, s[22:23]
	v_cmp_ngt_f32_e64 s[22:23], s27, v2
	v_ldexp_f32 v3, v3, v29
	v_cndmask_b32_e64 v29, 0, v3, s[22:23]
	v_sub_f32_e32 v3, v4, v26
	v_mul_f32_e32 v4, 0x3fb8aa3b, v3
	v_fma_f32 v30, v3, s26, -v4
	v_rndne_f32_e32 v31, v4
	v_fmac_f32_e32 v30, 0x32a5705f, v3
	v_sub_f32_e32 v4, v4, v31
	v_add_f32_e32 v4, v4, v30
	v_exp_f32_e32 v4, v4
	v_cvt_i32_f32_e32 v30, v31
	v_cmp_nlt_f32_e64 s[22:23], s30, v2
	v_cndmask_b32_e32 v27, 0, v27, vcc
	v_cndmask_b32_e64 v29, v28, v29, s[22:23]
	v_add_f32_e32 v29, v27, v29
	v_ldexp_f32 v4, v4, v30
	v_cmp_ngt_f32_e64 s[22:23], s27, v3
	v_cndmask_b32_e64 v27, v27, v29, s[0:1]
	v_cndmask_b32_e64 v29, 0, v4, s[22:23]
	v_sub_f32_e32 v4, v5, v26
	v_mul_f32_e32 v5, 0x3fb8aa3b, v4
	v_fma_f32 v30, v4, s26, -v5
	v_rndne_f32_e32 v31, v5
	v_fmac_f32_e32 v30, 0x32a5705f, v4
	v_sub_f32_e32 v5, v5, v31
	v_add_f32_e32 v5, v5, v30
	v_exp_f32_e32 v5, v5
	v_cvt_i32_f32_e32 v30, v31
	v_cmp_nlt_f32_e64 s[22:23], s30, v3
	v_cndmask_b32_e64 v29, v28, v29, s[22:23]
	v_add_f32_e32 v29, v27, v29
	v_ldexp_f32 v5, v5, v30
	v_cmp_ngt_f32_e64 s[22:23], s27, v4
	v_cndmask_b32_e64 v27, v27, v29, s[2:3]
	v_cndmask_b32_e64 v29, 0, v5, s[22:23]
	v_sub_f32_e32 v5, v6, v26
	v_mul_f32_e32 v6, 0x3fb8aa3b, v5
	v_fma_f32 v30, v5, s26, -v6
	v_rndne_f32_e32 v31, v6
	v_fmac_f32_e32 v30, 0x32a5705f, v5
	v_sub_f32_e32 v6, v6, v31
	v_add_f32_e32 v6, v6, v30
	v_exp_f32_e32 v6, v6
	v_cvt_i32_f32_e32 v30, v31
	v_cmp_nlt_f32_e64 s[22:23], s30, v4
	;; [unrolled: 16-line block ×5, first 2 shown]
	v_cndmask_b32_e64 v29, v28, v29, s[22:23]
	v_cmp_ngt_f32_e64 s[22:23], s27, v8
	v_ldexp_f32 v9, v9, v26
	v_add_f32_e32 v29, v27, v29
	v_cndmask_b32_e64 v9, 0, v9, s[22:23]
	v_cmp_nlt_f32_e64 s[22:23], s30, v8
	v_cndmask_b32_e64 v27, v27, v29, s[10:11]
	v_cndmask_b32_e64 v9, v28, v9, s[22:23]
	v_add_f32_e32 v9, v27, v9
	v_cndmask_b32_e64 v9, v27, v9, s[12:13]
	ds_bpermute_b32 v26, v11, v9
	s_waitcnt lgkmcnt(0)
	v_add_f32_e32 v9, v9, v26
	ds_bpermute_b32 v26, v18, v9
	s_waitcnt lgkmcnt(0)
	v_add_f32_e32 v9, v9, v26
	;; [unrolled: 3-line block ×5, first 2 shown]
	ds_bpermute_b32 v26, v22, v9
	s_and_saveexec_b64 s[22:23], s[14:15]
	s_cbranch_execz .LBB66_24
; %bb.23:
	v_add_u32_e32 v23, 0, v23
	s_waitcnt lgkmcnt(0)
	v_add_f32_e32 v9, v9, v26
	ds_write_b32 v23, v9
.LBB66_24:
	s_or_b64 exec, exec, s[22:23]
	s_waitcnt lgkmcnt(0)
	s_barrier
	s_and_saveexec_b64 s[14:15], s[16:17]
	s_cbranch_execnz .LBB66_39
; %bb.25:
	s_or_b64 exec, exec, s[14:15]
	s_and_saveexec_b64 s[14:15], s[18:19]
	s_cbranch_execnz .LBB66_40
.LBB66_26:
	s_or_b64 exec, exec, s[14:15]
	s_and_saveexec_b64 s[14:15], s[20:21]
	s_cbranch_execz .LBB66_28
.LBB66_27:
	v_mov_b32_e32 v9, 0
	s_waitcnt lgkmcnt(0)
	ds_write_b32 v9, v25
.LBB66_28:
	s_or_b64 exec, exec, s[14:15]
	v_mov_b32_e32 v9, 0
	s_waitcnt lgkmcnt(0)
	s_barrier
	ds_read_b32 v9, v9
	s_mov_b32 s14, 0x800000
	v_mov_b32_e32 v11, 0x4f800000
	s_mov_b32 s16, 0x3f317217
	s_add_u32 s18, s24, s28
	s_waitcnt lgkmcnt(0)
	v_cmp_gt_f32_e64 s[14:15], s14, v9
	v_cndmask_b32_e64 v11, 1.0, v11, s[14:15]
	v_mul_f32_e32 v9, v9, v11
	v_log_f32_e32 v9, v9
	s_addc_u32 s19, s25, s29
	v_mul_f32_e32 v11, 0x3f317217, v9
	v_fma_f32 v18, v9, s16, -v11
	v_fmac_f32_e32 v18, 0x3377d1cf, v9
	s_mov_b32 s16, 0x7f800000
	v_add_f32_e32 v11, v11, v18
	v_cmp_lt_f32_e64 s[16:17], |v9|, s16
	v_cndmask_b32_e64 v9, v9, v11, s[16:17]
	v_mov_b32_e32 v11, 0x41b17218
	v_cndmask_b32_e64 v11, 0, v11, s[14:15]
	v_sub_f32_e32 v9, v9, v11
	s_and_saveexec_b64 s[14:15], vcc
	s_cbranch_execnz .LBB66_41
; %bb.29:
	s_or_b64 exec, exec, s[14:15]
	s_and_saveexec_b64 s[14:15], s[0:1]
	s_cbranch_execnz .LBB66_42
.LBB66_30:
	s_or_b64 exec, exec, s[14:15]
	s_and_saveexec_b64 s[0:1], s[2:3]
	s_cbranch_execnz .LBB66_43
.LBB66_31:
	s_or_b64 exec, exec, s[0:1]
	s_and_saveexec_b64 s[0:1], s[4:5]
	s_cbranch_execnz .LBB66_44
.LBB66_32:
	s_or_b64 exec, exec, s[0:1]
	s_and_saveexec_b64 s[0:1], s[6:7]
	s_cbranch_execnz .LBB66_45
.LBB66_33:
	s_or_b64 exec, exec, s[0:1]
	s_and_saveexec_b64 s[0:1], s[8:9]
	s_cbranch_execnz .LBB66_46
.LBB66_34:
	s_or_b64 exec, exec, s[0:1]
	s_and_saveexec_b64 s[0:1], s[10:11]
	s_cbranch_execnz .LBB66_47
.LBB66_35:
	s_or_b64 exec, exec, s[0:1]
	s_and_saveexec_b64 s[0:1], s[12:13]
	s_cbranch_execnz .LBB66_48
.LBB66_36:
	s_endpgm
.LBB66_37:
	ds_read_b32 v25, v24
	s_or_b64 exec, exec, s[18:19]
	v_cmp_gt_u32_e64 s[18:19], 64, v0
	s_and_saveexec_b64 s[22:23], s[18:19]
	s_cbranch_execz .LBB66_20
.LBB66_38:
	s_waitcnt lgkmcnt(0)
	ds_bpermute_b32 v26, v11, v25
	s_waitcnt lgkmcnt(0)
	v_cmp_lt_f32_e64 s[20:21], v25, v26
	v_cndmask_b32_e64 v25, v25, v26, s[20:21]
	ds_bpermute_b32 v26, v18, v25
	s_waitcnt lgkmcnt(0)
	v_cmp_lt_f32_e64 s[20:21], v25, v26
	v_cndmask_b32_e64 v25, v25, v26, s[20:21]
	;; [unrolled: 4-line block ×6, first 2 shown]
	s_or_b64 exec, exec, s[22:23]
	v_cmp_eq_u32_e64 s[20:21], 0, v0
	s_and_saveexec_b64 s[22:23], s[20:21]
	s_cbranch_execnz .LBB66_21
	s_branch .LBB66_22
.LBB66_39:
	ds_read_b32 v25, v24
	s_or_b64 exec, exec, s[14:15]
	s_and_saveexec_b64 s[14:15], s[18:19]
	s_cbranch_execz .LBB66_26
.LBB66_40:
	s_waitcnt lgkmcnt(0)
	ds_bpermute_b32 v9, v11, v25
	s_waitcnt lgkmcnt(0)
	v_add_f32_e32 v9, v25, v9
	ds_bpermute_b32 v11, v18, v9
	s_waitcnt lgkmcnt(0)
	v_add_f32_e32 v9, v9, v11
	;; [unrolled: 3-line block ×6, first 2 shown]
	s_or_b64 exec, exec, s[14:15]
	s_and_saveexec_b64 s[14:15], s[20:21]
	s_cbranch_execnz .LBB66_27
	s_branch .LBB66_28
.LBB66_41:
	v_sub_f32_e32 v0, v0, v9
	global_store_dword v1, v0, s[18:19]
	s_or_b64 exec, exec, s[14:15]
	s_and_saveexec_b64 s[14:15], s[0:1]
	s_cbranch_execz .LBB66_30
.LBB66_42:
	v_sub_f32_e32 v0, v2, v9
	global_store_dword v12, v0, s[18:19]
	s_or_b64 exec, exec, s[14:15]
	s_and_saveexec_b64 s[0:1], s[2:3]
	s_cbranch_execz .LBB66_31
.LBB66_43:
	v_sub_f32_e32 v0, v3, v9
	global_store_dword v13, v0, s[18:19]
	s_or_b64 exec, exec, s[0:1]
	s_and_saveexec_b64 s[0:1], s[4:5]
	s_cbranch_execz .LBB66_32
.LBB66_44:
	v_sub_f32_e32 v0, v4, v9
	global_store_dword v14, v0, s[18:19]
	s_or_b64 exec, exec, s[0:1]
	s_and_saveexec_b64 s[0:1], s[6:7]
	s_cbranch_execz .LBB66_33
.LBB66_45:
	v_sub_f32_e32 v0, v5, v9
	global_store_dword v15, v0, s[18:19]
	s_or_b64 exec, exec, s[0:1]
	s_and_saveexec_b64 s[0:1], s[8:9]
	s_cbranch_execz .LBB66_34
.LBB66_46:
	v_sub_f32_e32 v0, v6, v9
	global_store_dword v16, v0, s[18:19]
	s_or_b64 exec, exec, s[0:1]
	s_and_saveexec_b64 s[0:1], s[10:11]
	s_cbranch_execz .LBB66_35
.LBB66_47:
	v_sub_f32_e32 v0, v7, v9
	global_store_dword v17, v0, s[18:19]
	s_or_b64 exec, exec, s[0:1]
	s_and_saveexec_b64 s[0:1], s[12:13]
	s_cbranch_execz .LBB66_36
.LBB66_48:
	v_sub_f32_e32 v0, v8, v9
	global_store_dword v10, v0, s[18:19]
	s_endpgm
	.section	.rodata,"a",@progbits
	.p2align	6, 0x0
	.amdhsa_kernel _ZN2at6native12_GLOBAL__N_122cunn_SoftMaxForwardRegIfffNS1_25LogSoftMaxForwardEpilogueElLi8EEEvPT1_PKT_T3_
		.amdhsa_group_segment_fixed_size 0
		.amdhsa_private_segment_fixed_size 0
		.amdhsa_kernarg_size 280
		.amdhsa_user_sgpr_count 6
		.amdhsa_user_sgpr_private_segment_buffer 1
		.amdhsa_user_sgpr_dispatch_ptr 0
		.amdhsa_user_sgpr_queue_ptr 0
		.amdhsa_user_sgpr_kernarg_segment_ptr 1
		.amdhsa_user_sgpr_dispatch_id 0
		.amdhsa_user_sgpr_flat_scratch_init 0
		.amdhsa_user_sgpr_kernarg_preload_length 0
		.amdhsa_user_sgpr_kernarg_preload_offset 0
		.amdhsa_user_sgpr_private_segment_size 0
		.amdhsa_uses_dynamic_stack 0
		.amdhsa_system_sgpr_private_segment_wavefront_offset 0
		.amdhsa_system_sgpr_workgroup_id_x 1
		.amdhsa_system_sgpr_workgroup_id_y 0
		.amdhsa_system_sgpr_workgroup_id_z 0
		.amdhsa_system_sgpr_workgroup_info 0
		.amdhsa_system_vgpr_workitem_id 0
		.amdhsa_next_free_vgpr 32
		.amdhsa_next_free_sgpr 31
		.amdhsa_accum_offset 32
		.amdhsa_reserve_vcc 1
		.amdhsa_reserve_flat_scratch 0
		.amdhsa_float_round_mode_32 0
		.amdhsa_float_round_mode_16_64 0
		.amdhsa_float_denorm_mode_32 3
		.amdhsa_float_denorm_mode_16_64 3
		.amdhsa_dx10_clamp 1
		.amdhsa_ieee_mode 1
		.amdhsa_fp16_overflow 0
		.amdhsa_tg_split 0
		.amdhsa_exception_fp_ieee_invalid_op 0
		.amdhsa_exception_fp_denorm_src 0
		.amdhsa_exception_fp_ieee_div_zero 0
		.amdhsa_exception_fp_ieee_overflow 0
		.amdhsa_exception_fp_ieee_underflow 0
		.amdhsa_exception_fp_ieee_inexact 0
		.amdhsa_exception_int_div_zero 0
	.end_amdhsa_kernel
	.section	.text._ZN2at6native12_GLOBAL__N_122cunn_SoftMaxForwardRegIfffNS1_25LogSoftMaxForwardEpilogueElLi8EEEvPT1_PKT_T3_,"axG",@progbits,_ZN2at6native12_GLOBAL__N_122cunn_SoftMaxForwardRegIfffNS1_25LogSoftMaxForwardEpilogueElLi8EEEvPT1_PKT_T3_,comdat
.Lfunc_end66:
	.size	_ZN2at6native12_GLOBAL__N_122cunn_SoftMaxForwardRegIfffNS1_25LogSoftMaxForwardEpilogueElLi8EEEvPT1_PKT_T3_, .Lfunc_end66-_ZN2at6native12_GLOBAL__N_122cunn_SoftMaxForwardRegIfffNS1_25LogSoftMaxForwardEpilogueElLi8EEEvPT1_PKT_T3_
                                        ; -- End function
	.section	.AMDGPU.csdata,"",@progbits
; Kernel info:
; codeLenInByte = 2824
; NumSgprs: 35
; NumVgprs: 32
; NumAgprs: 0
; TotalNumVgprs: 32
; ScratchSize: 0
; MemoryBound: 0
; FloatMode: 240
; IeeeMode: 1
; LDSByteSize: 0 bytes/workgroup (compile time only)
; SGPRBlocks: 4
; VGPRBlocks: 3
; NumSGPRsForWavesPerEU: 35
; NumVGPRsForWavesPerEU: 32
; AccumOffset: 32
; Occupancy: 8
; WaveLimiterHint : 0
; COMPUTE_PGM_RSRC2:SCRATCH_EN: 0
; COMPUTE_PGM_RSRC2:USER_SGPR: 6
; COMPUTE_PGM_RSRC2:TRAP_HANDLER: 0
; COMPUTE_PGM_RSRC2:TGID_X_EN: 1
; COMPUTE_PGM_RSRC2:TGID_Y_EN: 0
; COMPUTE_PGM_RSRC2:TGID_Z_EN: 0
; COMPUTE_PGM_RSRC2:TIDIG_COMP_CNT: 0
; COMPUTE_PGM_RSRC3_GFX90A:ACCUM_OFFSET: 7
; COMPUTE_PGM_RSRC3_GFX90A:TG_SPLIT: 0
	.section	.text._ZN2at6native12_GLOBAL__N_122cunn_SoftMaxForwardRegIfffNS1_25LogSoftMaxForwardEpilogueElLi9EEEvPT1_PKT_T3_,"axG",@progbits,_ZN2at6native12_GLOBAL__N_122cunn_SoftMaxForwardRegIfffNS1_25LogSoftMaxForwardEpilogueElLi9EEEvPT1_PKT_T3_,comdat
	.globl	_ZN2at6native12_GLOBAL__N_122cunn_SoftMaxForwardRegIfffNS1_25LogSoftMaxForwardEpilogueElLi9EEEvPT1_PKT_T3_ ; -- Begin function _ZN2at6native12_GLOBAL__N_122cunn_SoftMaxForwardRegIfffNS1_25LogSoftMaxForwardEpilogueElLi9EEEvPT1_PKT_T3_
	.p2align	8
	.type	_ZN2at6native12_GLOBAL__N_122cunn_SoftMaxForwardRegIfffNS1_25LogSoftMaxForwardEpilogueElLi9EEEvPT1_PKT_T3_,@function
_ZN2at6native12_GLOBAL__N_122cunn_SoftMaxForwardRegIfffNS1_25LogSoftMaxForwardEpilogueElLi9EEEvPT1_PKT_T3_: ; @_ZN2at6native12_GLOBAL__N_122cunn_SoftMaxForwardRegIfffNS1_25LogSoftMaxForwardEpilogueElLi9EEEvPT1_PKT_T3_
; %bb.0:
	s_load_dwordx2 s[14:15], s[4:5], 0x10
	s_load_dwordx4 s[28:31], s[4:5], 0x0
	s_load_dword s2, s[4:5], 0x24
	v_mov_b32_e32 v13, 0
	v_mov_b32_e32 v1, v13
	s_waitcnt lgkmcnt(0)
	s_mul_i32 s0, s6, s15
	s_mul_hi_u32 s1, s6, s14
	s_add_i32 s1, s1, s0
	s_mul_i32 s0, s6, s14
	s_lshl_b64 s[26:27], s[0:1], 2
	s_add_u32 s16, s30, s26
	s_addc_u32 s17, s31, s27
	v_cmp_gt_i64_e32 vcc, s[14:15], v[0:1]
	v_mov_b32_e32 v20, 0xff7fffff
	v_lshlrev_b32_e32 v1, 2, v0
                                        ; implicit-def: $vgpr2_vgpr3_vgpr4_vgpr5_vgpr6_vgpr7_vgpr8_vgpr9_vgpr10
	s_and_saveexec_b64 s[0:1], vcc
	s_cbranch_execz .LBB67_2
; %bb.1:
	global_load_dword v2, v1, s[16:17]
	s_waitcnt vmcnt(0)
	v_max_f32_e32 v3, v2, v2
	v_max_f32_e32 v20, 0xff7fffff, v3
.LBB67_2:
	s_or_b64 exec, exec, s[0:1]
	s_and_b32 s22, 0xffff, s2
	v_add_u32_e32 v12, s22, v0
	v_cmp_gt_i64_e64 s[0:1], s[14:15], v[12:13]
	v_lshlrev_b32_e32 v11, 2, v12
	s_and_saveexec_b64 s[2:3], s[0:1]
	s_cbranch_execz .LBB67_4
; %bb.3:
	global_load_dword v3, v11, s[16:17]
	v_max_f32_e32 v14, v20, v20
	s_waitcnt vmcnt(0)
	v_max_f32_e32 v13, v3, v3
	v_max_f32_e32 v20, v14, v13
.LBB67_4:
	s_or_b64 exec, exec, s[2:3]
	v_add_u32_e32 v12, s22, v12
	v_mov_b32_e32 v13, 0
	v_cmp_gt_i64_e64 s[2:3], s[14:15], v[12:13]
	v_lshlrev_b32_e32 v14, 2, v12
	s_and_saveexec_b64 s[4:5], s[2:3]
	s_cbranch_execz .LBB67_6
; %bb.5:
	global_load_dword v4, v14, s[16:17]
	v_max_f32_e32 v16, v20, v20
	s_waitcnt vmcnt(0)
	v_max_f32_e32 v15, v4, v4
	v_max_f32_e32 v20, v16, v15
.LBB67_6:
	s_or_b64 exec, exec, s[4:5]
	v_add_u32_e32 v12, s22, v12
	v_cmp_gt_i64_e64 s[4:5], s[14:15], v[12:13]
	v_lshlrev_b32_e32 v15, 2, v12
	s_and_saveexec_b64 s[6:7], s[4:5]
	s_cbranch_execz .LBB67_8
; %bb.7:
	global_load_dword v5, v15, s[16:17]
	v_max_f32_e32 v16, v20, v20
	s_waitcnt vmcnt(0)
	v_max_f32_e32 v13, v5, v5
	v_max_f32_e32 v20, v16, v13
.LBB67_8:
	s_or_b64 exec, exec, s[6:7]
	v_add_u32_e32 v12, s22, v12
	v_mov_b32_e32 v13, 0
	v_cmp_gt_i64_e64 s[6:7], s[14:15], v[12:13]
	v_lshlrev_b32_e32 v16, 2, v12
	s_and_saveexec_b64 s[8:9], s[6:7]
	s_cbranch_execz .LBB67_10
; %bb.9:
	global_load_dword v6, v16, s[16:17]
	v_max_f32_e32 v18, v20, v20
	s_waitcnt vmcnt(0)
	v_max_f32_e32 v17, v6, v6
	v_max_f32_e32 v20, v18, v17
.LBB67_10:
	s_or_b64 exec, exec, s[8:9]
	;; [unrolled: 27-line block ×4, first 2 shown]
	v_mbcnt_lo_u32_b32 v19, -1, 0
	v_mbcnt_hi_u32_b32 v24, -1, v19
	v_and_b32_e32 v25, 63, v24
	v_cmp_gt_u32_e64 s[16:17], 32, v25
	v_cndmask_b32_e64 v19, 0, 1, s[16:17]
	v_lshlrev_b32_e32 v19, 5, v19
	v_add_lshl_u32 v19, v19, v24, 2
	ds_bpermute_b32 v21, v19, v20
	v_cmp_gt_u32_e64 s[16:17], 48, v25
	v_cndmask_b32_e64 v22, 0, 1, s[16:17]
	s_waitcnt lgkmcnt(0)
	s_barrier
	v_cmp_lt_f32_e64 s[16:17], v20, v21
	v_cndmask_b32_e64 v21, v20, v21, s[16:17]
	v_lshlrev_b32_e32 v20, 4, v22
	v_add_lshl_u32 v20, v20, v24, 2
	ds_bpermute_b32 v22, v20, v21
	s_waitcnt lgkmcnt(0)
	v_cmp_lt_f32_e64 s[16:17], v21, v22
	v_cndmask_b32_e64 v22, v21, v22, s[16:17]
	v_cmp_gt_u32_e64 s[16:17], 56, v25
	v_cndmask_b32_e64 v21, 0, 1, s[16:17]
	v_lshlrev_b32_e32 v21, 3, v21
	v_add_lshl_u32 v21, v21, v24, 2
	ds_bpermute_b32 v23, v21, v22
	s_waitcnt lgkmcnt(0)
	v_cmp_lt_f32_e64 s[16:17], v22, v23
	v_cndmask_b32_e64 v23, v22, v23, s[16:17]
	v_cmp_gt_u32_e64 s[16:17], 60, v25
	;; [unrolled: 8-line block ×3, first 2 shown]
	v_cndmask_b32_e64 v23, 0, 1, s[16:17]
	v_lshlrev_b32_e32 v23, 1, v23
	v_add_lshl_u32 v23, v23, v24, 2
	ds_bpermute_b32 v28, v23, v27
	v_and_b32_e32 v26, 63, v0
	s_waitcnt lgkmcnt(0)
	v_cmp_lt_f32_e64 s[16:17], v27, v28
	v_cndmask_b32_e64 v27, v27, v28, s[16:17]
	v_cmp_ne_u32_e64 s[16:17], 63, v25
	v_addc_co_u32_e64 v24, s[16:17], 0, v24, s[16:17]
	v_lshlrev_b32_e32 v24, 2, v24
	ds_bpermute_b32 v28, v24, v27
	v_cmp_eq_u32_e64 s[16:17], 0, v26
	v_lshrrev_b32_e32 v25, 4, v0
	s_and_saveexec_b64 s[18:19], s[16:17]
	s_xor_b64 s[20:21], exec, s[18:19]
	s_cbranch_execz .LBB67_20
; %bb.19:
	s_waitcnt lgkmcnt(0)
	v_cmp_lt_f32_e64 s[18:19], v27, v28
	v_add_u32_e32 v29, 0, v25
	v_cndmask_b32_e64 v27, v27, v28, s[18:19]
	ds_write_b32 v29, v27
.LBB67_20:
	s_or_b64 exec, exec, s[20:21]
	s_lshr_b32 s18, s22, 6
	v_cmp_gt_u32_e64 s[18:19], s18, v0
	v_mov_b32_e32 v27, 0xff7fffff
	v_lshl_add_u32 v26, v26, 2, 0
	s_waitcnt lgkmcnt(0)
	s_barrier
	s_and_saveexec_b64 s[20:21], s[18:19]
	s_cbranch_execnz .LBB67_40
; %bb.21:
	s_or_b64 exec, exec, s[20:21]
	v_cmp_gt_u32_e64 s[20:21], 64, v0
	s_and_saveexec_b64 s[24:25], s[20:21]
	s_cbranch_execnz .LBB67_41
.LBB67_22:
	s_or_b64 exec, exec, s[24:25]
	v_cmp_eq_u32_e64 s[22:23], 0, v0
	s_and_saveexec_b64 s[24:25], s[22:23]
	s_cbranch_execz .LBB67_24
.LBB67_23:
	v_mov_b32_e32 v0, 0
	s_waitcnt lgkmcnt(0)
	ds_write_b32 v0, v27
.LBB67_24:
	s_or_b64 exec, exec, s[24:25]
	s_waitcnt lgkmcnt(0)
	v_mov_b32_e32 v27, 0
	s_barrier
	ds_read_b32 v28, v27
	s_mov_b32 s30, 0x3fb8aa3b
	s_mov_b32 s31, 0xc2ce8ed0
	;; [unrolled: 1-line block ×3, first 2 shown]
	s_waitcnt lgkmcnt(0)
	v_sub_f32_e32 v0, v2, v28
	v_mul_f32_e32 v2, 0x3fb8aa3b, v0
	v_fma_f32 v29, v0, s30, -v2
	v_rndne_f32_e32 v30, v2
	v_fmac_f32_e32 v29, 0x32a5705f, v0
	v_sub_f32_e32 v2, v2, v30
	v_add_f32_e32 v2, v2, v29
	v_cvt_i32_f32_e32 v29, v30
	v_exp_f32_e32 v2, v2
	v_cmp_ngt_f32_e64 s[24:25], s31, v0
	v_mov_b32_e32 v30, 0x7f800000
	s_barrier
	v_ldexp_f32 v2, v2, v29
	v_cndmask_b32_e64 v29, 0, v2, s[24:25]
	v_sub_f32_e32 v2, v3, v28
	v_mul_f32_e32 v3, 0x3fb8aa3b, v2
	v_fma_f32 v31, v2, s30, -v3
	v_rndne_f32_e32 v32, v3
	v_fmac_f32_e32 v31, 0x32a5705f, v2
	v_sub_f32_e32 v3, v3, v32
	v_add_f32_e32 v3, v3, v31
	v_exp_f32_e32 v3, v3
	v_cvt_i32_f32_e32 v31, v32
	v_cmp_nlt_f32_e64 s[24:25], s33, v0
	v_cndmask_b32_e64 v29, v30, v29, s[24:25]
	v_cmp_ngt_f32_e64 s[24:25], s31, v2
	v_ldexp_f32 v3, v3, v31
	v_cndmask_b32_e64 v31, 0, v3, s[24:25]
	v_sub_f32_e32 v3, v4, v28
	v_mul_f32_e32 v4, 0x3fb8aa3b, v3
	v_fma_f32 v32, v3, s30, -v4
	v_rndne_f32_e32 v33, v4
	v_fmac_f32_e32 v32, 0x32a5705f, v3
	v_sub_f32_e32 v4, v4, v33
	v_add_f32_e32 v4, v4, v32
	v_exp_f32_e32 v4, v4
	v_cvt_i32_f32_e32 v32, v33
	v_cmp_nlt_f32_e64 s[24:25], s33, v2
	v_cndmask_b32_e32 v29, 0, v29, vcc
	v_cndmask_b32_e64 v31, v30, v31, s[24:25]
	v_add_f32_e32 v31, v29, v31
	v_ldexp_f32 v4, v4, v32
	v_cmp_ngt_f32_e64 s[24:25], s31, v3
	v_cndmask_b32_e64 v29, v29, v31, s[0:1]
	v_cndmask_b32_e64 v31, 0, v4, s[24:25]
	v_sub_f32_e32 v4, v5, v28
	v_mul_f32_e32 v5, 0x3fb8aa3b, v4
	v_fma_f32 v32, v4, s30, -v5
	v_rndne_f32_e32 v33, v5
	v_fmac_f32_e32 v32, 0x32a5705f, v4
	v_sub_f32_e32 v5, v5, v33
	v_add_f32_e32 v5, v5, v32
	v_exp_f32_e32 v5, v5
	v_cvt_i32_f32_e32 v32, v33
	v_cmp_nlt_f32_e64 s[24:25], s33, v3
	v_cndmask_b32_e64 v31, v30, v31, s[24:25]
	v_add_f32_e32 v31, v29, v31
	v_ldexp_f32 v5, v5, v32
	v_cmp_ngt_f32_e64 s[24:25], s31, v4
	v_cndmask_b32_e64 v29, v29, v31, s[2:3]
	v_cndmask_b32_e64 v31, 0, v5, s[24:25]
	v_sub_f32_e32 v5, v6, v28
	v_mul_f32_e32 v6, 0x3fb8aa3b, v5
	v_fma_f32 v32, v5, s30, -v6
	v_rndne_f32_e32 v33, v6
	v_fmac_f32_e32 v32, 0x32a5705f, v5
	v_sub_f32_e32 v6, v6, v33
	v_add_f32_e32 v6, v6, v32
	v_exp_f32_e32 v6, v6
	v_cvt_i32_f32_e32 v32, v33
	v_cmp_nlt_f32_e64 s[24:25], s33, v4
	;; [unrolled: 16-line block ×6, first 2 shown]
	v_cndmask_b32_e64 v31, v30, v31, s[24:25]
	v_cmp_ngt_f32_e64 s[24:25], s31, v9
	v_ldexp_f32 v10, v10, v28
	v_add_f32_e32 v31, v29, v31
	v_cndmask_b32_e64 v10, 0, v10, s[24:25]
	v_cmp_nlt_f32_e64 s[24:25], s33, v9
	v_cndmask_b32_e64 v29, v29, v31, s[12:13]
	v_cndmask_b32_e64 v10, v30, v10, s[24:25]
	v_add_f32_e32 v10, v29, v10
	v_cndmask_b32_e64 v10, v29, v10, s[14:15]
	ds_bpermute_b32 v28, v19, v10
	s_waitcnt lgkmcnt(0)
	v_add_f32_e32 v10, v10, v28
	ds_bpermute_b32 v28, v20, v10
	s_waitcnt lgkmcnt(0)
	v_add_f32_e32 v10, v10, v28
	ds_bpermute_b32 v28, v21, v10
	s_waitcnt lgkmcnt(0)
	v_add_f32_e32 v10, v10, v28
	ds_bpermute_b32 v28, v22, v10
	s_waitcnt lgkmcnt(0)
	v_add_f32_e32 v10, v10, v28
	ds_bpermute_b32 v28, v23, v10
	s_waitcnt lgkmcnt(0)
	v_add_f32_e32 v10, v10, v28
	ds_bpermute_b32 v28, v24, v10
	s_and_saveexec_b64 s[24:25], s[16:17]
	s_cbranch_execz .LBB67_26
; %bb.25:
	v_add_u32_e32 v25, 0, v25
	s_waitcnt lgkmcnt(0)
	v_add_f32_e32 v10, v10, v28
	ds_write_b32 v25, v10
.LBB67_26:
	s_or_b64 exec, exec, s[24:25]
	s_waitcnt lgkmcnt(0)
	s_barrier
	s_and_saveexec_b64 s[16:17], s[18:19]
	s_cbranch_execnz .LBB67_42
; %bb.27:
	s_or_b64 exec, exec, s[16:17]
	s_and_saveexec_b64 s[16:17], s[20:21]
	s_cbranch_execnz .LBB67_43
.LBB67_28:
	s_or_b64 exec, exec, s[16:17]
	s_and_saveexec_b64 s[16:17], s[22:23]
	s_cbranch_execz .LBB67_30
.LBB67_29:
	v_mov_b32_e32 v10, 0
	s_waitcnt lgkmcnt(0)
	ds_write_b32 v10, v27
.LBB67_30:
	s_or_b64 exec, exec, s[16:17]
	v_mov_b32_e32 v10, 0
	s_waitcnt lgkmcnt(0)
	s_barrier
	ds_read_b32 v10, v10
	s_mov_b32 s16, 0x800000
	v_mov_b32_e32 v19, 0x4f800000
	s_mov_b32 s18, 0x3f317217
	s_add_u32 s20, s28, s26
	s_waitcnt lgkmcnt(0)
	v_cmp_gt_f32_e64 s[16:17], s16, v10
	v_cndmask_b32_e64 v19, 1.0, v19, s[16:17]
	v_mul_f32_e32 v10, v10, v19
	v_log_f32_e32 v10, v10
	s_addc_u32 s21, s29, s27
	v_mul_f32_e32 v19, 0x3f317217, v10
	v_fma_f32 v20, v10, s18, -v19
	v_fmac_f32_e32 v20, 0x3377d1cf, v10
	s_mov_b32 s18, 0x7f800000
	v_add_f32_e32 v19, v19, v20
	v_cmp_lt_f32_e64 s[18:19], |v10|, s18
	v_cndmask_b32_e64 v10, v10, v19, s[18:19]
	v_mov_b32_e32 v19, 0x41b17218
	v_cndmask_b32_e64 v19, 0, v19, s[16:17]
	v_sub_f32_e32 v10, v10, v19
	s_and_saveexec_b64 s[16:17], vcc
	s_cbranch_execnz .LBB67_44
; %bb.31:
	s_or_b64 exec, exec, s[16:17]
	s_and_saveexec_b64 s[16:17], s[0:1]
	s_cbranch_execnz .LBB67_45
.LBB67_32:
	s_or_b64 exec, exec, s[16:17]
	s_and_saveexec_b64 s[0:1], s[2:3]
	s_cbranch_execnz .LBB67_46
.LBB67_33:
	s_or_b64 exec, exec, s[0:1]
	s_and_saveexec_b64 s[0:1], s[4:5]
	s_cbranch_execnz .LBB67_47
.LBB67_34:
	s_or_b64 exec, exec, s[0:1]
	s_and_saveexec_b64 s[0:1], s[6:7]
	s_cbranch_execnz .LBB67_48
.LBB67_35:
	s_or_b64 exec, exec, s[0:1]
	s_and_saveexec_b64 s[0:1], s[8:9]
	s_cbranch_execnz .LBB67_49
.LBB67_36:
	s_or_b64 exec, exec, s[0:1]
	s_and_saveexec_b64 s[0:1], s[10:11]
	s_cbranch_execnz .LBB67_50
.LBB67_37:
	s_or_b64 exec, exec, s[0:1]
	s_and_saveexec_b64 s[0:1], s[12:13]
	s_cbranch_execnz .LBB67_51
.LBB67_38:
	s_or_b64 exec, exec, s[0:1]
	s_and_saveexec_b64 s[0:1], s[14:15]
	s_cbranch_execnz .LBB67_52
.LBB67_39:
	s_endpgm
.LBB67_40:
	ds_read_b32 v27, v26
	s_or_b64 exec, exec, s[20:21]
	v_cmp_gt_u32_e64 s[20:21], 64, v0
	s_and_saveexec_b64 s[24:25], s[20:21]
	s_cbranch_execz .LBB67_22
.LBB67_41:
	s_waitcnt lgkmcnt(0)
	ds_bpermute_b32 v28, v19, v27
	s_waitcnt lgkmcnt(0)
	v_cmp_lt_f32_e64 s[22:23], v27, v28
	v_cndmask_b32_e64 v27, v27, v28, s[22:23]
	ds_bpermute_b32 v28, v20, v27
	s_waitcnt lgkmcnt(0)
	v_cmp_lt_f32_e64 s[22:23], v27, v28
	v_cndmask_b32_e64 v27, v27, v28, s[22:23]
	;; [unrolled: 4-line block ×6, first 2 shown]
	s_or_b64 exec, exec, s[24:25]
	v_cmp_eq_u32_e64 s[22:23], 0, v0
	s_and_saveexec_b64 s[24:25], s[22:23]
	s_cbranch_execnz .LBB67_23
	s_branch .LBB67_24
.LBB67_42:
	ds_read_b32 v27, v26
	s_or_b64 exec, exec, s[16:17]
	s_and_saveexec_b64 s[16:17], s[20:21]
	s_cbranch_execz .LBB67_28
.LBB67_43:
	s_waitcnt lgkmcnt(0)
	ds_bpermute_b32 v10, v19, v27
	s_waitcnt lgkmcnt(0)
	v_add_f32_e32 v10, v27, v10
	ds_bpermute_b32 v19, v20, v10
	s_waitcnt lgkmcnt(0)
	v_add_f32_e32 v10, v10, v19
	ds_bpermute_b32 v19, v21, v10
	s_waitcnt lgkmcnt(0)
	v_add_f32_e32 v10, v10, v19
	ds_bpermute_b32 v19, v22, v10
	s_waitcnt lgkmcnt(0)
	v_add_f32_e32 v10, v10, v19
	ds_bpermute_b32 v19, v23, v10
	s_waitcnt lgkmcnt(0)
	v_add_f32_e32 v10, v10, v19
	ds_bpermute_b32 v19, v24, v10
	s_waitcnt lgkmcnt(0)
	v_add_f32_e32 v27, v10, v19
	s_or_b64 exec, exec, s[16:17]
	s_and_saveexec_b64 s[16:17], s[22:23]
	s_cbranch_execnz .LBB67_29
	s_branch .LBB67_30
.LBB67_44:
	v_sub_f32_e32 v0, v0, v10
	global_store_dword v1, v0, s[20:21]
	s_or_b64 exec, exec, s[16:17]
	s_and_saveexec_b64 s[16:17], s[0:1]
	s_cbranch_execz .LBB67_32
.LBB67_45:
	v_sub_f32_e32 v0, v2, v10
	global_store_dword v11, v0, s[20:21]
	s_or_b64 exec, exec, s[16:17]
	s_and_saveexec_b64 s[0:1], s[2:3]
	s_cbranch_execz .LBB67_33
.LBB67_46:
	v_sub_f32_e32 v0, v3, v10
	global_store_dword v14, v0, s[20:21]
	s_or_b64 exec, exec, s[0:1]
	s_and_saveexec_b64 s[0:1], s[4:5]
	s_cbranch_execz .LBB67_34
.LBB67_47:
	v_sub_f32_e32 v0, v4, v10
	global_store_dword v15, v0, s[20:21]
	s_or_b64 exec, exec, s[0:1]
	s_and_saveexec_b64 s[0:1], s[6:7]
	s_cbranch_execz .LBB67_35
.LBB67_48:
	v_sub_f32_e32 v0, v5, v10
	global_store_dword v16, v0, s[20:21]
	s_or_b64 exec, exec, s[0:1]
	s_and_saveexec_b64 s[0:1], s[8:9]
	s_cbranch_execz .LBB67_36
.LBB67_49:
	v_sub_f32_e32 v0, v6, v10
	global_store_dword v17, v0, s[20:21]
	s_or_b64 exec, exec, s[0:1]
	s_and_saveexec_b64 s[0:1], s[10:11]
	s_cbranch_execz .LBB67_37
.LBB67_50:
	v_sub_f32_e32 v0, v7, v10
	global_store_dword v18, v0, s[20:21]
	s_or_b64 exec, exec, s[0:1]
	s_and_saveexec_b64 s[0:1], s[12:13]
	s_cbranch_execz .LBB67_38
.LBB67_51:
	v_sub_f32_e32 v0, v8, v10
	global_store_dword v13, v0, s[20:21]
	s_or_b64 exec, exec, s[0:1]
	s_and_saveexec_b64 s[0:1], s[14:15]
	s_cbranch_execz .LBB67_39
.LBB67_52:
	v_sub_f32_e32 v0, v9, v10
	global_store_dword v12, v0, s[20:21]
	s_endpgm
	.section	.rodata,"a",@progbits
	.p2align	6, 0x0
	.amdhsa_kernel _ZN2at6native12_GLOBAL__N_122cunn_SoftMaxForwardRegIfffNS1_25LogSoftMaxForwardEpilogueElLi9EEEvPT1_PKT_T3_
		.amdhsa_group_segment_fixed_size 0
		.amdhsa_private_segment_fixed_size 0
		.amdhsa_kernarg_size 280
		.amdhsa_user_sgpr_count 6
		.amdhsa_user_sgpr_private_segment_buffer 1
		.amdhsa_user_sgpr_dispatch_ptr 0
		.amdhsa_user_sgpr_queue_ptr 0
		.amdhsa_user_sgpr_kernarg_segment_ptr 1
		.amdhsa_user_sgpr_dispatch_id 0
		.amdhsa_user_sgpr_flat_scratch_init 0
		.amdhsa_user_sgpr_kernarg_preload_length 0
		.amdhsa_user_sgpr_kernarg_preload_offset 0
		.amdhsa_user_sgpr_private_segment_size 0
		.amdhsa_uses_dynamic_stack 0
		.amdhsa_system_sgpr_private_segment_wavefront_offset 0
		.amdhsa_system_sgpr_workgroup_id_x 1
		.amdhsa_system_sgpr_workgroup_id_y 0
		.amdhsa_system_sgpr_workgroup_id_z 0
		.amdhsa_system_sgpr_workgroup_info 0
		.amdhsa_system_vgpr_workitem_id 0
		.amdhsa_next_free_vgpr 34
		.amdhsa_next_free_sgpr 34
		.amdhsa_accum_offset 36
		.amdhsa_reserve_vcc 1
		.amdhsa_reserve_flat_scratch 0
		.amdhsa_float_round_mode_32 0
		.amdhsa_float_round_mode_16_64 0
		.amdhsa_float_denorm_mode_32 3
		.amdhsa_float_denorm_mode_16_64 3
		.amdhsa_dx10_clamp 1
		.amdhsa_ieee_mode 1
		.amdhsa_fp16_overflow 0
		.amdhsa_tg_split 0
		.amdhsa_exception_fp_ieee_invalid_op 0
		.amdhsa_exception_fp_denorm_src 0
		.amdhsa_exception_fp_ieee_div_zero 0
		.amdhsa_exception_fp_ieee_overflow 0
		.amdhsa_exception_fp_ieee_underflow 0
		.amdhsa_exception_fp_ieee_inexact 0
		.amdhsa_exception_int_div_zero 0
	.end_amdhsa_kernel
	.section	.text._ZN2at6native12_GLOBAL__N_122cunn_SoftMaxForwardRegIfffNS1_25LogSoftMaxForwardEpilogueElLi9EEEvPT1_PKT_T3_,"axG",@progbits,_ZN2at6native12_GLOBAL__N_122cunn_SoftMaxForwardRegIfffNS1_25LogSoftMaxForwardEpilogueElLi9EEEvPT1_PKT_T3_,comdat
.Lfunc_end67:
	.size	_ZN2at6native12_GLOBAL__N_122cunn_SoftMaxForwardRegIfffNS1_25LogSoftMaxForwardEpilogueElLi9EEEvPT1_PKT_T3_, .Lfunc_end67-_ZN2at6native12_GLOBAL__N_122cunn_SoftMaxForwardRegIfffNS1_25LogSoftMaxForwardEpilogueElLi9EEEvPT1_PKT_T3_
                                        ; -- End function
	.section	.AMDGPU.csdata,"",@progbits
; Kernel info:
; codeLenInByte = 3016
; NumSgprs: 38
; NumVgprs: 34
; NumAgprs: 0
; TotalNumVgprs: 34
; ScratchSize: 0
; MemoryBound: 0
; FloatMode: 240
; IeeeMode: 1
; LDSByteSize: 0 bytes/workgroup (compile time only)
; SGPRBlocks: 4
; VGPRBlocks: 4
; NumSGPRsForWavesPerEU: 38
; NumVGPRsForWavesPerEU: 34
; AccumOffset: 36
; Occupancy: 8
; WaveLimiterHint : 0
; COMPUTE_PGM_RSRC2:SCRATCH_EN: 0
; COMPUTE_PGM_RSRC2:USER_SGPR: 6
; COMPUTE_PGM_RSRC2:TRAP_HANDLER: 0
; COMPUTE_PGM_RSRC2:TGID_X_EN: 1
; COMPUTE_PGM_RSRC2:TGID_Y_EN: 0
; COMPUTE_PGM_RSRC2:TGID_Z_EN: 0
; COMPUTE_PGM_RSRC2:TIDIG_COMP_CNT: 0
; COMPUTE_PGM_RSRC3_GFX90A:ACCUM_OFFSET: 8
; COMPUTE_PGM_RSRC3_GFX90A:TG_SPLIT: 0
	.section	.text._ZN2at6native12_GLOBAL__N_123cunn_SoftMaxForwardSmemILi4EfffNS1_25LogSoftMaxForwardEpilogueElEEvPT2_PKT0_T4_,"axG",@progbits,_ZN2at6native12_GLOBAL__N_123cunn_SoftMaxForwardSmemILi4EfffNS1_25LogSoftMaxForwardEpilogueElEEvPT2_PKT0_T4_,comdat
	.globl	_ZN2at6native12_GLOBAL__N_123cunn_SoftMaxForwardSmemILi4EfffNS1_25LogSoftMaxForwardEpilogueElEEvPT2_PKT0_T4_ ; -- Begin function _ZN2at6native12_GLOBAL__N_123cunn_SoftMaxForwardSmemILi4EfffNS1_25LogSoftMaxForwardEpilogueElEEvPT2_PKT0_T4_
	.p2align	8
	.type	_ZN2at6native12_GLOBAL__N_123cunn_SoftMaxForwardSmemILi4EfffNS1_25LogSoftMaxForwardEpilogueElEEvPT2_PKT0_T4_,@function
_ZN2at6native12_GLOBAL__N_123cunn_SoftMaxForwardSmemILi4EfffNS1_25LogSoftMaxForwardEpilogueElEEvPT2_PKT0_T4_: ; @_ZN2at6native12_GLOBAL__N_123cunn_SoftMaxForwardSmemILi4EfffNS1_25LogSoftMaxForwardEpilogueElEEvPT2_PKT0_T4_
; %bb.0:
	s_load_dwordx4 s[16:19], s[4:5], 0x0
	s_load_dwordx2 s[20:21], s[4:5], 0x10
	v_mov_b32_e32 v1, 0
	v_lshlrev_b32_e32 v2, 2, v0
	v_mov_b32_e32 v3, v1
	s_mov_b32 s9, 0
	s_waitcnt lgkmcnt(0)
	v_cmp_gt_i64_e32 vcc, s[20:21], v[2:3]
	v_mov_b32_e32 v6, 0xff7fffff
	s_mul_i32 s27, s21, s6
	s_mul_hi_u32 s28, s20, s6
	s_mul_i32 s22, s20, s6
	s_and_saveexec_b64 s[2:3], vcc
	s_cbranch_execz .LBB68_4
; %bb.1:
	s_load_dword s6, s[4:5], 0x24
	s_add_i32 s23, s28, s27
	s_lshl_b64 s[0:1], s[22:23], 2
	v_lshlrev_b32_e32 v4, 4, v0
	v_add_u32_e32 v7, 0, v4
	s_waitcnt lgkmcnt(0)
	s_and_b32 s8, s6, 0xffff
	s_add_u32 s0, s18, s0
	s_addc_u32 s1, s19, s1
	v_mov_b32_e32 v2, s1
	v_add_co_u32_e64 v3, s[0:1], s0, v4
	v_addc_co_u32_e64 v5, s[0:1], 0, v2, s[0:1]
	v_add_co_u32_e64 v2, s[0:1], 8, v3
	v_addc_co_u32_e64 v3, s[0:1], 0, v5, s[0:1]
	s_lshl_b32 s10, s8, 4
	s_mov_b64 s[6:7], 0
	v_mov_b32_e32 v6, 0xff7fffff
	v_mov_b32_e32 v8, s9
	;; [unrolled: 1-line block ×3, first 2 shown]
	v_pk_mov_b32 v[4:5], v[0:1], v[0:1] op_sel:[0,1]
.LBB68_2:                               ; =>This Inner Loop Header: Depth=1
	global_load_dwordx4 v[10:13], v[2:3], off offset:-8
	v_add_co_u32_e64 v4, s[0:1], s8, v4
	v_addc_co_u32_e64 v5, s[0:1], v5, v8, s[0:1]
	v_add_co_u32_e64 v2, s[0:1], s10, v2
	v_addc_co_u32_e64 v3, s[0:1], v3, v9, s[0:1]
	v_lshlrev_b64 v[14:15], 2, v[4:5]
	v_cmp_le_i64_e64 s[0:1], s[20:21], v[14:15]
	s_or_b64 s[6:7], s[0:1], s[6:7]
	s_waitcnt vmcnt(0)
	v_max3_f32 v6, v6, v10, v11
	ds_write_b128 v7, v[10:13]
	v_add_u32_e32 v7, s10, v7
	v_max3_f32 v6, v6, v12, v13
	s_andn2_b64 exec, exec, s[6:7]
	s_cbranch_execnz .LBB68_2
; %bb.3:
	s_or_b64 exec, exec, s[6:7]
.LBB68_4:
	s_or_b64 exec, exec, s[2:3]
	v_mbcnt_lo_u32_b32 v2, -1, 0
	v_mbcnt_hi_u32_b32 v10, -1, v2
	v_and_b32_e32 v11, 63, v10
	v_cmp_gt_u32_e64 s[0:1], 32, v11
	v_cndmask_b32_e64 v2, 0, 1, s[0:1]
	v_lshlrev_b32_e32 v2, 5, v2
	v_add_lshl_u32 v4, v2, v10, 2
	ds_bpermute_b32 v2, v4, v6
	v_cmp_gt_u32_e64 s[0:1], 48, v11
	v_cndmask_b32_e64 v3, 0, 1, s[0:1]
	v_lshlrev_b32_e32 v3, 4, v3
	v_add_lshl_u32 v5, v3, v10, 2
	s_waitcnt lgkmcnt(0)
	v_cmp_lt_f32_e64 s[0:1], v6, v2
	v_cndmask_b32_e64 v2, v6, v2, s[0:1]
	ds_bpermute_b32 v3, v5, v2
	s_waitcnt lgkmcnt(0)
	s_barrier
	v_cmp_lt_f32_e64 s[0:1], v2, v3
	v_cndmask_b32_e64 v2, v2, v3, s[0:1]
	v_cmp_gt_u32_e64 s[0:1], 56, v11
	v_cndmask_b32_e64 v3, 0, 1, s[0:1]
	v_lshlrev_b32_e32 v3, 3, v3
	v_add_lshl_u32 v7, v3, v10, 2
	ds_bpermute_b32 v3, v7, v2
	s_waitcnt lgkmcnt(0)
	v_cmp_lt_f32_e64 s[0:1], v2, v3
	v_cndmask_b32_e64 v2, v2, v3, s[0:1]
	v_cmp_gt_u32_e64 s[0:1], 60, v11
	v_cndmask_b32_e64 v3, 0, 1, s[0:1]
	v_lshlrev_b32_e32 v3, 2, v3
	v_add_lshl_u32 v8, v3, v10, 2
	ds_bpermute_b32 v3, v8, v2
	s_waitcnt lgkmcnt(0)
	v_cmp_lt_f32_e64 s[0:1], v2, v3
	v_cndmask_b32_e64 v2, v2, v3, s[0:1]
	v_cmp_gt_u32_e64 s[0:1], 62, v11
	v_cndmask_b32_e64 v3, 0, 1, s[0:1]
	v_lshlrev_b32_e32 v3, 1, v3
	v_add_lshl_u32 v9, v3, v10, 2
	ds_bpermute_b32 v6, v9, v2
	s_lshl_b32 s0, s20, 2
	s_add_i32 s23, s0, 0
	v_and_b32_e32 v3, 63, v0
	s_waitcnt lgkmcnt(0)
	v_cmp_lt_f32_e64 s[0:1], v2, v6
	v_cndmask_b32_e64 v2, v2, v6, s[0:1]
	v_cmp_ne_u32_e64 s[0:1], 63, v11
	v_addc_co_u32_e64 v6, s[0:1], 0, v10, s[0:1]
	v_lshlrev_b32_e32 v10, 2, v6
	ds_bpermute_b32 v6, v10, v2
	v_cmp_eq_u32_e64 s[0:1], 0, v3
	v_lshrrev_b32_e32 v11, 4, v0
	s_and_saveexec_b64 s[6:7], s[0:1]
	s_cbranch_execz .LBB68_6
; %bb.5:
	s_waitcnt lgkmcnt(0)
	v_cmp_lt_f32_e64 s[2:3], v2, v6
	v_add_u32_e32 v12, s23, v11
	v_cndmask_b32_e64 v2, v2, v6, s[2:3]
	ds_write_b32 v12, v2
.LBB68_6:
	s_or_b64 exec, exec, s[6:7]
	s_waitcnt lgkmcnt(0)
	s_barrier
	s_load_dword s10, s[4:5], 0x24
	v_mov_b32_e32 v2, 0xff7fffff
	v_lshl_add_u32 v12, v3, 2, s23
	s_waitcnt lgkmcnt(0)
	s_bfe_u32 s2, s10, 0xa0006
	v_cmp_gt_u32_e64 s[2:3], s2, v0
	s_and_saveexec_b64 s[4:5], s[2:3]
	s_cbranch_execnz .LBB68_35
; %bb.7:
	s_or_b64 exec, exec, s[4:5]
	v_cmp_gt_u32_e64 s[4:5], 64, v0
	s_and_saveexec_b64 s[8:9], s[4:5]
	s_cbranch_execnz .LBB68_36
.LBB68_8:
	s_or_b64 exec, exec, s[8:9]
	v_cmp_eq_u32_e64 s[6:7], 0, v0
	s_and_saveexec_b64 s[8:9], s[6:7]
	s_cbranch_execz .LBB68_10
.LBB68_9:
	v_mov_b32_e32 v3, s23
	s_waitcnt lgkmcnt(0)
	ds_write_b32 v3, v2
.LBB68_10:
	s_or_b64 exec, exec, s[8:9]
	s_waitcnt lgkmcnt(0)
	v_mov_b32_e32 v2, s23
	s_barrier
	ds_read_b32 v6, v2
	s_and_b32 s26, s10, 0xffff
	v_mov_b32_e32 v13, 0
	s_and_saveexec_b64 s[18:19], vcc
	s_cbranch_execz .LBB68_14
; %bb.11:
	s_mov_b32 s8, 0
	v_lshl_add_u32 v14, v0, 4, 0
	s_lshl_b32 s29, s26, 4
	s_mov_b64 s[24:25], 0
	v_mov_b32_e32 v13, 0
	s_mov_b32 s30, 0x3fb8aa3b
	s_mov_b32 s31, 0xc2ce8ed0
	s_mov_b32 s33, 0x42b17218
	v_mov_b32_e32 v15, 0x7f800000
	v_mov_b32_e32 v16, s8
	v_pk_mov_b32 v[2:3], v[0:1], v[0:1] op_sel:[0,1]
.LBB68_12:                              ; =>This Inner Loop Header: Depth=1
	ds_read_b128 v[18:21], v14
	v_add_co_u32_e64 v2, s[8:9], s26, v2
	v_addc_co_u32_e64 v3, s[8:9], v3, v16, s[8:9]
	s_waitcnt lgkmcnt(0)
	v_sub_f32_e32 v17, v18, v6
	v_lshlrev_b64 v[22:23], 2, v[2:3]
	v_sub_f32_e32 v18, v19, v6
	v_sub_f32_e32 v19, v20, v6
	;; [unrolled: 1-line block ×3, first 2 shown]
	v_mul_f32_e32 v21, 0x3fb8aa3b, v17
	v_cmp_le_i64_e64 s[8:9], s[20:21], v[22:23]
	v_mul_f32_e32 v22, 0x3fb8aa3b, v18
	v_fma_f32 v25, v17, s30, -v21
	v_rndne_f32_e32 v26, v21
	v_mul_f32_e32 v23, 0x3fb8aa3b, v19
	v_mul_f32_e32 v24, 0x3fb8aa3b, v20
	v_fma_f32 v27, v18, s30, -v22
	v_rndne_f32_e32 v28, v22
	v_fmac_f32_e32 v25, 0x32a5705f, v17
	v_sub_f32_e32 v21, v21, v26
	v_fma_f32 v29, v19, s30, -v23
	v_rndne_f32_e32 v30, v23
	v_fma_f32 v31, v20, s30, -v24
	v_rndne_f32_e32 v32, v24
	v_fmac_f32_e32 v27, 0x32a5705f, v18
	v_sub_f32_e32 v22, v22, v28
	v_add_f32_e32 v21, v21, v25
	v_cvt_i32_f32_e32 v26, v26
	v_fmac_f32_e32 v29, 0x32a5705f, v19
	v_sub_f32_e32 v23, v23, v30
	v_fmac_f32_e32 v31, 0x32a5705f, v20
	v_sub_f32_e32 v24, v24, v32
	v_add_f32_e32 v22, v22, v27
	v_exp_f32_e32 v21, v21
	v_cvt_i32_f32_e32 v28, v28
	v_add_f32_e32 v23, v23, v29
	v_add_f32_e32 v24, v24, v31
	v_exp_f32_e32 v22, v22
	v_cvt_i32_f32_e32 v30, v30
	v_cvt_i32_f32_e32 v32, v32
	v_exp_f32_e32 v23, v23
	v_exp_f32_e32 v24, v24
	v_ldexp_f32 v21, v21, v26
	v_cmp_ngt_f32_e64 s[14:15], s31, v17
	s_or_b64 s[24:25], s[8:9], s[24:25]
	v_ldexp_f32 v22, v22, v28
	v_cmp_ngt_f32_e64 s[8:9], s31, v18
	v_cndmask_b32_e64 v21, 0, v21, s[14:15]
	v_cmp_nlt_f32_e64 s[14:15], s33, v17
	v_ldexp_f32 v23, v23, v30
	v_cmp_ngt_f32_e64 s[10:11], s31, v19
	v_ldexp_f32 v24, v24, v32
	v_cmp_ngt_f32_e64 s[12:13], s31, v20
	v_cndmask_b32_e64 v22, 0, v22, s[8:9]
	v_cmp_nlt_f32_e64 s[8:9], s33, v18
	v_cndmask_b32_e64 v17, v15, v21, s[14:15]
	v_cndmask_b32_e64 v18, 0, v23, s[10:11]
	v_cmp_nlt_f32_e64 s[10:11], s33, v19
	v_cndmask_b32_e64 v19, 0, v24, s[12:13]
	v_cmp_nlt_f32_e64 s[12:13], s33, v20
	v_cndmask_b32_e64 v20, v15, v22, s[8:9]
	v_add_f32_e32 v13, v13, v17
	v_cndmask_b32_e64 v18, v15, v18, s[10:11]
	v_add_f32_e32 v13, v13, v20
	;; [unrolled: 2-line block ×3, first 2 shown]
	v_add_u32_e32 v14, s29, v14
	v_add_f32_e32 v13, v13, v19
	s_andn2_b64 exec, exec, s[24:25]
	s_cbranch_execnz .LBB68_12
; %bb.13:
	s_or_b64 exec, exec, s[24:25]
.LBB68_14:
	s_or_b64 exec, exec, s[18:19]
	ds_bpermute_b32 v2, v4, v13
	s_waitcnt lgkmcnt(0)
	s_barrier
	v_add_f32_e32 v2, v13, v2
	ds_bpermute_b32 v3, v5, v2
	s_waitcnt lgkmcnt(0)
	v_add_f32_e32 v2, v2, v3
	ds_bpermute_b32 v3, v7, v2
	s_waitcnt lgkmcnt(0)
	v_add_f32_e32 v2, v2, v3
	ds_bpermute_b32 v3, v8, v2
	s_waitcnt lgkmcnt(0)
	v_add_f32_e32 v2, v2, v3
	ds_bpermute_b32 v3, v9, v2
	s_waitcnt lgkmcnt(0)
	v_add_f32_e32 v2, v2, v3
	ds_bpermute_b32 v3, v10, v2
	s_and_saveexec_b64 s[8:9], s[0:1]
	s_cbranch_execz .LBB68_16
; %bb.15:
	v_add_u32_e32 v11, s23, v11
	s_waitcnt lgkmcnt(0)
	v_add_f32_e32 v2, v2, v3
	ds_write_b32 v11, v2
.LBB68_16:
	s_or_b64 exec, exec, s[8:9]
	v_mov_b32_e32 v2, 0
	s_waitcnt lgkmcnt(0)
	s_barrier
	s_and_saveexec_b64 s[0:1], s[2:3]
	s_cbranch_execnz .LBB68_37
; %bb.17:
	s_or_b64 exec, exec, s[0:1]
	s_and_saveexec_b64 s[0:1], s[4:5]
	s_cbranch_execnz .LBB68_38
.LBB68_18:
	s_or_b64 exec, exec, s[0:1]
	s_and_saveexec_b64 s[0:1], s[6:7]
	s_cbranch_execz .LBB68_20
.LBB68_19:
	v_mov_b32_e32 v3, s23
	s_waitcnt lgkmcnt(0)
	ds_write_b32 v3, v2
.LBB68_20:
	s_or_b64 exec, exec, s[0:1]
	s_waitcnt lgkmcnt(0)
	s_barrier
	s_and_saveexec_b64 s[0:1], vcc
	s_cbranch_execz .LBB68_34
; %bb.21:
	v_mov_b32_e32 v2, s23
	v_add_lshl_u32 v8, v0, s26, 2
	v_mov_b32_e32 v9, 0
	ds_read_b32 v3, v2
	v_mov_b32_e32 v2, s21
	v_cmp_gt_i64_e32 vcc, s[20:21], v[8:9]
	v_cndmask_b32_e32 v4, 0, v2, vcc
	v_mov_b32_e32 v2, s20
	v_cndmask_b32_e32 v5, v8, v2, vcc
	v_cndmask_b32_e64 v2, 0, 1, vcc
	v_or_b32_e32 v7, v8, v2
	v_sub_co_u32_e32 v7, vcc, v5, v7
	v_subbrev_co_u32_e32 v5, vcc, 0, v4, vcc
	v_mov_b32_e32 v4, v9
	s_lshl_b32 s4, s26, 2
	v_cmp_ne_u64_e32 vcc, 0, v[4:5]
                                        ; implicit-def: $vgpr10_vgpr11
	s_and_saveexec_b64 s[0:1], vcc
	s_xor_b64 s[2:3], exec, s[0:1]
	s_cbranch_execz .LBB68_23
; %bb.22:
	v_cvt_f32_u32_e32 v4, s4
	v_mov_b32_e32 v8, 0x4f800000
	s_sub_u32 s0, 0, s4
	s_subb_u32 s1, 0, 0
	v_mac_f32_e32 v4, 0, v8
	v_rcp_f32_e32 v4, v4
	v_mul_f32_e32 v4, 0x5f7ffffc, v4
	v_mul_f32_e32 v8, 0x2f800000, v4
	v_trunc_f32_e32 v8, v8
	v_madmk_f32 v4, v8, 0xcf800000, v4
	v_cvt_u32_f32_e32 v8, v8
	v_cvt_u32_f32_e32 v4, v4
	v_mul_lo_u32 v9, s0, v8
	v_mul_hi_u32 v11, s0, v4
	v_mul_lo_u32 v10, s1, v4
	v_add_u32_e32 v9, v11, v9
	v_mul_lo_u32 v12, s0, v4
	v_add_u32_e32 v9, v9, v10
	v_mul_hi_u32 v11, v4, v12
	v_mul_lo_u32 v13, v4, v9
	v_mul_hi_u32 v10, v4, v9
	v_add_co_u32_e32 v11, vcc, v11, v13
	v_addc_co_u32_e32 v10, vcc, 0, v10, vcc
	v_mul_hi_u32 v14, v8, v12
	v_mul_lo_u32 v12, v8, v12
	v_add_co_u32_e32 v11, vcc, v11, v12
	v_mul_hi_u32 v13, v8, v9
	v_addc_co_u32_e32 v10, vcc, v10, v14, vcc
	v_addc_co_u32_e32 v11, vcc, 0, v13, vcc
	v_mul_lo_u32 v9, v8, v9
	v_add_co_u32_e32 v9, vcc, v10, v9
	v_addc_co_u32_e32 v10, vcc, 0, v11, vcc
	v_add_co_u32_e32 v4, vcc, v4, v9
	v_addc_co_u32_e32 v8, vcc, v8, v10, vcc
	v_mul_lo_u32 v9, s0, v8
	v_mul_hi_u32 v10, s0, v4
	v_add_u32_e32 v9, v10, v9
	v_mul_lo_u32 v10, s1, v4
	v_add_u32_e32 v9, v9, v10
	v_mul_lo_u32 v11, s0, v4
	v_mul_hi_u32 v12, v8, v11
	v_mul_lo_u32 v13, v8, v11
	v_mul_lo_u32 v15, v4, v9
	v_mul_hi_u32 v11, v4, v11
	v_mul_hi_u32 v14, v4, v9
	v_add_co_u32_e32 v11, vcc, v11, v15
	v_addc_co_u32_e32 v14, vcc, 0, v14, vcc
	v_add_co_u32_e32 v11, vcc, v11, v13
	v_mul_hi_u32 v10, v8, v9
	v_addc_co_u32_e32 v11, vcc, v14, v12, vcc
	v_addc_co_u32_e32 v10, vcc, 0, v10, vcc
	v_mul_lo_u32 v9, v8, v9
	v_add_co_u32_e32 v9, vcc, v11, v9
	v_addc_co_u32_e32 v10, vcc, 0, v10, vcc
	v_add_co_u32_e32 v4, vcc, v4, v9
	v_addc_co_u32_e32 v10, vcc, v8, v10, vcc
	v_mad_u64_u32 v[8:9], s[0:1], v7, v10, 0
	v_mul_hi_u32 v11, v7, v4
	v_add_co_u32_e32 v12, vcc, v11, v8
	v_addc_co_u32_e32 v13, vcc, 0, v9, vcc
	v_mad_u64_u32 v[8:9], s[0:1], v5, v10, 0
	v_mad_u64_u32 v[10:11], s[0:1], v5, v4, 0
	v_add_co_u32_e32 v4, vcc, v12, v10
	v_addc_co_u32_e32 v4, vcc, v13, v11, vcc
	v_addc_co_u32_e32 v9, vcc, 0, v9, vcc
	v_add_co_u32_e32 v12, vcc, v4, v8
	v_addc_co_u32_e32 v13, vcc, 0, v9, vcc
	v_mad_u64_u32 v[8:9], s[0:1], s4, v12, 0
	v_mov_b32_e32 v4, v9
	v_mad_u64_u32 v[10:11], s[0:1], s4, v13, v[4:5]
	v_sub_co_u32_e32 v4, vcc, v7, v8
	v_subb_co_u32_e32 v5, vcc, v5, v10, vcc
	v_subrev_co_u32_e32 v7, vcc, s4, v4
	v_subbrev_co_u32_e32 v8, vcc, 0, v5, vcc
	v_cmp_le_u32_e32 vcc, s4, v7
	v_cndmask_b32_e64 v7, 0, -1, vcc
	v_cmp_eq_u32_e32 vcc, 0, v8
	v_cndmask_b32_e32 v7, -1, v7, vcc
	v_add_co_u32_e32 v8, vcc, 2, v12
	v_addc_co_u32_e32 v9, vcc, 0, v13, vcc
	v_add_co_u32_e32 v10, vcc, 1, v12
	v_cmp_le_u32_e64 s[0:1], s4, v4
	v_addc_co_u32_e32 v11, vcc, 0, v13, vcc
	v_cndmask_b32_e64 v4, 0, -1, s[0:1]
	v_cmp_eq_u32_e64 s[0:1], 0, v5
	v_cmp_ne_u32_e32 vcc, 0, v7
	v_cndmask_b32_e64 v4, -1, v4, s[0:1]
	v_cndmask_b32_e32 v7, v11, v9, vcc
	v_cmp_ne_u32_e64 s[0:1], 0, v4
	v_cndmask_b32_e32 v4, v10, v8, vcc
	v_cndmask_b32_e64 v11, v13, v7, s[0:1]
	v_cndmask_b32_e64 v10, v12, v4, s[0:1]
                                        ; implicit-def: $vgpr7
.LBB68_23:
	s_andn2_saveexec_b64 s[0:1], s[2:3]
	s_cbranch_execz .LBB68_25
; %bb.24:
	v_cvt_f32_u32_e32 v4, s4
	s_sub_i32 s2, 0, s4
	v_mov_b32_e32 v11, 0
	v_rcp_iflag_f32_e32 v4, v4
	v_mul_f32_e32 v4, 0x4f7ffffe, v4
	v_cvt_u32_f32_e32 v4, v4
	v_mul_lo_u32 v5, s2, v4
	v_mul_hi_u32 v5, v4, v5
	v_add_u32_e32 v4, v4, v5
	v_mul_hi_u32 v4, v7, v4
	v_mul_lo_u32 v5, v4, s4
	v_sub_u32_e32 v5, v7, v5
	v_add_u32_e32 v8, 1, v4
	v_subrev_u32_e32 v7, s4, v5
	v_cmp_le_u32_e32 vcc, s4, v5
	v_cndmask_b32_e32 v5, v5, v7, vcc
	v_cndmask_b32_e32 v4, v4, v8, vcc
	v_add_u32_e32 v7, 1, v4
	v_cmp_le_u32_e32 vcc, s4, v5
	v_cndmask_b32_e32 v10, v4, v7, vcc
.LBB68_25:
	s_or_b64 exec, exec, s[0:1]
	s_mov_b32 s0, 0x800000
	v_mov_b32_e32 v4, 0x4f800000
	s_waitcnt lgkmcnt(0)
	v_cmp_gt_f32_e32 vcc, s0, v3
	v_cndmask_b32_e32 v4, 1.0, v4, vcc
	v_mul_f32_e32 v3, v3, v4
	v_log_f32_e32 v3, v3
	s_mov_b32 s0, 0x3f317217
	s_cmp_lg_u32 s26, 1
	s_mov_b32 s5, 0
	v_mul_f32_e32 v4, 0x3f317217, v3
	v_fma_f32 v5, v3, s0, -v4
	v_fmac_f32_e32 v5, 0x3377d1cf, v3
	s_mov_b32 s0, 0x7f800000
	v_add_f32_e32 v4, v4, v5
	v_cmp_lt_f32_e64 s[0:1], |v3|, s0
	v_cndmask_b32_e64 v3, v3, v4, s[0:1]
	v_mov_b32_e32 v4, 0x41b17218
	v_cndmask_b32_e32 v4, 0, v4, vcc
	v_add_co_u32_e32 v2, vcc, v10, v2
	v_sub_f32_e32 v8, v3, v4
	v_addc_co_u32_e32 v3, vcc, 0, v11, vcc
	v_add_co_u32_e32 v10, vcc, 1, v2
	v_addc_co_u32_e32 v11, vcc, 0, v3, vcc
	v_cmp_gt_u64_e32 vcc, 2, v[10:11]
	s_cselect_b64 s[0:1], -1, 0
	s_or_b64 s[2:3], vcc, s[0:1]
	s_mov_b64 s[0:1], 0
	v_mov_b32_e32 v13, v11
                                        ; kill: def $vgpr2_vgpr3 killed $sgpr0_sgpr1 killed $exec
                                        ; implicit-def: $sgpr6_sgpr7
	s_and_saveexec_b64 s[8:9], s[2:3]
	s_xor_b64 s[2:3], exec, s[8:9]
; %bb.26:
	s_add_i32 s23, s28, s27
	s_mov_b64 s[0:1], exec
	s_lshl_b64 s[6:7], s[22:23], 2
	s_lshl_b32 s4, s26, 4
                                        ; implicit-def: $vgpr10_vgpr11
                                        ; implicit-def: $vgpr13
; %bb.27:
	s_or_saveexec_b64 s[2:3], s[2:3]
	v_pk_mov_b32 v[4:5], s[6:7], s[6:7] op_sel:[0,1]
	v_pk_mov_b32 v[2:3], s[4:5], s[4:5] op_sel:[0,1]
	s_xor_b64 exec, exec, s[2:3]
	s_cbranch_execz .LBB68_31
; %bb.28:
	v_add_co_u32_e32 v2, vcc, s26, v0
	v_addc_co_u32_e64 v3, s[4:5], 0, 0, vcc
	s_add_i32 s23, s28, s27
	s_lshl_b32 s4, s26, 4
	s_lshl_b64 s[6:7], s[22:23], 2
	s_add_u32 s8, s16, s6
	v_lshlrev_b32_e32 v4, 4, v0
	s_addc_u32 s9, s17, s7
	v_mov_b32_e32 v5, s9
	v_add_co_u32_e32 v14, vcc, s8, v4
	v_and_b32_e32 v12, -2, v10
	s_mov_b32 s5, 0
	v_addc_co_u32_e32 v15, vcc, 0, v5, vcc
	v_pk_mov_b32 v[4:5], v[2:3], v[2:3] op_sel:[0,1]
	v_mov_b32_e32 v7, v6
	v_mov_b32_e32 v9, v8
	s_lshl_b32 s10, s26, 5
	s_mov_b64 s[8:9], 0
	v_mov_b32_e32 v18, s5
	v_mov_b32_e32 v19, s5
	v_pk_mov_b32 v[16:17], v[12:13], v[12:13] op_sel:[0,1]
	v_pk_mov_b32 v[2:3], v[0:1], v[0:1] op_sel:[0,1]
.LBB68_29:                              ; =>This Inner Loop Header: Depth=1
	v_lshl_add_u32 v20, v2, 4, 0
	v_lshl_add_u32 v24, v4, 4, 0
	v_add_co_u32_e32 v28, vcc, s4, v14
	ds_read_b128 v[20:23], v20
	ds_read_b128 v[24:27], v24
	v_addc_co_u32_e32 v29, vcc, v15, v18, vcc
	v_add_co_u32_e32 v4, vcc, 2, v4
	v_addc_co_u32_e32 v5, vcc, 0, v5, vcc
	v_add_co_u32_e32 v2, vcc, 2, v2
	v_addc_co_u32_e32 v3, vcc, 0, v3, vcc
	s_waitcnt lgkmcnt(1)
	v_mov_b32_e32 v30, v20
	s_waitcnt lgkmcnt(0)
	v_mov_b32_e32 v31, v24
	v_mov_b32_e32 v24, v21
	;; [unrolled: 1-line block ×5, first 2 shown]
	v_add_co_u32_e32 v16, vcc, -2, v16
	v_pk_add_f32 v[22:23], v[30:31], v[6:7] neg_lo:[0,1] neg_hi:[0,1]
	v_pk_add_f32 v[24:25], v[24:25], v[6:7] neg_lo:[0,1] neg_hi:[0,1]
	;; [unrolled: 1-line block ×4, first 2 shown]
	v_addc_co_u32_e32 v17, vcc, -1, v17, vcc
	v_pk_add_f32 v[32:33], v[22:23], v[8:9] neg_lo:[0,1] neg_hi:[0,1]
	v_pk_add_f32 v[20:21], v[24:25], v[8:9] neg_lo:[0,1] neg_hi:[0,1]
	;; [unrolled: 1-line block ×4, first 2 shown]
	v_cmp_eq_u64_e32 vcc, 0, v[16:17]
	v_mov_b32_e32 v24, v32
	v_mov_b32_e32 v25, v20
	;; [unrolled: 1-line block ×4, first 2 shown]
	s_or_b64 s[8:9], vcc, s[8:9]
	v_mov_b32_e32 v20, v33
	v_mov_b32_e32 v22, v31
	global_store_dwordx4 v[14:15], v[24:27], off
	global_store_dwordx4 v[28:29], v[20:23], off
	v_add_co_u32_e32 v14, vcc, s10, v14
	v_addc_co_u32_e32 v15, vcc, v15, v19, vcc
	s_andn2_b64 exec, exec, s[8:9]
	s_cbranch_execnz .LBB68_29
; %bb.30:
	s_or_b64 exec, exec, s[8:9]
	v_mad_u64_u32 v[0:1], s[8:9], v12, s26, v[0:1]
	v_mov_b32_e32 v2, v1
	v_mad_u64_u32 v[2:3], s[8:9], v13, s26, v[2:3]
	v_cmp_ne_u64_e32 vcc, v[10:11], v[12:13]
	v_mov_b32_e32 v1, v2
	v_pk_mov_b32 v[2:3], s[4:5], s[4:5] op_sel:[0,1]
	s_andn2_b64 s[0:1], s[0:1], exec
	s_and_b64 s[4:5], vcc, exec
	v_pk_mov_b32 v[4:5], s[6:7], s[6:7] op_sel:[0,1]
	s_or_b64 s[0:1], s[0:1], s[4:5]
.LBB68_31:
	s_or_b64 exec, exec, s[2:3]
	s_and_b64 exec, exec, s[0:1]
	s_cbranch_execz .LBB68_34
; %bb.32:
	v_lshlrev_b64 v[10:11], 4, v[0:1]
	v_add_co_u32_e32 v4, vcc, v4, v10
	v_addc_co_u32_e32 v5, vcc, v5, v11, vcc
	v_mov_b32_e32 v10, s17
	v_add_co_u32_e32 v4, vcc, s16, v4
	v_addc_co_u32_e32 v5, vcc, v5, v10, vcc
	v_add_co_u32_e32 v4, vcc, 8, v4
	v_mov_b32_e32 v7, v6
	v_mov_b32_e32 v9, v8
	v_addc_co_u32_e32 v5, vcc, 0, v5, vcc
	v_lshl_add_u32 v10, v0, 4, 0
	s_lshl_b32 s2, s26, 4
	s_mov_b64 s[0:1], 0
.LBB68_33:                              ; =>This Inner Loop Header: Depth=1
	ds_read_b128 v[12:15], v10
	v_add_co_u32_e32 v0, vcc, s26, v0
	v_addc_co_u32_e32 v1, vcc, 0, v1, vcc
	v_lshlrev_b64 v[16:17], 2, v[0:1]
	s_waitcnt lgkmcnt(0)
	v_pk_add_f32 v[12:13], v[12:13], v[6:7] neg_lo:[0,1] neg_hi:[0,1]
	v_pk_add_f32 v[14:15], v[14:15], v[6:7] neg_lo:[0,1] neg_hi:[0,1]
	v_cmp_le_i64_e32 vcc, s[20:21], v[16:17]
	v_pk_add_f32 v[12:13], v[12:13], v[8:9] neg_lo:[0,1] neg_hi:[0,1]
	v_pk_add_f32 v[14:15], v[14:15], v[8:9] neg_lo:[0,1] neg_hi:[0,1]
	s_or_b64 s[0:1], vcc, s[0:1]
	global_store_dwordx4 v[4:5], v[12:15], off offset:-8
	v_add_co_u32_e32 v4, vcc, v4, v2
	v_add_u32_e32 v10, s2, v10
	v_addc_co_u32_e32 v5, vcc, v5, v3, vcc
	s_andn2_b64 exec, exec, s[0:1]
	s_cbranch_execnz .LBB68_33
.LBB68_34:
	s_endpgm
.LBB68_35:
	ds_read_b32 v2, v12
	s_or_b64 exec, exec, s[4:5]
	v_cmp_gt_u32_e64 s[4:5], 64, v0
	s_and_saveexec_b64 s[8:9], s[4:5]
	s_cbranch_execz .LBB68_8
.LBB68_36:
	s_waitcnt lgkmcnt(0)
	ds_bpermute_b32 v3, v4, v2
	s_waitcnt lgkmcnt(0)
	v_cmp_lt_f32_e64 s[6:7], v2, v3
	v_cndmask_b32_e64 v2, v2, v3, s[6:7]
	ds_bpermute_b32 v3, v5, v2
	s_waitcnt lgkmcnt(0)
	v_cmp_lt_f32_e64 s[6:7], v2, v3
	v_cndmask_b32_e64 v2, v2, v3, s[6:7]
	;; [unrolled: 4-line block ×6, first 2 shown]
	s_or_b64 exec, exec, s[8:9]
	v_cmp_eq_u32_e64 s[6:7], 0, v0
	s_and_saveexec_b64 s[8:9], s[6:7]
	s_cbranch_execnz .LBB68_9
	s_branch .LBB68_10
.LBB68_37:
	ds_read_b32 v2, v12
	s_or_b64 exec, exec, s[0:1]
	s_and_saveexec_b64 s[0:1], s[4:5]
	s_cbranch_execz .LBB68_18
.LBB68_38:
	s_waitcnt lgkmcnt(0)
	ds_bpermute_b32 v3, v4, v2
	s_waitcnt lgkmcnt(0)
	v_add_f32_e32 v2, v2, v3
	ds_bpermute_b32 v3, v5, v2
	s_waitcnt lgkmcnt(0)
	v_add_f32_e32 v2, v2, v3
	;; [unrolled: 3-line block ×6, first 2 shown]
	s_or_b64 exec, exec, s[0:1]
	s_and_saveexec_b64 s[0:1], s[6:7]
	s_cbranch_execnz .LBB68_19
	s_branch .LBB68_20
	.section	.rodata,"a",@progbits
	.p2align	6, 0x0
	.amdhsa_kernel _ZN2at6native12_GLOBAL__N_123cunn_SoftMaxForwardSmemILi4EfffNS1_25LogSoftMaxForwardEpilogueElEEvPT2_PKT0_T4_
		.amdhsa_group_segment_fixed_size 0
		.amdhsa_private_segment_fixed_size 0
		.amdhsa_kernarg_size 280
		.amdhsa_user_sgpr_count 6
		.amdhsa_user_sgpr_private_segment_buffer 1
		.amdhsa_user_sgpr_dispatch_ptr 0
		.amdhsa_user_sgpr_queue_ptr 0
		.amdhsa_user_sgpr_kernarg_segment_ptr 1
		.amdhsa_user_sgpr_dispatch_id 0
		.amdhsa_user_sgpr_flat_scratch_init 0
		.amdhsa_user_sgpr_kernarg_preload_length 0
		.amdhsa_user_sgpr_kernarg_preload_offset 0
		.amdhsa_user_sgpr_private_segment_size 0
		.amdhsa_uses_dynamic_stack 0
		.amdhsa_system_sgpr_private_segment_wavefront_offset 0
		.amdhsa_system_sgpr_workgroup_id_x 1
		.amdhsa_system_sgpr_workgroup_id_y 0
		.amdhsa_system_sgpr_workgroup_id_z 0
		.amdhsa_system_sgpr_workgroup_info 0
		.amdhsa_system_vgpr_workitem_id 0
		.amdhsa_next_free_vgpr 34
		.amdhsa_next_free_sgpr 34
		.amdhsa_accum_offset 36
		.amdhsa_reserve_vcc 1
		.amdhsa_reserve_flat_scratch 0
		.amdhsa_float_round_mode_32 0
		.amdhsa_float_round_mode_16_64 0
		.amdhsa_float_denorm_mode_32 3
		.amdhsa_float_denorm_mode_16_64 3
		.amdhsa_dx10_clamp 1
		.amdhsa_ieee_mode 1
		.amdhsa_fp16_overflow 0
		.amdhsa_tg_split 0
		.amdhsa_exception_fp_ieee_invalid_op 0
		.amdhsa_exception_fp_denorm_src 0
		.amdhsa_exception_fp_ieee_div_zero 0
		.amdhsa_exception_fp_ieee_overflow 0
		.amdhsa_exception_fp_ieee_underflow 0
		.amdhsa_exception_fp_ieee_inexact 0
		.amdhsa_exception_int_div_zero 0
	.end_amdhsa_kernel
	.section	.text._ZN2at6native12_GLOBAL__N_123cunn_SoftMaxForwardSmemILi4EfffNS1_25LogSoftMaxForwardEpilogueElEEvPT2_PKT0_T4_,"axG",@progbits,_ZN2at6native12_GLOBAL__N_123cunn_SoftMaxForwardSmemILi4EfffNS1_25LogSoftMaxForwardEpilogueElEEvPT2_PKT0_T4_,comdat
.Lfunc_end68:
	.size	_ZN2at6native12_GLOBAL__N_123cunn_SoftMaxForwardSmemILi4EfffNS1_25LogSoftMaxForwardEpilogueElEEvPT2_PKT0_T4_, .Lfunc_end68-_ZN2at6native12_GLOBAL__N_123cunn_SoftMaxForwardSmemILi4EfffNS1_25LogSoftMaxForwardEpilogueElEEvPT2_PKT0_T4_
                                        ; -- End function
	.section	.AMDGPU.csdata,"",@progbits
; Kernel info:
; codeLenInByte = 3416
; NumSgprs: 38
; NumVgprs: 34
; NumAgprs: 0
; TotalNumVgprs: 34
; ScratchSize: 0
; MemoryBound: 0
; FloatMode: 240
; IeeeMode: 1
; LDSByteSize: 0 bytes/workgroup (compile time only)
; SGPRBlocks: 4
; VGPRBlocks: 4
; NumSGPRsForWavesPerEU: 38
; NumVGPRsForWavesPerEU: 34
; AccumOffset: 36
; Occupancy: 8
; WaveLimiterHint : 0
; COMPUTE_PGM_RSRC2:SCRATCH_EN: 0
; COMPUTE_PGM_RSRC2:USER_SGPR: 6
; COMPUTE_PGM_RSRC2:TRAP_HANDLER: 0
; COMPUTE_PGM_RSRC2:TGID_X_EN: 1
; COMPUTE_PGM_RSRC2:TGID_Y_EN: 0
; COMPUTE_PGM_RSRC2:TGID_Z_EN: 0
; COMPUTE_PGM_RSRC2:TIDIG_COMP_CNT: 0
; COMPUTE_PGM_RSRC3_GFX90A:ACCUM_OFFSET: 8
; COMPUTE_PGM_RSRC3_GFX90A:TG_SPLIT: 0
	.section	.text._ZN2at6native12_GLOBAL__N_119cunn_SoftMaxForwardILi4EfffNS1_25LogSoftMaxForwardEpilogueEEEvPT2_PKT0_i,"axG",@progbits,_ZN2at6native12_GLOBAL__N_119cunn_SoftMaxForwardILi4EfffNS1_25LogSoftMaxForwardEpilogueEEEvPT2_PKT0_i,comdat
	.globl	_ZN2at6native12_GLOBAL__N_119cunn_SoftMaxForwardILi4EfffNS1_25LogSoftMaxForwardEpilogueEEEvPT2_PKT0_i ; -- Begin function _ZN2at6native12_GLOBAL__N_119cunn_SoftMaxForwardILi4EfffNS1_25LogSoftMaxForwardEpilogueEEEvPT2_PKT0_i
	.p2align	8
	.type	_ZN2at6native12_GLOBAL__N_119cunn_SoftMaxForwardILi4EfffNS1_25LogSoftMaxForwardEpilogueEEEvPT2_PKT0_i,@function
_ZN2at6native12_GLOBAL__N_119cunn_SoftMaxForwardILi4EfffNS1_25LogSoftMaxForwardEpilogueEEEvPT2_PKT0_i: ; @_ZN2at6native12_GLOBAL__N_119cunn_SoftMaxForwardILi4EfffNS1_25LogSoftMaxForwardEpilogueEEEvPT2_PKT0_i
; %bb.0:
	s_load_dword s30, s[4:5], 0x10
	s_load_dwordx4 s[16:19], s[4:5], 0x0
	s_mov_b32 s21, 0
	s_waitcnt lgkmcnt(0)
	s_ashr_i32 s0, s30, 31
	s_mul_hi_u32 s1, s30, s6
	s_mul_i32 s0, s0, s6
	s_add_i32 s1, s1, s0
	s_mul_i32 s0, s30, s6
	s_lshl_b64 s[22:23], s[0:1], 2
	s_add_u32 s18, s18, s22
	s_addc_u32 s19, s19, s23
	s_bfe_u32 s20, s18, 0x20002
	s_cmp_lg_u32 s20, 0
	s_cselect_b64 s[12:13], -1, 0
	s_and_b64 vcc, exec, s[12:13]
	s_cbranch_vccz .LBB69_25
; %bb.1:
	s_lshl_b64 s[0:1], s[20:21], 2
	s_sub_u32 s8, s18, s0
	s_subb_u32 s9, s19, s1
	s_add_i32 s7, s20, s30
	v_cmp_le_u32_e32 vcc, s20, v0
	v_cmp_gt_i32_e64 s[0:1], s7, v0
	s_and_b64 s[2:3], vcc, s[0:1]
	v_mov_b32_e32 v4, 0xff7fffff
	s_and_saveexec_b64 s[0:1], s[2:3]
	s_cbranch_execz .LBB69_3
; %bb.2:
	v_lshlrev_b32_e32 v1, 2, v0
	global_load_dword v1, v1, s[8:9]
	s_waitcnt vmcnt(0)
	v_max_f32_e32 v1, v1, v1
	v_max_f32_e32 v4, 0xff7fffff, v1
.LBB69_3:
	s_or_b64 exec, exec, s[0:1]
	s_load_dword s0, s[4:5], 0x24
	s_add_u32 s2, s4, 24
	s_addc_u32 s3, s5, 0
	s_waitcnt lgkmcnt(0)
	s_and_b32 s0, s0, 0xffff
	v_mov_b32_e32 v1, s0
	s_lshl_b32 s0, s0, 2
	v_sub_u32_e64 v1, s7, v1 clamp
	s_add_u32 s0, s8, s0
	v_readfirstlane_b32 s7, v1
	s_addc_u32 s1, s9, 0
	s_branch .LBB69_5
.LBB69_4:
	s_add_u32 s2, s4, 24
	s_addc_u32 s3, s5, 0
	v_mov_b32_e32 v4, 0xff7fffff
	s_mov_b32 s7, s30
	s_mov_b64 s[0:1], s[18:19]
.LBB69_5:
	s_load_dword s8, s[2:3], 0x0
	v_mov_b32_e32 v1, 0
	s_waitcnt lgkmcnt(0)
	s_cmp_lt_u32 s6, s8
	s_cselect_b32 s8, 12, 18
	s_add_u32 s2, s2, s8
	s_addc_u32 s3, s3, 0
	global_load_ushort v5, v1, s[2:3]
	s_waitcnt vmcnt(0)
	v_readfirstlane_b32 s2, v5
	s_lshl_b32 s2, s2, 2
	v_cvt_f32_u32_e32 v1, s2
	s_sub_i32 s3, 0, s2
	v_rcp_iflag_f32_e32 v1, v1
	v_mul_f32_e32 v1, 0x4f7ffffe, v1
	v_cvt_u32_f32_e32 v1, v1
	v_readfirstlane_b32 s8, v1
	s_mul_i32 s3, s3, s8
	s_mul_hi_u32 s3, s8, s3
	s_add_i32 s8, s8, s3
	s_mul_hi_u32 s3, s7, s8
	s_mul_i32 s3, s3, s2
	s_sub_i32 s3, s7, s3
	s_sub_i32 s8, s3, s2
	s_cmp_ge_u32 s3, s2
	s_cselect_b32 s3, s8, s3
	s_sub_i32 s8, s3, s2
	s_cmp_ge_u32 s3, s2
	s_cselect_b32 s2, s8, s3
	s_sub_i32 s10, s7, s2
	v_lshlrev_b32_e32 v1, 2, v0
	v_cmp_gt_i32_e32 vcc, s10, v1
	s_and_saveexec_b64 s[2:3], vcc
	s_cbranch_execz .LBB69_9
; %bb.6:
	s_mov_b64 s[8:9], 0
	v_mov_b32_e32 v6, s1
	v_mov_b32_e32 v2, v0
.LBB69_7:                               ; =>This Inner Loop Header: Depth=1
	v_ashrrev_i32_e32 v3, 31, v2
	v_lshlrev_b64 v[8:9], 4, v[2:3]
	v_add_co_u32_e32 v8, vcc, s0, v8
	v_addc_co_u32_e32 v9, vcc, v6, v9, vcc
	global_load_dwordx4 v[8:11], v[8:9], off
	v_add_u32_e32 v2, v2, v5
	v_lshlrev_b32_e32 v3, 2, v2
	v_cmp_le_i32_e32 vcc, s10, v3
	s_or_b64 s[8:9], vcc, s[8:9]
	s_waitcnt vmcnt(0)
	v_max3_f32 v3, v4, v8, v9
	v_max3_f32 v4, v3, v10, v11
	s_andn2_b64 exec, exec, s[8:9]
	s_cbranch_execnz .LBB69_7
; %bb.8:
	s_or_b64 exec, exec, s[8:9]
.LBB69_9:
	s_or_b64 exec, exec, s[2:3]
	v_add_u32_e32 v2, s10, v0
	v_cmp_gt_i32_e32 vcc, s7, v2
	s_and_saveexec_b64 s[2:3], vcc
	s_cbranch_execz .LBB69_13
; %bb.10:
	s_mov_b64 s[8:9], 0
	v_mov_b32_e32 v6, s1
.LBB69_11:                              ; =>This Inner Loop Header: Depth=1
	v_ashrrev_i32_e32 v3, 31, v2
	v_lshlrev_b64 v[8:9], 2, v[2:3]
	v_add_co_u32_e32 v8, vcc, s0, v8
	v_addc_co_u32_e32 v9, vcc, v6, v9, vcc
	global_load_dword v3, v[8:9], off
	v_add_u32_e32 v2, v2, v5
	v_max_f32_e32 v4, v4, v4
	v_cmp_le_i32_e32 vcc, s7, v2
	s_or_b64 s[8:9], vcc, s[8:9]
	s_waitcnt vmcnt(0)
	v_max_f32_e32 v3, v3, v3
	v_max_f32_e32 v4, v4, v3
	s_andn2_b64 exec, exec, s[8:9]
	s_cbranch_execnz .LBB69_11
; %bb.12:
	s_or_b64 exec, exec, s[8:9]
.LBB69_13:
	s_or_b64 exec, exec, s[2:3]
	v_mbcnt_lo_u32_b32 v2, -1, 0
	v_mbcnt_hi_u32_b32 v5, -1, v2
	v_and_b32_e32 v8, 63, v5
	v_cmp_gt_u32_e32 vcc, 32, v8
	v_cndmask_b32_e64 v2, 0, 1, vcc
	v_lshlrev_b32_e32 v2, 5, v2
	v_add_lshl_u32 v3, v2, v5, 2
	ds_bpermute_b32 v2, v3, v4
	v_cmp_gt_u32_e32 vcc, 48, v8
	v_cndmask_b32_e64 v6, 0, 1, vcc
	v_lshrrev_b32_e32 v12, 4, v0
	s_waitcnt lgkmcnt(0)
	v_cmp_lt_f32_e32 vcc, v4, v2
	v_cndmask_b32_e32 v2, v4, v2, vcc
	v_lshlrev_b32_e32 v4, 4, v6
	v_add_lshl_u32 v6, v4, v5, 2
	ds_bpermute_b32 v4, v6, v2
	s_barrier
	s_waitcnt lgkmcnt(0)
	v_cmp_lt_f32_e32 vcc, v2, v4
	v_cndmask_b32_e32 v2, v2, v4, vcc
	v_cmp_gt_u32_e32 vcc, 56, v8
	v_cndmask_b32_e64 v4, 0, 1, vcc
	v_lshlrev_b32_e32 v4, 3, v4
	v_add_lshl_u32 v7, v4, v5, 2
	ds_bpermute_b32 v4, v7, v2
	s_waitcnt lgkmcnt(0)
	v_cmp_lt_f32_e32 vcc, v2, v4
	v_cndmask_b32_e32 v2, v2, v4, vcc
	v_cmp_gt_u32_e32 vcc, 60, v8
	v_cndmask_b32_e64 v4, 0, 1, vcc
	v_lshlrev_b32_e32 v4, 2, v4
	v_add_lshl_u32 v9, v4, v5, 2
	ds_bpermute_b32 v4, v9, v2
	;; [unrolled: 8-line block ×3, first 2 shown]
	v_and_b32_e32 v4, 63, v0
	v_cmp_eq_u32_e64 s[2:3], 0, v4
	s_waitcnt lgkmcnt(0)
	v_cmp_lt_f32_e32 vcc, v2, v11
	v_cndmask_b32_e32 v2, v2, v11, vcc
	v_cmp_ne_u32_e32 vcc, 63, v8
	v_addc_co_u32_e32 v5, vcc, 0, v5, vcc
	v_lshlrev_b32_e32 v11, 2, v5
	ds_bpermute_b32 v5, v11, v2
	s_and_saveexec_b64 s[0:1], s[2:3]
	s_cbranch_execz .LBB69_15
; %bb.14:
	s_waitcnt lgkmcnt(0)
	v_cmp_lt_f32_e32 vcc, v2, v5
	v_add_u32_e32 v8, 0, v12
	v_cndmask_b32_e32 v2, v2, v5, vcc
	ds_write_b32 v8, v2
.LBB69_15:
	s_or_b64 exec, exec, s[0:1]
	s_waitcnt lgkmcnt(0)
	s_barrier
	s_load_dword s7, s[4:5], 0x24
	s_add_u32 s14, s4, 24
	s_addc_u32 s15, s5, 0
	v_mov_b32_e32 v2, 0xff7fffff
	v_lshl_add_u32 v13, v4, 2, 0
	s_waitcnt lgkmcnt(0)
	s_bfe_u32 s0, s7, 0xa0006
	v_cmp_gt_u32_e64 s[4:5], s0, v0
	s_and_saveexec_b64 s[0:1], s[4:5]
	s_cbranch_execnz .LBB69_23
; %bb.16:
	s_or_b64 exec, exec, s[0:1]
	v_cmp_gt_u32_e64 s[10:11], 64, v0
	s_and_saveexec_b64 s[0:1], s[10:11]
	s_cbranch_execnz .LBB69_24
.LBB69_17:
	s_or_b64 exec, exec, s[0:1]
	v_cmp_eq_u32_e64 s[8:9], 0, v0
	s_and_saveexec_b64 s[0:1], s[8:9]
	s_cbranch_execz .LBB69_19
.LBB69_18:
	v_mov_b32_e32 v4, 0
	s_waitcnt lgkmcnt(0)
	ds_write_b32 v4, v2
.LBB69_19:
	s_or_b64 exec, exec, s[0:1]
	v_mov_b32_e32 v14, 0
	s_waitcnt lgkmcnt(0)
	s_barrier
	ds_read_b32 v2, v14
	v_cndmask_b32_e64 v4, 0, 1, s[12:13]
	s_and_b32 s31, s7, 0xffff
	v_cmp_ne_u32_e64 s[0:1], 1, v4
	s_andn2_b64 vcc, exec, s[12:13]
	s_mov_b32 s21, 0
	s_cbranch_vccnz .LBB69_26
; %bb.20:
	s_lshl_b64 s[12:13], s[20:21], 2
	s_sub_u32 s24, s18, s12
	s_subb_u32 s25, s19, s13
	s_add_i32 s7, s20, s30
	v_cmp_le_u32_e32 vcc, s20, v0
	v_cmp_gt_i32_e64 s[12:13], s7, v0
	s_and_b64 s[26:27], vcc, s[12:13]
	v_mov_b32_e32 v14, 0
	s_and_saveexec_b64 s[12:13], s[26:27]
	s_cbranch_execz .LBB69_22
; %bb.21:
	global_load_dword v4, v1, s[24:25]
	s_mov_b32 s21, 0x3fb8aa3b
	s_mov_b32 s26, 0x42b17218
	s_waitcnt vmcnt(0) lgkmcnt(0)
	v_sub_f32_e32 v4, v4, v2
	v_mul_f32_e32 v5, 0x3fb8aa3b, v4
	v_fma_f32 v8, v4, s21, -v5
	v_rndne_f32_e32 v14, v5
	v_fmac_f32_e32 v8, 0x32a5705f, v4
	v_sub_f32_e32 v5, v5, v14
	v_add_f32_e32 v5, v5, v8
	v_cvt_i32_f32_e32 v14, v14
	v_exp_f32_e32 v5, v5
	s_mov_b32 s21, 0xc2ce8ed0
	v_cmp_ngt_f32_e32 vcc, s21, v4
	v_mov_b32_e32 v8, 0x7f800000
	v_ldexp_f32 v5, v5, v14
	v_cndmask_b32_e32 v5, 0, v5, vcc
	v_cmp_nlt_f32_e32 vcc, s26, v4
	v_cndmask_b32_e32 v14, v8, v5, vcc
.LBB69_22:
	s_or_b64 exec, exec, s[12:13]
	v_mov_b32_e32 v4, s31
	v_sub_u32_e64 v4, s7, v4 clamp
	s_lshl_b32 s7, s31, 2
	s_add_u32 s24, s24, s7
	v_readfirstlane_b32 s21, v4
	s_addc_u32 s25, s25, 0
	s_branch .LBB69_27
.LBB69_23:
	ds_read_b32 v2, v13
	s_or_b64 exec, exec, s[0:1]
	v_cmp_gt_u32_e64 s[10:11], 64, v0
	s_and_saveexec_b64 s[0:1], s[10:11]
	s_cbranch_execz .LBB69_17
.LBB69_24:
	s_waitcnt lgkmcnt(0)
	ds_bpermute_b32 v4, v3, v2
	s_waitcnt lgkmcnt(0)
	v_cmp_lt_f32_e32 vcc, v2, v4
	v_cndmask_b32_e32 v2, v2, v4, vcc
	ds_bpermute_b32 v4, v6, v2
	s_waitcnt lgkmcnt(0)
	v_cmp_lt_f32_e32 vcc, v2, v4
	v_cndmask_b32_e32 v2, v2, v4, vcc
	;; [unrolled: 4-line block ×6, first 2 shown]
	s_or_b64 exec, exec, s[0:1]
	v_cmp_eq_u32_e64 s[8:9], 0, v0
	s_and_saveexec_b64 s[0:1], s[8:9]
	s_cbranch_execnz .LBB69_18
	s_branch .LBB69_19
.LBB69_25:
                                        ; implicit-def: $sgpr0_sgpr1
                                        ; implicit-def: $sgpr7
                                        ; implicit-def: $vgpr4
                                        ; implicit-def: $sgpr2_sgpr3
	s_cbranch_execnz .LBB69_4
	s_branch .LBB69_5
.LBB69_26:
	s_mov_b64 s[24:25], s[18:19]
	s_mov_b32 s21, s30
.LBB69_27:
	s_load_dword s7, s[14:15], 0x0
	v_mov_b32_e32 v4, 0
	s_waitcnt lgkmcnt(0)
	s_cmp_lt_u32 s6, s7
	s_cselect_b32 s6, 12, 18
	s_add_u32 s6, s14, s6
	s_addc_u32 s7, s15, 0
	global_load_ushort v8, v4, s[6:7]
	s_waitcnt vmcnt(0)
	v_readfirstlane_b32 s6, v8
	s_lshl_b32 s33, s6, 2
	v_cvt_f32_u32_e32 v4, s33
	s_sub_i32 s6, 0, s33
	v_rcp_iflag_f32_e32 v4, v4
	v_mul_f32_e32 v4, 0x4f7ffffe, v4
	v_cvt_u32_f32_e32 v4, v4
	v_readfirstlane_b32 s34, v4
	s_mul_i32 s6, s6, s34
	s_mul_hi_u32 s6, s34, s6
	s_add_i32 s34, s34, s6
	s_mul_hi_u32 s6, s21, s34
	s_mul_i32 s6, s6, s33
	s_sub_i32 s6, s21, s6
	s_sub_i32 s7, s6, s33
	s_cmp_ge_u32 s6, s33
	s_cselect_b32 s6, s7, s6
	s_sub_i32 s7, s6, s33
	s_cmp_ge_u32 s6, s33
	s_cselect_b32 s6, s7, s6
	s_sub_i32 s35, s21, s6
	v_cmp_gt_i32_e32 vcc, s35, v1
	s_and_saveexec_b64 s[26:27], vcc
	s_cbranch_execz .LBB69_31
; %bb.28:
	s_mov_b64 s[28:29], 0
	v_mov_b32_e32 v15, s25
	s_mov_b32 s36, 0x3fb8aa3b
	s_mov_b32 s37, 0xc2ce8ed0
	s_mov_b32 s38, 0x42b17218
	v_mov_b32_e32 v16, 0x7f800000
	v_mov_b32_e32 v4, v0
.LBB69_29:                              ; =>This Inner Loop Header: Depth=1
	v_ashrrev_i32_e32 v5, 31, v4
	v_lshlrev_b64 v[18:19], 4, v[4:5]
	v_add_co_u32_e32 v18, vcc, s24, v18
	v_addc_co_u32_e32 v19, vcc, v15, v19, vcc
	global_load_dwordx4 v[18:21], v[18:19], off
	v_add_u32_e32 v4, v4, v8
	v_lshlrev_b32_e32 v5, 2, v4
	v_cmp_le_i32_e32 vcc, s35, v5
	s_or_b64 s[28:29], vcc, s[28:29]
	s_waitcnt vmcnt(0)
	v_sub_f32_e32 v5, v18, v2
	v_sub_f32_e32 v17, v19, v2
	v_sub_f32_e32 v18, v20, v2
	v_mul_f32_e32 v20, 0x3fb8aa3b, v5
	v_sub_f32_e32 v19, v21, v2
	v_mul_f32_e32 v21, 0x3fb8aa3b, v17
	v_fma_f32 v24, v5, s36, -v20
	v_rndne_f32_e32 v25, v20
	v_mul_f32_e32 v22, 0x3fb8aa3b, v18
	v_mul_f32_e32 v23, 0x3fb8aa3b, v19
	v_fma_f32 v26, v17, s36, -v21
	v_rndne_f32_e32 v27, v21
	v_fmac_f32_e32 v24, 0x32a5705f, v5
	v_sub_f32_e32 v20, v20, v25
	v_fma_f32 v28, v18, s36, -v22
	v_rndne_f32_e32 v29, v22
	v_fma_f32 v30, v19, s36, -v23
	v_rndne_f32_e32 v31, v23
	v_fmac_f32_e32 v26, 0x32a5705f, v17
	v_sub_f32_e32 v21, v21, v27
	v_add_f32_e32 v20, v20, v24
	v_cvt_i32_f32_e32 v25, v25
	v_fmac_f32_e32 v28, 0x32a5705f, v18
	v_sub_f32_e32 v22, v22, v29
	v_fmac_f32_e32 v30, 0x32a5705f, v19
	v_sub_f32_e32 v23, v23, v31
	v_add_f32_e32 v21, v21, v26
	v_exp_f32_e32 v20, v20
	v_cvt_i32_f32_e32 v27, v27
	v_add_f32_e32 v22, v22, v28
	v_add_f32_e32 v23, v23, v30
	v_exp_f32_e32 v21, v21
	v_cvt_i32_f32_e32 v29, v29
	v_cvt_i32_f32_e32 v31, v31
	v_exp_f32_e32 v22, v22
	v_exp_f32_e32 v23, v23
	v_ldexp_f32 v20, v20, v25
	v_cmp_ngt_f32_e64 s[14:15], s37, v5
	v_ldexp_f32 v21, v21, v27
	v_cmp_ngt_f32_e32 vcc, s37, v17
	v_cndmask_b32_e64 v20, 0, v20, s[14:15]
	v_cmp_nlt_f32_e64 s[14:15], s38, v5
	v_ldexp_f32 v22, v22, v29
	v_cmp_ngt_f32_e64 s[6:7], s37, v18
	v_ldexp_f32 v23, v23, v31
	v_cmp_ngt_f32_e64 s[12:13], s37, v19
	v_cndmask_b32_e32 v21, 0, v21, vcc
	v_cmp_nlt_f32_e32 vcc, s38, v17
	v_cndmask_b32_e64 v5, v16, v20, s[14:15]
	v_cndmask_b32_e64 v17, 0, v22, s[6:7]
	v_cmp_nlt_f32_e64 s[6:7], s38, v18
	v_cndmask_b32_e64 v18, 0, v23, s[12:13]
	v_cmp_nlt_f32_e64 s[12:13], s38, v19
	v_cndmask_b32_e32 v19, v16, v21, vcc
	v_add_f32_e32 v5, v14, v5
	v_cndmask_b32_e64 v17, v16, v17, s[6:7]
	v_add_f32_e32 v5, v5, v19
	v_cndmask_b32_e64 v18, v16, v18, s[12:13]
	v_add_f32_e32 v5, v5, v17
	v_add_f32_e32 v14, v5, v18
	s_andn2_b64 exec, exec, s[28:29]
	s_cbranch_execnz .LBB69_29
; %bb.30:
	s_or_b64 exec, exec, s[28:29]
.LBB69_31:
	s_or_b64 exec, exec, s[26:27]
	v_add_u32_e32 v4, s35, v0
	v_cmp_gt_i32_e32 vcc, s21, v4
	s_and_saveexec_b64 s[12:13], vcc
	s_cbranch_execz .LBB69_35
; %bb.32:
	s_mov_b64 s[14:15], 0
	v_mov_b32_e32 v15, s25
	s_mov_b32 s25, 0x3fb8aa3b
	s_mov_b32 s26, 0xc2ce8ed0
	;; [unrolled: 1-line block ×3, first 2 shown]
	v_mov_b32_e32 v16, 0x7f800000
.LBB69_33:                              ; =>This Inner Loop Header: Depth=1
	v_ashrrev_i32_e32 v5, 31, v4
	v_lshlrev_b64 v[18:19], 2, v[4:5]
	v_add_co_u32_e32 v18, vcc, s24, v18
	v_addc_co_u32_e32 v19, vcc, v15, v19, vcc
	global_load_dword v5, v[18:19], off
	v_add_u32_e32 v4, v4, v8
	v_cmp_le_i32_e32 vcc, s21, v4
	s_or_b64 s[14:15], vcc, s[14:15]
	s_waitcnt vmcnt(0)
	v_sub_f32_e32 v5, v5, v2
	v_mul_f32_e32 v17, 0x3fb8aa3b, v5
	v_fma_f32 v18, v5, s25, -v17
	v_rndne_f32_e32 v19, v17
	v_fmac_f32_e32 v18, 0x32a5705f, v5
	v_sub_f32_e32 v17, v17, v19
	v_add_f32_e32 v17, v17, v18
	v_cvt_i32_f32_e32 v19, v19
	v_exp_f32_e32 v17, v17
	v_cmp_ngt_f32_e64 s[6:7], s26, v5
	v_ldexp_f32 v17, v17, v19
	v_cndmask_b32_e64 v17, 0, v17, s[6:7]
	v_cmp_nlt_f32_e64 s[6:7], s27, v5
	v_cndmask_b32_e64 v5, v16, v17, s[6:7]
	v_add_f32_e32 v14, v14, v5
	s_andn2_b64 exec, exec, s[14:15]
	s_cbranch_execnz .LBB69_33
; %bb.34:
	s_or_b64 exec, exec, s[14:15]
.LBB69_35:
	s_or_b64 exec, exec, s[12:13]
	ds_bpermute_b32 v4, v3, v14
	s_waitcnt lgkmcnt(0)
	s_barrier
	v_add_f32_e32 v4, v14, v4
	ds_bpermute_b32 v5, v6, v4
	s_waitcnt lgkmcnt(0)
	v_add_f32_e32 v4, v4, v5
	ds_bpermute_b32 v5, v7, v4
	s_waitcnt lgkmcnt(0)
	;; [unrolled: 3-line block ×4, first 2 shown]
	v_add_f32_e32 v4, v4, v5
	ds_bpermute_b32 v5, v11, v4
	s_and_saveexec_b64 s[6:7], s[2:3]
	s_cbranch_execz .LBB69_37
; %bb.36:
	v_add_u32_e32 v12, 0, v12
	s_waitcnt lgkmcnt(0)
	v_add_f32_e32 v4, v4, v5
	ds_write_b32 v12, v4
.LBB69_37:
	s_or_b64 exec, exec, s[6:7]
	v_mov_b32_e32 v4, 0
	s_waitcnt lgkmcnt(0)
	s_barrier
	s_and_saveexec_b64 s[2:3], s[4:5]
	s_cbranch_execnz .LBB69_58
; %bb.38:
	s_or_b64 exec, exec, s[2:3]
	s_and_saveexec_b64 s[2:3], s[10:11]
	s_cbranch_execnz .LBB69_59
.LBB69_39:
	s_or_b64 exec, exec, s[2:3]
	s_and_saveexec_b64 s[2:3], s[8:9]
	s_cbranch_execz .LBB69_41
.LBB69_40:
	v_mov_b32_e32 v3, 0
	s_waitcnt lgkmcnt(0)
	ds_write_b32 v3, v4
.LBB69_41:
	s_or_b64 exec, exec, s[2:3]
	v_mov_b32_e32 v3, 0
	s_waitcnt lgkmcnt(0)
	s_barrier
	ds_read_b32 v3, v3
	s_mov_b32 s2, 0x800000
	v_mov_b32_e32 v4, 0x4f800000
	s_add_u32 s6, s16, s22
	s_addc_u32 s7, s17, s23
	s_waitcnt lgkmcnt(0)
	v_cmp_gt_f32_e32 vcc, s2, v3
	v_cndmask_b32_e32 v4, 1.0, v4, vcc
	v_mul_f32_e32 v3, v3, v4
	v_log_f32_e32 v3, v3
	s_mov_b32 s2, 0x3f317217
	s_bfe_u32 s4, s6, 0x20002
	s_cmp_lg_u32 s20, s4
	v_mul_f32_e32 v4, 0x3f317217, v3
	v_fma_f32 v5, v3, s2, -v4
	v_fmac_f32_e32 v5, 0x3377d1cf, v3
	s_mov_b32 s2, 0x7f800000
	v_add_f32_e32 v4, v4, v5
	v_cmp_lt_f32_e64 s[2:3], |v3|, s2
	v_cndmask_b32_e64 v3, v3, v4, s[2:3]
	v_mov_b32_e32 v4, 0x41b17218
	v_cndmask_b32_e32 v4, 0, v4, vcc
	v_sub_f32_e32 v4, v3, v4
	s_mov_b64 s[2:3], -1
	s_cbranch_scc0 .LBB69_46
; %bb.42:
	v_cmp_gt_i32_e32 vcc, s30, v0
	s_and_saveexec_b64 s[2:3], vcc
	s_cbranch_execz .LBB69_45
; %bb.43:
	s_mov_b64 s[4:5], 0
	v_mov_b32_e32 v3, s19
	v_mov_b32_e32 v5, s7
	;; [unrolled: 1-line block ×3, first 2 shown]
.LBB69_44:                              ; =>This Inner Loop Header: Depth=1
	v_ashrrev_i32_e32 v7, 31, v6
	v_lshlrev_b64 v[10:11], 2, v[6:7]
	v_add_co_u32_e32 v12, vcc, s18, v10
	v_addc_co_u32_e32 v13, vcc, v3, v11, vcc
	global_load_dword v7, v[12:13], off
	v_add_co_u32_e32 v10, vcc, s6, v10
	v_add_u32_e32 v6, s31, v6
	v_addc_co_u32_e32 v11, vcc, v5, v11, vcc
	v_cmp_le_i32_e32 vcc, s30, v6
	s_or_b64 s[4:5], vcc, s[4:5]
	s_waitcnt vmcnt(0)
	v_sub_f32_e32 v7, v7, v2
	v_sub_f32_e32 v7, v7, v4
	global_store_dword v[10:11], v7, off
	s_andn2_b64 exec, exec, s[4:5]
	s_cbranch_execnz .LBB69_44
.LBB69_45:
	s_or_b64 exec, exec, s[2:3]
	s_mov_b64 s[2:3], 0
.LBB69_46:
	s_andn2_b64 vcc, exec, s[2:3]
	s_cbranch_vccnz .LBB69_57
; %bb.47:
	s_and_b64 vcc, exec, s[0:1]
	s_cbranch_vccnz .LBB69_51
; %bb.48:
	s_mov_b32 s21, 0
	s_lshl_b64 s[0:1], s[20:21], 2
	s_sub_u32 s2, s18, s0
	s_subb_u32 s3, s19, s1
	s_sub_u32 s4, s6, s0
	s_subb_u32 s5, s7, s1
	s_add_i32 s6, s20, s30
	v_cmp_le_u32_e32 vcc, s20, v0
	v_cmp_gt_i32_e64 s[0:1], s6, v0
	s_and_b64 s[8:9], vcc, s[0:1]
	s_and_saveexec_b64 s[0:1], s[8:9]
	s_cbranch_execz .LBB69_50
; %bb.49:
	global_load_dword v3, v1, s[2:3]
	s_waitcnt vmcnt(0)
	v_sub_f32_e32 v3, v3, v2
	v_sub_f32_e32 v3, v3, v4
	global_store_dword v1, v3, s[4:5]
.LBB69_50:
	s_or_b64 exec, exec, s[0:1]
	s_lshl_b32 s0, s31, 2
	s_add_u32 s18, s2, s0
	v_mov_b32_e32 v3, s31
	s_addc_u32 s19, s3, 0
	v_sub_u32_e64 v3, s6, v3 clamp
	s_add_u32 s6, s4, s0
	v_readfirstlane_b32 s30, v3
	s_addc_u32 s7, s5, 0
.LBB69_51:
	s_mul_hi_u32 s0, s30, s34
	s_mul_i32 s0, s0, s33
	s_sub_i32 s0, s30, s0
	s_sub_i32 s1, s0, s33
	s_cmp_ge_u32 s0, s33
	s_cselect_b32 s0, s1, s0
	s_sub_i32 s1, s0, s33
	s_cmp_ge_u32 s0, s33
	s_cselect_b32 s0, s1, s0
	s_sub_i32 s4, s30, s0
	v_cmp_gt_i32_e32 vcc, s4, v1
	s_and_saveexec_b64 s[0:1], vcc
	s_cbranch_execz .LBB69_54
; %bb.52:
	v_mov_b32_e32 v3, v2
	v_mov_b32_e32 v5, v4
	s_mov_b64 s[2:3], 0
	v_mov_b32_e32 v1, s19
	v_mov_b32_e32 v9, s7
	;; [unrolled: 1-line block ×3, first 2 shown]
.LBB69_53:                              ; =>This Inner Loop Header: Depth=1
	v_ashrrev_i32_e32 v7, 31, v6
	v_lshlrev_b64 v[14:15], 4, v[6:7]
	v_add_co_u32_e32 v10, vcc, s18, v14
	v_addc_co_u32_e32 v11, vcc, v1, v15, vcc
	global_load_dwordx4 v[10:13], v[10:11], off
	v_add_u32_e32 v6, v6, v8
	v_add_co_u32_e32 v14, vcc, s6, v14
	v_addc_co_u32_e32 v15, vcc, v9, v15, vcc
	v_lshlrev_b32_e32 v7, 2, v6
	v_cmp_le_i32_e32 vcc, s4, v7
	s_or_b64 s[2:3], vcc, s[2:3]
	s_waitcnt vmcnt(0)
	v_pk_add_f32 v[10:11], v[10:11], v[2:3] neg_lo:[0,1] neg_hi:[0,1]
	v_pk_add_f32 v[12:13], v[12:13], v[2:3] neg_lo:[0,1] neg_hi:[0,1]
	;; [unrolled: 1-line block ×4, first 2 shown]
	global_store_dwordx4 v[14:15], v[10:13], off
	s_andn2_b64 exec, exec, s[2:3]
	s_cbranch_execnz .LBB69_53
.LBB69_54:
	s_or_b64 exec, exec, s[0:1]
	v_add_u32_e32 v0, s4, v0
	v_cmp_gt_i32_e32 vcc, s30, v0
	s_and_saveexec_b64 s[0:1], vcc
	s_cbranch_execz .LBB69_57
; %bb.55:
	s_mov_b64 s[0:1], 0
	v_mov_b32_e32 v3, s19
	v_mov_b32_e32 v5, s7
.LBB69_56:                              ; =>This Inner Loop Header: Depth=1
	v_ashrrev_i32_e32 v1, 31, v0
	v_lshlrev_b64 v[6:7], 2, v[0:1]
	v_add_co_u32_e32 v10, vcc, s18, v6
	v_addc_co_u32_e32 v11, vcc, v3, v7, vcc
	global_load_dword v1, v[10:11], off
	v_add_co_u32_e32 v6, vcc, s6, v6
	v_add_u32_e32 v0, v0, v8
	v_addc_co_u32_e32 v7, vcc, v5, v7, vcc
	v_cmp_le_i32_e32 vcc, s30, v0
	s_or_b64 s[0:1], vcc, s[0:1]
	s_waitcnt vmcnt(0)
	v_sub_f32_e32 v1, v1, v2
	v_sub_f32_e32 v1, v1, v4
	global_store_dword v[6:7], v1, off
	s_andn2_b64 exec, exec, s[0:1]
	s_cbranch_execnz .LBB69_56
.LBB69_57:
	s_endpgm
.LBB69_58:
	ds_read_b32 v4, v13
	s_or_b64 exec, exec, s[2:3]
	s_and_saveexec_b64 s[2:3], s[10:11]
	s_cbranch_execz .LBB69_39
.LBB69_59:
	s_waitcnt lgkmcnt(0)
	ds_bpermute_b32 v3, v3, v4
	s_waitcnt lgkmcnt(0)
	v_add_f32_e32 v3, v4, v3
	ds_bpermute_b32 v4, v6, v3
	s_waitcnt lgkmcnt(0)
	v_add_f32_e32 v3, v3, v4
	;; [unrolled: 3-line block ×6, first 2 shown]
	s_or_b64 exec, exec, s[2:3]
	s_and_saveexec_b64 s[2:3], s[8:9]
	s_cbranch_execnz .LBB69_40
	s_branch .LBB69_41
	.section	.rodata,"a",@progbits
	.p2align	6, 0x0
	.amdhsa_kernel _ZN2at6native12_GLOBAL__N_119cunn_SoftMaxForwardILi4EfffNS1_25LogSoftMaxForwardEpilogueEEEvPT2_PKT0_i
		.amdhsa_group_segment_fixed_size 0
		.amdhsa_private_segment_fixed_size 0
		.amdhsa_kernarg_size 280
		.amdhsa_user_sgpr_count 6
		.amdhsa_user_sgpr_private_segment_buffer 1
		.amdhsa_user_sgpr_dispatch_ptr 0
		.amdhsa_user_sgpr_queue_ptr 0
		.amdhsa_user_sgpr_kernarg_segment_ptr 1
		.amdhsa_user_sgpr_dispatch_id 0
		.amdhsa_user_sgpr_flat_scratch_init 0
		.amdhsa_user_sgpr_kernarg_preload_length 0
		.amdhsa_user_sgpr_kernarg_preload_offset 0
		.amdhsa_user_sgpr_private_segment_size 0
		.amdhsa_uses_dynamic_stack 0
		.amdhsa_system_sgpr_private_segment_wavefront_offset 0
		.amdhsa_system_sgpr_workgroup_id_x 1
		.amdhsa_system_sgpr_workgroup_id_y 0
		.amdhsa_system_sgpr_workgroup_id_z 0
		.amdhsa_system_sgpr_workgroup_info 0
		.amdhsa_system_vgpr_workitem_id 0
		.amdhsa_next_free_vgpr 32
		.amdhsa_next_free_sgpr 39
		.amdhsa_accum_offset 32
		.amdhsa_reserve_vcc 1
		.amdhsa_reserve_flat_scratch 0
		.amdhsa_float_round_mode_32 0
		.amdhsa_float_round_mode_16_64 0
		.amdhsa_float_denorm_mode_32 3
		.amdhsa_float_denorm_mode_16_64 3
		.amdhsa_dx10_clamp 1
		.amdhsa_ieee_mode 1
		.amdhsa_fp16_overflow 0
		.amdhsa_tg_split 0
		.amdhsa_exception_fp_ieee_invalid_op 0
		.amdhsa_exception_fp_denorm_src 0
		.amdhsa_exception_fp_ieee_div_zero 0
		.amdhsa_exception_fp_ieee_overflow 0
		.amdhsa_exception_fp_ieee_underflow 0
		.amdhsa_exception_fp_ieee_inexact 0
		.amdhsa_exception_int_div_zero 0
	.end_amdhsa_kernel
	.section	.text._ZN2at6native12_GLOBAL__N_119cunn_SoftMaxForwardILi4EfffNS1_25LogSoftMaxForwardEpilogueEEEvPT2_PKT0_i,"axG",@progbits,_ZN2at6native12_GLOBAL__N_119cunn_SoftMaxForwardILi4EfffNS1_25LogSoftMaxForwardEpilogueEEEvPT2_PKT0_i,comdat
.Lfunc_end69:
	.size	_ZN2at6native12_GLOBAL__N_119cunn_SoftMaxForwardILi4EfffNS1_25LogSoftMaxForwardEpilogueEEEvPT2_PKT0_i, .Lfunc_end69-_ZN2at6native12_GLOBAL__N_119cunn_SoftMaxForwardILi4EfffNS1_25LogSoftMaxForwardEpilogueEEEvPT2_PKT0_i
                                        ; -- End function
	.section	.AMDGPU.csdata,"",@progbits
; Kernel info:
; codeLenInByte = 3304
; NumSgprs: 43
; NumVgprs: 32
; NumAgprs: 0
; TotalNumVgprs: 32
; ScratchSize: 0
; MemoryBound: 0
; FloatMode: 240
; IeeeMode: 1
; LDSByteSize: 0 bytes/workgroup (compile time only)
; SGPRBlocks: 5
; VGPRBlocks: 3
; NumSGPRsForWavesPerEU: 43
; NumVGPRsForWavesPerEU: 32
; AccumOffset: 32
; Occupancy: 8
; WaveLimiterHint : 0
; COMPUTE_PGM_RSRC2:SCRATCH_EN: 0
; COMPUTE_PGM_RSRC2:USER_SGPR: 6
; COMPUTE_PGM_RSRC2:TRAP_HANDLER: 0
; COMPUTE_PGM_RSRC2:TGID_X_EN: 1
; COMPUTE_PGM_RSRC2:TGID_Y_EN: 0
; COMPUTE_PGM_RSRC2:TGID_Z_EN: 0
; COMPUTE_PGM_RSRC2:TIDIG_COMP_CNT: 0
; COMPUTE_PGM_RSRC3_GFX90A:ACCUM_OFFSET: 7
; COMPUTE_PGM_RSRC3_GFX90A:TG_SPLIT: 0
	.section	.text._ZN12_GLOBAL__N_120softmax_warp_forwardIN3c104HalfES2_fLi0ELb1ELb0ELi64EEEvPT0_PKT_iiiPKbib,"axG",@progbits,_ZN12_GLOBAL__N_120softmax_warp_forwardIN3c104HalfES2_fLi0ELb1ELb0ELi64EEEvPT0_PKT_iiiPKbib,comdat
	.globl	_ZN12_GLOBAL__N_120softmax_warp_forwardIN3c104HalfES2_fLi0ELb1ELb0ELi64EEEvPT0_PKT_iiiPKbib ; -- Begin function _ZN12_GLOBAL__N_120softmax_warp_forwardIN3c104HalfES2_fLi0ELb1ELb0ELi64EEEvPT0_PKT_iiiPKbib
	.p2align	8
	.type	_ZN12_GLOBAL__N_120softmax_warp_forwardIN3c104HalfES2_fLi0ELb1ELb0ELi64EEEvPT0_PKT_iiiPKbib,@function
_ZN12_GLOBAL__N_120softmax_warp_forwardIN3c104HalfES2_fLi0ELb1ELb0ELi64EEEvPT0_PKT_iiiPKbib: ; @_ZN12_GLOBAL__N_120softmax_warp_forwardIN3c104HalfES2_fLi0ELb1ELb0ELi64EEEvPT0_PKT_iiiPKbib
; %bb.0:
	s_load_dword s0, s[4:5], 0x3c
	s_load_dwordx8 s[8:15], s[4:5], 0x0
	v_bfe_u32 v1, v0, 10, 10
	v_and_b32_e32 v0, 0x3ff, v0
	s_waitcnt lgkmcnt(0)
	s_lshr_b32 s0, s0, 16
	s_mul_i32 s6, s6, s0
	v_add_lshl_u32 v1, s6, v1, 1
	v_mad_u64_u32 v[2:3], s[0:1], v1, s13, v[0:1]
	v_ashrrev_i32_e32 v3, 31, v2
	v_lshlrev_b64 v[2:3], 1, v[2:3]
	v_sub_u32_e32 v6, s12, v1
	v_mov_b32_e32 v1, s11
	v_add_co_u32_e32 v4, vcc, s10, v2
	v_addc_co_u32_e32 v5, vcc, v1, v3, vcc
	v_cmp_gt_i32_e32 vcc, s14, v0
	v_cmp_lt_i32_e64 s[0:1], 0, v6
	s_and_b64 s[4:5], vcc, s[0:1]
	v_mov_b32_e32 v1, 0xff800000
	v_mov_b32_e32 v0, 0xff800000
	s_and_saveexec_b64 s[2:3], s[4:5]
	s_cbranch_execz .LBB70_2
; %bb.1:
	global_load_ushort v0, v[4:5], off
	s_waitcnt vmcnt(0)
	v_cvt_f32_f16_e32 v0, v0
.LBB70_2:
	s_or_b64 exec, exec, s[2:3]
	v_cmp_lt_i32_e64 s[2:3], 1, v6
	s_and_b64 s[2:3], vcc, s[2:3]
	s_and_saveexec_b64 s[4:5], s[2:3]
	s_cbranch_execz .LBB70_4
; %bb.3:
	s_mov_b32 s15, 0
	s_lshl_b64 s[2:3], s[14:15], 1
	v_mov_b32_e32 v1, s3
	v_add_co_u32_e64 v4, s[2:3], s2, v4
	v_addc_co_u32_e64 v5, s[2:3], v5, v1, s[2:3]
	global_load_ushort v1, v[4:5], off
	s_waitcnt vmcnt(0)
	v_cvt_f32_f16_e32 v1, v1
.LBB70_4:
	s_or_b64 exec, exec, s[4:5]
	s_and_saveexec_b64 s[2:3], s[0:1]
	s_cbranch_execz .LBB70_10
; %bb.5:
	v_pk_add_f32 v[8:9], v[0:1], v[0:1] neg_lo:[0,1] neg_hi:[0,1]
	s_mov_b32 s3, 0x3fb8aa3b
	v_mul_f32_e32 v5, 0x3fb8aa3b, v9
	v_fma_f32 v7, v9, s3, -v5
	v_rndne_f32_e32 v10, v5
	v_fmac_f32_e32 v7, 0x32a5705f, v9
	v_sub_f32_e32 v5, v5, v10
	v_add_f32_e32 v5, v5, v7
	v_exp_f32_e32 v5, v5
	v_cvt_i32_f32_e32 v7, v10
	v_mov_b32_e32 v4, s9
	v_add_co_u32_e64 v2, s[0:1], s8, v2
	v_addc_co_u32_e64 v3, s[0:1], v4, v3, s[0:1]
	v_ldexp_f32 v4, v5, v7
	v_mul_f32_e32 v5, 0x3fb8aa3b, v8
	v_fma_f32 v7, v8, s3, -v5
	v_rndne_f32_e32 v10, v5
	v_fmac_f32_e32 v7, 0x32a5705f, v8
	v_sub_f32_e32 v5, v5, v10
	v_add_f32_e32 v5, v5, v7
	v_exp_f32_e32 v5, v5
	v_cvt_i32_f32_e32 v7, v10
	s_mov_b32 s4, 0xc2ce8ed0
	v_cmp_ngt_f32_e64 s[0:1], s4, v9
	s_mov_b32 s5, 0x42b17218
	v_cndmask_b32_e64 v4, 0, v4, s[0:1]
	v_mov_b32_e32 v10, 0x7f800000
	v_cmp_nlt_f32_e64 s[0:1], s5, v9
	v_cndmask_b32_e64 v4, v10, v4, s[0:1]
	v_ldexp_f32 v5, v5, v7
	v_cmp_ngt_f32_e64 s[0:1], s4, v8
	v_cndmask_b32_e64 v5, 0, v5, s[0:1]
	v_cmp_nlt_f32_e64 s[0:1], s5, v8
	s_mov_b32 s2, 0x7f800000
	v_cndmask_b32_e64 v5, v10, v5, s[0:1]
	s_and_saveexec_b64 s[4:5], vcc
	s_cbranch_execz .LBB70_7
; %bb.6:
	s_mov_b32 s0, 0x800000
	v_mov_b32_e32 v7, 0x4f800000
	v_cmp_gt_f32_e64 s[0:1], s0, v5
	v_cndmask_b32_e64 v7, 1.0, v7, s[0:1]
	v_mul_f32_e32 v5, v5, v7
	v_log_f32_e32 v5, v5
	s_mov_b32 s3, 0x3f317217
	v_sub_f32_e32 v0, v0, v0
	v_mul_f32_e32 v7, 0x3f317217, v5
	v_fma_f32 v8, v5, s3, -v7
	v_fmac_f32_e32 v8, 0x3377d1cf, v5
	v_add_f32_e32 v7, v7, v8
	v_cmp_lt_f32_e64 s[2:3], |v5|, s2
	v_cndmask_b32_e64 v5, v5, v7, s[2:3]
	v_mov_b32_e32 v7, 0x41b17218
	v_cndmask_b32_e64 v7, 0, v7, s[0:1]
	v_sub_f32_e32 v5, v5, v7
	v_sub_f32_e32 v0, v0, v5
	v_cvt_f16_f32_e32 v0, v0
	global_store_short v[2:3], v0, off
.LBB70_7:
	s_or_b64 exec, exec, s[4:5]
	v_cmp_ne_u32_e64 s[0:1], 1, v6
	s_and_b64 exec, exec, s[0:1]
	s_cbranch_execz .LBB70_10
; %bb.8:
	s_and_b64 exec, exec, vcc
	s_cbranch_execz .LBB70_10
; %bb.9:
	s_mov_b32 s0, 0x800000
	v_mov_b32_e32 v0, 0x4f800000
	v_cmp_gt_f32_e32 vcc, s0, v4
	v_cndmask_b32_e32 v0, 1.0, v0, vcc
	v_mul_f32_e32 v0, v4, v0
	v_log_f32_e32 v0, v0
	s_mov_b32 s0, 0x3f317217
	v_sub_f32_e32 v1, v1, v1
	s_mov_b32 s15, 0
	v_mul_f32_e32 v4, 0x3f317217, v0
	v_fma_f32 v5, v0, s0, -v4
	v_fmac_f32_e32 v5, 0x3377d1cf, v0
	s_mov_b32 s0, 0x7f800000
	v_add_f32_e32 v4, v4, v5
	v_cmp_lt_f32_e64 s[0:1], |v0|, s0
	v_cndmask_b32_e64 v0, v0, v4, s[0:1]
	v_mov_b32_e32 v4, 0x41b17218
	v_cndmask_b32_e32 v4, 0, v4, vcc
	v_sub_f32_e32 v0, v0, v4
	v_sub_f32_e32 v0, v1, v0
	v_cvt_f16_f32_e32 v4, v0
	s_lshl_b64 s[0:1], s[14:15], 1
	v_mov_b32_e32 v1, s1
	v_add_co_u32_e32 v0, vcc, s0, v2
	v_addc_co_u32_e32 v1, vcc, v3, v1, vcc
	global_store_short v[0:1], v4, off
.LBB70_10:
	s_endpgm
	.section	.rodata,"a",@progbits
	.p2align	6, 0x0
	.amdhsa_kernel _ZN12_GLOBAL__N_120softmax_warp_forwardIN3c104HalfES2_fLi0ELb1ELb0ELi64EEEvPT0_PKT_iiiPKbib
		.amdhsa_group_segment_fixed_size 0
		.amdhsa_private_segment_fixed_size 0
		.amdhsa_kernarg_size 304
		.amdhsa_user_sgpr_count 6
		.amdhsa_user_sgpr_private_segment_buffer 1
		.amdhsa_user_sgpr_dispatch_ptr 0
		.amdhsa_user_sgpr_queue_ptr 0
		.amdhsa_user_sgpr_kernarg_segment_ptr 1
		.amdhsa_user_sgpr_dispatch_id 0
		.amdhsa_user_sgpr_flat_scratch_init 0
		.amdhsa_user_sgpr_kernarg_preload_length 0
		.amdhsa_user_sgpr_kernarg_preload_offset 0
		.amdhsa_user_sgpr_private_segment_size 0
		.amdhsa_uses_dynamic_stack 0
		.amdhsa_system_sgpr_private_segment_wavefront_offset 0
		.amdhsa_system_sgpr_workgroup_id_x 1
		.amdhsa_system_sgpr_workgroup_id_y 0
		.amdhsa_system_sgpr_workgroup_id_z 0
		.amdhsa_system_sgpr_workgroup_info 0
		.amdhsa_system_vgpr_workitem_id 1
		.amdhsa_next_free_vgpr 11
		.amdhsa_next_free_sgpr 16
		.amdhsa_accum_offset 12
		.amdhsa_reserve_vcc 1
		.amdhsa_reserve_flat_scratch 0
		.amdhsa_float_round_mode_32 0
		.amdhsa_float_round_mode_16_64 0
		.amdhsa_float_denorm_mode_32 3
		.amdhsa_float_denorm_mode_16_64 3
		.amdhsa_dx10_clamp 1
		.amdhsa_ieee_mode 1
		.amdhsa_fp16_overflow 0
		.amdhsa_tg_split 0
		.amdhsa_exception_fp_ieee_invalid_op 0
		.amdhsa_exception_fp_denorm_src 0
		.amdhsa_exception_fp_ieee_div_zero 0
		.amdhsa_exception_fp_ieee_overflow 0
		.amdhsa_exception_fp_ieee_underflow 0
		.amdhsa_exception_fp_ieee_inexact 0
		.amdhsa_exception_int_div_zero 0
	.end_amdhsa_kernel
	.section	.text._ZN12_GLOBAL__N_120softmax_warp_forwardIN3c104HalfES2_fLi0ELb1ELb0ELi64EEEvPT0_PKT_iiiPKbib,"axG",@progbits,_ZN12_GLOBAL__N_120softmax_warp_forwardIN3c104HalfES2_fLi0ELb1ELb0ELi64EEEvPT0_PKT_iiiPKbib,comdat
.Lfunc_end70:
	.size	_ZN12_GLOBAL__N_120softmax_warp_forwardIN3c104HalfES2_fLi0ELb1ELb0ELi64EEEvPT0_PKT_iiiPKbib, .Lfunc_end70-_ZN12_GLOBAL__N_120softmax_warp_forwardIN3c104HalfES2_fLi0ELb1ELb0ELi64EEEvPT0_PKT_iiiPKbib
                                        ; -- End function
	.section	.AMDGPU.csdata,"",@progbits
; Kernel info:
; codeLenInByte = 780
; NumSgprs: 20
; NumVgprs: 11
; NumAgprs: 0
; TotalNumVgprs: 11
; ScratchSize: 0
; MemoryBound: 0
; FloatMode: 240
; IeeeMode: 1
; LDSByteSize: 0 bytes/workgroup (compile time only)
; SGPRBlocks: 2
; VGPRBlocks: 1
; NumSGPRsForWavesPerEU: 20
; NumVGPRsForWavesPerEU: 11
; AccumOffset: 12
; Occupancy: 8
; WaveLimiterHint : 0
; COMPUTE_PGM_RSRC2:SCRATCH_EN: 0
; COMPUTE_PGM_RSRC2:USER_SGPR: 6
; COMPUTE_PGM_RSRC2:TRAP_HANDLER: 0
; COMPUTE_PGM_RSRC2:TGID_X_EN: 1
; COMPUTE_PGM_RSRC2:TGID_Y_EN: 0
; COMPUTE_PGM_RSRC2:TGID_Z_EN: 0
; COMPUTE_PGM_RSRC2:TIDIG_COMP_CNT: 1
; COMPUTE_PGM_RSRC3_GFX90A:ACCUM_OFFSET: 2
; COMPUTE_PGM_RSRC3_GFX90A:TG_SPLIT: 0
	.section	.text._ZN12_GLOBAL__N_120softmax_warp_forwardIN3c104HalfES2_fLi0ELb1ELb0ELi32EEEvPT0_PKT_iiiPKbib,"axG",@progbits,_ZN12_GLOBAL__N_120softmax_warp_forwardIN3c104HalfES2_fLi0ELb1ELb0ELi32EEEvPT0_PKT_iiiPKbib,comdat
	.globl	_ZN12_GLOBAL__N_120softmax_warp_forwardIN3c104HalfES2_fLi0ELb1ELb0ELi32EEEvPT0_PKT_iiiPKbib ; -- Begin function _ZN12_GLOBAL__N_120softmax_warp_forwardIN3c104HalfES2_fLi0ELb1ELb0ELi32EEEvPT0_PKT_iiiPKbib
	.p2align	8
	.type	_ZN12_GLOBAL__N_120softmax_warp_forwardIN3c104HalfES2_fLi0ELb1ELb0ELi32EEEvPT0_PKT_iiiPKbib,@function
_ZN12_GLOBAL__N_120softmax_warp_forwardIN3c104HalfES2_fLi0ELb1ELb0ELi32EEEvPT0_PKT_iiiPKbib: ; @_ZN12_GLOBAL__N_120softmax_warp_forwardIN3c104HalfES2_fLi0ELb1ELb0ELi32EEEvPT0_PKT_iiiPKbib
; %bb.0:
	s_load_dword s0, s[4:5], 0x3c
	s_load_dwordx8 s[8:15], s[4:5], 0x0
	v_bfe_u32 v1, v0, 10, 10
	v_and_b32_e32 v0, 0x3ff, v0
	s_waitcnt lgkmcnt(0)
	s_lshr_b32 s0, s0, 16
	s_mul_i32 s6, s6, s0
	v_add_lshl_u32 v1, s6, v1, 1
	v_mad_u64_u32 v[2:3], s[0:1], v1, s13, v[0:1]
	v_ashrrev_i32_e32 v3, 31, v2
	v_lshlrev_b64 v[2:3], 1, v[2:3]
	v_sub_u32_e32 v6, s12, v1
	v_mov_b32_e32 v1, s11
	v_add_co_u32_e32 v4, vcc, s10, v2
	v_addc_co_u32_e32 v5, vcc, v1, v3, vcc
	v_cmp_gt_i32_e32 vcc, s14, v0
	v_cmp_lt_i32_e64 s[0:1], 0, v6
	s_and_b64 s[4:5], vcc, s[0:1]
	v_mov_b32_e32 v1, 0xff800000
	v_mov_b32_e32 v0, 0xff800000
	s_and_saveexec_b64 s[2:3], s[4:5]
	s_cbranch_execz .LBB71_2
; %bb.1:
	global_load_ushort v0, v[4:5], off
	s_waitcnt vmcnt(0)
	v_cvt_f32_f16_e32 v0, v0
.LBB71_2:
	s_or_b64 exec, exec, s[2:3]
	v_cmp_lt_i32_e64 s[2:3], 1, v6
	s_and_b64 s[2:3], vcc, s[2:3]
	s_and_saveexec_b64 s[4:5], s[2:3]
	s_cbranch_execz .LBB71_4
; %bb.3:
	s_mov_b32 s15, 0
	s_lshl_b64 s[2:3], s[14:15], 1
	v_mov_b32_e32 v1, s3
	v_add_co_u32_e64 v4, s[2:3], s2, v4
	v_addc_co_u32_e64 v5, s[2:3], v5, v1, s[2:3]
	global_load_ushort v1, v[4:5], off
	s_waitcnt vmcnt(0)
	v_cvt_f32_f16_e32 v1, v1
.LBB71_4:
	s_or_b64 exec, exec, s[4:5]
	s_and_saveexec_b64 s[2:3], s[0:1]
	s_cbranch_execz .LBB71_10
; %bb.5:
	v_pk_add_f32 v[8:9], v[0:1], v[0:1] neg_lo:[0,1] neg_hi:[0,1]
	s_mov_b32 s3, 0x3fb8aa3b
	v_mul_f32_e32 v5, 0x3fb8aa3b, v9
	v_fma_f32 v7, v9, s3, -v5
	v_rndne_f32_e32 v10, v5
	v_fmac_f32_e32 v7, 0x32a5705f, v9
	v_sub_f32_e32 v5, v5, v10
	v_add_f32_e32 v5, v5, v7
	v_exp_f32_e32 v5, v5
	v_cvt_i32_f32_e32 v7, v10
	v_mov_b32_e32 v4, s9
	v_add_co_u32_e64 v2, s[0:1], s8, v2
	v_addc_co_u32_e64 v3, s[0:1], v4, v3, s[0:1]
	v_ldexp_f32 v4, v5, v7
	v_mul_f32_e32 v5, 0x3fb8aa3b, v8
	v_fma_f32 v7, v8, s3, -v5
	v_rndne_f32_e32 v10, v5
	v_fmac_f32_e32 v7, 0x32a5705f, v8
	v_sub_f32_e32 v5, v5, v10
	v_add_f32_e32 v5, v5, v7
	v_exp_f32_e32 v5, v5
	v_cvt_i32_f32_e32 v7, v10
	s_mov_b32 s4, 0xc2ce8ed0
	v_cmp_ngt_f32_e64 s[0:1], s4, v9
	s_mov_b32 s5, 0x42b17218
	v_cndmask_b32_e64 v4, 0, v4, s[0:1]
	v_mov_b32_e32 v10, 0x7f800000
	v_cmp_nlt_f32_e64 s[0:1], s5, v9
	v_cndmask_b32_e64 v4, v10, v4, s[0:1]
	v_ldexp_f32 v5, v5, v7
	v_cmp_ngt_f32_e64 s[0:1], s4, v8
	v_cndmask_b32_e64 v5, 0, v5, s[0:1]
	v_cmp_nlt_f32_e64 s[0:1], s5, v8
	s_mov_b32 s2, 0x7f800000
	v_cndmask_b32_e64 v5, v10, v5, s[0:1]
	s_and_saveexec_b64 s[4:5], vcc
	s_cbranch_execz .LBB71_7
; %bb.6:
	s_mov_b32 s0, 0x800000
	v_mov_b32_e32 v7, 0x4f800000
	v_cmp_gt_f32_e64 s[0:1], s0, v5
	v_cndmask_b32_e64 v7, 1.0, v7, s[0:1]
	v_mul_f32_e32 v5, v5, v7
	v_log_f32_e32 v5, v5
	s_mov_b32 s3, 0x3f317217
	v_sub_f32_e32 v0, v0, v0
	v_mul_f32_e32 v7, 0x3f317217, v5
	v_fma_f32 v8, v5, s3, -v7
	v_fmac_f32_e32 v8, 0x3377d1cf, v5
	v_add_f32_e32 v7, v7, v8
	v_cmp_lt_f32_e64 s[2:3], |v5|, s2
	v_cndmask_b32_e64 v5, v5, v7, s[2:3]
	v_mov_b32_e32 v7, 0x41b17218
	v_cndmask_b32_e64 v7, 0, v7, s[0:1]
	v_sub_f32_e32 v5, v5, v7
	v_sub_f32_e32 v0, v0, v5
	v_cvt_f16_f32_e32 v0, v0
	global_store_short v[2:3], v0, off
.LBB71_7:
	s_or_b64 exec, exec, s[4:5]
	v_cmp_ne_u32_e64 s[0:1], 1, v6
	s_and_b64 exec, exec, s[0:1]
	s_cbranch_execz .LBB71_10
; %bb.8:
	s_and_b64 exec, exec, vcc
	s_cbranch_execz .LBB71_10
; %bb.9:
	s_mov_b32 s0, 0x800000
	v_mov_b32_e32 v0, 0x4f800000
	v_cmp_gt_f32_e32 vcc, s0, v4
	v_cndmask_b32_e32 v0, 1.0, v0, vcc
	v_mul_f32_e32 v0, v4, v0
	v_log_f32_e32 v0, v0
	s_mov_b32 s0, 0x3f317217
	v_sub_f32_e32 v1, v1, v1
	s_mov_b32 s15, 0
	v_mul_f32_e32 v4, 0x3f317217, v0
	v_fma_f32 v5, v0, s0, -v4
	v_fmac_f32_e32 v5, 0x3377d1cf, v0
	s_mov_b32 s0, 0x7f800000
	v_add_f32_e32 v4, v4, v5
	v_cmp_lt_f32_e64 s[0:1], |v0|, s0
	v_cndmask_b32_e64 v0, v0, v4, s[0:1]
	v_mov_b32_e32 v4, 0x41b17218
	v_cndmask_b32_e32 v4, 0, v4, vcc
	v_sub_f32_e32 v0, v0, v4
	v_sub_f32_e32 v0, v1, v0
	v_cvt_f16_f32_e32 v4, v0
	s_lshl_b64 s[0:1], s[14:15], 1
	v_mov_b32_e32 v1, s1
	v_add_co_u32_e32 v0, vcc, s0, v2
	v_addc_co_u32_e32 v1, vcc, v3, v1, vcc
	global_store_short v[0:1], v4, off
.LBB71_10:
	s_endpgm
	.section	.rodata,"a",@progbits
	.p2align	6, 0x0
	.amdhsa_kernel _ZN12_GLOBAL__N_120softmax_warp_forwardIN3c104HalfES2_fLi0ELb1ELb0ELi32EEEvPT0_PKT_iiiPKbib
		.amdhsa_group_segment_fixed_size 0
		.amdhsa_private_segment_fixed_size 0
		.amdhsa_kernarg_size 304
		.amdhsa_user_sgpr_count 6
		.amdhsa_user_sgpr_private_segment_buffer 1
		.amdhsa_user_sgpr_dispatch_ptr 0
		.amdhsa_user_sgpr_queue_ptr 0
		.amdhsa_user_sgpr_kernarg_segment_ptr 1
		.amdhsa_user_sgpr_dispatch_id 0
		.amdhsa_user_sgpr_flat_scratch_init 0
		.amdhsa_user_sgpr_kernarg_preload_length 0
		.amdhsa_user_sgpr_kernarg_preload_offset 0
		.amdhsa_user_sgpr_private_segment_size 0
		.amdhsa_uses_dynamic_stack 0
		.amdhsa_system_sgpr_private_segment_wavefront_offset 0
		.amdhsa_system_sgpr_workgroup_id_x 1
		.amdhsa_system_sgpr_workgroup_id_y 0
		.amdhsa_system_sgpr_workgroup_id_z 0
		.amdhsa_system_sgpr_workgroup_info 0
		.amdhsa_system_vgpr_workitem_id 1
		.amdhsa_next_free_vgpr 11
		.amdhsa_next_free_sgpr 16
		.amdhsa_accum_offset 12
		.amdhsa_reserve_vcc 1
		.amdhsa_reserve_flat_scratch 0
		.amdhsa_float_round_mode_32 0
		.amdhsa_float_round_mode_16_64 0
		.amdhsa_float_denorm_mode_32 3
		.amdhsa_float_denorm_mode_16_64 3
		.amdhsa_dx10_clamp 1
		.amdhsa_ieee_mode 1
		.amdhsa_fp16_overflow 0
		.amdhsa_tg_split 0
		.amdhsa_exception_fp_ieee_invalid_op 0
		.amdhsa_exception_fp_denorm_src 0
		.amdhsa_exception_fp_ieee_div_zero 0
		.amdhsa_exception_fp_ieee_overflow 0
		.amdhsa_exception_fp_ieee_underflow 0
		.amdhsa_exception_fp_ieee_inexact 0
		.amdhsa_exception_int_div_zero 0
	.end_amdhsa_kernel
	.section	.text._ZN12_GLOBAL__N_120softmax_warp_forwardIN3c104HalfES2_fLi0ELb1ELb0ELi32EEEvPT0_PKT_iiiPKbib,"axG",@progbits,_ZN12_GLOBAL__N_120softmax_warp_forwardIN3c104HalfES2_fLi0ELb1ELb0ELi32EEEvPT0_PKT_iiiPKbib,comdat
.Lfunc_end71:
	.size	_ZN12_GLOBAL__N_120softmax_warp_forwardIN3c104HalfES2_fLi0ELb1ELb0ELi32EEEvPT0_PKT_iiiPKbib, .Lfunc_end71-_ZN12_GLOBAL__N_120softmax_warp_forwardIN3c104HalfES2_fLi0ELb1ELb0ELi32EEEvPT0_PKT_iiiPKbib
                                        ; -- End function
	.section	.AMDGPU.csdata,"",@progbits
; Kernel info:
; codeLenInByte = 780
; NumSgprs: 20
; NumVgprs: 11
; NumAgprs: 0
; TotalNumVgprs: 11
; ScratchSize: 0
; MemoryBound: 0
; FloatMode: 240
; IeeeMode: 1
; LDSByteSize: 0 bytes/workgroup (compile time only)
; SGPRBlocks: 2
; VGPRBlocks: 1
; NumSGPRsForWavesPerEU: 20
; NumVGPRsForWavesPerEU: 11
; AccumOffset: 12
; Occupancy: 8
; WaveLimiterHint : 0
; COMPUTE_PGM_RSRC2:SCRATCH_EN: 0
; COMPUTE_PGM_RSRC2:USER_SGPR: 6
; COMPUTE_PGM_RSRC2:TRAP_HANDLER: 0
; COMPUTE_PGM_RSRC2:TGID_X_EN: 1
; COMPUTE_PGM_RSRC2:TGID_Y_EN: 0
; COMPUTE_PGM_RSRC2:TGID_Z_EN: 0
; COMPUTE_PGM_RSRC2:TIDIG_COMP_CNT: 1
; COMPUTE_PGM_RSRC3_GFX90A:ACCUM_OFFSET: 2
; COMPUTE_PGM_RSRC3_GFX90A:TG_SPLIT: 0
	.section	.text._ZN12_GLOBAL__N_120softmax_warp_forwardIN3c104HalfES2_fLi1ELb1ELb0ELi64EEEvPT0_PKT_iiiPKbib,"axG",@progbits,_ZN12_GLOBAL__N_120softmax_warp_forwardIN3c104HalfES2_fLi1ELb1ELb0ELi64EEEvPT0_PKT_iiiPKbib,comdat
	.globl	_ZN12_GLOBAL__N_120softmax_warp_forwardIN3c104HalfES2_fLi1ELb1ELb0ELi64EEEvPT0_PKT_iiiPKbib ; -- Begin function _ZN12_GLOBAL__N_120softmax_warp_forwardIN3c104HalfES2_fLi1ELb1ELb0ELi64EEEvPT0_PKT_iiiPKbib
	.p2align	8
	.type	_ZN12_GLOBAL__N_120softmax_warp_forwardIN3c104HalfES2_fLi1ELb1ELb0ELi64EEEvPT0_PKT_iiiPKbib,@function
_ZN12_GLOBAL__N_120softmax_warp_forwardIN3c104HalfES2_fLi1ELb1ELb0ELi64EEEvPT0_PKT_iiiPKbib: ; @_ZN12_GLOBAL__N_120softmax_warp_forwardIN3c104HalfES2_fLi1ELb1ELb0ELi64EEEvPT0_PKT_iiiPKbib
; %bb.0:
	s_load_dword s0, s[4:5], 0x3c
	s_load_dwordx8 s[8:15], s[4:5], 0x0
	v_bfe_u32 v1, v0, 10, 10
	v_and_b32_e32 v0, 0x3ff, v0
	s_waitcnt lgkmcnt(0)
	s_lshr_b32 s0, s0, 16
	s_mul_i32 s6, s6, s0
	v_add_lshl_u32 v1, s6, v1, 1
	v_mad_u64_u32 v[2:3], s[0:1], v1, s13, v[0:1]
	v_ashrrev_i32_e32 v3, 31, v2
	v_lshlrev_b64 v[4:5], 1, v[2:3]
	v_sub_u32_e32 v10, s12, v1
	v_mov_b32_e32 v1, s11
	v_add_co_u32_e32 v2, vcc, s10, v4
	v_addc_co_u32_e32 v3, vcc, v1, v5, vcc
	v_cmp_gt_i32_e32 vcc, s14, v0
	v_cmp_lt_i32_e64 s[0:1], 0, v10
	s_and_b64 s[4:5], vcc, s[0:1]
	v_mov_b32_e32 v1, 0xff800000
	v_mov_b32_e32 v0, 0xff800000
	s_and_saveexec_b64 s[2:3], s[4:5]
	s_cbranch_execz .LBB72_2
; %bb.1:
	global_load_ushort v0, v[2:3], off
	s_waitcnt vmcnt(0)
	v_cvt_f32_f16_e32 v0, v0
.LBB72_2:
	s_or_b64 exec, exec, s[2:3]
	v_cmp_lt_i32_e64 s[2:3], 1, v10
	s_and_b64 s[2:3], vcc, s[2:3]
	s_and_saveexec_b64 s[4:5], s[2:3]
	s_cbranch_execz .LBB72_4
; %bb.3:
	s_mov_b32 s15, 0
	s_lshl_b64 s[2:3], s[14:15], 1
	v_mov_b32_e32 v1, s3
	v_add_co_u32_e64 v2, s[2:3], s2, v2
	v_addc_co_u32_e64 v3, s[2:3], v3, v1, s[2:3]
	global_load_ushort v1, v[2:3], off
	s_waitcnt vmcnt(0)
	v_cvt_f32_f16_e32 v1, v1
.LBB72_4:
	s_or_b64 exec, exec, s[4:5]
	v_mbcnt_lo_u32_b32 v2, -1, 0
	v_mbcnt_hi_u32_b32 v2, -1, v2
	v_and_b32_e32 v6, 0x7e, v2
	v_xor_b32_e32 v3, 1, v2
	v_add_u32_e32 v6, 2, v6
	v_cmp_lt_i32_e64 s[2:3], v3, v6
	v_cndmask_b32_e64 v2, v2, v3, s[2:3]
	v_lshlrev_b32_e32 v9, 2, v2
	ds_bpermute_b32 v2, v9, v1
	ds_bpermute_b32 v6, v9, v0
	s_mov_b32 s4, 0x3fb8aa3b
	s_mov_b32 s5, 0xc2ce8ed0
	s_mov_b32 s6, 0x42b17218
	s_waitcnt lgkmcnt(1)
	v_cmp_lt_f32_e64 s[2:3], v1, v2
	v_cndmask_b32_e64 v3, v1, v2, s[2:3]
	s_waitcnt lgkmcnt(0)
	v_cmp_lt_f32_e64 s[2:3], v0, v6
	v_cndmask_b32_e64 v2, v0, v6, s[2:3]
	v_pk_add_f32 v[6:7], v[0:1], v[2:3] neg_lo:[0,1] neg_hi:[0,1]
	v_mul_f32_e32 v8, 0x3fb8aa3b, v7
	v_fma_f32 v11, v7, s4, -v8
	v_rndne_f32_e32 v12, v8
	v_fmac_f32_e32 v11, 0x32a5705f, v7
	v_sub_f32_e32 v8, v8, v12
	v_add_f32_e32 v8, v8, v11
	v_exp_f32_e32 v8, v8
	v_cvt_i32_f32_e32 v11, v12
	v_cmp_ngt_f32_e64 s[2:3], s5, v7
	v_ldexp_f32 v8, v8, v11
	v_mul_f32_e32 v11, 0x3fb8aa3b, v6
	v_fma_f32 v12, v6, s4, -v11
	v_rndne_f32_e32 v13, v11
	v_fmac_f32_e32 v12, 0x32a5705f, v6
	v_sub_f32_e32 v11, v11, v13
	v_add_f32_e32 v11, v11, v12
	v_exp_f32_e32 v11, v11
	v_cvt_i32_f32_e32 v12, v13
	v_cndmask_b32_e64 v8, 0, v8, s[2:3]
	v_mov_b32_e32 v13, 0x7f800000
	v_cmp_nlt_f32_e64 s[2:3], s6, v7
	v_cndmask_b32_e64 v7, v13, v8, s[2:3]
	v_ldexp_f32 v8, v11, v12
	v_cmp_ngt_f32_e64 s[2:3], s5, v6
	v_cndmask_b32_e64 v8, 0, v8, s[2:3]
	v_cmp_nlt_f32_e64 s[2:3], s6, v6
	v_cndmask_b32_e64 v6, v13, v8, s[2:3]
	ds_bpermute_b32 v8, v9, v6
	ds_bpermute_b32 v9, v9, v7
	s_and_saveexec_b64 s[2:3], s[0:1]
	s_cbranch_execz .LBB72_10
; %bb.5:
	v_mov_b32_e32 v11, s9
	v_add_co_u32_e64 v4, s[0:1], s8, v4
	v_addc_co_u32_e64 v5, s[0:1], v11, v5, s[0:1]
	s_waitcnt lgkmcnt(0)
	v_pk_add_f32 v[6:7], v[6:7], v[8:9]
	s_and_saveexec_b64 s[4:5], vcc
	s_cbranch_execz .LBB72_7
; %bb.6:
	s_mov_b32 s0, 0x800000
	v_mov_b32_e32 v8, 0x4f800000
	v_cmp_gt_f32_e64 s[0:1], s0, v6
	v_cndmask_b32_e64 v8, 1.0, v8, s[0:1]
	v_mul_f32_e32 v6, v6, v8
	v_log_f32_e32 v6, v6
	s_mov_b32 s2, 0x3f317217
	v_sub_f32_e32 v0, v0, v2
	v_mul_f32_e32 v8, 0x3f317217, v6
	v_fma_f32 v9, v6, s2, -v8
	v_fmac_f32_e32 v9, 0x3377d1cf, v6
	s_mov_b32 s2, 0x7f800000
	v_add_f32_e32 v8, v8, v9
	v_cmp_lt_f32_e64 s[2:3], |v6|, s2
	v_cndmask_b32_e64 v6, v6, v8, s[2:3]
	v_mov_b32_e32 v8, 0x41b17218
	v_cndmask_b32_e64 v8, 0, v8, s[0:1]
	v_sub_f32_e32 v6, v6, v8
	v_sub_f32_e32 v0, v0, v6
	v_cvt_f16_f32_e32 v0, v0
	global_store_short v[4:5], v0, off
.LBB72_7:
	s_or_b64 exec, exec, s[4:5]
	v_cmp_ne_u32_e64 s[0:1], 1, v10
	s_and_b64 exec, exec, s[0:1]
	s_cbranch_execz .LBB72_10
; %bb.8:
	s_and_b64 exec, exec, vcc
	s_cbranch_execz .LBB72_10
; %bb.9:
	s_mov_b32 s0, 0x800000
	v_mov_b32_e32 v0, 0x4f800000
	v_cmp_gt_f32_e32 vcc, s0, v7
	v_cndmask_b32_e32 v0, 1.0, v0, vcc
	v_mul_f32_e32 v0, v7, v0
	v_log_f32_e32 v0, v0
	s_mov_b32 s0, 0x3f317217
	v_sub_f32_e32 v1, v1, v3
	s_mov_b32 s15, 0
	v_mul_f32_e32 v2, 0x3f317217, v0
	v_fma_f32 v6, v0, s0, -v2
	v_fmac_f32_e32 v6, 0x3377d1cf, v0
	s_mov_b32 s0, 0x7f800000
	v_add_f32_e32 v2, v2, v6
	v_cmp_lt_f32_e64 s[0:1], |v0|, s0
	v_cndmask_b32_e64 v0, v0, v2, s[0:1]
	v_mov_b32_e32 v2, 0x41b17218
	v_cndmask_b32_e32 v2, 0, v2, vcc
	v_sub_f32_e32 v0, v0, v2
	v_sub_f32_e32 v0, v1, v0
	v_cvt_f16_f32_e32 v2, v0
	s_lshl_b64 s[0:1], s[14:15], 1
	v_mov_b32_e32 v1, s1
	v_add_co_u32_e32 v0, vcc, s0, v4
	v_addc_co_u32_e32 v1, vcc, v5, v1, vcc
	global_store_short v[0:1], v2, off
.LBB72_10:
	s_endpgm
	.section	.rodata,"a",@progbits
	.p2align	6, 0x0
	.amdhsa_kernel _ZN12_GLOBAL__N_120softmax_warp_forwardIN3c104HalfES2_fLi1ELb1ELb0ELi64EEEvPT0_PKT_iiiPKbib
		.amdhsa_group_segment_fixed_size 0
		.amdhsa_private_segment_fixed_size 0
		.amdhsa_kernarg_size 304
		.amdhsa_user_sgpr_count 6
		.amdhsa_user_sgpr_private_segment_buffer 1
		.amdhsa_user_sgpr_dispatch_ptr 0
		.amdhsa_user_sgpr_queue_ptr 0
		.amdhsa_user_sgpr_kernarg_segment_ptr 1
		.amdhsa_user_sgpr_dispatch_id 0
		.amdhsa_user_sgpr_flat_scratch_init 0
		.amdhsa_user_sgpr_kernarg_preload_length 0
		.amdhsa_user_sgpr_kernarg_preload_offset 0
		.amdhsa_user_sgpr_private_segment_size 0
		.amdhsa_uses_dynamic_stack 0
		.amdhsa_system_sgpr_private_segment_wavefront_offset 0
		.amdhsa_system_sgpr_workgroup_id_x 1
		.amdhsa_system_sgpr_workgroup_id_y 0
		.amdhsa_system_sgpr_workgroup_id_z 0
		.amdhsa_system_sgpr_workgroup_info 0
		.amdhsa_system_vgpr_workitem_id 1
		.amdhsa_next_free_vgpr 14
		.amdhsa_next_free_sgpr 16
		.amdhsa_accum_offset 16
		.amdhsa_reserve_vcc 1
		.amdhsa_reserve_flat_scratch 0
		.amdhsa_float_round_mode_32 0
		.amdhsa_float_round_mode_16_64 0
		.amdhsa_float_denorm_mode_32 3
		.amdhsa_float_denorm_mode_16_64 3
		.amdhsa_dx10_clamp 1
		.amdhsa_ieee_mode 1
		.amdhsa_fp16_overflow 0
		.amdhsa_tg_split 0
		.amdhsa_exception_fp_ieee_invalid_op 0
		.amdhsa_exception_fp_denorm_src 0
		.amdhsa_exception_fp_ieee_div_zero 0
		.amdhsa_exception_fp_ieee_overflow 0
		.amdhsa_exception_fp_ieee_underflow 0
		.amdhsa_exception_fp_ieee_inexact 0
		.amdhsa_exception_int_div_zero 0
	.end_amdhsa_kernel
	.section	.text._ZN12_GLOBAL__N_120softmax_warp_forwardIN3c104HalfES2_fLi1ELb1ELb0ELi64EEEvPT0_PKT_iiiPKbib,"axG",@progbits,_ZN12_GLOBAL__N_120softmax_warp_forwardIN3c104HalfES2_fLi1ELb1ELb0ELi64EEEvPT0_PKT_iiiPKbib,comdat
.Lfunc_end72:
	.size	_ZN12_GLOBAL__N_120softmax_warp_forwardIN3c104HalfES2_fLi1ELb1ELb0ELi64EEEvPT0_PKT_iiiPKbib, .Lfunc_end72-_ZN12_GLOBAL__N_120softmax_warp_forwardIN3c104HalfES2_fLi1ELb1ELb0ELi64EEEvPT0_PKT_iiiPKbib
                                        ; -- End function
	.section	.AMDGPU.csdata,"",@progbits
; Kernel info:
; codeLenInByte = 916
; NumSgprs: 20
; NumVgprs: 14
; NumAgprs: 0
; TotalNumVgprs: 14
; ScratchSize: 0
; MemoryBound: 0
; FloatMode: 240
; IeeeMode: 1
; LDSByteSize: 0 bytes/workgroup (compile time only)
; SGPRBlocks: 2
; VGPRBlocks: 1
; NumSGPRsForWavesPerEU: 20
; NumVGPRsForWavesPerEU: 14
; AccumOffset: 16
; Occupancy: 8
; WaveLimiterHint : 0
; COMPUTE_PGM_RSRC2:SCRATCH_EN: 0
; COMPUTE_PGM_RSRC2:USER_SGPR: 6
; COMPUTE_PGM_RSRC2:TRAP_HANDLER: 0
; COMPUTE_PGM_RSRC2:TGID_X_EN: 1
; COMPUTE_PGM_RSRC2:TGID_Y_EN: 0
; COMPUTE_PGM_RSRC2:TGID_Z_EN: 0
; COMPUTE_PGM_RSRC2:TIDIG_COMP_CNT: 1
; COMPUTE_PGM_RSRC3_GFX90A:ACCUM_OFFSET: 3
; COMPUTE_PGM_RSRC3_GFX90A:TG_SPLIT: 0
	.section	.text._ZN12_GLOBAL__N_120softmax_warp_forwardIN3c104HalfES2_fLi1ELb1ELb0ELi32EEEvPT0_PKT_iiiPKbib,"axG",@progbits,_ZN12_GLOBAL__N_120softmax_warp_forwardIN3c104HalfES2_fLi1ELb1ELb0ELi32EEEvPT0_PKT_iiiPKbib,comdat
	.globl	_ZN12_GLOBAL__N_120softmax_warp_forwardIN3c104HalfES2_fLi1ELb1ELb0ELi32EEEvPT0_PKT_iiiPKbib ; -- Begin function _ZN12_GLOBAL__N_120softmax_warp_forwardIN3c104HalfES2_fLi1ELb1ELb0ELi32EEEvPT0_PKT_iiiPKbib
	.p2align	8
	.type	_ZN12_GLOBAL__N_120softmax_warp_forwardIN3c104HalfES2_fLi1ELb1ELb0ELi32EEEvPT0_PKT_iiiPKbib,@function
_ZN12_GLOBAL__N_120softmax_warp_forwardIN3c104HalfES2_fLi1ELb1ELb0ELi32EEEvPT0_PKT_iiiPKbib: ; @_ZN12_GLOBAL__N_120softmax_warp_forwardIN3c104HalfES2_fLi1ELb1ELb0ELi32EEEvPT0_PKT_iiiPKbib
; %bb.0:
	s_load_dword s0, s[4:5], 0x3c
	s_load_dwordx8 s[8:15], s[4:5], 0x0
	v_bfe_u32 v1, v0, 10, 10
	v_and_b32_e32 v0, 0x3ff, v0
	s_waitcnt lgkmcnt(0)
	s_lshr_b32 s0, s0, 16
	s_mul_i32 s6, s6, s0
	v_add_lshl_u32 v1, s6, v1, 1
	v_mad_u64_u32 v[2:3], s[0:1], v1, s13, v[0:1]
	v_ashrrev_i32_e32 v3, 31, v2
	v_lshlrev_b64 v[4:5], 1, v[2:3]
	v_sub_u32_e32 v10, s12, v1
	v_mov_b32_e32 v1, s11
	v_add_co_u32_e32 v2, vcc, s10, v4
	v_addc_co_u32_e32 v3, vcc, v1, v5, vcc
	v_cmp_gt_i32_e32 vcc, s14, v0
	v_cmp_lt_i32_e64 s[0:1], 0, v10
	s_and_b64 s[4:5], vcc, s[0:1]
	v_mov_b32_e32 v1, 0xff800000
	v_mov_b32_e32 v0, 0xff800000
	s_and_saveexec_b64 s[2:3], s[4:5]
	s_cbranch_execz .LBB73_2
; %bb.1:
	global_load_ushort v0, v[2:3], off
	s_waitcnt vmcnt(0)
	v_cvt_f32_f16_e32 v0, v0
.LBB73_2:
	s_or_b64 exec, exec, s[2:3]
	v_cmp_lt_i32_e64 s[2:3], 1, v10
	s_and_b64 s[2:3], vcc, s[2:3]
	s_and_saveexec_b64 s[4:5], s[2:3]
	s_cbranch_execz .LBB73_4
; %bb.3:
	s_mov_b32 s15, 0
	s_lshl_b64 s[2:3], s[14:15], 1
	v_mov_b32_e32 v1, s3
	v_add_co_u32_e64 v2, s[2:3], s2, v2
	v_addc_co_u32_e64 v3, s[2:3], v3, v1, s[2:3]
	global_load_ushort v1, v[2:3], off
	s_waitcnt vmcnt(0)
	v_cvt_f32_f16_e32 v1, v1
.LBB73_4:
	s_or_b64 exec, exec, s[4:5]
	v_mbcnt_lo_u32_b32 v2, -1, 0
	v_mbcnt_hi_u32_b32 v2, -1, v2
	v_and_b32_e32 v6, 0x7e, v2
	v_xor_b32_e32 v3, 1, v2
	v_add_u32_e32 v6, 2, v6
	v_cmp_lt_i32_e64 s[2:3], v3, v6
	v_cndmask_b32_e64 v2, v2, v3, s[2:3]
	v_lshlrev_b32_e32 v9, 2, v2
	ds_bpermute_b32 v2, v9, v1
	ds_bpermute_b32 v6, v9, v0
	s_mov_b32 s4, 0x3fb8aa3b
	s_mov_b32 s5, 0xc2ce8ed0
	;; [unrolled: 1-line block ×3, first 2 shown]
	s_waitcnt lgkmcnt(1)
	v_cmp_lt_f32_e64 s[2:3], v1, v2
	v_cndmask_b32_e64 v3, v1, v2, s[2:3]
	s_waitcnt lgkmcnt(0)
	v_cmp_lt_f32_e64 s[2:3], v0, v6
	v_cndmask_b32_e64 v2, v0, v6, s[2:3]
	v_pk_add_f32 v[6:7], v[0:1], v[2:3] neg_lo:[0,1] neg_hi:[0,1]
	v_mul_f32_e32 v8, 0x3fb8aa3b, v7
	v_fma_f32 v11, v7, s4, -v8
	v_rndne_f32_e32 v12, v8
	v_fmac_f32_e32 v11, 0x32a5705f, v7
	v_sub_f32_e32 v8, v8, v12
	v_add_f32_e32 v8, v8, v11
	v_exp_f32_e32 v8, v8
	v_cvt_i32_f32_e32 v11, v12
	v_cmp_ngt_f32_e64 s[2:3], s5, v7
	v_ldexp_f32 v8, v8, v11
	v_mul_f32_e32 v11, 0x3fb8aa3b, v6
	v_fma_f32 v12, v6, s4, -v11
	v_rndne_f32_e32 v13, v11
	v_fmac_f32_e32 v12, 0x32a5705f, v6
	v_sub_f32_e32 v11, v11, v13
	v_add_f32_e32 v11, v11, v12
	v_exp_f32_e32 v11, v11
	v_cvt_i32_f32_e32 v12, v13
	v_cndmask_b32_e64 v8, 0, v8, s[2:3]
	v_mov_b32_e32 v13, 0x7f800000
	v_cmp_nlt_f32_e64 s[2:3], s6, v7
	v_cndmask_b32_e64 v7, v13, v8, s[2:3]
	v_ldexp_f32 v8, v11, v12
	v_cmp_ngt_f32_e64 s[2:3], s5, v6
	v_cndmask_b32_e64 v8, 0, v8, s[2:3]
	v_cmp_nlt_f32_e64 s[2:3], s6, v6
	v_cndmask_b32_e64 v6, v13, v8, s[2:3]
	ds_bpermute_b32 v8, v9, v6
	ds_bpermute_b32 v9, v9, v7
	s_and_saveexec_b64 s[2:3], s[0:1]
	s_cbranch_execz .LBB73_10
; %bb.5:
	v_mov_b32_e32 v11, s9
	v_add_co_u32_e64 v4, s[0:1], s8, v4
	v_addc_co_u32_e64 v5, s[0:1], v11, v5, s[0:1]
	s_waitcnt lgkmcnt(0)
	v_pk_add_f32 v[6:7], v[6:7], v[8:9]
	s_and_saveexec_b64 s[4:5], vcc
	s_cbranch_execz .LBB73_7
; %bb.6:
	s_mov_b32 s0, 0x800000
	v_mov_b32_e32 v8, 0x4f800000
	v_cmp_gt_f32_e64 s[0:1], s0, v6
	v_cndmask_b32_e64 v8, 1.0, v8, s[0:1]
	v_mul_f32_e32 v6, v6, v8
	v_log_f32_e32 v6, v6
	s_mov_b32 s2, 0x3f317217
	v_sub_f32_e32 v0, v0, v2
	v_mul_f32_e32 v8, 0x3f317217, v6
	v_fma_f32 v9, v6, s2, -v8
	v_fmac_f32_e32 v9, 0x3377d1cf, v6
	s_mov_b32 s2, 0x7f800000
	v_add_f32_e32 v8, v8, v9
	v_cmp_lt_f32_e64 s[2:3], |v6|, s2
	v_cndmask_b32_e64 v6, v6, v8, s[2:3]
	v_mov_b32_e32 v8, 0x41b17218
	v_cndmask_b32_e64 v8, 0, v8, s[0:1]
	v_sub_f32_e32 v6, v6, v8
	v_sub_f32_e32 v0, v0, v6
	v_cvt_f16_f32_e32 v0, v0
	global_store_short v[4:5], v0, off
.LBB73_7:
	s_or_b64 exec, exec, s[4:5]
	v_cmp_ne_u32_e64 s[0:1], 1, v10
	s_and_b64 exec, exec, s[0:1]
	s_cbranch_execz .LBB73_10
; %bb.8:
	s_and_b64 exec, exec, vcc
	s_cbranch_execz .LBB73_10
; %bb.9:
	s_mov_b32 s0, 0x800000
	v_mov_b32_e32 v0, 0x4f800000
	v_cmp_gt_f32_e32 vcc, s0, v7
	v_cndmask_b32_e32 v0, 1.0, v0, vcc
	v_mul_f32_e32 v0, v7, v0
	v_log_f32_e32 v0, v0
	s_mov_b32 s0, 0x3f317217
	v_sub_f32_e32 v1, v1, v3
	s_mov_b32 s15, 0
	v_mul_f32_e32 v2, 0x3f317217, v0
	v_fma_f32 v6, v0, s0, -v2
	v_fmac_f32_e32 v6, 0x3377d1cf, v0
	s_mov_b32 s0, 0x7f800000
	v_add_f32_e32 v2, v2, v6
	v_cmp_lt_f32_e64 s[0:1], |v0|, s0
	v_cndmask_b32_e64 v0, v0, v2, s[0:1]
	v_mov_b32_e32 v2, 0x41b17218
	v_cndmask_b32_e32 v2, 0, v2, vcc
	v_sub_f32_e32 v0, v0, v2
	v_sub_f32_e32 v0, v1, v0
	v_cvt_f16_f32_e32 v2, v0
	s_lshl_b64 s[0:1], s[14:15], 1
	v_mov_b32_e32 v1, s1
	v_add_co_u32_e32 v0, vcc, s0, v4
	v_addc_co_u32_e32 v1, vcc, v5, v1, vcc
	global_store_short v[0:1], v2, off
.LBB73_10:
	s_endpgm
	.section	.rodata,"a",@progbits
	.p2align	6, 0x0
	.amdhsa_kernel _ZN12_GLOBAL__N_120softmax_warp_forwardIN3c104HalfES2_fLi1ELb1ELb0ELi32EEEvPT0_PKT_iiiPKbib
		.amdhsa_group_segment_fixed_size 0
		.amdhsa_private_segment_fixed_size 0
		.amdhsa_kernarg_size 304
		.amdhsa_user_sgpr_count 6
		.amdhsa_user_sgpr_private_segment_buffer 1
		.amdhsa_user_sgpr_dispatch_ptr 0
		.amdhsa_user_sgpr_queue_ptr 0
		.amdhsa_user_sgpr_kernarg_segment_ptr 1
		.amdhsa_user_sgpr_dispatch_id 0
		.amdhsa_user_sgpr_flat_scratch_init 0
		.amdhsa_user_sgpr_kernarg_preload_length 0
		.amdhsa_user_sgpr_kernarg_preload_offset 0
		.amdhsa_user_sgpr_private_segment_size 0
		.amdhsa_uses_dynamic_stack 0
		.amdhsa_system_sgpr_private_segment_wavefront_offset 0
		.amdhsa_system_sgpr_workgroup_id_x 1
		.amdhsa_system_sgpr_workgroup_id_y 0
		.amdhsa_system_sgpr_workgroup_id_z 0
		.amdhsa_system_sgpr_workgroup_info 0
		.amdhsa_system_vgpr_workitem_id 1
		.amdhsa_next_free_vgpr 14
		.amdhsa_next_free_sgpr 16
		.amdhsa_accum_offset 16
		.amdhsa_reserve_vcc 1
		.amdhsa_reserve_flat_scratch 0
		.amdhsa_float_round_mode_32 0
		.amdhsa_float_round_mode_16_64 0
		.amdhsa_float_denorm_mode_32 3
		.amdhsa_float_denorm_mode_16_64 3
		.amdhsa_dx10_clamp 1
		.amdhsa_ieee_mode 1
		.amdhsa_fp16_overflow 0
		.amdhsa_tg_split 0
		.amdhsa_exception_fp_ieee_invalid_op 0
		.amdhsa_exception_fp_denorm_src 0
		.amdhsa_exception_fp_ieee_div_zero 0
		.amdhsa_exception_fp_ieee_overflow 0
		.amdhsa_exception_fp_ieee_underflow 0
		.amdhsa_exception_fp_ieee_inexact 0
		.amdhsa_exception_int_div_zero 0
	.end_amdhsa_kernel
	.section	.text._ZN12_GLOBAL__N_120softmax_warp_forwardIN3c104HalfES2_fLi1ELb1ELb0ELi32EEEvPT0_PKT_iiiPKbib,"axG",@progbits,_ZN12_GLOBAL__N_120softmax_warp_forwardIN3c104HalfES2_fLi1ELb1ELb0ELi32EEEvPT0_PKT_iiiPKbib,comdat
.Lfunc_end73:
	.size	_ZN12_GLOBAL__N_120softmax_warp_forwardIN3c104HalfES2_fLi1ELb1ELb0ELi32EEEvPT0_PKT_iiiPKbib, .Lfunc_end73-_ZN12_GLOBAL__N_120softmax_warp_forwardIN3c104HalfES2_fLi1ELb1ELb0ELi32EEEvPT0_PKT_iiiPKbib
                                        ; -- End function
	.section	.AMDGPU.csdata,"",@progbits
; Kernel info:
; codeLenInByte = 916
; NumSgprs: 20
; NumVgprs: 14
; NumAgprs: 0
; TotalNumVgprs: 14
; ScratchSize: 0
; MemoryBound: 0
; FloatMode: 240
; IeeeMode: 1
; LDSByteSize: 0 bytes/workgroup (compile time only)
; SGPRBlocks: 2
; VGPRBlocks: 1
; NumSGPRsForWavesPerEU: 20
; NumVGPRsForWavesPerEU: 14
; AccumOffset: 16
; Occupancy: 8
; WaveLimiterHint : 0
; COMPUTE_PGM_RSRC2:SCRATCH_EN: 0
; COMPUTE_PGM_RSRC2:USER_SGPR: 6
; COMPUTE_PGM_RSRC2:TRAP_HANDLER: 0
; COMPUTE_PGM_RSRC2:TGID_X_EN: 1
; COMPUTE_PGM_RSRC2:TGID_Y_EN: 0
; COMPUTE_PGM_RSRC2:TGID_Z_EN: 0
; COMPUTE_PGM_RSRC2:TIDIG_COMP_CNT: 1
; COMPUTE_PGM_RSRC3_GFX90A:ACCUM_OFFSET: 3
; COMPUTE_PGM_RSRC3_GFX90A:TG_SPLIT: 0
	.section	.text._ZN12_GLOBAL__N_120softmax_warp_forwardIN3c104HalfES2_fLi2ELb1ELb0ELi64EEEvPT0_PKT_iiiPKbib,"axG",@progbits,_ZN12_GLOBAL__N_120softmax_warp_forwardIN3c104HalfES2_fLi2ELb1ELb0ELi64EEEvPT0_PKT_iiiPKbib,comdat
	.globl	_ZN12_GLOBAL__N_120softmax_warp_forwardIN3c104HalfES2_fLi2ELb1ELb0ELi64EEEvPT0_PKT_iiiPKbib ; -- Begin function _ZN12_GLOBAL__N_120softmax_warp_forwardIN3c104HalfES2_fLi2ELb1ELb0ELi64EEEvPT0_PKT_iiiPKbib
	.p2align	8
	.type	_ZN12_GLOBAL__N_120softmax_warp_forwardIN3c104HalfES2_fLi2ELb1ELb0ELi64EEEvPT0_PKT_iiiPKbib,@function
_ZN12_GLOBAL__N_120softmax_warp_forwardIN3c104HalfES2_fLi2ELb1ELb0ELi64EEEvPT0_PKT_iiiPKbib: ; @_ZN12_GLOBAL__N_120softmax_warp_forwardIN3c104HalfES2_fLi2ELb1ELb0ELi64EEEvPT0_PKT_iiiPKbib
; %bb.0:
	s_load_dword s0, s[4:5], 0x3c
	s_load_dwordx8 s[8:15], s[4:5], 0x0
	v_bfe_u32 v1, v0, 10, 10
	v_and_b32_e32 v0, 0x3ff, v0
	s_waitcnt lgkmcnt(0)
	s_lshr_b32 s0, s0, 16
	s_mul_i32 s6, s6, s0
	v_add_lshl_u32 v1, s6, v1, 1
	v_mad_u64_u32 v[2:3], s[0:1], v1, s13, v[0:1]
	v_ashrrev_i32_e32 v3, 31, v2
	v_lshlrev_b64 v[2:3], 1, v[2:3]
	v_sub_u32_e32 v10, s12, v1
	v_mov_b32_e32 v1, s11
	v_add_co_u32_e32 v4, vcc, s10, v2
	v_addc_co_u32_e32 v5, vcc, v1, v3, vcc
	v_cmp_gt_i32_e32 vcc, s14, v0
	v_cmp_lt_i32_e64 s[0:1], 0, v10
	s_and_b64 s[4:5], vcc, s[0:1]
	v_mov_b32_e32 v1, 0xff800000
	v_mov_b32_e32 v0, 0xff800000
	s_and_saveexec_b64 s[2:3], s[4:5]
	s_cbranch_execz .LBB74_2
; %bb.1:
	global_load_ushort v0, v[4:5], off
	s_waitcnt vmcnt(0)
	v_cvt_f32_f16_e32 v0, v0
.LBB74_2:
	s_or_b64 exec, exec, s[2:3]
	v_cmp_lt_i32_e64 s[2:3], 1, v10
	s_and_b64 s[2:3], vcc, s[2:3]
	s_and_saveexec_b64 s[4:5], s[2:3]
	s_cbranch_execz .LBB74_4
; %bb.3:
	s_mov_b32 s15, 0
	s_lshl_b64 s[2:3], s[14:15], 1
	v_mov_b32_e32 v1, s3
	v_add_co_u32_e64 v4, s[2:3], s2, v4
	v_addc_co_u32_e64 v5, s[2:3], v5, v1, s[2:3]
	global_load_ushort v1, v[4:5], off
	s_waitcnt vmcnt(0)
	v_cvt_f32_f16_e32 v1, v1
.LBB74_4:
	s_or_b64 exec, exec, s[4:5]
	v_mbcnt_lo_u32_b32 v4, -1, 0
	v_mbcnt_hi_u32_b32 v4, -1, v4
	v_and_b32_e32 v5, 0x7c, v4
	v_add_u32_e32 v5, 4, v5
	v_xor_b32_e32 v6, 2, v4
	v_cmp_lt_i32_e64 s[2:3], v6, v5
	v_cndmask_b32_e64 v6, v4, v6, s[2:3]
	v_lshlrev_b32_e32 v9, 2, v6
	ds_bpermute_b32 v7, v9, v1
	ds_bpermute_b32 v6, v9, v0
	v_xor_b32_e32 v8, 1, v4
	v_cmp_lt_i32_e64 s[2:3], v8, v5
	v_cndmask_b32_e64 v4, v4, v8, s[2:3]
	s_waitcnt lgkmcnt(1)
	v_cmp_lt_f32_e64 s[2:3], v1, v7
	v_lshlrev_b32_e32 v11, 2, v4
	v_cndmask_b32_e64 v4, v1, v7, s[2:3]
	s_waitcnt lgkmcnt(0)
	v_cmp_lt_f32_e64 s[2:3], v0, v6
	ds_bpermute_b32 v5, v11, v4
	v_cndmask_b32_e64 v6, v0, v6, s[2:3]
	ds_bpermute_b32 v7, v11, v6
	s_mov_b32 s4, 0x3fb8aa3b
	s_mov_b32 s5, 0xc2ce8ed0
	s_waitcnt lgkmcnt(1)
	v_cmp_lt_f32_e64 s[2:3], v4, v5
	v_cndmask_b32_e64 v5, v4, v5, s[2:3]
	s_waitcnt lgkmcnt(0)
	v_cmp_lt_f32_e64 s[2:3], v6, v7
	v_cndmask_b32_e64 v4, v6, v7, s[2:3]
	v_pk_add_f32 v[6:7], v[0:1], v[4:5] neg_lo:[0,1] neg_hi:[0,1]
	v_mul_f32_e32 v8, 0x3fb8aa3b, v7
	v_fma_f32 v12, v7, s4, -v8
	v_rndne_f32_e32 v13, v8
	v_fmac_f32_e32 v12, 0x32a5705f, v7
	v_sub_f32_e32 v8, v8, v13
	v_add_f32_e32 v8, v8, v12
	v_exp_f32_e32 v8, v8
	v_cvt_i32_f32_e32 v12, v13
	v_cmp_ngt_f32_e64 s[2:3], s5, v7
	s_mov_b32 s6, 0x42b17218
	v_ldexp_f32 v8, v8, v12
	v_mul_f32_e32 v12, 0x3fb8aa3b, v6
	v_fma_f32 v13, v6, s4, -v12
	v_rndne_f32_e32 v14, v12
	v_fmac_f32_e32 v13, 0x32a5705f, v6
	v_sub_f32_e32 v12, v12, v14
	v_add_f32_e32 v12, v12, v13
	v_exp_f32_e32 v12, v12
	v_cvt_i32_f32_e32 v13, v14
	v_cndmask_b32_e64 v8, 0, v8, s[2:3]
	v_mov_b32_e32 v14, 0x7f800000
	v_cmp_nlt_f32_e64 s[2:3], s6, v7
	v_cndmask_b32_e64 v7, v14, v8, s[2:3]
	v_ldexp_f32 v8, v12, v13
	v_cmp_ngt_f32_e64 s[2:3], s5, v6
	v_cndmask_b32_e64 v8, 0, v8, s[2:3]
	v_cmp_nlt_f32_e64 s[2:3], s6, v6
	v_cndmask_b32_e64 v6, v14, v8, s[2:3]
	ds_bpermute_b32 v8, v9, v6
	ds_bpermute_b32 v9, v9, v7
	s_waitcnt lgkmcnt(0)
	v_pk_add_f32 v[6:7], v[6:7], v[8:9]
	ds_bpermute_b32 v8, v11, v6
	ds_bpermute_b32 v9, v11, v7
	s_and_saveexec_b64 s[2:3], s[0:1]
	s_cbranch_execz .LBB74_10
; %bb.5:
	v_mov_b32_e32 v11, s9
	v_add_co_u32_e64 v2, s[0:1], s8, v2
	v_addc_co_u32_e64 v3, s[0:1], v11, v3, s[0:1]
	s_waitcnt lgkmcnt(0)
	v_pk_add_f32 v[6:7], v[6:7], v[8:9]
	s_and_saveexec_b64 s[4:5], vcc
	s_cbranch_execz .LBB74_7
; %bb.6:
	s_mov_b32 s0, 0x800000
	v_mov_b32_e32 v8, 0x4f800000
	v_cmp_gt_f32_e64 s[0:1], s0, v6
	v_cndmask_b32_e64 v8, 1.0, v8, s[0:1]
	v_mul_f32_e32 v6, v6, v8
	v_log_f32_e32 v6, v6
	s_mov_b32 s2, 0x3f317217
	v_sub_f32_e32 v0, v0, v4
	v_mul_f32_e32 v8, 0x3f317217, v6
	v_fma_f32 v9, v6, s2, -v8
	v_fmac_f32_e32 v9, 0x3377d1cf, v6
	s_mov_b32 s2, 0x7f800000
	v_add_f32_e32 v8, v8, v9
	v_cmp_lt_f32_e64 s[2:3], |v6|, s2
	v_cndmask_b32_e64 v6, v6, v8, s[2:3]
	v_mov_b32_e32 v8, 0x41b17218
	v_cndmask_b32_e64 v8, 0, v8, s[0:1]
	v_sub_f32_e32 v6, v6, v8
	v_sub_f32_e32 v0, v0, v6
	v_cvt_f16_f32_e32 v0, v0
	global_store_short v[2:3], v0, off
.LBB74_7:
	s_or_b64 exec, exec, s[4:5]
	v_cmp_ne_u32_e64 s[0:1], 1, v10
	s_and_b64 exec, exec, s[0:1]
	s_cbranch_execz .LBB74_10
; %bb.8:
	s_and_b64 exec, exec, vcc
	s_cbranch_execz .LBB74_10
; %bb.9:
	s_mov_b32 s0, 0x800000
	v_mov_b32_e32 v0, 0x4f800000
	v_cmp_gt_f32_e32 vcc, s0, v7
	v_cndmask_b32_e32 v0, 1.0, v0, vcc
	v_mul_f32_e32 v0, v7, v0
	v_log_f32_e32 v0, v0
	s_mov_b32 s0, 0x3f317217
	v_sub_f32_e32 v1, v1, v5
	s_mov_b32 s15, 0
	v_mul_f32_e32 v4, 0x3f317217, v0
	v_fma_f32 v6, v0, s0, -v4
	v_fmac_f32_e32 v6, 0x3377d1cf, v0
	s_mov_b32 s0, 0x7f800000
	v_add_f32_e32 v4, v4, v6
	v_cmp_lt_f32_e64 s[0:1], |v0|, s0
	v_cndmask_b32_e64 v0, v0, v4, s[0:1]
	v_mov_b32_e32 v4, 0x41b17218
	v_cndmask_b32_e32 v4, 0, v4, vcc
	v_sub_f32_e32 v0, v0, v4
	v_sub_f32_e32 v0, v1, v0
	v_cvt_f16_f32_e32 v4, v0
	s_lshl_b64 s[0:1], s[14:15], 1
	v_mov_b32_e32 v1, s1
	v_add_co_u32_e32 v0, vcc, s0, v2
	v_addc_co_u32_e32 v1, vcc, v3, v1, vcc
	global_store_short v[0:1], v4, off
.LBB74_10:
	s_endpgm
	.section	.rodata,"a",@progbits
	.p2align	6, 0x0
	.amdhsa_kernel _ZN12_GLOBAL__N_120softmax_warp_forwardIN3c104HalfES2_fLi2ELb1ELb0ELi64EEEvPT0_PKT_iiiPKbib
		.amdhsa_group_segment_fixed_size 0
		.amdhsa_private_segment_fixed_size 0
		.amdhsa_kernarg_size 304
		.amdhsa_user_sgpr_count 6
		.amdhsa_user_sgpr_private_segment_buffer 1
		.amdhsa_user_sgpr_dispatch_ptr 0
		.amdhsa_user_sgpr_queue_ptr 0
		.amdhsa_user_sgpr_kernarg_segment_ptr 1
		.amdhsa_user_sgpr_dispatch_id 0
		.amdhsa_user_sgpr_flat_scratch_init 0
		.amdhsa_user_sgpr_kernarg_preload_length 0
		.amdhsa_user_sgpr_kernarg_preload_offset 0
		.amdhsa_user_sgpr_private_segment_size 0
		.amdhsa_uses_dynamic_stack 0
		.amdhsa_system_sgpr_private_segment_wavefront_offset 0
		.amdhsa_system_sgpr_workgroup_id_x 1
		.amdhsa_system_sgpr_workgroup_id_y 0
		.amdhsa_system_sgpr_workgroup_id_z 0
		.amdhsa_system_sgpr_workgroup_info 0
		.amdhsa_system_vgpr_workitem_id 1
		.amdhsa_next_free_vgpr 15
		.amdhsa_next_free_sgpr 16
		.amdhsa_accum_offset 16
		.amdhsa_reserve_vcc 1
		.amdhsa_reserve_flat_scratch 0
		.amdhsa_float_round_mode_32 0
		.amdhsa_float_round_mode_16_64 0
		.amdhsa_float_denorm_mode_32 3
		.amdhsa_float_denorm_mode_16_64 3
		.amdhsa_dx10_clamp 1
		.amdhsa_ieee_mode 1
		.amdhsa_fp16_overflow 0
		.amdhsa_tg_split 0
		.amdhsa_exception_fp_ieee_invalid_op 0
		.amdhsa_exception_fp_denorm_src 0
		.amdhsa_exception_fp_ieee_div_zero 0
		.amdhsa_exception_fp_ieee_overflow 0
		.amdhsa_exception_fp_ieee_underflow 0
		.amdhsa_exception_fp_ieee_inexact 0
		.amdhsa_exception_int_div_zero 0
	.end_amdhsa_kernel
	.section	.text._ZN12_GLOBAL__N_120softmax_warp_forwardIN3c104HalfES2_fLi2ELb1ELb0ELi64EEEvPT0_PKT_iiiPKbib,"axG",@progbits,_ZN12_GLOBAL__N_120softmax_warp_forwardIN3c104HalfES2_fLi2ELb1ELb0ELi64EEEvPT0_PKT_iiiPKbib,comdat
.Lfunc_end74:
	.size	_ZN12_GLOBAL__N_120softmax_warp_forwardIN3c104HalfES2_fLi2ELb1ELb0ELi64EEEvPT0_PKT_iiiPKbib, .Lfunc_end74-_ZN12_GLOBAL__N_120softmax_warp_forwardIN3c104HalfES2_fLi2ELb1ELb0ELi64EEEvPT0_PKT_iiiPKbib
                                        ; -- End function
	.section	.AMDGPU.csdata,"",@progbits
; Kernel info:
; codeLenInByte = 1024
; NumSgprs: 20
; NumVgprs: 15
; NumAgprs: 0
; TotalNumVgprs: 15
; ScratchSize: 0
; MemoryBound: 0
; FloatMode: 240
; IeeeMode: 1
; LDSByteSize: 0 bytes/workgroup (compile time only)
; SGPRBlocks: 2
; VGPRBlocks: 1
; NumSGPRsForWavesPerEU: 20
; NumVGPRsForWavesPerEU: 15
; AccumOffset: 16
; Occupancy: 8
; WaveLimiterHint : 0
; COMPUTE_PGM_RSRC2:SCRATCH_EN: 0
; COMPUTE_PGM_RSRC2:USER_SGPR: 6
; COMPUTE_PGM_RSRC2:TRAP_HANDLER: 0
; COMPUTE_PGM_RSRC2:TGID_X_EN: 1
; COMPUTE_PGM_RSRC2:TGID_Y_EN: 0
; COMPUTE_PGM_RSRC2:TGID_Z_EN: 0
; COMPUTE_PGM_RSRC2:TIDIG_COMP_CNT: 1
; COMPUTE_PGM_RSRC3_GFX90A:ACCUM_OFFSET: 3
; COMPUTE_PGM_RSRC3_GFX90A:TG_SPLIT: 0
	.section	.text._ZN12_GLOBAL__N_120softmax_warp_forwardIN3c104HalfES2_fLi2ELb1ELb0ELi32EEEvPT0_PKT_iiiPKbib,"axG",@progbits,_ZN12_GLOBAL__N_120softmax_warp_forwardIN3c104HalfES2_fLi2ELb1ELb0ELi32EEEvPT0_PKT_iiiPKbib,comdat
	.globl	_ZN12_GLOBAL__N_120softmax_warp_forwardIN3c104HalfES2_fLi2ELb1ELb0ELi32EEEvPT0_PKT_iiiPKbib ; -- Begin function _ZN12_GLOBAL__N_120softmax_warp_forwardIN3c104HalfES2_fLi2ELb1ELb0ELi32EEEvPT0_PKT_iiiPKbib
	.p2align	8
	.type	_ZN12_GLOBAL__N_120softmax_warp_forwardIN3c104HalfES2_fLi2ELb1ELb0ELi32EEEvPT0_PKT_iiiPKbib,@function
_ZN12_GLOBAL__N_120softmax_warp_forwardIN3c104HalfES2_fLi2ELb1ELb0ELi32EEEvPT0_PKT_iiiPKbib: ; @_ZN12_GLOBAL__N_120softmax_warp_forwardIN3c104HalfES2_fLi2ELb1ELb0ELi32EEEvPT0_PKT_iiiPKbib
; %bb.0:
	s_load_dword s0, s[4:5], 0x3c
	s_load_dwordx8 s[8:15], s[4:5], 0x0
	v_bfe_u32 v1, v0, 10, 10
	v_and_b32_e32 v0, 0x3ff, v0
	s_waitcnt lgkmcnt(0)
	s_lshr_b32 s0, s0, 16
	s_mul_i32 s6, s6, s0
	v_add_lshl_u32 v1, s6, v1, 1
	v_mad_u64_u32 v[2:3], s[0:1], v1, s13, v[0:1]
	v_ashrrev_i32_e32 v3, 31, v2
	v_lshlrev_b64 v[2:3], 1, v[2:3]
	v_sub_u32_e32 v10, s12, v1
	v_mov_b32_e32 v1, s11
	v_add_co_u32_e32 v4, vcc, s10, v2
	v_addc_co_u32_e32 v5, vcc, v1, v3, vcc
	v_cmp_gt_i32_e32 vcc, s14, v0
	v_cmp_lt_i32_e64 s[0:1], 0, v10
	s_and_b64 s[4:5], vcc, s[0:1]
	v_mov_b32_e32 v1, 0xff800000
	v_mov_b32_e32 v0, 0xff800000
	s_and_saveexec_b64 s[2:3], s[4:5]
	s_cbranch_execz .LBB75_2
; %bb.1:
	global_load_ushort v0, v[4:5], off
	s_waitcnt vmcnt(0)
	v_cvt_f32_f16_e32 v0, v0
.LBB75_2:
	s_or_b64 exec, exec, s[2:3]
	v_cmp_lt_i32_e64 s[2:3], 1, v10
	s_and_b64 s[2:3], vcc, s[2:3]
	s_and_saveexec_b64 s[4:5], s[2:3]
	s_cbranch_execz .LBB75_4
; %bb.3:
	s_mov_b32 s15, 0
	s_lshl_b64 s[2:3], s[14:15], 1
	v_mov_b32_e32 v1, s3
	v_add_co_u32_e64 v4, s[2:3], s2, v4
	v_addc_co_u32_e64 v5, s[2:3], v5, v1, s[2:3]
	global_load_ushort v1, v[4:5], off
	s_waitcnt vmcnt(0)
	v_cvt_f32_f16_e32 v1, v1
.LBB75_4:
	s_or_b64 exec, exec, s[4:5]
	v_mbcnt_lo_u32_b32 v4, -1, 0
	v_mbcnt_hi_u32_b32 v4, -1, v4
	v_and_b32_e32 v5, 0x7c, v4
	v_add_u32_e32 v5, 4, v5
	v_xor_b32_e32 v6, 2, v4
	v_cmp_lt_i32_e64 s[2:3], v6, v5
	v_cndmask_b32_e64 v6, v4, v6, s[2:3]
	v_lshlrev_b32_e32 v9, 2, v6
	ds_bpermute_b32 v7, v9, v1
	ds_bpermute_b32 v6, v9, v0
	v_xor_b32_e32 v8, 1, v4
	v_cmp_lt_i32_e64 s[2:3], v8, v5
	v_cndmask_b32_e64 v4, v4, v8, s[2:3]
	s_waitcnt lgkmcnt(1)
	v_cmp_lt_f32_e64 s[2:3], v1, v7
	v_lshlrev_b32_e32 v11, 2, v4
	v_cndmask_b32_e64 v4, v1, v7, s[2:3]
	s_waitcnt lgkmcnt(0)
	v_cmp_lt_f32_e64 s[2:3], v0, v6
	ds_bpermute_b32 v5, v11, v4
	v_cndmask_b32_e64 v6, v0, v6, s[2:3]
	ds_bpermute_b32 v7, v11, v6
	s_mov_b32 s4, 0x3fb8aa3b
	s_mov_b32 s5, 0xc2ce8ed0
	s_waitcnt lgkmcnt(1)
	v_cmp_lt_f32_e64 s[2:3], v4, v5
	v_cndmask_b32_e64 v5, v4, v5, s[2:3]
	s_waitcnt lgkmcnt(0)
	v_cmp_lt_f32_e64 s[2:3], v6, v7
	v_cndmask_b32_e64 v4, v6, v7, s[2:3]
	v_pk_add_f32 v[6:7], v[0:1], v[4:5] neg_lo:[0,1] neg_hi:[0,1]
	v_mul_f32_e32 v8, 0x3fb8aa3b, v7
	v_fma_f32 v12, v7, s4, -v8
	v_rndne_f32_e32 v13, v8
	v_fmac_f32_e32 v12, 0x32a5705f, v7
	v_sub_f32_e32 v8, v8, v13
	v_add_f32_e32 v8, v8, v12
	v_exp_f32_e32 v8, v8
	v_cvt_i32_f32_e32 v12, v13
	v_cmp_ngt_f32_e64 s[2:3], s5, v7
	s_mov_b32 s6, 0x42b17218
	v_ldexp_f32 v8, v8, v12
	v_mul_f32_e32 v12, 0x3fb8aa3b, v6
	v_fma_f32 v13, v6, s4, -v12
	v_rndne_f32_e32 v14, v12
	v_fmac_f32_e32 v13, 0x32a5705f, v6
	v_sub_f32_e32 v12, v12, v14
	v_add_f32_e32 v12, v12, v13
	v_exp_f32_e32 v12, v12
	v_cvt_i32_f32_e32 v13, v14
	v_cndmask_b32_e64 v8, 0, v8, s[2:3]
	v_mov_b32_e32 v14, 0x7f800000
	v_cmp_nlt_f32_e64 s[2:3], s6, v7
	v_cndmask_b32_e64 v7, v14, v8, s[2:3]
	v_ldexp_f32 v8, v12, v13
	v_cmp_ngt_f32_e64 s[2:3], s5, v6
	v_cndmask_b32_e64 v8, 0, v8, s[2:3]
	v_cmp_nlt_f32_e64 s[2:3], s6, v6
	v_cndmask_b32_e64 v6, v14, v8, s[2:3]
	ds_bpermute_b32 v8, v9, v6
	ds_bpermute_b32 v9, v9, v7
	s_waitcnt lgkmcnt(0)
	v_pk_add_f32 v[6:7], v[6:7], v[8:9]
	ds_bpermute_b32 v8, v11, v6
	ds_bpermute_b32 v9, v11, v7
	s_and_saveexec_b64 s[2:3], s[0:1]
	s_cbranch_execz .LBB75_10
; %bb.5:
	v_mov_b32_e32 v11, s9
	v_add_co_u32_e64 v2, s[0:1], s8, v2
	v_addc_co_u32_e64 v3, s[0:1], v11, v3, s[0:1]
	s_waitcnt lgkmcnt(0)
	v_pk_add_f32 v[6:7], v[6:7], v[8:9]
	s_and_saveexec_b64 s[4:5], vcc
	s_cbranch_execz .LBB75_7
; %bb.6:
	s_mov_b32 s0, 0x800000
	v_mov_b32_e32 v8, 0x4f800000
	v_cmp_gt_f32_e64 s[0:1], s0, v6
	v_cndmask_b32_e64 v8, 1.0, v8, s[0:1]
	v_mul_f32_e32 v6, v6, v8
	v_log_f32_e32 v6, v6
	s_mov_b32 s2, 0x3f317217
	v_sub_f32_e32 v0, v0, v4
	v_mul_f32_e32 v8, 0x3f317217, v6
	v_fma_f32 v9, v6, s2, -v8
	v_fmac_f32_e32 v9, 0x3377d1cf, v6
	s_mov_b32 s2, 0x7f800000
	v_add_f32_e32 v8, v8, v9
	v_cmp_lt_f32_e64 s[2:3], |v6|, s2
	v_cndmask_b32_e64 v6, v6, v8, s[2:3]
	v_mov_b32_e32 v8, 0x41b17218
	v_cndmask_b32_e64 v8, 0, v8, s[0:1]
	v_sub_f32_e32 v6, v6, v8
	v_sub_f32_e32 v0, v0, v6
	v_cvt_f16_f32_e32 v0, v0
	global_store_short v[2:3], v0, off
.LBB75_7:
	s_or_b64 exec, exec, s[4:5]
	v_cmp_ne_u32_e64 s[0:1], 1, v10
	s_and_b64 exec, exec, s[0:1]
	s_cbranch_execz .LBB75_10
; %bb.8:
	s_and_b64 exec, exec, vcc
	s_cbranch_execz .LBB75_10
; %bb.9:
	s_mov_b32 s0, 0x800000
	v_mov_b32_e32 v0, 0x4f800000
	v_cmp_gt_f32_e32 vcc, s0, v7
	v_cndmask_b32_e32 v0, 1.0, v0, vcc
	v_mul_f32_e32 v0, v7, v0
	v_log_f32_e32 v0, v0
	s_mov_b32 s0, 0x3f317217
	v_sub_f32_e32 v1, v1, v5
	s_mov_b32 s15, 0
	v_mul_f32_e32 v4, 0x3f317217, v0
	v_fma_f32 v6, v0, s0, -v4
	v_fmac_f32_e32 v6, 0x3377d1cf, v0
	s_mov_b32 s0, 0x7f800000
	v_add_f32_e32 v4, v4, v6
	v_cmp_lt_f32_e64 s[0:1], |v0|, s0
	v_cndmask_b32_e64 v0, v0, v4, s[0:1]
	v_mov_b32_e32 v4, 0x41b17218
	v_cndmask_b32_e32 v4, 0, v4, vcc
	v_sub_f32_e32 v0, v0, v4
	v_sub_f32_e32 v0, v1, v0
	v_cvt_f16_f32_e32 v4, v0
	s_lshl_b64 s[0:1], s[14:15], 1
	v_mov_b32_e32 v1, s1
	v_add_co_u32_e32 v0, vcc, s0, v2
	v_addc_co_u32_e32 v1, vcc, v3, v1, vcc
	global_store_short v[0:1], v4, off
.LBB75_10:
	s_endpgm
	.section	.rodata,"a",@progbits
	.p2align	6, 0x0
	.amdhsa_kernel _ZN12_GLOBAL__N_120softmax_warp_forwardIN3c104HalfES2_fLi2ELb1ELb0ELi32EEEvPT0_PKT_iiiPKbib
		.amdhsa_group_segment_fixed_size 0
		.amdhsa_private_segment_fixed_size 0
		.amdhsa_kernarg_size 304
		.amdhsa_user_sgpr_count 6
		.amdhsa_user_sgpr_private_segment_buffer 1
		.amdhsa_user_sgpr_dispatch_ptr 0
		.amdhsa_user_sgpr_queue_ptr 0
		.amdhsa_user_sgpr_kernarg_segment_ptr 1
		.amdhsa_user_sgpr_dispatch_id 0
		.amdhsa_user_sgpr_flat_scratch_init 0
		.amdhsa_user_sgpr_kernarg_preload_length 0
		.amdhsa_user_sgpr_kernarg_preload_offset 0
		.amdhsa_user_sgpr_private_segment_size 0
		.amdhsa_uses_dynamic_stack 0
		.amdhsa_system_sgpr_private_segment_wavefront_offset 0
		.amdhsa_system_sgpr_workgroup_id_x 1
		.amdhsa_system_sgpr_workgroup_id_y 0
		.amdhsa_system_sgpr_workgroup_id_z 0
		.amdhsa_system_sgpr_workgroup_info 0
		.amdhsa_system_vgpr_workitem_id 1
		.amdhsa_next_free_vgpr 15
		.amdhsa_next_free_sgpr 16
		.amdhsa_accum_offset 16
		.amdhsa_reserve_vcc 1
		.amdhsa_reserve_flat_scratch 0
		.amdhsa_float_round_mode_32 0
		.amdhsa_float_round_mode_16_64 0
		.amdhsa_float_denorm_mode_32 3
		.amdhsa_float_denorm_mode_16_64 3
		.amdhsa_dx10_clamp 1
		.amdhsa_ieee_mode 1
		.amdhsa_fp16_overflow 0
		.amdhsa_tg_split 0
		.amdhsa_exception_fp_ieee_invalid_op 0
		.amdhsa_exception_fp_denorm_src 0
		.amdhsa_exception_fp_ieee_div_zero 0
		.amdhsa_exception_fp_ieee_overflow 0
		.amdhsa_exception_fp_ieee_underflow 0
		.amdhsa_exception_fp_ieee_inexact 0
		.amdhsa_exception_int_div_zero 0
	.end_amdhsa_kernel
	.section	.text._ZN12_GLOBAL__N_120softmax_warp_forwardIN3c104HalfES2_fLi2ELb1ELb0ELi32EEEvPT0_PKT_iiiPKbib,"axG",@progbits,_ZN12_GLOBAL__N_120softmax_warp_forwardIN3c104HalfES2_fLi2ELb1ELb0ELi32EEEvPT0_PKT_iiiPKbib,comdat
.Lfunc_end75:
	.size	_ZN12_GLOBAL__N_120softmax_warp_forwardIN3c104HalfES2_fLi2ELb1ELb0ELi32EEEvPT0_PKT_iiiPKbib, .Lfunc_end75-_ZN12_GLOBAL__N_120softmax_warp_forwardIN3c104HalfES2_fLi2ELb1ELb0ELi32EEEvPT0_PKT_iiiPKbib
                                        ; -- End function
	.section	.AMDGPU.csdata,"",@progbits
; Kernel info:
; codeLenInByte = 1024
; NumSgprs: 20
; NumVgprs: 15
; NumAgprs: 0
; TotalNumVgprs: 15
; ScratchSize: 0
; MemoryBound: 0
; FloatMode: 240
; IeeeMode: 1
; LDSByteSize: 0 bytes/workgroup (compile time only)
; SGPRBlocks: 2
; VGPRBlocks: 1
; NumSGPRsForWavesPerEU: 20
; NumVGPRsForWavesPerEU: 15
; AccumOffset: 16
; Occupancy: 8
; WaveLimiterHint : 0
; COMPUTE_PGM_RSRC2:SCRATCH_EN: 0
; COMPUTE_PGM_RSRC2:USER_SGPR: 6
; COMPUTE_PGM_RSRC2:TRAP_HANDLER: 0
; COMPUTE_PGM_RSRC2:TGID_X_EN: 1
; COMPUTE_PGM_RSRC2:TGID_Y_EN: 0
; COMPUTE_PGM_RSRC2:TGID_Z_EN: 0
; COMPUTE_PGM_RSRC2:TIDIG_COMP_CNT: 1
; COMPUTE_PGM_RSRC3_GFX90A:ACCUM_OFFSET: 3
; COMPUTE_PGM_RSRC3_GFX90A:TG_SPLIT: 0
	.section	.text._ZN12_GLOBAL__N_120softmax_warp_forwardIN3c104HalfES2_fLi3ELb1ELb0ELi64EEEvPT0_PKT_iiiPKbib,"axG",@progbits,_ZN12_GLOBAL__N_120softmax_warp_forwardIN3c104HalfES2_fLi3ELb1ELb0ELi64EEEvPT0_PKT_iiiPKbib,comdat
	.globl	_ZN12_GLOBAL__N_120softmax_warp_forwardIN3c104HalfES2_fLi3ELb1ELb0ELi64EEEvPT0_PKT_iiiPKbib ; -- Begin function _ZN12_GLOBAL__N_120softmax_warp_forwardIN3c104HalfES2_fLi3ELb1ELb0ELi64EEEvPT0_PKT_iiiPKbib
	.p2align	8
	.type	_ZN12_GLOBAL__N_120softmax_warp_forwardIN3c104HalfES2_fLi3ELb1ELb0ELi64EEEvPT0_PKT_iiiPKbib,@function
_ZN12_GLOBAL__N_120softmax_warp_forwardIN3c104HalfES2_fLi3ELb1ELb0ELi64EEEvPT0_PKT_iiiPKbib: ; @_ZN12_GLOBAL__N_120softmax_warp_forwardIN3c104HalfES2_fLi3ELb1ELb0ELi64EEEvPT0_PKT_iiiPKbib
; %bb.0:
	s_load_dword s0, s[4:5], 0x3c
	s_load_dwordx8 s[8:15], s[4:5], 0x0
	v_bfe_u32 v1, v0, 10, 10
	v_and_b32_e32 v0, 0x3ff, v0
	s_waitcnt lgkmcnt(0)
	s_lshr_b32 s0, s0, 16
	s_mul_i32 s6, s6, s0
	v_add_lshl_u32 v1, s6, v1, 1
	v_mad_u64_u32 v[2:3], s[0:1], v1, s13, v[0:1]
	v_ashrrev_i32_e32 v3, 31, v2
	v_lshlrev_b64 v[2:3], 1, v[2:3]
	v_sub_u32_e32 v10, s12, v1
	v_mov_b32_e32 v1, s11
	v_add_co_u32_e32 v4, vcc, s10, v2
	v_addc_co_u32_e32 v5, vcc, v1, v3, vcc
	v_cmp_gt_i32_e32 vcc, s14, v0
	v_cmp_lt_i32_e64 s[0:1], 0, v10
	s_and_b64 s[4:5], vcc, s[0:1]
	v_mov_b32_e32 v1, 0xff800000
	v_mov_b32_e32 v0, 0xff800000
	s_and_saveexec_b64 s[2:3], s[4:5]
	s_cbranch_execz .LBB76_2
; %bb.1:
	global_load_ushort v0, v[4:5], off
	s_waitcnt vmcnt(0)
	v_cvt_f32_f16_e32 v0, v0
.LBB76_2:
	s_or_b64 exec, exec, s[2:3]
	v_cmp_lt_i32_e64 s[2:3], 1, v10
	s_and_b64 s[2:3], vcc, s[2:3]
	s_and_saveexec_b64 s[4:5], s[2:3]
	s_cbranch_execz .LBB76_4
; %bb.3:
	s_mov_b32 s15, 0
	s_lshl_b64 s[2:3], s[14:15], 1
	v_mov_b32_e32 v1, s3
	v_add_co_u32_e64 v4, s[2:3], s2, v4
	v_addc_co_u32_e64 v5, s[2:3], v5, v1, s[2:3]
	global_load_ushort v1, v[4:5], off
	s_waitcnt vmcnt(0)
	v_cvt_f32_f16_e32 v1, v1
.LBB76_4:
	s_or_b64 exec, exec, s[4:5]
	v_mbcnt_lo_u32_b32 v4, -1, 0
	v_mbcnt_hi_u32_b32 v4, -1, v4
	v_and_b32_e32 v5, 0x78, v4
	v_add_u32_e32 v5, 8, v5
	v_xor_b32_e32 v6, 4, v4
	v_cmp_lt_i32_e64 s[2:3], v6, v5
	v_cndmask_b32_e64 v6, v4, v6, s[2:3]
	v_lshlrev_b32_e32 v9, 2, v6
	ds_bpermute_b32 v7, v9, v1
	v_xor_b32_e32 v8, 2, v4
	ds_bpermute_b32 v6, v9, v0
	v_cmp_lt_i32_e64 s[2:3], v8, v5
	v_cndmask_b32_e64 v8, v4, v8, s[2:3]
	v_lshlrev_b32_e32 v11, 2, v8
	v_xor_b32_e32 v8, 1, v4
	v_cmp_lt_i32_e64 s[2:3], v8, v5
	v_cndmask_b32_e64 v4, v4, v8, s[2:3]
	s_waitcnt lgkmcnt(1)
	v_cmp_lt_f32_e64 s[2:3], v1, v7
	v_cndmask_b32_e64 v5, v1, v7, s[2:3]
	s_waitcnt lgkmcnt(0)
	v_cmp_lt_f32_e64 s[2:3], v0, v6
	ds_bpermute_b32 v7, v11, v5
	v_cndmask_b32_e64 v6, v0, v6, s[2:3]
	ds_bpermute_b32 v8, v11, v6
	v_lshlrev_b32_e32 v12, 2, v4
	s_mov_b32 s4, 0x3fb8aa3b
	s_waitcnt lgkmcnt(1)
	v_cmp_lt_f32_e64 s[2:3], v5, v7
	v_cndmask_b32_e64 v4, v5, v7, s[2:3]
	s_waitcnt lgkmcnt(0)
	v_cmp_lt_f32_e64 s[2:3], v6, v8
	ds_bpermute_b32 v5, v12, v4
	v_cndmask_b32_e64 v6, v6, v8, s[2:3]
	ds_bpermute_b32 v7, v12, v6
	s_mov_b32 s5, 0xc2ce8ed0
	s_mov_b32 s6, 0x42b17218
	s_waitcnt lgkmcnt(1)
	v_cmp_lt_f32_e64 s[2:3], v4, v5
	v_cndmask_b32_e64 v5, v4, v5, s[2:3]
	s_waitcnt lgkmcnt(0)
	v_cmp_lt_f32_e64 s[2:3], v6, v7
	v_cndmask_b32_e64 v4, v6, v7, s[2:3]
	v_pk_add_f32 v[6:7], v[0:1], v[4:5] neg_lo:[0,1] neg_hi:[0,1]
	v_mul_f32_e32 v8, 0x3fb8aa3b, v7
	v_fma_f32 v13, v7, s4, -v8
	v_rndne_f32_e32 v14, v8
	v_fmac_f32_e32 v13, 0x32a5705f, v7
	v_sub_f32_e32 v8, v8, v14
	v_add_f32_e32 v8, v8, v13
	v_exp_f32_e32 v8, v8
	v_cvt_i32_f32_e32 v13, v14
	v_cmp_ngt_f32_e64 s[2:3], s5, v7
	v_ldexp_f32 v8, v8, v13
	v_mul_f32_e32 v13, 0x3fb8aa3b, v6
	v_fma_f32 v14, v6, s4, -v13
	v_rndne_f32_e32 v15, v13
	v_fmac_f32_e32 v14, 0x32a5705f, v6
	v_sub_f32_e32 v13, v13, v15
	v_add_f32_e32 v13, v13, v14
	v_exp_f32_e32 v13, v13
	v_cvt_i32_f32_e32 v14, v15
	v_cndmask_b32_e64 v8, 0, v8, s[2:3]
	v_mov_b32_e32 v15, 0x7f800000
	v_cmp_nlt_f32_e64 s[2:3], s6, v7
	v_cndmask_b32_e64 v7, v15, v8, s[2:3]
	v_ldexp_f32 v8, v13, v14
	v_cmp_ngt_f32_e64 s[2:3], s5, v6
	v_cndmask_b32_e64 v8, 0, v8, s[2:3]
	v_cmp_nlt_f32_e64 s[2:3], s6, v6
	v_cndmask_b32_e64 v6, v15, v8, s[2:3]
	ds_bpermute_b32 v8, v9, v6
	ds_bpermute_b32 v9, v9, v7
	s_waitcnt lgkmcnt(0)
	v_pk_add_f32 v[6:7], v[6:7], v[8:9]
	ds_bpermute_b32 v8, v11, v6
	ds_bpermute_b32 v9, v11, v7
	s_waitcnt lgkmcnt(0)
	v_pk_add_f32 v[6:7], v[6:7], v[8:9]
	ds_bpermute_b32 v8, v12, v6
	ds_bpermute_b32 v9, v12, v7
	s_and_saveexec_b64 s[2:3], s[0:1]
	s_cbranch_execz .LBB76_10
; %bb.5:
	v_mov_b32_e32 v11, s9
	v_add_co_u32_e64 v2, s[0:1], s8, v2
	v_addc_co_u32_e64 v3, s[0:1], v11, v3, s[0:1]
	s_waitcnt lgkmcnt(0)
	v_pk_add_f32 v[6:7], v[6:7], v[8:9]
	s_and_saveexec_b64 s[4:5], vcc
	s_cbranch_execz .LBB76_7
; %bb.6:
	s_mov_b32 s0, 0x800000
	v_mov_b32_e32 v8, 0x4f800000
	v_cmp_gt_f32_e64 s[0:1], s0, v6
	v_cndmask_b32_e64 v8, 1.0, v8, s[0:1]
	v_mul_f32_e32 v6, v6, v8
	v_log_f32_e32 v6, v6
	s_mov_b32 s2, 0x3f317217
	v_sub_f32_e32 v0, v0, v4
	v_mul_f32_e32 v8, 0x3f317217, v6
	v_fma_f32 v9, v6, s2, -v8
	v_fmac_f32_e32 v9, 0x3377d1cf, v6
	s_mov_b32 s2, 0x7f800000
	v_add_f32_e32 v8, v8, v9
	v_cmp_lt_f32_e64 s[2:3], |v6|, s2
	v_cndmask_b32_e64 v6, v6, v8, s[2:3]
	v_mov_b32_e32 v8, 0x41b17218
	v_cndmask_b32_e64 v8, 0, v8, s[0:1]
	v_sub_f32_e32 v6, v6, v8
	v_sub_f32_e32 v0, v0, v6
	v_cvt_f16_f32_e32 v0, v0
	global_store_short v[2:3], v0, off
.LBB76_7:
	s_or_b64 exec, exec, s[4:5]
	v_cmp_ne_u32_e64 s[0:1], 1, v10
	s_and_b64 exec, exec, s[0:1]
	s_cbranch_execz .LBB76_10
; %bb.8:
	s_and_b64 exec, exec, vcc
	s_cbranch_execz .LBB76_10
; %bb.9:
	s_mov_b32 s0, 0x800000
	v_mov_b32_e32 v0, 0x4f800000
	v_cmp_gt_f32_e32 vcc, s0, v7
	v_cndmask_b32_e32 v0, 1.0, v0, vcc
	v_mul_f32_e32 v0, v7, v0
	v_log_f32_e32 v0, v0
	s_mov_b32 s0, 0x3f317217
	v_sub_f32_e32 v1, v1, v5
	s_mov_b32 s15, 0
	v_mul_f32_e32 v4, 0x3f317217, v0
	v_fma_f32 v6, v0, s0, -v4
	v_fmac_f32_e32 v6, 0x3377d1cf, v0
	s_mov_b32 s0, 0x7f800000
	v_add_f32_e32 v4, v4, v6
	v_cmp_lt_f32_e64 s[0:1], |v0|, s0
	v_cndmask_b32_e64 v0, v0, v4, s[0:1]
	v_mov_b32_e32 v4, 0x41b17218
	v_cndmask_b32_e32 v4, 0, v4, vcc
	v_sub_f32_e32 v0, v0, v4
	v_sub_f32_e32 v0, v1, v0
	v_cvt_f16_f32_e32 v4, v0
	s_lshl_b64 s[0:1], s[14:15], 1
	v_mov_b32_e32 v1, s1
	v_add_co_u32_e32 v0, vcc, s0, v2
	v_addc_co_u32_e32 v1, vcc, v3, v1, vcc
	global_store_short v[0:1], v4, off
.LBB76_10:
	s_endpgm
	.section	.rodata,"a",@progbits
	.p2align	6, 0x0
	.amdhsa_kernel _ZN12_GLOBAL__N_120softmax_warp_forwardIN3c104HalfES2_fLi3ELb1ELb0ELi64EEEvPT0_PKT_iiiPKbib
		.amdhsa_group_segment_fixed_size 0
		.amdhsa_private_segment_fixed_size 0
		.amdhsa_kernarg_size 304
		.amdhsa_user_sgpr_count 6
		.amdhsa_user_sgpr_private_segment_buffer 1
		.amdhsa_user_sgpr_dispatch_ptr 0
		.amdhsa_user_sgpr_queue_ptr 0
		.amdhsa_user_sgpr_kernarg_segment_ptr 1
		.amdhsa_user_sgpr_dispatch_id 0
		.amdhsa_user_sgpr_flat_scratch_init 0
		.amdhsa_user_sgpr_kernarg_preload_length 0
		.amdhsa_user_sgpr_kernarg_preload_offset 0
		.amdhsa_user_sgpr_private_segment_size 0
		.amdhsa_uses_dynamic_stack 0
		.amdhsa_system_sgpr_private_segment_wavefront_offset 0
		.amdhsa_system_sgpr_workgroup_id_x 1
		.amdhsa_system_sgpr_workgroup_id_y 0
		.amdhsa_system_sgpr_workgroup_id_z 0
		.amdhsa_system_sgpr_workgroup_info 0
		.amdhsa_system_vgpr_workitem_id 1
		.amdhsa_next_free_vgpr 16
		.amdhsa_next_free_sgpr 16
		.amdhsa_accum_offset 16
		.amdhsa_reserve_vcc 1
		.amdhsa_reserve_flat_scratch 0
		.amdhsa_float_round_mode_32 0
		.amdhsa_float_round_mode_16_64 0
		.amdhsa_float_denorm_mode_32 3
		.amdhsa_float_denorm_mode_16_64 3
		.amdhsa_dx10_clamp 1
		.amdhsa_ieee_mode 1
		.amdhsa_fp16_overflow 0
		.amdhsa_tg_split 0
		.amdhsa_exception_fp_ieee_invalid_op 0
		.amdhsa_exception_fp_denorm_src 0
		.amdhsa_exception_fp_ieee_div_zero 0
		.amdhsa_exception_fp_ieee_overflow 0
		.amdhsa_exception_fp_ieee_underflow 0
		.amdhsa_exception_fp_ieee_inexact 0
		.amdhsa_exception_int_div_zero 0
	.end_amdhsa_kernel
	.section	.text._ZN12_GLOBAL__N_120softmax_warp_forwardIN3c104HalfES2_fLi3ELb1ELb0ELi64EEEvPT0_PKT_iiiPKbib,"axG",@progbits,_ZN12_GLOBAL__N_120softmax_warp_forwardIN3c104HalfES2_fLi3ELb1ELb0ELi64EEEvPT0_PKT_iiiPKbib,comdat
.Lfunc_end76:
	.size	_ZN12_GLOBAL__N_120softmax_warp_forwardIN3c104HalfES2_fLi3ELb1ELb0ELi64EEEvPT0_PKT_iiiPKbib, .Lfunc_end76-_ZN12_GLOBAL__N_120softmax_warp_forwardIN3c104HalfES2_fLi3ELb1ELb0ELi64EEEvPT0_PKT_iiiPKbib
                                        ; -- End function
	.section	.AMDGPU.csdata,"",@progbits
; Kernel info:
; codeLenInByte = 1132
; NumSgprs: 20
; NumVgprs: 16
; NumAgprs: 0
; TotalNumVgprs: 16
; ScratchSize: 0
; MemoryBound: 0
; FloatMode: 240
; IeeeMode: 1
; LDSByteSize: 0 bytes/workgroup (compile time only)
; SGPRBlocks: 2
; VGPRBlocks: 1
; NumSGPRsForWavesPerEU: 20
; NumVGPRsForWavesPerEU: 16
; AccumOffset: 16
; Occupancy: 8
; WaveLimiterHint : 0
; COMPUTE_PGM_RSRC2:SCRATCH_EN: 0
; COMPUTE_PGM_RSRC2:USER_SGPR: 6
; COMPUTE_PGM_RSRC2:TRAP_HANDLER: 0
; COMPUTE_PGM_RSRC2:TGID_X_EN: 1
; COMPUTE_PGM_RSRC2:TGID_Y_EN: 0
; COMPUTE_PGM_RSRC2:TGID_Z_EN: 0
; COMPUTE_PGM_RSRC2:TIDIG_COMP_CNT: 1
; COMPUTE_PGM_RSRC3_GFX90A:ACCUM_OFFSET: 3
; COMPUTE_PGM_RSRC3_GFX90A:TG_SPLIT: 0
	.section	.text._ZN12_GLOBAL__N_120softmax_warp_forwardIN3c104HalfES2_fLi3ELb1ELb0ELi32EEEvPT0_PKT_iiiPKbib,"axG",@progbits,_ZN12_GLOBAL__N_120softmax_warp_forwardIN3c104HalfES2_fLi3ELb1ELb0ELi32EEEvPT0_PKT_iiiPKbib,comdat
	.globl	_ZN12_GLOBAL__N_120softmax_warp_forwardIN3c104HalfES2_fLi3ELb1ELb0ELi32EEEvPT0_PKT_iiiPKbib ; -- Begin function _ZN12_GLOBAL__N_120softmax_warp_forwardIN3c104HalfES2_fLi3ELb1ELb0ELi32EEEvPT0_PKT_iiiPKbib
	.p2align	8
	.type	_ZN12_GLOBAL__N_120softmax_warp_forwardIN3c104HalfES2_fLi3ELb1ELb0ELi32EEEvPT0_PKT_iiiPKbib,@function
_ZN12_GLOBAL__N_120softmax_warp_forwardIN3c104HalfES2_fLi3ELb1ELb0ELi32EEEvPT0_PKT_iiiPKbib: ; @_ZN12_GLOBAL__N_120softmax_warp_forwardIN3c104HalfES2_fLi3ELb1ELb0ELi32EEEvPT0_PKT_iiiPKbib
; %bb.0:
	s_load_dword s0, s[4:5], 0x3c
	s_load_dwordx8 s[8:15], s[4:5], 0x0
	v_bfe_u32 v1, v0, 10, 10
	v_and_b32_e32 v0, 0x3ff, v0
	s_waitcnt lgkmcnt(0)
	s_lshr_b32 s0, s0, 16
	s_mul_i32 s6, s6, s0
	v_add_lshl_u32 v1, s6, v1, 1
	v_mad_u64_u32 v[2:3], s[0:1], v1, s13, v[0:1]
	v_ashrrev_i32_e32 v3, 31, v2
	v_lshlrev_b64 v[2:3], 1, v[2:3]
	v_sub_u32_e32 v10, s12, v1
	v_mov_b32_e32 v1, s11
	v_add_co_u32_e32 v4, vcc, s10, v2
	v_addc_co_u32_e32 v5, vcc, v1, v3, vcc
	v_cmp_gt_i32_e32 vcc, s14, v0
	v_cmp_lt_i32_e64 s[0:1], 0, v10
	s_and_b64 s[4:5], vcc, s[0:1]
	v_mov_b32_e32 v1, 0xff800000
	v_mov_b32_e32 v0, 0xff800000
	s_and_saveexec_b64 s[2:3], s[4:5]
	s_cbranch_execz .LBB77_2
; %bb.1:
	global_load_ushort v0, v[4:5], off
	s_waitcnt vmcnt(0)
	v_cvt_f32_f16_e32 v0, v0
.LBB77_2:
	s_or_b64 exec, exec, s[2:3]
	v_cmp_lt_i32_e64 s[2:3], 1, v10
	s_and_b64 s[2:3], vcc, s[2:3]
	s_and_saveexec_b64 s[4:5], s[2:3]
	s_cbranch_execz .LBB77_4
; %bb.3:
	s_mov_b32 s15, 0
	s_lshl_b64 s[2:3], s[14:15], 1
	v_mov_b32_e32 v1, s3
	v_add_co_u32_e64 v4, s[2:3], s2, v4
	v_addc_co_u32_e64 v5, s[2:3], v5, v1, s[2:3]
	global_load_ushort v1, v[4:5], off
	s_waitcnt vmcnt(0)
	v_cvt_f32_f16_e32 v1, v1
.LBB77_4:
	s_or_b64 exec, exec, s[4:5]
	v_mbcnt_lo_u32_b32 v4, -1, 0
	v_mbcnt_hi_u32_b32 v4, -1, v4
	v_and_b32_e32 v5, 0x78, v4
	v_add_u32_e32 v5, 8, v5
	v_xor_b32_e32 v6, 4, v4
	v_cmp_lt_i32_e64 s[2:3], v6, v5
	v_cndmask_b32_e64 v6, v4, v6, s[2:3]
	v_lshlrev_b32_e32 v9, 2, v6
	ds_bpermute_b32 v7, v9, v1
	v_xor_b32_e32 v8, 2, v4
	ds_bpermute_b32 v6, v9, v0
	v_cmp_lt_i32_e64 s[2:3], v8, v5
	v_cndmask_b32_e64 v8, v4, v8, s[2:3]
	v_lshlrev_b32_e32 v11, 2, v8
	v_xor_b32_e32 v8, 1, v4
	v_cmp_lt_i32_e64 s[2:3], v8, v5
	v_cndmask_b32_e64 v4, v4, v8, s[2:3]
	s_waitcnt lgkmcnt(1)
	v_cmp_lt_f32_e64 s[2:3], v1, v7
	v_cndmask_b32_e64 v5, v1, v7, s[2:3]
	s_waitcnt lgkmcnt(0)
	v_cmp_lt_f32_e64 s[2:3], v0, v6
	ds_bpermute_b32 v7, v11, v5
	v_cndmask_b32_e64 v6, v0, v6, s[2:3]
	ds_bpermute_b32 v8, v11, v6
	v_lshlrev_b32_e32 v12, 2, v4
	s_mov_b32 s4, 0x3fb8aa3b
	s_waitcnt lgkmcnt(1)
	v_cmp_lt_f32_e64 s[2:3], v5, v7
	v_cndmask_b32_e64 v4, v5, v7, s[2:3]
	s_waitcnt lgkmcnt(0)
	v_cmp_lt_f32_e64 s[2:3], v6, v8
	ds_bpermute_b32 v5, v12, v4
	v_cndmask_b32_e64 v6, v6, v8, s[2:3]
	ds_bpermute_b32 v7, v12, v6
	s_mov_b32 s5, 0xc2ce8ed0
	s_mov_b32 s6, 0x42b17218
	s_waitcnt lgkmcnt(1)
	v_cmp_lt_f32_e64 s[2:3], v4, v5
	v_cndmask_b32_e64 v5, v4, v5, s[2:3]
	s_waitcnt lgkmcnt(0)
	v_cmp_lt_f32_e64 s[2:3], v6, v7
	v_cndmask_b32_e64 v4, v6, v7, s[2:3]
	v_pk_add_f32 v[6:7], v[0:1], v[4:5] neg_lo:[0,1] neg_hi:[0,1]
	v_mul_f32_e32 v8, 0x3fb8aa3b, v7
	v_fma_f32 v13, v7, s4, -v8
	v_rndne_f32_e32 v14, v8
	v_fmac_f32_e32 v13, 0x32a5705f, v7
	v_sub_f32_e32 v8, v8, v14
	v_add_f32_e32 v8, v8, v13
	v_exp_f32_e32 v8, v8
	v_cvt_i32_f32_e32 v13, v14
	v_cmp_ngt_f32_e64 s[2:3], s5, v7
	v_ldexp_f32 v8, v8, v13
	v_mul_f32_e32 v13, 0x3fb8aa3b, v6
	v_fma_f32 v14, v6, s4, -v13
	v_rndne_f32_e32 v15, v13
	v_fmac_f32_e32 v14, 0x32a5705f, v6
	v_sub_f32_e32 v13, v13, v15
	v_add_f32_e32 v13, v13, v14
	v_exp_f32_e32 v13, v13
	v_cvt_i32_f32_e32 v14, v15
	v_cndmask_b32_e64 v8, 0, v8, s[2:3]
	v_mov_b32_e32 v15, 0x7f800000
	v_cmp_nlt_f32_e64 s[2:3], s6, v7
	v_cndmask_b32_e64 v7, v15, v8, s[2:3]
	v_ldexp_f32 v8, v13, v14
	v_cmp_ngt_f32_e64 s[2:3], s5, v6
	v_cndmask_b32_e64 v8, 0, v8, s[2:3]
	v_cmp_nlt_f32_e64 s[2:3], s6, v6
	v_cndmask_b32_e64 v6, v15, v8, s[2:3]
	ds_bpermute_b32 v8, v9, v6
	ds_bpermute_b32 v9, v9, v7
	s_waitcnt lgkmcnt(0)
	v_pk_add_f32 v[6:7], v[6:7], v[8:9]
	ds_bpermute_b32 v8, v11, v6
	ds_bpermute_b32 v9, v11, v7
	s_waitcnt lgkmcnt(0)
	v_pk_add_f32 v[6:7], v[6:7], v[8:9]
	ds_bpermute_b32 v8, v12, v6
	ds_bpermute_b32 v9, v12, v7
	s_and_saveexec_b64 s[2:3], s[0:1]
	s_cbranch_execz .LBB77_10
; %bb.5:
	v_mov_b32_e32 v11, s9
	v_add_co_u32_e64 v2, s[0:1], s8, v2
	v_addc_co_u32_e64 v3, s[0:1], v11, v3, s[0:1]
	s_waitcnt lgkmcnt(0)
	v_pk_add_f32 v[6:7], v[6:7], v[8:9]
	s_and_saveexec_b64 s[4:5], vcc
	s_cbranch_execz .LBB77_7
; %bb.6:
	s_mov_b32 s0, 0x800000
	v_mov_b32_e32 v8, 0x4f800000
	v_cmp_gt_f32_e64 s[0:1], s0, v6
	v_cndmask_b32_e64 v8, 1.0, v8, s[0:1]
	v_mul_f32_e32 v6, v6, v8
	v_log_f32_e32 v6, v6
	s_mov_b32 s2, 0x3f317217
	v_sub_f32_e32 v0, v0, v4
	v_mul_f32_e32 v8, 0x3f317217, v6
	v_fma_f32 v9, v6, s2, -v8
	v_fmac_f32_e32 v9, 0x3377d1cf, v6
	s_mov_b32 s2, 0x7f800000
	v_add_f32_e32 v8, v8, v9
	v_cmp_lt_f32_e64 s[2:3], |v6|, s2
	v_cndmask_b32_e64 v6, v6, v8, s[2:3]
	v_mov_b32_e32 v8, 0x41b17218
	v_cndmask_b32_e64 v8, 0, v8, s[0:1]
	v_sub_f32_e32 v6, v6, v8
	v_sub_f32_e32 v0, v0, v6
	v_cvt_f16_f32_e32 v0, v0
	global_store_short v[2:3], v0, off
.LBB77_7:
	s_or_b64 exec, exec, s[4:5]
	v_cmp_ne_u32_e64 s[0:1], 1, v10
	s_and_b64 exec, exec, s[0:1]
	s_cbranch_execz .LBB77_10
; %bb.8:
	s_and_b64 exec, exec, vcc
	s_cbranch_execz .LBB77_10
; %bb.9:
	s_mov_b32 s0, 0x800000
	v_mov_b32_e32 v0, 0x4f800000
	v_cmp_gt_f32_e32 vcc, s0, v7
	v_cndmask_b32_e32 v0, 1.0, v0, vcc
	v_mul_f32_e32 v0, v7, v0
	v_log_f32_e32 v0, v0
	s_mov_b32 s0, 0x3f317217
	v_sub_f32_e32 v1, v1, v5
	s_mov_b32 s15, 0
	v_mul_f32_e32 v4, 0x3f317217, v0
	v_fma_f32 v6, v0, s0, -v4
	v_fmac_f32_e32 v6, 0x3377d1cf, v0
	s_mov_b32 s0, 0x7f800000
	v_add_f32_e32 v4, v4, v6
	v_cmp_lt_f32_e64 s[0:1], |v0|, s0
	v_cndmask_b32_e64 v0, v0, v4, s[0:1]
	v_mov_b32_e32 v4, 0x41b17218
	v_cndmask_b32_e32 v4, 0, v4, vcc
	v_sub_f32_e32 v0, v0, v4
	v_sub_f32_e32 v0, v1, v0
	v_cvt_f16_f32_e32 v4, v0
	s_lshl_b64 s[0:1], s[14:15], 1
	v_mov_b32_e32 v1, s1
	v_add_co_u32_e32 v0, vcc, s0, v2
	v_addc_co_u32_e32 v1, vcc, v3, v1, vcc
	global_store_short v[0:1], v4, off
.LBB77_10:
	s_endpgm
	.section	.rodata,"a",@progbits
	.p2align	6, 0x0
	.amdhsa_kernel _ZN12_GLOBAL__N_120softmax_warp_forwardIN3c104HalfES2_fLi3ELb1ELb0ELi32EEEvPT0_PKT_iiiPKbib
		.amdhsa_group_segment_fixed_size 0
		.amdhsa_private_segment_fixed_size 0
		.amdhsa_kernarg_size 304
		.amdhsa_user_sgpr_count 6
		.amdhsa_user_sgpr_private_segment_buffer 1
		.amdhsa_user_sgpr_dispatch_ptr 0
		.amdhsa_user_sgpr_queue_ptr 0
		.amdhsa_user_sgpr_kernarg_segment_ptr 1
		.amdhsa_user_sgpr_dispatch_id 0
		.amdhsa_user_sgpr_flat_scratch_init 0
		.amdhsa_user_sgpr_kernarg_preload_length 0
		.amdhsa_user_sgpr_kernarg_preload_offset 0
		.amdhsa_user_sgpr_private_segment_size 0
		.amdhsa_uses_dynamic_stack 0
		.amdhsa_system_sgpr_private_segment_wavefront_offset 0
		.amdhsa_system_sgpr_workgroup_id_x 1
		.amdhsa_system_sgpr_workgroup_id_y 0
		.amdhsa_system_sgpr_workgroup_id_z 0
		.amdhsa_system_sgpr_workgroup_info 0
		.amdhsa_system_vgpr_workitem_id 1
		.amdhsa_next_free_vgpr 16
		.amdhsa_next_free_sgpr 16
		.amdhsa_accum_offset 16
		.amdhsa_reserve_vcc 1
		.amdhsa_reserve_flat_scratch 0
		.amdhsa_float_round_mode_32 0
		.amdhsa_float_round_mode_16_64 0
		.amdhsa_float_denorm_mode_32 3
		.amdhsa_float_denorm_mode_16_64 3
		.amdhsa_dx10_clamp 1
		.amdhsa_ieee_mode 1
		.amdhsa_fp16_overflow 0
		.amdhsa_tg_split 0
		.amdhsa_exception_fp_ieee_invalid_op 0
		.amdhsa_exception_fp_denorm_src 0
		.amdhsa_exception_fp_ieee_div_zero 0
		.amdhsa_exception_fp_ieee_overflow 0
		.amdhsa_exception_fp_ieee_underflow 0
		.amdhsa_exception_fp_ieee_inexact 0
		.amdhsa_exception_int_div_zero 0
	.end_amdhsa_kernel
	.section	.text._ZN12_GLOBAL__N_120softmax_warp_forwardIN3c104HalfES2_fLi3ELb1ELb0ELi32EEEvPT0_PKT_iiiPKbib,"axG",@progbits,_ZN12_GLOBAL__N_120softmax_warp_forwardIN3c104HalfES2_fLi3ELb1ELb0ELi32EEEvPT0_PKT_iiiPKbib,comdat
.Lfunc_end77:
	.size	_ZN12_GLOBAL__N_120softmax_warp_forwardIN3c104HalfES2_fLi3ELb1ELb0ELi32EEEvPT0_PKT_iiiPKbib, .Lfunc_end77-_ZN12_GLOBAL__N_120softmax_warp_forwardIN3c104HalfES2_fLi3ELb1ELb0ELi32EEEvPT0_PKT_iiiPKbib
                                        ; -- End function
	.section	.AMDGPU.csdata,"",@progbits
; Kernel info:
; codeLenInByte = 1132
; NumSgprs: 20
; NumVgprs: 16
; NumAgprs: 0
; TotalNumVgprs: 16
; ScratchSize: 0
; MemoryBound: 0
; FloatMode: 240
; IeeeMode: 1
; LDSByteSize: 0 bytes/workgroup (compile time only)
; SGPRBlocks: 2
; VGPRBlocks: 1
; NumSGPRsForWavesPerEU: 20
; NumVGPRsForWavesPerEU: 16
; AccumOffset: 16
; Occupancy: 8
; WaveLimiterHint : 0
; COMPUTE_PGM_RSRC2:SCRATCH_EN: 0
; COMPUTE_PGM_RSRC2:USER_SGPR: 6
; COMPUTE_PGM_RSRC2:TRAP_HANDLER: 0
; COMPUTE_PGM_RSRC2:TGID_X_EN: 1
; COMPUTE_PGM_RSRC2:TGID_Y_EN: 0
; COMPUTE_PGM_RSRC2:TGID_Z_EN: 0
; COMPUTE_PGM_RSRC2:TIDIG_COMP_CNT: 1
; COMPUTE_PGM_RSRC3_GFX90A:ACCUM_OFFSET: 3
; COMPUTE_PGM_RSRC3_GFX90A:TG_SPLIT: 0
	.section	.text._ZN12_GLOBAL__N_120softmax_warp_forwardIN3c104HalfES2_fLi4ELb1ELb0ELi64EEEvPT0_PKT_iiiPKbib,"axG",@progbits,_ZN12_GLOBAL__N_120softmax_warp_forwardIN3c104HalfES2_fLi4ELb1ELb0ELi64EEEvPT0_PKT_iiiPKbib,comdat
	.globl	_ZN12_GLOBAL__N_120softmax_warp_forwardIN3c104HalfES2_fLi4ELb1ELb0ELi64EEEvPT0_PKT_iiiPKbib ; -- Begin function _ZN12_GLOBAL__N_120softmax_warp_forwardIN3c104HalfES2_fLi4ELb1ELb0ELi64EEEvPT0_PKT_iiiPKbib
	.p2align	8
	.type	_ZN12_GLOBAL__N_120softmax_warp_forwardIN3c104HalfES2_fLi4ELb1ELb0ELi64EEEvPT0_PKT_iiiPKbib,@function
_ZN12_GLOBAL__N_120softmax_warp_forwardIN3c104HalfES2_fLi4ELb1ELb0ELi64EEEvPT0_PKT_iiiPKbib: ; @_ZN12_GLOBAL__N_120softmax_warp_forwardIN3c104HalfES2_fLi4ELb1ELb0ELi64EEEvPT0_PKT_iiiPKbib
; %bb.0:
	s_load_dword s0, s[4:5], 0x3c
	s_load_dwordx8 s[8:15], s[4:5], 0x0
	v_bfe_u32 v1, v0, 10, 10
	v_and_b32_e32 v0, 0x3ff, v0
	s_waitcnt lgkmcnt(0)
	s_lshr_b32 s0, s0, 16
	s_mul_i32 s6, s6, s0
	v_add_lshl_u32 v1, s6, v1, 1
	v_mad_u64_u32 v[2:3], s[0:1], v1, s13, v[0:1]
	v_ashrrev_i32_e32 v3, 31, v2
	v_lshlrev_b64 v[2:3], 1, v[2:3]
	v_sub_u32_e32 v10, s12, v1
	v_mov_b32_e32 v1, s11
	v_add_co_u32_e32 v4, vcc, s10, v2
	v_addc_co_u32_e32 v5, vcc, v1, v3, vcc
	v_cmp_gt_i32_e32 vcc, s14, v0
	v_cmp_lt_i32_e64 s[0:1], 0, v10
	s_and_b64 s[4:5], vcc, s[0:1]
	v_mov_b32_e32 v1, 0xff800000
	v_mov_b32_e32 v0, 0xff800000
	s_and_saveexec_b64 s[2:3], s[4:5]
	s_cbranch_execz .LBB78_2
; %bb.1:
	global_load_ushort v0, v[4:5], off
	s_waitcnt vmcnt(0)
	v_cvt_f32_f16_e32 v0, v0
.LBB78_2:
	s_or_b64 exec, exec, s[2:3]
	v_cmp_lt_i32_e64 s[2:3], 1, v10
	s_and_b64 s[2:3], vcc, s[2:3]
	s_and_saveexec_b64 s[4:5], s[2:3]
	s_cbranch_execz .LBB78_4
; %bb.3:
	s_mov_b32 s15, 0
	s_lshl_b64 s[2:3], s[14:15], 1
	v_mov_b32_e32 v1, s3
	v_add_co_u32_e64 v4, s[2:3], s2, v4
	v_addc_co_u32_e64 v5, s[2:3], v5, v1, s[2:3]
	global_load_ushort v1, v[4:5], off
	s_waitcnt vmcnt(0)
	v_cvt_f32_f16_e32 v1, v1
.LBB78_4:
	s_or_b64 exec, exec, s[4:5]
	v_mbcnt_lo_u32_b32 v4, -1, 0
	v_mbcnt_hi_u32_b32 v4, -1, v4
	v_and_b32_e32 v5, 0x70, v4
	v_add_u32_e32 v5, 16, v5
	v_xor_b32_e32 v6, 8, v4
	v_cmp_lt_i32_e64 s[2:3], v6, v5
	v_cndmask_b32_e64 v6, v4, v6, s[2:3]
	v_lshlrev_b32_e32 v9, 2, v6
	ds_bpermute_b32 v6, v9, v1
	ds_bpermute_b32 v7, v9, v0
	v_xor_b32_e32 v8, 4, v4
	v_xor_b32_e32 v13, 2, v4
	;; [unrolled: 1-line block ×3, first 2 shown]
	s_waitcnt lgkmcnt(1)
	v_cmp_lt_f32_e64 s[2:3], v1, v6
	v_cndmask_b32_e64 v6, v1, v6, s[2:3]
	s_waitcnt lgkmcnt(0)
	v_cmp_lt_f32_e64 s[2:3], v0, v7
	v_cndmask_b32_e64 v7, v0, v7, s[2:3]
	v_cmp_lt_i32_e64 s[2:3], v8, v5
	v_cndmask_b32_e64 v8, v4, v8, s[2:3]
	v_lshlrev_b32_e32 v11, 2, v8
	ds_bpermute_b32 v12, v11, v6
	ds_bpermute_b32 v8, v11, v7
	v_cmp_lt_i32_e64 s[2:3], v13, v5
	v_cndmask_b32_e64 v13, v4, v13, s[2:3]
	v_cmp_lt_i32_e64 s[2:3], v14, v5
	v_cndmask_b32_e64 v4, v4, v14, s[2:3]
	s_waitcnt lgkmcnt(1)
	v_cmp_lt_f32_e64 s[2:3], v6, v12
	v_lshlrev_b32_e32 v13, 2, v13
	v_cndmask_b32_e64 v5, v6, v12, s[2:3]
	s_waitcnt lgkmcnt(0)
	v_cmp_lt_f32_e64 s[2:3], v7, v8
	ds_bpermute_b32 v6, v13, v5
	v_cndmask_b32_e64 v7, v7, v8, s[2:3]
	ds_bpermute_b32 v8, v13, v7
	v_lshlrev_b32_e32 v12, 2, v4
	s_mov_b32 s4, 0x3fb8aa3b
	s_waitcnt lgkmcnt(1)
	v_cmp_lt_f32_e64 s[2:3], v5, v6
	v_cndmask_b32_e64 v4, v5, v6, s[2:3]
	s_waitcnt lgkmcnt(0)
	v_cmp_lt_f32_e64 s[2:3], v7, v8
	ds_bpermute_b32 v5, v12, v4
	v_cndmask_b32_e64 v6, v7, v8, s[2:3]
	ds_bpermute_b32 v7, v12, v6
	s_mov_b32 s5, 0xc2ce8ed0
	s_mov_b32 s6, 0x42b17218
	s_waitcnt lgkmcnt(1)
	v_cmp_lt_f32_e64 s[2:3], v4, v5
	v_cndmask_b32_e64 v5, v4, v5, s[2:3]
	s_waitcnt lgkmcnt(0)
	v_cmp_lt_f32_e64 s[2:3], v6, v7
	v_cndmask_b32_e64 v4, v6, v7, s[2:3]
	v_pk_add_f32 v[6:7], v[0:1], v[4:5] neg_lo:[0,1] neg_hi:[0,1]
	v_mul_f32_e32 v8, 0x3fb8aa3b, v7
	v_fma_f32 v14, v7, s4, -v8
	v_rndne_f32_e32 v15, v8
	v_fmac_f32_e32 v14, 0x32a5705f, v7
	v_sub_f32_e32 v8, v8, v15
	v_add_f32_e32 v8, v8, v14
	v_exp_f32_e32 v8, v8
	v_cvt_i32_f32_e32 v14, v15
	v_cmp_ngt_f32_e64 s[2:3], s5, v7
	v_ldexp_f32 v8, v8, v14
	v_mul_f32_e32 v14, 0x3fb8aa3b, v6
	v_fma_f32 v15, v6, s4, -v14
	v_rndne_f32_e32 v16, v14
	v_fmac_f32_e32 v15, 0x32a5705f, v6
	v_sub_f32_e32 v14, v14, v16
	v_add_f32_e32 v14, v14, v15
	v_exp_f32_e32 v14, v14
	v_cvt_i32_f32_e32 v15, v16
	v_cndmask_b32_e64 v8, 0, v8, s[2:3]
	v_mov_b32_e32 v16, 0x7f800000
	v_cmp_nlt_f32_e64 s[2:3], s6, v7
	v_cndmask_b32_e64 v7, v16, v8, s[2:3]
	v_ldexp_f32 v8, v14, v15
	v_cmp_ngt_f32_e64 s[2:3], s5, v6
	v_cndmask_b32_e64 v8, 0, v8, s[2:3]
	v_cmp_nlt_f32_e64 s[2:3], s6, v6
	v_cndmask_b32_e64 v6, v16, v8, s[2:3]
	ds_bpermute_b32 v8, v9, v6
	ds_bpermute_b32 v9, v9, v7
	s_waitcnt lgkmcnt(0)
	v_pk_add_f32 v[6:7], v[6:7], v[8:9]
	ds_bpermute_b32 v8, v11, v6
	ds_bpermute_b32 v9, v11, v7
	s_waitcnt lgkmcnt(0)
	v_pk_add_f32 v[6:7], v[6:7], v[8:9]
	ds_bpermute_b32 v8, v13, v6
	ds_bpermute_b32 v9, v13, v7
	s_waitcnt lgkmcnt(0)
	v_pk_add_f32 v[6:7], v[6:7], v[8:9]
	ds_bpermute_b32 v8, v12, v6
	ds_bpermute_b32 v9, v12, v7
	s_and_saveexec_b64 s[2:3], s[0:1]
	s_cbranch_execz .LBB78_10
; %bb.5:
	v_mov_b32_e32 v11, s9
	v_add_co_u32_e64 v2, s[0:1], s8, v2
	v_addc_co_u32_e64 v3, s[0:1], v11, v3, s[0:1]
	s_waitcnt lgkmcnt(0)
	v_pk_add_f32 v[6:7], v[6:7], v[8:9]
	s_and_saveexec_b64 s[4:5], vcc
	s_cbranch_execz .LBB78_7
; %bb.6:
	s_mov_b32 s0, 0x800000
	v_mov_b32_e32 v8, 0x4f800000
	v_cmp_gt_f32_e64 s[0:1], s0, v6
	v_cndmask_b32_e64 v8, 1.0, v8, s[0:1]
	v_mul_f32_e32 v6, v6, v8
	v_log_f32_e32 v6, v6
	s_mov_b32 s2, 0x3f317217
	v_sub_f32_e32 v0, v0, v4
	v_mul_f32_e32 v8, 0x3f317217, v6
	v_fma_f32 v9, v6, s2, -v8
	v_fmac_f32_e32 v9, 0x3377d1cf, v6
	s_mov_b32 s2, 0x7f800000
	v_add_f32_e32 v8, v8, v9
	v_cmp_lt_f32_e64 s[2:3], |v6|, s2
	v_cndmask_b32_e64 v6, v6, v8, s[2:3]
	v_mov_b32_e32 v8, 0x41b17218
	v_cndmask_b32_e64 v8, 0, v8, s[0:1]
	v_sub_f32_e32 v6, v6, v8
	v_sub_f32_e32 v0, v0, v6
	v_cvt_f16_f32_e32 v0, v0
	global_store_short v[2:3], v0, off
.LBB78_7:
	s_or_b64 exec, exec, s[4:5]
	v_cmp_ne_u32_e64 s[0:1], 1, v10
	s_and_b64 exec, exec, s[0:1]
	s_cbranch_execz .LBB78_10
; %bb.8:
	s_and_b64 exec, exec, vcc
	s_cbranch_execz .LBB78_10
; %bb.9:
	s_mov_b32 s0, 0x800000
	v_mov_b32_e32 v0, 0x4f800000
	v_cmp_gt_f32_e32 vcc, s0, v7
	v_cndmask_b32_e32 v0, 1.0, v0, vcc
	v_mul_f32_e32 v0, v7, v0
	v_log_f32_e32 v0, v0
	s_mov_b32 s0, 0x3f317217
	v_sub_f32_e32 v1, v1, v5
	s_mov_b32 s15, 0
	v_mul_f32_e32 v4, 0x3f317217, v0
	v_fma_f32 v6, v0, s0, -v4
	v_fmac_f32_e32 v6, 0x3377d1cf, v0
	s_mov_b32 s0, 0x7f800000
	v_add_f32_e32 v4, v4, v6
	v_cmp_lt_f32_e64 s[0:1], |v0|, s0
	v_cndmask_b32_e64 v0, v0, v4, s[0:1]
	v_mov_b32_e32 v4, 0x41b17218
	v_cndmask_b32_e32 v4, 0, v4, vcc
	v_sub_f32_e32 v0, v0, v4
	v_sub_f32_e32 v0, v1, v0
	v_cvt_f16_f32_e32 v4, v0
	s_lshl_b64 s[0:1], s[14:15], 1
	v_mov_b32_e32 v1, s1
	v_add_co_u32_e32 v0, vcc, s0, v2
	v_addc_co_u32_e32 v1, vcc, v3, v1, vcc
	global_store_short v[0:1], v4, off
.LBB78_10:
	s_endpgm
	.section	.rodata,"a",@progbits
	.p2align	6, 0x0
	.amdhsa_kernel _ZN12_GLOBAL__N_120softmax_warp_forwardIN3c104HalfES2_fLi4ELb1ELb0ELi64EEEvPT0_PKT_iiiPKbib
		.amdhsa_group_segment_fixed_size 0
		.amdhsa_private_segment_fixed_size 0
		.amdhsa_kernarg_size 304
		.amdhsa_user_sgpr_count 6
		.amdhsa_user_sgpr_private_segment_buffer 1
		.amdhsa_user_sgpr_dispatch_ptr 0
		.amdhsa_user_sgpr_queue_ptr 0
		.amdhsa_user_sgpr_kernarg_segment_ptr 1
		.amdhsa_user_sgpr_dispatch_id 0
		.amdhsa_user_sgpr_flat_scratch_init 0
		.amdhsa_user_sgpr_kernarg_preload_length 0
		.amdhsa_user_sgpr_kernarg_preload_offset 0
		.amdhsa_user_sgpr_private_segment_size 0
		.amdhsa_uses_dynamic_stack 0
		.amdhsa_system_sgpr_private_segment_wavefront_offset 0
		.amdhsa_system_sgpr_workgroup_id_x 1
		.amdhsa_system_sgpr_workgroup_id_y 0
		.amdhsa_system_sgpr_workgroup_id_z 0
		.amdhsa_system_sgpr_workgroup_info 0
		.amdhsa_system_vgpr_workitem_id 1
		.amdhsa_next_free_vgpr 17
		.amdhsa_next_free_sgpr 16
		.amdhsa_accum_offset 20
		.amdhsa_reserve_vcc 1
		.amdhsa_reserve_flat_scratch 0
		.amdhsa_float_round_mode_32 0
		.amdhsa_float_round_mode_16_64 0
		.amdhsa_float_denorm_mode_32 3
		.amdhsa_float_denorm_mode_16_64 3
		.amdhsa_dx10_clamp 1
		.amdhsa_ieee_mode 1
		.amdhsa_fp16_overflow 0
		.amdhsa_tg_split 0
		.amdhsa_exception_fp_ieee_invalid_op 0
		.amdhsa_exception_fp_denorm_src 0
		.amdhsa_exception_fp_ieee_div_zero 0
		.amdhsa_exception_fp_ieee_overflow 0
		.amdhsa_exception_fp_ieee_underflow 0
		.amdhsa_exception_fp_ieee_inexact 0
		.amdhsa_exception_int_div_zero 0
	.end_amdhsa_kernel
	.section	.text._ZN12_GLOBAL__N_120softmax_warp_forwardIN3c104HalfES2_fLi4ELb1ELb0ELi64EEEvPT0_PKT_iiiPKbib,"axG",@progbits,_ZN12_GLOBAL__N_120softmax_warp_forwardIN3c104HalfES2_fLi4ELb1ELb0ELi64EEEvPT0_PKT_iiiPKbib,comdat
.Lfunc_end78:
	.size	_ZN12_GLOBAL__N_120softmax_warp_forwardIN3c104HalfES2_fLi4ELb1ELb0ELi64EEEvPT0_PKT_iiiPKbib, .Lfunc_end78-_ZN12_GLOBAL__N_120softmax_warp_forwardIN3c104HalfES2_fLi4ELb1ELb0ELi64EEEvPT0_PKT_iiiPKbib
                                        ; -- End function
	.section	.AMDGPU.csdata,"",@progbits
; Kernel info:
; codeLenInByte = 1240
; NumSgprs: 20
; NumVgprs: 17
; NumAgprs: 0
; TotalNumVgprs: 17
; ScratchSize: 0
; MemoryBound: 0
; FloatMode: 240
; IeeeMode: 1
; LDSByteSize: 0 bytes/workgroup (compile time only)
; SGPRBlocks: 2
; VGPRBlocks: 2
; NumSGPRsForWavesPerEU: 20
; NumVGPRsForWavesPerEU: 17
; AccumOffset: 20
; Occupancy: 8
; WaveLimiterHint : 0
; COMPUTE_PGM_RSRC2:SCRATCH_EN: 0
; COMPUTE_PGM_RSRC2:USER_SGPR: 6
; COMPUTE_PGM_RSRC2:TRAP_HANDLER: 0
; COMPUTE_PGM_RSRC2:TGID_X_EN: 1
; COMPUTE_PGM_RSRC2:TGID_Y_EN: 0
; COMPUTE_PGM_RSRC2:TGID_Z_EN: 0
; COMPUTE_PGM_RSRC2:TIDIG_COMP_CNT: 1
; COMPUTE_PGM_RSRC3_GFX90A:ACCUM_OFFSET: 4
; COMPUTE_PGM_RSRC3_GFX90A:TG_SPLIT: 0
	.section	.text._ZN12_GLOBAL__N_120softmax_warp_forwardIN3c104HalfES2_fLi4ELb1ELb0ELi32EEEvPT0_PKT_iiiPKbib,"axG",@progbits,_ZN12_GLOBAL__N_120softmax_warp_forwardIN3c104HalfES2_fLi4ELb1ELb0ELi32EEEvPT0_PKT_iiiPKbib,comdat
	.globl	_ZN12_GLOBAL__N_120softmax_warp_forwardIN3c104HalfES2_fLi4ELb1ELb0ELi32EEEvPT0_PKT_iiiPKbib ; -- Begin function _ZN12_GLOBAL__N_120softmax_warp_forwardIN3c104HalfES2_fLi4ELb1ELb0ELi32EEEvPT0_PKT_iiiPKbib
	.p2align	8
	.type	_ZN12_GLOBAL__N_120softmax_warp_forwardIN3c104HalfES2_fLi4ELb1ELb0ELi32EEEvPT0_PKT_iiiPKbib,@function
_ZN12_GLOBAL__N_120softmax_warp_forwardIN3c104HalfES2_fLi4ELb1ELb0ELi32EEEvPT0_PKT_iiiPKbib: ; @_ZN12_GLOBAL__N_120softmax_warp_forwardIN3c104HalfES2_fLi4ELb1ELb0ELi32EEEvPT0_PKT_iiiPKbib
; %bb.0:
	s_load_dword s0, s[4:5], 0x3c
	s_load_dwordx8 s[8:15], s[4:5], 0x0
	v_bfe_u32 v1, v0, 10, 10
	v_and_b32_e32 v0, 0x3ff, v0
	s_waitcnt lgkmcnt(0)
	s_lshr_b32 s0, s0, 16
	s_mul_i32 s6, s6, s0
	v_add_lshl_u32 v1, s6, v1, 1
	v_mad_u64_u32 v[2:3], s[0:1], v1, s13, v[0:1]
	v_ashrrev_i32_e32 v3, 31, v2
	v_lshlrev_b64 v[2:3], 1, v[2:3]
	v_sub_u32_e32 v10, s12, v1
	v_mov_b32_e32 v1, s11
	v_add_co_u32_e32 v4, vcc, s10, v2
	v_addc_co_u32_e32 v5, vcc, v1, v3, vcc
	v_cmp_gt_i32_e32 vcc, s14, v0
	v_cmp_lt_i32_e64 s[0:1], 0, v10
	s_and_b64 s[4:5], vcc, s[0:1]
	v_mov_b32_e32 v1, 0xff800000
	v_mov_b32_e32 v0, 0xff800000
	s_and_saveexec_b64 s[2:3], s[4:5]
	s_cbranch_execz .LBB79_2
; %bb.1:
	global_load_ushort v0, v[4:5], off
	s_waitcnt vmcnt(0)
	v_cvt_f32_f16_e32 v0, v0
.LBB79_2:
	s_or_b64 exec, exec, s[2:3]
	v_cmp_lt_i32_e64 s[2:3], 1, v10
	s_and_b64 s[2:3], vcc, s[2:3]
	s_and_saveexec_b64 s[4:5], s[2:3]
	s_cbranch_execz .LBB79_4
; %bb.3:
	s_mov_b32 s15, 0
	s_lshl_b64 s[2:3], s[14:15], 1
	v_mov_b32_e32 v1, s3
	v_add_co_u32_e64 v4, s[2:3], s2, v4
	v_addc_co_u32_e64 v5, s[2:3], v5, v1, s[2:3]
	global_load_ushort v1, v[4:5], off
	s_waitcnt vmcnt(0)
	v_cvt_f32_f16_e32 v1, v1
.LBB79_4:
	s_or_b64 exec, exec, s[4:5]
	v_mbcnt_lo_u32_b32 v4, -1, 0
	v_mbcnt_hi_u32_b32 v4, -1, v4
	v_and_b32_e32 v5, 0x70, v4
	v_add_u32_e32 v5, 16, v5
	v_xor_b32_e32 v6, 8, v4
	v_cmp_lt_i32_e64 s[2:3], v6, v5
	v_cndmask_b32_e64 v6, v4, v6, s[2:3]
	v_lshlrev_b32_e32 v9, 2, v6
	ds_bpermute_b32 v6, v9, v1
	ds_bpermute_b32 v7, v9, v0
	v_xor_b32_e32 v8, 4, v4
	v_xor_b32_e32 v13, 2, v4
	;; [unrolled: 1-line block ×3, first 2 shown]
	s_waitcnt lgkmcnt(1)
	v_cmp_lt_f32_e64 s[2:3], v1, v6
	v_cndmask_b32_e64 v6, v1, v6, s[2:3]
	s_waitcnt lgkmcnt(0)
	v_cmp_lt_f32_e64 s[2:3], v0, v7
	v_cndmask_b32_e64 v7, v0, v7, s[2:3]
	v_cmp_lt_i32_e64 s[2:3], v8, v5
	v_cndmask_b32_e64 v8, v4, v8, s[2:3]
	v_lshlrev_b32_e32 v11, 2, v8
	ds_bpermute_b32 v12, v11, v6
	ds_bpermute_b32 v8, v11, v7
	v_cmp_lt_i32_e64 s[2:3], v13, v5
	v_cndmask_b32_e64 v13, v4, v13, s[2:3]
	v_cmp_lt_i32_e64 s[2:3], v14, v5
	v_cndmask_b32_e64 v4, v4, v14, s[2:3]
	s_waitcnt lgkmcnt(1)
	v_cmp_lt_f32_e64 s[2:3], v6, v12
	v_lshlrev_b32_e32 v13, 2, v13
	v_cndmask_b32_e64 v5, v6, v12, s[2:3]
	s_waitcnt lgkmcnt(0)
	v_cmp_lt_f32_e64 s[2:3], v7, v8
	ds_bpermute_b32 v6, v13, v5
	v_cndmask_b32_e64 v7, v7, v8, s[2:3]
	ds_bpermute_b32 v8, v13, v7
	v_lshlrev_b32_e32 v12, 2, v4
	s_mov_b32 s4, 0x3fb8aa3b
	s_waitcnt lgkmcnt(1)
	v_cmp_lt_f32_e64 s[2:3], v5, v6
	v_cndmask_b32_e64 v4, v5, v6, s[2:3]
	s_waitcnt lgkmcnt(0)
	v_cmp_lt_f32_e64 s[2:3], v7, v8
	ds_bpermute_b32 v5, v12, v4
	v_cndmask_b32_e64 v6, v7, v8, s[2:3]
	ds_bpermute_b32 v7, v12, v6
	s_mov_b32 s5, 0xc2ce8ed0
	s_mov_b32 s6, 0x42b17218
	s_waitcnt lgkmcnt(1)
	v_cmp_lt_f32_e64 s[2:3], v4, v5
	v_cndmask_b32_e64 v5, v4, v5, s[2:3]
	s_waitcnt lgkmcnt(0)
	v_cmp_lt_f32_e64 s[2:3], v6, v7
	v_cndmask_b32_e64 v4, v6, v7, s[2:3]
	v_pk_add_f32 v[6:7], v[0:1], v[4:5] neg_lo:[0,1] neg_hi:[0,1]
	v_mul_f32_e32 v8, 0x3fb8aa3b, v7
	v_fma_f32 v14, v7, s4, -v8
	v_rndne_f32_e32 v15, v8
	v_fmac_f32_e32 v14, 0x32a5705f, v7
	v_sub_f32_e32 v8, v8, v15
	v_add_f32_e32 v8, v8, v14
	v_exp_f32_e32 v8, v8
	v_cvt_i32_f32_e32 v14, v15
	v_cmp_ngt_f32_e64 s[2:3], s5, v7
	v_ldexp_f32 v8, v8, v14
	v_mul_f32_e32 v14, 0x3fb8aa3b, v6
	v_fma_f32 v15, v6, s4, -v14
	v_rndne_f32_e32 v16, v14
	v_fmac_f32_e32 v15, 0x32a5705f, v6
	v_sub_f32_e32 v14, v14, v16
	v_add_f32_e32 v14, v14, v15
	v_exp_f32_e32 v14, v14
	v_cvt_i32_f32_e32 v15, v16
	v_cndmask_b32_e64 v8, 0, v8, s[2:3]
	v_mov_b32_e32 v16, 0x7f800000
	v_cmp_nlt_f32_e64 s[2:3], s6, v7
	v_cndmask_b32_e64 v7, v16, v8, s[2:3]
	v_ldexp_f32 v8, v14, v15
	v_cmp_ngt_f32_e64 s[2:3], s5, v6
	v_cndmask_b32_e64 v8, 0, v8, s[2:3]
	v_cmp_nlt_f32_e64 s[2:3], s6, v6
	v_cndmask_b32_e64 v6, v16, v8, s[2:3]
	ds_bpermute_b32 v8, v9, v6
	ds_bpermute_b32 v9, v9, v7
	s_waitcnt lgkmcnt(0)
	v_pk_add_f32 v[6:7], v[6:7], v[8:9]
	ds_bpermute_b32 v8, v11, v6
	ds_bpermute_b32 v9, v11, v7
	s_waitcnt lgkmcnt(0)
	v_pk_add_f32 v[6:7], v[6:7], v[8:9]
	;; [unrolled: 4-line block ×3, first 2 shown]
	ds_bpermute_b32 v8, v12, v6
	ds_bpermute_b32 v9, v12, v7
	s_and_saveexec_b64 s[2:3], s[0:1]
	s_cbranch_execz .LBB79_10
; %bb.5:
	v_mov_b32_e32 v11, s9
	v_add_co_u32_e64 v2, s[0:1], s8, v2
	v_addc_co_u32_e64 v3, s[0:1], v11, v3, s[0:1]
	s_waitcnt lgkmcnt(0)
	v_pk_add_f32 v[6:7], v[6:7], v[8:9]
	s_and_saveexec_b64 s[4:5], vcc
	s_cbranch_execz .LBB79_7
; %bb.6:
	s_mov_b32 s0, 0x800000
	v_mov_b32_e32 v8, 0x4f800000
	v_cmp_gt_f32_e64 s[0:1], s0, v6
	v_cndmask_b32_e64 v8, 1.0, v8, s[0:1]
	v_mul_f32_e32 v6, v6, v8
	v_log_f32_e32 v6, v6
	s_mov_b32 s2, 0x3f317217
	v_sub_f32_e32 v0, v0, v4
	v_mul_f32_e32 v8, 0x3f317217, v6
	v_fma_f32 v9, v6, s2, -v8
	v_fmac_f32_e32 v9, 0x3377d1cf, v6
	s_mov_b32 s2, 0x7f800000
	v_add_f32_e32 v8, v8, v9
	v_cmp_lt_f32_e64 s[2:3], |v6|, s2
	v_cndmask_b32_e64 v6, v6, v8, s[2:3]
	v_mov_b32_e32 v8, 0x41b17218
	v_cndmask_b32_e64 v8, 0, v8, s[0:1]
	v_sub_f32_e32 v6, v6, v8
	v_sub_f32_e32 v0, v0, v6
	v_cvt_f16_f32_e32 v0, v0
	global_store_short v[2:3], v0, off
.LBB79_7:
	s_or_b64 exec, exec, s[4:5]
	v_cmp_ne_u32_e64 s[0:1], 1, v10
	s_and_b64 exec, exec, s[0:1]
	s_cbranch_execz .LBB79_10
; %bb.8:
	s_and_b64 exec, exec, vcc
	s_cbranch_execz .LBB79_10
; %bb.9:
	s_mov_b32 s0, 0x800000
	v_mov_b32_e32 v0, 0x4f800000
	v_cmp_gt_f32_e32 vcc, s0, v7
	v_cndmask_b32_e32 v0, 1.0, v0, vcc
	v_mul_f32_e32 v0, v7, v0
	v_log_f32_e32 v0, v0
	s_mov_b32 s0, 0x3f317217
	v_sub_f32_e32 v1, v1, v5
	s_mov_b32 s15, 0
	v_mul_f32_e32 v4, 0x3f317217, v0
	v_fma_f32 v6, v0, s0, -v4
	v_fmac_f32_e32 v6, 0x3377d1cf, v0
	s_mov_b32 s0, 0x7f800000
	v_add_f32_e32 v4, v4, v6
	v_cmp_lt_f32_e64 s[0:1], |v0|, s0
	v_cndmask_b32_e64 v0, v0, v4, s[0:1]
	v_mov_b32_e32 v4, 0x41b17218
	v_cndmask_b32_e32 v4, 0, v4, vcc
	v_sub_f32_e32 v0, v0, v4
	v_sub_f32_e32 v0, v1, v0
	v_cvt_f16_f32_e32 v4, v0
	s_lshl_b64 s[0:1], s[14:15], 1
	v_mov_b32_e32 v1, s1
	v_add_co_u32_e32 v0, vcc, s0, v2
	v_addc_co_u32_e32 v1, vcc, v3, v1, vcc
	global_store_short v[0:1], v4, off
.LBB79_10:
	s_endpgm
	.section	.rodata,"a",@progbits
	.p2align	6, 0x0
	.amdhsa_kernel _ZN12_GLOBAL__N_120softmax_warp_forwardIN3c104HalfES2_fLi4ELb1ELb0ELi32EEEvPT0_PKT_iiiPKbib
		.amdhsa_group_segment_fixed_size 0
		.amdhsa_private_segment_fixed_size 0
		.amdhsa_kernarg_size 304
		.amdhsa_user_sgpr_count 6
		.amdhsa_user_sgpr_private_segment_buffer 1
		.amdhsa_user_sgpr_dispatch_ptr 0
		.amdhsa_user_sgpr_queue_ptr 0
		.amdhsa_user_sgpr_kernarg_segment_ptr 1
		.amdhsa_user_sgpr_dispatch_id 0
		.amdhsa_user_sgpr_flat_scratch_init 0
		.amdhsa_user_sgpr_kernarg_preload_length 0
		.amdhsa_user_sgpr_kernarg_preload_offset 0
		.amdhsa_user_sgpr_private_segment_size 0
		.amdhsa_uses_dynamic_stack 0
		.amdhsa_system_sgpr_private_segment_wavefront_offset 0
		.amdhsa_system_sgpr_workgroup_id_x 1
		.amdhsa_system_sgpr_workgroup_id_y 0
		.amdhsa_system_sgpr_workgroup_id_z 0
		.amdhsa_system_sgpr_workgroup_info 0
		.amdhsa_system_vgpr_workitem_id 1
		.amdhsa_next_free_vgpr 17
		.amdhsa_next_free_sgpr 16
		.amdhsa_accum_offset 20
		.amdhsa_reserve_vcc 1
		.amdhsa_reserve_flat_scratch 0
		.amdhsa_float_round_mode_32 0
		.amdhsa_float_round_mode_16_64 0
		.amdhsa_float_denorm_mode_32 3
		.amdhsa_float_denorm_mode_16_64 3
		.amdhsa_dx10_clamp 1
		.amdhsa_ieee_mode 1
		.amdhsa_fp16_overflow 0
		.amdhsa_tg_split 0
		.amdhsa_exception_fp_ieee_invalid_op 0
		.amdhsa_exception_fp_denorm_src 0
		.amdhsa_exception_fp_ieee_div_zero 0
		.amdhsa_exception_fp_ieee_overflow 0
		.amdhsa_exception_fp_ieee_underflow 0
		.amdhsa_exception_fp_ieee_inexact 0
		.amdhsa_exception_int_div_zero 0
	.end_amdhsa_kernel
	.section	.text._ZN12_GLOBAL__N_120softmax_warp_forwardIN3c104HalfES2_fLi4ELb1ELb0ELi32EEEvPT0_PKT_iiiPKbib,"axG",@progbits,_ZN12_GLOBAL__N_120softmax_warp_forwardIN3c104HalfES2_fLi4ELb1ELb0ELi32EEEvPT0_PKT_iiiPKbib,comdat
.Lfunc_end79:
	.size	_ZN12_GLOBAL__N_120softmax_warp_forwardIN3c104HalfES2_fLi4ELb1ELb0ELi32EEEvPT0_PKT_iiiPKbib, .Lfunc_end79-_ZN12_GLOBAL__N_120softmax_warp_forwardIN3c104HalfES2_fLi4ELb1ELb0ELi32EEEvPT0_PKT_iiiPKbib
                                        ; -- End function
	.section	.AMDGPU.csdata,"",@progbits
; Kernel info:
; codeLenInByte = 1240
; NumSgprs: 20
; NumVgprs: 17
; NumAgprs: 0
; TotalNumVgprs: 17
; ScratchSize: 0
; MemoryBound: 0
; FloatMode: 240
; IeeeMode: 1
; LDSByteSize: 0 bytes/workgroup (compile time only)
; SGPRBlocks: 2
; VGPRBlocks: 2
; NumSGPRsForWavesPerEU: 20
; NumVGPRsForWavesPerEU: 17
; AccumOffset: 20
; Occupancy: 8
; WaveLimiterHint : 0
; COMPUTE_PGM_RSRC2:SCRATCH_EN: 0
; COMPUTE_PGM_RSRC2:USER_SGPR: 6
; COMPUTE_PGM_RSRC2:TRAP_HANDLER: 0
; COMPUTE_PGM_RSRC2:TGID_X_EN: 1
; COMPUTE_PGM_RSRC2:TGID_Y_EN: 0
; COMPUTE_PGM_RSRC2:TGID_Z_EN: 0
; COMPUTE_PGM_RSRC2:TIDIG_COMP_CNT: 1
; COMPUTE_PGM_RSRC3_GFX90A:ACCUM_OFFSET: 4
; COMPUTE_PGM_RSRC3_GFX90A:TG_SPLIT: 0
	.section	.text._ZN12_GLOBAL__N_120softmax_warp_forwardIN3c104HalfES2_fLi5ELb1ELb0ELi64EEEvPT0_PKT_iiiPKbib,"axG",@progbits,_ZN12_GLOBAL__N_120softmax_warp_forwardIN3c104HalfES2_fLi5ELb1ELb0ELi64EEEvPT0_PKT_iiiPKbib,comdat
	.globl	_ZN12_GLOBAL__N_120softmax_warp_forwardIN3c104HalfES2_fLi5ELb1ELb0ELi64EEEvPT0_PKT_iiiPKbib ; -- Begin function _ZN12_GLOBAL__N_120softmax_warp_forwardIN3c104HalfES2_fLi5ELb1ELb0ELi64EEEvPT0_PKT_iiiPKbib
	.p2align	8
	.type	_ZN12_GLOBAL__N_120softmax_warp_forwardIN3c104HalfES2_fLi5ELb1ELb0ELi64EEEvPT0_PKT_iiiPKbib,@function
_ZN12_GLOBAL__N_120softmax_warp_forwardIN3c104HalfES2_fLi5ELb1ELb0ELi64EEEvPT0_PKT_iiiPKbib: ; @_ZN12_GLOBAL__N_120softmax_warp_forwardIN3c104HalfES2_fLi5ELb1ELb0ELi64EEEvPT0_PKT_iiiPKbib
; %bb.0:
	s_load_dword s0, s[4:5], 0x3c
	s_load_dwordx8 s[8:15], s[4:5], 0x0
	v_bfe_u32 v1, v0, 10, 10
	v_and_b32_e32 v0, 0x3ff, v0
	s_waitcnt lgkmcnt(0)
	s_lshr_b32 s0, s0, 16
	s_mul_i32 s6, s6, s0
	v_add_lshl_u32 v1, s6, v1, 1
	v_mad_u64_u32 v[2:3], s[0:1], v1, s13, v[0:1]
	v_ashrrev_i32_e32 v3, 31, v2
	v_lshlrev_b64 v[2:3], 1, v[2:3]
	v_sub_u32_e32 v10, s12, v1
	v_mov_b32_e32 v1, s11
	v_add_co_u32_e32 v4, vcc, s10, v2
	v_addc_co_u32_e32 v5, vcc, v1, v3, vcc
	v_cmp_gt_i32_e32 vcc, s14, v0
	v_cmp_lt_i32_e64 s[0:1], 0, v10
	s_and_b64 s[4:5], vcc, s[0:1]
	v_mov_b32_e32 v1, 0xff800000
	v_mov_b32_e32 v0, 0xff800000
	s_and_saveexec_b64 s[2:3], s[4:5]
	s_cbranch_execz .LBB80_2
; %bb.1:
	global_load_ushort v0, v[4:5], off
	s_waitcnt vmcnt(0)
	v_cvt_f32_f16_e32 v0, v0
.LBB80_2:
	s_or_b64 exec, exec, s[2:3]
	v_cmp_lt_i32_e64 s[2:3], 1, v10
	s_and_b64 s[2:3], vcc, s[2:3]
	s_and_saveexec_b64 s[4:5], s[2:3]
	s_cbranch_execz .LBB80_4
; %bb.3:
	s_mov_b32 s15, 0
	s_lshl_b64 s[2:3], s[14:15], 1
	v_mov_b32_e32 v1, s3
	v_add_co_u32_e64 v4, s[2:3], s2, v4
	v_addc_co_u32_e64 v5, s[2:3], v5, v1, s[2:3]
	global_load_ushort v1, v[4:5], off
	s_waitcnt vmcnt(0)
	v_cvt_f32_f16_e32 v1, v1
.LBB80_4:
	s_or_b64 exec, exec, s[4:5]
	v_mbcnt_lo_u32_b32 v4, -1, 0
	v_mbcnt_hi_u32_b32 v4, -1, v4
	v_and_b32_e32 v5, 0x60, v4
	v_add_u32_e32 v5, 32, v5
	v_xor_b32_e32 v6, 16, v4
	v_cmp_lt_i32_e64 s[2:3], v6, v5
	v_cndmask_b32_e64 v6, v4, v6, s[2:3]
	v_lshlrev_b32_e32 v9, 2, v6
	ds_bpermute_b32 v7, v9, v1
	ds_bpermute_b32 v6, v9, v0
	v_xor_b32_e32 v8, 8, v4
	v_cmp_lt_i32_e64 s[2:3], v8, v5
	v_cndmask_b32_e64 v8, v4, v8, s[2:3]
	s_waitcnt lgkmcnt(1)
	v_cmp_lt_f32_e64 s[2:3], v1, v7
	v_lshlrev_b32_e32 v11, 2, v8
	v_cndmask_b32_e64 v7, v1, v7, s[2:3]
	s_waitcnt lgkmcnt(0)
	v_cmp_lt_f32_e64 s[2:3], v0, v6
	ds_bpermute_b32 v8, v11, v7
	v_cndmask_b32_e64 v6, v0, v6, s[2:3]
	ds_bpermute_b32 v12, v11, v6
	v_xor_b32_e32 v14, 2, v4
	v_xor_b32_e32 v15, 1, v4
	s_waitcnt lgkmcnt(1)
	v_cmp_lt_f32_e64 s[2:3], v7, v8
	v_cndmask_b32_e64 v7, v7, v8, s[2:3]
	s_waitcnt lgkmcnt(0)
	v_cmp_lt_f32_e64 s[2:3], v6, v12
	v_xor_b32_e32 v8, 4, v4
	v_cndmask_b32_e64 v6, v6, v12, s[2:3]
	v_cmp_lt_i32_e64 s[2:3], v8, v5
	v_cndmask_b32_e64 v8, v4, v8, s[2:3]
	v_lshlrev_b32_e32 v12, 2, v8
	ds_bpermute_b32 v13, v12, v7
	ds_bpermute_b32 v8, v12, v6
	v_cmp_lt_i32_e64 s[2:3], v14, v5
	v_cndmask_b32_e64 v14, v4, v14, s[2:3]
	v_cmp_lt_i32_e64 s[2:3], v15, v5
	v_cndmask_b32_e64 v4, v4, v15, s[2:3]
	s_waitcnt lgkmcnt(1)
	v_cmp_lt_f32_e64 s[2:3], v7, v13
	v_lshlrev_b32_e32 v14, 2, v14
	v_cndmask_b32_e64 v5, v7, v13, s[2:3]
	s_waitcnt lgkmcnt(0)
	v_cmp_lt_f32_e64 s[2:3], v6, v8
	ds_bpermute_b32 v7, v14, v5
	v_cndmask_b32_e64 v6, v6, v8, s[2:3]
	ds_bpermute_b32 v8, v14, v6
	v_lshlrev_b32_e32 v13, 2, v4
	s_mov_b32 s4, 0x3fb8aa3b
	s_waitcnt lgkmcnt(1)
	v_cmp_lt_f32_e64 s[2:3], v5, v7
	v_cndmask_b32_e64 v4, v5, v7, s[2:3]
	s_waitcnt lgkmcnt(0)
	v_cmp_lt_f32_e64 s[2:3], v6, v8
	ds_bpermute_b32 v5, v13, v4
	v_cndmask_b32_e64 v6, v6, v8, s[2:3]
	ds_bpermute_b32 v7, v13, v6
	s_mov_b32 s5, 0xc2ce8ed0
	s_mov_b32 s6, 0x42b17218
	s_waitcnt lgkmcnt(1)
	v_cmp_lt_f32_e64 s[2:3], v4, v5
	v_cndmask_b32_e64 v5, v4, v5, s[2:3]
	s_waitcnt lgkmcnt(0)
	v_cmp_lt_f32_e64 s[2:3], v6, v7
	v_cndmask_b32_e64 v4, v6, v7, s[2:3]
	v_pk_add_f32 v[6:7], v[0:1], v[4:5] neg_lo:[0,1] neg_hi:[0,1]
	v_mul_f32_e32 v8, 0x3fb8aa3b, v7
	v_fma_f32 v15, v7, s4, -v8
	v_rndne_f32_e32 v16, v8
	v_fmac_f32_e32 v15, 0x32a5705f, v7
	v_sub_f32_e32 v8, v8, v16
	v_add_f32_e32 v8, v8, v15
	v_exp_f32_e32 v8, v8
	v_cvt_i32_f32_e32 v15, v16
	v_cmp_ngt_f32_e64 s[2:3], s5, v7
	v_ldexp_f32 v8, v8, v15
	v_mul_f32_e32 v15, 0x3fb8aa3b, v6
	v_fma_f32 v16, v6, s4, -v15
	v_rndne_f32_e32 v17, v15
	v_fmac_f32_e32 v16, 0x32a5705f, v6
	v_sub_f32_e32 v15, v15, v17
	v_add_f32_e32 v15, v15, v16
	v_exp_f32_e32 v15, v15
	v_cvt_i32_f32_e32 v16, v17
	v_cndmask_b32_e64 v8, 0, v8, s[2:3]
	v_mov_b32_e32 v17, 0x7f800000
	v_cmp_nlt_f32_e64 s[2:3], s6, v7
	v_cndmask_b32_e64 v7, v17, v8, s[2:3]
	v_ldexp_f32 v8, v15, v16
	v_cmp_ngt_f32_e64 s[2:3], s5, v6
	v_cndmask_b32_e64 v8, 0, v8, s[2:3]
	v_cmp_nlt_f32_e64 s[2:3], s6, v6
	v_cndmask_b32_e64 v6, v17, v8, s[2:3]
	ds_bpermute_b32 v8, v9, v6
	ds_bpermute_b32 v9, v9, v7
	s_waitcnt lgkmcnt(0)
	v_pk_add_f32 v[6:7], v[6:7], v[8:9]
	ds_bpermute_b32 v8, v11, v6
	ds_bpermute_b32 v9, v11, v7
	s_waitcnt lgkmcnt(0)
	v_pk_add_f32 v[6:7], v[6:7], v[8:9]
	;; [unrolled: 4-line block ×4, first 2 shown]
	ds_bpermute_b32 v8, v13, v6
	ds_bpermute_b32 v9, v13, v7
	s_and_saveexec_b64 s[2:3], s[0:1]
	s_cbranch_execz .LBB80_10
; %bb.5:
	v_mov_b32_e32 v11, s9
	v_add_co_u32_e64 v2, s[0:1], s8, v2
	v_addc_co_u32_e64 v3, s[0:1], v11, v3, s[0:1]
	s_waitcnt lgkmcnt(0)
	v_pk_add_f32 v[6:7], v[6:7], v[8:9]
	s_and_saveexec_b64 s[4:5], vcc
	s_cbranch_execz .LBB80_7
; %bb.6:
	s_mov_b32 s0, 0x800000
	v_mov_b32_e32 v8, 0x4f800000
	v_cmp_gt_f32_e64 s[0:1], s0, v6
	v_cndmask_b32_e64 v8, 1.0, v8, s[0:1]
	v_mul_f32_e32 v6, v6, v8
	v_log_f32_e32 v6, v6
	s_mov_b32 s2, 0x3f317217
	v_sub_f32_e32 v0, v0, v4
	v_mul_f32_e32 v8, 0x3f317217, v6
	v_fma_f32 v9, v6, s2, -v8
	v_fmac_f32_e32 v9, 0x3377d1cf, v6
	s_mov_b32 s2, 0x7f800000
	v_add_f32_e32 v8, v8, v9
	v_cmp_lt_f32_e64 s[2:3], |v6|, s2
	v_cndmask_b32_e64 v6, v6, v8, s[2:3]
	v_mov_b32_e32 v8, 0x41b17218
	v_cndmask_b32_e64 v8, 0, v8, s[0:1]
	v_sub_f32_e32 v6, v6, v8
	v_sub_f32_e32 v0, v0, v6
	v_cvt_f16_f32_e32 v0, v0
	global_store_short v[2:3], v0, off
.LBB80_7:
	s_or_b64 exec, exec, s[4:5]
	v_cmp_ne_u32_e64 s[0:1], 1, v10
	s_and_b64 exec, exec, s[0:1]
	s_cbranch_execz .LBB80_10
; %bb.8:
	s_and_b64 exec, exec, vcc
	s_cbranch_execz .LBB80_10
; %bb.9:
	s_mov_b32 s0, 0x800000
	v_mov_b32_e32 v0, 0x4f800000
	v_cmp_gt_f32_e32 vcc, s0, v7
	v_cndmask_b32_e32 v0, 1.0, v0, vcc
	v_mul_f32_e32 v0, v7, v0
	v_log_f32_e32 v0, v0
	s_mov_b32 s0, 0x3f317217
	v_sub_f32_e32 v1, v1, v5
	s_mov_b32 s15, 0
	v_mul_f32_e32 v4, 0x3f317217, v0
	v_fma_f32 v6, v0, s0, -v4
	v_fmac_f32_e32 v6, 0x3377d1cf, v0
	s_mov_b32 s0, 0x7f800000
	v_add_f32_e32 v4, v4, v6
	v_cmp_lt_f32_e64 s[0:1], |v0|, s0
	v_cndmask_b32_e64 v0, v0, v4, s[0:1]
	v_mov_b32_e32 v4, 0x41b17218
	v_cndmask_b32_e32 v4, 0, v4, vcc
	v_sub_f32_e32 v0, v0, v4
	v_sub_f32_e32 v0, v1, v0
	v_cvt_f16_f32_e32 v4, v0
	s_lshl_b64 s[0:1], s[14:15], 1
	v_mov_b32_e32 v1, s1
	v_add_co_u32_e32 v0, vcc, s0, v2
	v_addc_co_u32_e32 v1, vcc, v3, v1, vcc
	global_store_short v[0:1], v4, off
.LBB80_10:
	s_endpgm
	.section	.rodata,"a",@progbits
	.p2align	6, 0x0
	.amdhsa_kernel _ZN12_GLOBAL__N_120softmax_warp_forwardIN3c104HalfES2_fLi5ELb1ELb0ELi64EEEvPT0_PKT_iiiPKbib
		.amdhsa_group_segment_fixed_size 0
		.amdhsa_private_segment_fixed_size 0
		.amdhsa_kernarg_size 304
		.amdhsa_user_sgpr_count 6
		.amdhsa_user_sgpr_private_segment_buffer 1
		.amdhsa_user_sgpr_dispatch_ptr 0
		.amdhsa_user_sgpr_queue_ptr 0
		.amdhsa_user_sgpr_kernarg_segment_ptr 1
		.amdhsa_user_sgpr_dispatch_id 0
		.amdhsa_user_sgpr_flat_scratch_init 0
		.amdhsa_user_sgpr_kernarg_preload_length 0
		.amdhsa_user_sgpr_kernarg_preload_offset 0
		.amdhsa_user_sgpr_private_segment_size 0
		.amdhsa_uses_dynamic_stack 0
		.amdhsa_system_sgpr_private_segment_wavefront_offset 0
		.amdhsa_system_sgpr_workgroup_id_x 1
		.amdhsa_system_sgpr_workgroup_id_y 0
		.amdhsa_system_sgpr_workgroup_id_z 0
		.amdhsa_system_sgpr_workgroup_info 0
		.amdhsa_system_vgpr_workitem_id 1
		.amdhsa_next_free_vgpr 18
		.amdhsa_next_free_sgpr 16
		.amdhsa_accum_offset 20
		.amdhsa_reserve_vcc 1
		.amdhsa_reserve_flat_scratch 0
		.amdhsa_float_round_mode_32 0
		.amdhsa_float_round_mode_16_64 0
		.amdhsa_float_denorm_mode_32 3
		.amdhsa_float_denorm_mode_16_64 3
		.amdhsa_dx10_clamp 1
		.amdhsa_ieee_mode 1
		.amdhsa_fp16_overflow 0
		.amdhsa_tg_split 0
		.amdhsa_exception_fp_ieee_invalid_op 0
		.amdhsa_exception_fp_denorm_src 0
		.amdhsa_exception_fp_ieee_div_zero 0
		.amdhsa_exception_fp_ieee_overflow 0
		.amdhsa_exception_fp_ieee_underflow 0
		.amdhsa_exception_fp_ieee_inexact 0
		.amdhsa_exception_int_div_zero 0
	.end_amdhsa_kernel
	.section	.text._ZN12_GLOBAL__N_120softmax_warp_forwardIN3c104HalfES2_fLi5ELb1ELb0ELi64EEEvPT0_PKT_iiiPKbib,"axG",@progbits,_ZN12_GLOBAL__N_120softmax_warp_forwardIN3c104HalfES2_fLi5ELb1ELb0ELi64EEEvPT0_PKT_iiiPKbib,comdat
.Lfunc_end80:
	.size	_ZN12_GLOBAL__N_120softmax_warp_forwardIN3c104HalfES2_fLi5ELb1ELb0ELi64EEEvPT0_PKT_iiiPKbib, .Lfunc_end80-_ZN12_GLOBAL__N_120softmax_warp_forwardIN3c104HalfES2_fLi5ELb1ELb0ELi64EEEvPT0_PKT_iiiPKbib
                                        ; -- End function
	.section	.AMDGPU.csdata,"",@progbits
; Kernel info:
; codeLenInByte = 1348
; NumSgprs: 20
; NumVgprs: 18
; NumAgprs: 0
; TotalNumVgprs: 18
; ScratchSize: 0
; MemoryBound: 0
; FloatMode: 240
; IeeeMode: 1
; LDSByteSize: 0 bytes/workgroup (compile time only)
; SGPRBlocks: 2
; VGPRBlocks: 2
; NumSGPRsForWavesPerEU: 20
; NumVGPRsForWavesPerEU: 18
; AccumOffset: 20
; Occupancy: 8
; WaveLimiterHint : 0
; COMPUTE_PGM_RSRC2:SCRATCH_EN: 0
; COMPUTE_PGM_RSRC2:USER_SGPR: 6
; COMPUTE_PGM_RSRC2:TRAP_HANDLER: 0
; COMPUTE_PGM_RSRC2:TGID_X_EN: 1
; COMPUTE_PGM_RSRC2:TGID_Y_EN: 0
; COMPUTE_PGM_RSRC2:TGID_Z_EN: 0
; COMPUTE_PGM_RSRC2:TIDIG_COMP_CNT: 1
; COMPUTE_PGM_RSRC3_GFX90A:ACCUM_OFFSET: 4
; COMPUTE_PGM_RSRC3_GFX90A:TG_SPLIT: 0
	.section	.text._ZN12_GLOBAL__N_120softmax_warp_forwardIN3c104HalfES2_fLi5ELb1ELb0ELi32EEEvPT0_PKT_iiiPKbib,"axG",@progbits,_ZN12_GLOBAL__N_120softmax_warp_forwardIN3c104HalfES2_fLi5ELb1ELb0ELi32EEEvPT0_PKT_iiiPKbib,comdat
	.globl	_ZN12_GLOBAL__N_120softmax_warp_forwardIN3c104HalfES2_fLi5ELb1ELb0ELi32EEEvPT0_PKT_iiiPKbib ; -- Begin function _ZN12_GLOBAL__N_120softmax_warp_forwardIN3c104HalfES2_fLi5ELb1ELb0ELi32EEEvPT0_PKT_iiiPKbib
	.p2align	8
	.type	_ZN12_GLOBAL__N_120softmax_warp_forwardIN3c104HalfES2_fLi5ELb1ELb0ELi32EEEvPT0_PKT_iiiPKbib,@function
_ZN12_GLOBAL__N_120softmax_warp_forwardIN3c104HalfES2_fLi5ELb1ELb0ELi32EEEvPT0_PKT_iiiPKbib: ; @_ZN12_GLOBAL__N_120softmax_warp_forwardIN3c104HalfES2_fLi5ELb1ELb0ELi32EEEvPT0_PKT_iiiPKbib
; %bb.0:
	s_load_dword s0, s[4:5], 0x3c
	s_load_dwordx8 s[8:15], s[4:5], 0x0
	v_bfe_u32 v1, v0, 10, 10
	v_and_b32_e32 v0, 0x3ff, v0
	s_waitcnt lgkmcnt(0)
	s_lshr_b32 s0, s0, 16
	s_mul_i32 s6, s6, s0
	v_add_lshl_u32 v1, s6, v1, 1
	v_mad_u64_u32 v[2:3], s[0:1], v1, s13, v[0:1]
	v_ashrrev_i32_e32 v3, 31, v2
	v_lshlrev_b64 v[2:3], 1, v[2:3]
	v_sub_u32_e32 v10, s12, v1
	v_mov_b32_e32 v1, s11
	v_add_co_u32_e32 v4, vcc, s10, v2
	v_addc_co_u32_e32 v5, vcc, v1, v3, vcc
	v_cmp_gt_i32_e32 vcc, s14, v0
	v_cmp_lt_i32_e64 s[0:1], 0, v10
	s_and_b64 s[4:5], vcc, s[0:1]
	v_mov_b32_e32 v1, 0xff800000
	v_mov_b32_e32 v0, 0xff800000
	s_and_saveexec_b64 s[2:3], s[4:5]
	s_cbranch_execz .LBB81_2
; %bb.1:
	global_load_ushort v0, v[4:5], off
	s_waitcnt vmcnt(0)
	v_cvt_f32_f16_e32 v0, v0
.LBB81_2:
	s_or_b64 exec, exec, s[2:3]
	v_cmp_lt_i32_e64 s[2:3], 1, v10
	s_and_b64 s[2:3], vcc, s[2:3]
	s_and_saveexec_b64 s[4:5], s[2:3]
	s_cbranch_execz .LBB81_4
; %bb.3:
	s_mov_b32 s15, 0
	s_lshl_b64 s[2:3], s[14:15], 1
	v_mov_b32_e32 v1, s3
	v_add_co_u32_e64 v4, s[2:3], s2, v4
	v_addc_co_u32_e64 v5, s[2:3], v5, v1, s[2:3]
	global_load_ushort v1, v[4:5], off
	s_waitcnt vmcnt(0)
	v_cvt_f32_f16_e32 v1, v1
.LBB81_4:
	s_or_b64 exec, exec, s[4:5]
	v_mbcnt_lo_u32_b32 v4, -1, 0
	v_mbcnt_hi_u32_b32 v4, -1, v4
	v_and_b32_e32 v5, 0x60, v4
	v_add_u32_e32 v5, 32, v5
	v_xor_b32_e32 v6, 16, v4
	v_cmp_lt_i32_e64 s[2:3], v6, v5
	v_cndmask_b32_e64 v6, v4, v6, s[2:3]
	v_lshlrev_b32_e32 v9, 2, v6
	ds_bpermute_b32 v7, v9, v1
	ds_bpermute_b32 v6, v9, v0
	v_xor_b32_e32 v8, 8, v4
	v_cmp_lt_i32_e64 s[2:3], v8, v5
	v_cndmask_b32_e64 v8, v4, v8, s[2:3]
	s_waitcnt lgkmcnt(1)
	v_cmp_lt_f32_e64 s[2:3], v1, v7
	v_lshlrev_b32_e32 v11, 2, v8
	v_cndmask_b32_e64 v7, v1, v7, s[2:3]
	s_waitcnt lgkmcnt(0)
	v_cmp_lt_f32_e64 s[2:3], v0, v6
	ds_bpermute_b32 v8, v11, v7
	v_cndmask_b32_e64 v6, v0, v6, s[2:3]
	ds_bpermute_b32 v12, v11, v6
	v_xor_b32_e32 v14, 2, v4
	v_xor_b32_e32 v15, 1, v4
	s_waitcnt lgkmcnt(1)
	v_cmp_lt_f32_e64 s[2:3], v7, v8
	v_cndmask_b32_e64 v7, v7, v8, s[2:3]
	s_waitcnt lgkmcnt(0)
	v_cmp_lt_f32_e64 s[2:3], v6, v12
	v_xor_b32_e32 v8, 4, v4
	v_cndmask_b32_e64 v6, v6, v12, s[2:3]
	v_cmp_lt_i32_e64 s[2:3], v8, v5
	v_cndmask_b32_e64 v8, v4, v8, s[2:3]
	v_lshlrev_b32_e32 v12, 2, v8
	ds_bpermute_b32 v13, v12, v7
	ds_bpermute_b32 v8, v12, v6
	v_cmp_lt_i32_e64 s[2:3], v14, v5
	v_cndmask_b32_e64 v14, v4, v14, s[2:3]
	v_cmp_lt_i32_e64 s[2:3], v15, v5
	v_cndmask_b32_e64 v4, v4, v15, s[2:3]
	s_waitcnt lgkmcnt(1)
	v_cmp_lt_f32_e64 s[2:3], v7, v13
	v_lshlrev_b32_e32 v14, 2, v14
	v_cndmask_b32_e64 v5, v7, v13, s[2:3]
	s_waitcnt lgkmcnt(0)
	v_cmp_lt_f32_e64 s[2:3], v6, v8
	ds_bpermute_b32 v7, v14, v5
	v_cndmask_b32_e64 v6, v6, v8, s[2:3]
	ds_bpermute_b32 v8, v14, v6
	v_lshlrev_b32_e32 v13, 2, v4
	s_mov_b32 s4, 0x3fb8aa3b
	s_waitcnt lgkmcnt(1)
	v_cmp_lt_f32_e64 s[2:3], v5, v7
	v_cndmask_b32_e64 v4, v5, v7, s[2:3]
	s_waitcnt lgkmcnt(0)
	v_cmp_lt_f32_e64 s[2:3], v6, v8
	ds_bpermute_b32 v5, v13, v4
	v_cndmask_b32_e64 v6, v6, v8, s[2:3]
	ds_bpermute_b32 v7, v13, v6
	s_mov_b32 s5, 0xc2ce8ed0
	s_mov_b32 s6, 0x42b17218
	s_waitcnt lgkmcnt(1)
	v_cmp_lt_f32_e64 s[2:3], v4, v5
	v_cndmask_b32_e64 v5, v4, v5, s[2:3]
	s_waitcnt lgkmcnt(0)
	v_cmp_lt_f32_e64 s[2:3], v6, v7
	v_cndmask_b32_e64 v4, v6, v7, s[2:3]
	v_pk_add_f32 v[6:7], v[0:1], v[4:5] neg_lo:[0,1] neg_hi:[0,1]
	v_mul_f32_e32 v8, 0x3fb8aa3b, v7
	v_fma_f32 v15, v7, s4, -v8
	v_rndne_f32_e32 v16, v8
	v_fmac_f32_e32 v15, 0x32a5705f, v7
	v_sub_f32_e32 v8, v8, v16
	v_add_f32_e32 v8, v8, v15
	v_exp_f32_e32 v8, v8
	v_cvt_i32_f32_e32 v15, v16
	v_cmp_ngt_f32_e64 s[2:3], s5, v7
	v_ldexp_f32 v8, v8, v15
	v_mul_f32_e32 v15, 0x3fb8aa3b, v6
	v_fma_f32 v16, v6, s4, -v15
	v_rndne_f32_e32 v17, v15
	v_fmac_f32_e32 v16, 0x32a5705f, v6
	v_sub_f32_e32 v15, v15, v17
	v_add_f32_e32 v15, v15, v16
	v_exp_f32_e32 v15, v15
	v_cvt_i32_f32_e32 v16, v17
	v_cndmask_b32_e64 v8, 0, v8, s[2:3]
	v_mov_b32_e32 v17, 0x7f800000
	v_cmp_nlt_f32_e64 s[2:3], s6, v7
	v_cndmask_b32_e64 v7, v17, v8, s[2:3]
	v_ldexp_f32 v8, v15, v16
	v_cmp_ngt_f32_e64 s[2:3], s5, v6
	v_cndmask_b32_e64 v8, 0, v8, s[2:3]
	v_cmp_nlt_f32_e64 s[2:3], s6, v6
	v_cndmask_b32_e64 v6, v17, v8, s[2:3]
	ds_bpermute_b32 v8, v9, v6
	ds_bpermute_b32 v9, v9, v7
	s_waitcnt lgkmcnt(0)
	v_pk_add_f32 v[6:7], v[6:7], v[8:9]
	ds_bpermute_b32 v8, v11, v6
	ds_bpermute_b32 v9, v11, v7
	s_waitcnt lgkmcnt(0)
	v_pk_add_f32 v[6:7], v[6:7], v[8:9]
	;; [unrolled: 4-line block ×4, first 2 shown]
	ds_bpermute_b32 v8, v13, v6
	ds_bpermute_b32 v9, v13, v7
	s_and_saveexec_b64 s[2:3], s[0:1]
	s_cbranch_execz .LBB81_10
; %bb.5:
	v_mov_b32_e32 v11, s9
	v_add_co_u32_e64 v2, s[0:1], s8, v2
	v_addc_co_u32_e64 v3, s[0:1], v11, v3, s[0:1]
	s_waitcnt lgkmcnt(0)
	v_pk_add_f32 v[6:7], v[6:7], v[8:9]
	s_and_saveexec_b64 s[4:5], vcc
	s_cbranch_execz .LBB81_7
; %bb.6:
	s_mov_b32 s0, 0x800000
	v_mov_b32_e32 v8, 0x4f800000
	v_cmp_gt_f32_e64 s[0:1], s0, v6
	v_cndmask_b32_e64 v8, 1.0, v8, s[0:1]
	v_mul_f32_e32 v6, v6, v8
	v_log_f32_e32 v6, v6
	s_mov_b32 s2, 0x3f317217
	v_sub_f32_e32 v0, v0, v4
	v_mul_f32_e32 v8, 0x3f317217, v6
	v_fma_f32 v9, v6, s2, -v8
	v_fmac_f32_e32 v9, 0x3377d1cf, v6
	s_mov_b32 s2, 0x7f800000
	v_add_f32_e32 v8, v8, v9
	v_cmp_lt_f32_e64 s[2:3], |v6|, s2
	v_cndmask_b32_e64 v6, v6, v8, s[2:3]
	v_mov_b32_e32 v8, 0x41b17218
	v_cndmask_b32_e64 v8, 0, v8, s[0:1]
	v_sub_f32_e32 v6, v6, v8
	v_sub_f32_e32 v0, v0, v6
	v_cvt_f16_f32_e32 v0, v0
	global_store_short v[2:3], v0, off
.LBB81_7:
	s_or_b64 exec, exec, s[4:5]
	v_cmp_ne_u32_e64 s[0:1], 1, v10
	s_and_b64 exec, exec, s[0:1]
	s_cbranch_execz .LBB81_10
; %bb.8:
	s_and_b64 exec, exec, vcc
	s_cbranch_execz .LBB81_10
; %bb.9:
	s_mov_b32 s0, 0x800000
	v_mov_b32_e32 v0, 0x4f800000
	v_cmp_gt_f32_e32 vcc, s0, v7
	v_cndmask_b32_e32 v0, 1.0, v0, vcc
	v_mul_f32_e32 v0, v7, v0
	v_log_f32_e32 v0, v0
	s_mov_b32 s0, 0x3f317217
	v_sub_f32_e32 v1, v1, v5
	s_mov_b32 s15, 0
	v_mul_f32_e32 v4, 0x3f317217, v0
	v_fma_f32 v6, v0, s0, -v4
	v_fmac_f32_e32 v6, 0x3377d1cf, v0
	s_mov_b32 s0, 0x7f800000
	v_add_f32_e32 v4, v4, v6
	v_cmp_lt_f32_e64 s[0:1], |v0|, s0
	v_cndmask_b32_e64 v0, v0, v4, s[0:1]
	v_mov_b32_e32 v4, 0x41b17218
	v_cndmask_b32_e32 v4, 0, v4, vcc
	v_sub_f32_e32 v0, v0, v4
	v_sub_f32_e32 v0, v1, v0
	v_cvt_f16_f32_e32 v4, v0
	s_lshl_b64 s[0:1], s[14:15], 1
	v_mov_b32_e32 v1, s1
	v_add_co_u32_e32 v0, vcc, s0, v2
	v_addc_co_u32_e32 v1, vcc, v3, v1, vcc
	global_store_short v[0:1], v4, off
.LBB81_10:
	s_endpgm
	.section	.rodata,"a",@progbits
	.p2align	6, 0x0
	.amdhsa_kernel _ZN12_GLOBAL__N_120softmax_warp_forwardIN3c104HalfES2_fLi5ELb1ELb0ELi32EEEvPT0_PKT_iiiPKbib
		.amdhsa_group_segment_fixed_size 0
		.amdhsa_private_segment_fixed_size 0
		.amdhsa_kernarg_size 304
		.amdhsa_user_sgpr_count 6
		.amdhsa_user_sgpr_private_segment_buffer 1
		.amdhsa_user_sgpr_dispatch_ptr 0
		.amdhsa_user_sgpr_queue_ptr 0
		.amdhsa_user_sgpr_kernarg_segment_ptr 1
		.amdhsa_user_sgpr_dispatch_id 0
		.amdhsa_user_sgpr_flat_scratch_init 0
		.amdhsa_user_sgpr_kernarg_preload_length 0
		.amdhsa_user_sgpr_kernarg_preload_offset 0
		.amdhsa_user_sgpr_private_segment_size 0
		.amdhsa_uses_dynamic_stack 0
		.amdhsa_system_sgpr_private_segment_wavefront_offset 0
		.amdhsa_system_sgpr_workgroup_id_x 1
		.amdhsa_system_sgpr_workgroup_id_y 0
		.amdhsa_system_sgpr_workgroup_id_z 0
		.amdhsa_system_sgpr_workgroup_info 0
		.amdhsa_system_vgpr_workitem_id 1
		.amdhsa_next_free_vgpr 18
		.amdhsa_next_free_sgpr 16
		.amdhsa_accum_offset 20
		.amdhsa_reserve_vcc 1
		.amdhsa_reserve_flat_scratch 0
		.amdhsa_float_round_mode_32 0
		.amdhsa_float_round_mode_16_64 0
		.amdhsa_float_denorm_mode_32 3
		.amdhsa_float_denorm_mode_16_64 3
		.amdhsa_dx10_clamp 1
		.amdhsa_ieee_mode 1
		.amdhsa_fp16_overflow 0
		.amdhsa_tg_split 0
		.amdhsa_exception_fp_ieee_invalid_op 0
		.amdhsa_exception_fp_denorm_src 0
		.amdhsa_exception_fp_ieee_div_zero 0
		.amdhsa_exception_fp_ieee_overflow 0
		.amdhsa_exception_fp_ieee_underflow 0
		.amdhsa_exception_fp_ieee_inexact 0
		.amdhsa_exception_int_div_zero 0
	.end_amdhsa_kernel
	.section	.text._ZN12_GLOBAL__N_120softmax_warp_forwardIN3c104HalfES2_fLi5ELb1ELb0ELi32EEEvPT0_PKT_iiiPKbib,"axG",@progbits,_ZN12_GLOBAL__N_120softmax_warp_forwardIN3c104HalfES2_fLi5ELb1ELb0ELi32EEEvPT0_PKT_iiiPKbib,comdat
.Lfunc_end81:
	.size	_ZN12_GLOBAL__N_120softmax_warp_forwardIN3c104HalfES2_fLi5ELb1ELb0ELi32EEEvPT0_PKT_iiiPKbib, .Lfunc_end81-_ZN12_GLOBAL__N_120softmax_warp_forwardIN3c104HalfES2_fLi5ELb1ELb0ELi32EEEvPT0_PKT_iiiPKbib
                                        ; -- End function
	.section	.AMDGPU.csdata,"",@progbits
; Kernel info:
; codeLenInByte = 1348
; NumSgprs: 20
; NumVgprs: 18
; NumAgprs: 0
; TotalNumVgprs: 18
; ScratchSize: 0
; MemoryBound: 0
; FloatMode: 240
; IeeeMode: 1
; LDSByteSize: 0 bytes/workgroup (compile time only)
; SGPRBlocks: 2
; VGPRBlocks: 2
; NumSGPRsForWavesPerEU: 20
; NumVGPRsForWavesPerEU: 18
; AccumOffset: 20
; Occupancy: 8
; WaveLimiterHint : 0
; COMPUTE_PGM_RSRC2:SCRATCH_EN: 0
; COMPUTE_PGM_RSRC2:USER_SGPR: 6
; COMPUTE_PGM_RSRC2:TRAP_HANDLER: 0
; COMPUTE_PGM_RSRC2:TGID_X_EN: 1
; COMPUTE_PGM_RSRC2:TGID_Y_EN: 0
; COMPUTE_PGM_RSRC2:TGID_Z_EN: 0
; COMPUTE_PGM_RSRC2:TIDIG_COMP_CNT: 1
; COMPUTE_PGM_RSRC3_GFX90A:ACCUM_OFFSET: 4
; COMPUTE_PGM_RSRC3_GFX90A:TG_SPLIT: 0
	.section	.text._ZN12_GLOBAL__N_120softmax_warp_forwardIN3c104HalfES2_fLi6ELb1ELb0ELi64EEEvPT0_PKT_iiiPKbib,"axG",@progbits,_ZN12_GLOBAL__N_120softmax_warp_forwardIN3c104HalfES2_fLi6ELb1ELb0ELi64EEEvPT0_PKT_iiiPKbib,comdat
	.globl	_ZN12_GLOBAL__N_120softmax_warp_forwardIN3c104HalfES2_fLi6ELb1ELb0ELi64EEEvPT0_PKT_iiiPKbib ; -- Begin function _ZN12_GLOBAL__N_120softmax_warp_forwardIN3c104HalfES2_fLi6ELb1ELb0ELi64EEEvPT0_PKT_iiiPKbib
	.p2align	8
	.type	_ZN12_GLOBAL__N_120softmax_warp_forwardIN3c104HalfES2_fLi6ELb1ELb0ELi64EEEvPT0_PKT_iiiPKbib,@function
_ZN12_GLOBAL__N_120softmax_warp_forwardIN3c104HalfES2_fLi6ELb1ELb0ELi64EEEvPT0_PKT_iiiPKbib: ; @_ZN12_GLOBAL__N_120softmax_warp_forwardIN3c104HalfES2_fLi6ELb1ELb0ELi64EEEvPT0_PKT_iiiPKbib
; %bb.0:
	s_load_dword s0, s[4:5], 0x3c
	s_load_dwordx8 s[8:15], s[4:5], 0x0
	v_bfe_u32 v1, v0, 10, 10
	v_and_b32_e32 v0, 0x3ff, v0
	s_waitcnt lgkmcnt(0)
	s_lshr_b32 s0, s0, 16
	s_mul_i32 s6, s6, s0
	v_add_lshl_u32 v1, s6, v1, 1
	v_mad_u64_u32 v[2:3], s[0:1], v1, s13, v[0:1]
	v_ashrrev_i32_e32 v3, 31, v2
	v_lshlrev_b64 v[2:3], 1, v[2:3]
	v_sub_u32_e32 v10, s12, v1
	v_mov_b32_e32 v1, s11
	v_add_co_u32_e32 v4, vcc, s10, v2
	v_addc_co_u32_e32 v5, vcc, v1, v3, vcc
	v_cmp_gt_i32_e32 vcc, s14, v0
	v_cmp_lt_i32_e64 s[0:1], 0, v10
	s_and_b64 s[4:5], vcc, s[0:1]
	v_mov_b32_e32 v1, 0xff800000
	v_mov_b32_e32 v0, 0xff800000
	s_and_saveexec_b64 s[2:3], s[4:5]
	s_cbranch_execz .LBB82_2
; %bb.1:
	global_load_ushort v0, v[4:5], off
	s_waitcnt vmcnt(0)
	v_cvt_f32_f16_e32 v0, v0
.LBB82_2:
	s_or_b64 exec, exec, s[2:3]
	v_cmp_lt_i32_e64 s[2:3], 1, v10
	s_and_b64 s[2:3], vcc, s[2:3]
	s_and_saveexec_b64 s[4:5], s[2:3]
	s_cbranch_execz .LBB82_4
; %bb.3:
	s_mov_b32 s15, 0
	s_lshl_b64 s[2:3], s[14:15], 1
	v_mov_b32_e32 v1, s3
	v_add_co_u32_e64 v4, s[2:3], s2, v4
	v_addc_co_u32_e64 v5, s[2:3], v5, v1, s[2:3]
	global_load_ushort v1, v[4:5], off
	s_waitcnt vmcnt(0)
	v_cvt_f32_f16_e32 v1, v1
.LBB82_4:
	s_or_b64 exec, exec, s[4:5]
	v_mbcnt_lo_u32_b32 v4, -1, 0
	v_mbcnt_hi_u32_b32 v4, -1, v4
	v_and_b32_e32 v5, 64, v4
	v_add_u32_e32 v5, 64, v5
	v_xor_b32_e32 v6, 32, v4
	v_cmp_lt_i32_e64 s[2:3], v6, v5
	v_cndmask_b32_e64 v6, v4, v6, s[2:3]
	v_lshlrev_b32_e32 v9, 2, v6
	ds_bpermute_b32 v7, v9, v1
	v_xor_b32_e32 v8, 16, v4
	ds_bpermute_b32 v6, v9, v0
	v_cmp_lt_i32_e64 s[2:3], v8, v5
	v_cndmask_b32_e64 v8, v4, v8, s[2:3]
	v_lshlrev_b32_e32 v11, 2, v8
	v_xor_b32_e32 v8, 8, v4
	v_cmp_lt_i32_e64 s[2:3], v8, v5
	v_cndmask_b32_e64 v8, v4, v8, s[2:3]
	s_waitcnt lgkmcnt(1)
	v_cmp_lt_f32_e64 s[2:3], v1, v7
	v_cndmask_b32_e64 v7, v1, v7, s[2:3]
	s_waitcnt lgkmcnt(0)
	v_cmp_lt_f32_e64 s[2:3], v0, v6
	ds_bpermute_b32 v13, v11, v7
	v_cndmask_b32_e64 v6, v0, v6, s[2:3]
	ds_bpermute_b32 v14, v11, v6
	v_lshlrev_b32_e32 v12, 2, v8
	v_xor_b32_e32 v8, 4, v4
	v_cmp_lt_i32_e64 s[2:3], v8, v5
	v_cndmask_b32_e64 v8, v4, v8, s[2:3]
	s_waitcnt lgkmcnt(1)
	v_cmp_lt_f32_e64 s[2:3], v7, v13
	v_cndmask_b32_e64 v7, v7, v13, s[2:3]
	s_waitcnt lgkmcnt(0)
	v_cmp_lt_f32_e64 s[2:3], v6, v14
	ds_bpermute_b32 v13, v12, v7
	v_cndmask_b32_e64 v6, v6, v14, s[2:3]
	ds_bpermute_b32 v14, v12, v6
	v_lshlrev_b32_e32 v15, 2, v8
	v_xor_b32_e32 v16, 1, v4
	s_waitcnt lgkmcnt(1)
	v_cmp_lt_f32_e64 s[2:3], v7, v13
	v_cndmask_b32_e64 v7, v7, v13, s[2:3]
	s_waitcnt lgkmcnt(0)
	v_cmp_lt_f32_e64 s[2:3], v6, v14
	ds_bpermute_b32 v8, v15, v7
	v_cndmask_b32_e64 v6, v6, v14, s[2:3]
	ds_bpermute_b32 v13, v15, v6
	s_mov_b32 s4, 0x3fb8aa3b
	s_mov_b32 s5, 0xc2ce8ed0
	s_waitcnt lgkmcnt(1)
	v_cmp_lt_f32_e64 s[2:3], v7, v8
	v_cndmask_b32_e64 v7, v7, v8, s[2:3]
	s_waitcnt lgkmcnt(0)
	v_cmp_lt_f32_e64 s[2:3], v6, v13
	v_xor_b32_e32 v8, 2, v4
	v_cndmask_b32_e64 v6, v6, v13, s[2:3]
	v_cmp_lt_i32_e64 s[2:3], v8, v5
	v_cndmask_b32_e64 v8, v4, v8, s[2:3]
	v_lshlrev_b32_e32 v13, 2, v8
	ds_bpermute_b32 v14, v13, v7
	ds_bpermute_b32 v8, v13, v6
	v_cmp_lt_i32_e64 s[2:3], v16, v5
	v_cndmask_b32_e64 v4, v4, v16, s[2:3]
	v_lshlrev_b32_e32 v16, 2, v4
	s_waitcnt lgkmcnt(1)
	v_cmp_lt_f32_e64 s[2:3], v7, v14
	v_cndmask_b32_e64 v4, v7, v14, s[2:3]
	s_waitcnt lgkmcnt(0)
	v_cmp_lt_f32_e64 s[2:3], v6, v8
	ds_bpermute_b32 v5, v16, v4
	v_cndmask_b32_e64 v6, v6, v8, s[2:3]
	ds_bpermute_b32 v7, v16, v6
	s_mov_b32 s6, 0x42b17218
	s_waitcnt lgkmcnt(1)
	v_cmp_lt_f32_e64 s[2:3], v4, v5
	v_cndmask_b32_e64 v5, v4, v5, s[2:3]
	s_waitcnt lgkmcnt(0)
	v_cmp_lt_f32_e64 s[2:3], v6, v7
	v_cndmask_b32_e64 v4, v6, v7, s[2:3]
	v_pk_add_f32 v[6:7], v[0:1], v[4:5] neg_lo:[0,1] neg_hi:[0,1]
	v_mul_f32_e32 v8, 0x3fb8aa3b, v7
	v_fma_f32 v14, v7, s4, -v8
	v_rndne_f32_e32 v17, v8
	v_fmac_f32_e32 v14, 0x32a5705f, v7
	v_sub_f32_e32 v8, v8, v17
	v_add_f32_e32 v8, v8, v14
	v_exp_f32_e32 v8, v8
	v_cvt_i32_f32_e32 v14, v17
	v_cmp_ngt_f32_e64 s[2:3], s5, v7
	v_ldexp_f32 v8, v8, v14
	v_mul_f32_e32 v14, 0x3fb8aa3b, v6
	v_fma_f32 v17, v6, s4, -v14
	v_rndne_f32_e32 v18, v14
	v_fmac_f32_e32 v17, 0x32a5705f, v6
	v_sub_f32_e32 v14, v14, v18
	v_add_f32_e32 v14, v14, v17
	v_exp_f32_e32 v14, v14
	v_cvt_i32_f32_e32 v17, v18
	v_cndmask_b32_e64 v8, 0, v8, s[2:3]
	v_mov_b32_e32 v18, 0x7f800000
	v_cmp_nlt_f32_e64 s[2:3], s6, v7
	v_cndmask_b32_e64 v7, v18, v8, s[2:3]
	v_ldexp_f32 v8, v14, v17
	v_cmp_ngt_f32_e64 s[2:3], s5, v6
	v_cndmask_b32_e64 v8, 0, v8, s[2:3]
	v_cmp_nlt_f32_e64 s[2:3], s6, v6
	v_cndmask_b32_e64 v6, v18, v8, s[2:3]
	ds_bpermute_b32 v8, v9, v6
	ds_bpermute_b32 v9, v9, v7
	s_waitcnt lgkmcnt(0)
	v_pk_add_f32 v[6:7], v[6:7], v[8:9]
	ds_bpermute_b32 v8, v11, v6
	ds_bpermute_b32 v9, v11, v7
	s_waitcnt lgkmcnt(0)
	v_pk_add_f32 v[6:7], v[6:7], v[8:9]
	;; [unrolled: 4-line block ×5, first 2 shown]
	ds_bpermute_b32 v8, v16, v6
	ds_bpermute_b32 v9, v16, v7
	s_and_saveexec_b64 s[2:3], s[0:1]
	s_cbranch_execz .LBB82_10
; %bb.5:
	v_mov_b32_e32 v11, s9
	v_add_co_u32_e64 v2, s[0:1], s8, v2
	v_addc_co_u32_e64 v3, s[0:1], v11, v3, s[0:1]
	s_waitcnt lgkmcnt(0)
	v_pk_add_f32 v[6:7], v[6:7], v[8:9]
	s_and_saveexec_b64 s[4:5], vcc
	s_cbranch_execz .LBB82_7
; %bb.6:
	s_mov_b32 s0, 0x800000
	v_mov_b32_e32 v8, 0x4f800000
	v_cmp_gt_f32_e64 s[0:1], s0, v6
	v_cndmask_b32_e64 v8, 1.0, v8, s[0:1]
	v_mul_f32_e32 v6, v6, v8
	v_log_f32_e32 v6, v6
	s_mov_b32 s2, 0x3f317217
	v_sub_f32_e32 v0, v0, v4
	v_mul_f32_e32 v8, 0x3f317217, v6
	v_fma_f32 v9, v6, s2, -v8
	v_fmac_f32_e32 v9, 0x3377d1cf, v6
	s_mov_b32 s2, 0x7f800000
	v_add_f32_e32 v8, v8, v9
	v_cmp_lt_f32_e64 s[2:3], |v6|, s2
	v_cndmask_b32_e64 v6, v6, v8, s[2:3]
	v_mov_b32_e32 v8, 0x41b17218
	v_cndmask_b32_e64 v8, 0, v8, s[0:1]
	v_sub_f32_e32 v6, v6, v8
	v_sub_f32_e32 v0, v0, v6
	v_cvt_f16_f32_e32 v0, v0
	global_store_short v[2:3], v0, off
.LBB82_7:
	s_or_b64 exec, exec, s[4:5]
	v_cmp_ne_u32_e64 s[0:1], 1, v10
	s_and_b64 exec, exec, s[0:1]
	s_cbranch_execz .LBB82_10
; %bb.8:
	s_and_b64 exec, exec, vcc
	s_cbranch_execz .LBB82_10
; %bb.9:
	s_mov_b32 s0, 0x800000
	v_mov_b32_e32 v0, 0x4f800000
	v_cmp_gt_f32_e32 vcc, s0, v7
	v_cndmask_b32_e32 v0, 1.0, v0, vcc
	v_mul_f32_e32 v0, v7, v0
	v_log_f32_e32 v0, v0
	s_mov_b32 s0, 0x3f317217
	v_sub_f32_e32 v1, v1, v5
	s_mov_b32 s15, 0
	v_mul_f32_e32 v4, 0x3f317217, v0
	v_fma_f32 v6, v0, s0, -v4
	v_fmac_f32_e32 v6, 0x3377d1cf, v0
	s_mov_b32 s0, 0x7f800000
	v_add_f32_e32 v4, v4, v6
	v_cmp_lt_f32_e64 s[0:1], |v0|, s0
	v_cndmask_b32_e64 v0, v0, v4, s[0:1]
	v_mov_b32_e32 v4, 0x41b17218
	v_cndmask_b32_e32 v4, 0, v4, vcc
	v_sub_f32_e32 v0, v0, v4
	v_sub_f32_e32 v0, v1, v0
	v_cvt_f16_f32_e32 v4, v0
	s_lshl_b64 s[0:1], s[14:15], 1
	v_mov_b32_e32 v1, s1
	v_add_co_u32_e32 v0, vcc, s0, v2
	v_addc_co_u32_e32 v1, vcc, v3, v1, vcc
	global_store_short v[0:1], v4, off
.LBB82_10:
	s_endpgm
	.section	.rodata,"a",@progbits
	.p2align	6, 0x0
	.amdhsa_kernel _ZN12_GLOBAL__N_120softmax_warp_forwardIN3c104HalfES2_fLi6ELb1ELb0ELi64EEEvPT0_PKT_iiiPKbib
		.amdhsa_group_segment_fixed_size 0
		.amdhsa_private_segment_fixed_size 0
		.amdhsa_kernarg_size 304
		.amdhsa_user_sgpr_count 6
		.amdhsa_user_sgpr_private_segment_buffer 1
		.amdhsa_user_sgpr_dispatch_ptr 0
		.amdhsa_user_sgpr_queue_ptr 0
		.amdhsa_user_sgpr_kernarg_segment_ptr 1
		.amdhsa_user_sgpr_dispatch_id 0
		.amdhsa_user_sgpr_flat_scratch_init 0
		.amdhsa_user_sgpr_kernarg_preload_length 0
		.amdhsa_user_sgpr_kernarg_preload_offset 0
		.amdhsa_user_sgpr_private_segment_size 0
		.amdhsa_uses_dynamic_stack 0
		.amdhsa_system_sgpr_private_segment_wavefront_offset 0
		.amdhsa_system_sgpr_workgroup_id_x 1
		.amdhsa_system_sgpr_workgroup_id_y 0
		.amdhsa_system_sgpr_workgroup_id_z 0
		.amdhsa_system_sgpr_workgroup_info 0
		.amdhsa_system_vgpr_workitem_id 1
		.amdhsa_next_free_vgpr 19
		.amdhsa_next_free_sgpr 16
		.amdhsa_accum_offset 20
		.amdhsa_reserve_vcc 1
		.amdhsa_reserve_flat_scratch 0
		.amdhsa_float_round_mode_32 0
		.amdhsa_float_round_mode_16_64 0
		.amdhsa_float_denorm_mode_32 3
		.amdhsa_float_denorm_mode_16_64 3
		.amdhsa_dx10_clamp 1
		.amdhsa_ieee_mode 1
		.amdhsa_fp16_overflow 0
		.amdhsa_tg_split 0
		.amdhsa_exception_fp_ieee_invalid_op 0
		.amdhsa_exception_fp_denorm_src 0
		.amdhsa_exception_fp_ieee_div_zero 0
		.amdhsa_exception_fp_ieee_overflow 0
		.amdhsa_exception_fp_ieee_underflow 0
		.amdhsa_exception_fp_ieee_inexact 0
		.amdhsa_exception_int_div_zero 0
	.end_amdhsa_kernel
	.section	.text._ZN12_GLOBAL__N_120softmax_warp_forwardIN3c104HalfES2_fLi6ELb1ELb0ELi64EEEvPT0_PKT_iiiPKbib,"axG",@progbits,_ZN12_GLOBAL__N_120softmax_warp_forwardIN3c104HalfES2_fLi6ELb1ELb0ELi64EEEvPT0_PKT_iiiPKbib,comdat
.Lfunc_end82:
	.size	_ZN12_GLOBAL__N_120softmax_warp_forwardIN3c104HalfES2_fLi6ELb1ELb0ELi64EEEvPT0_PKT_iiiPKbib, .Lfunc_end82-_ZN12_GLOBAL__N_120softmax_warp_forwardIN3c104HalfES2_fLi6ELb1ELb0ELi64EEEvPT0_PKT_iiiPKbib
                                        ; -- End function
	.section	.AMDGPU.csdata,"",@progbits
; Kernel info:
; codeLenInByte = 1452
; NumSgprs: 20
; NumVgprs: 19
; NumAgprs: 0
; TotalNumVgprs: 19
; ScratchSize: 0
; MemoryBound: 0
; FloatMode: 240
; IeeeMode: 1
; LDSByteSize: 0 bytes/workgroup (compile time only)
; SGPRBlocks: 2
; VGPRBlocks: 2
; NumSGPRsForWavesPerEU: 20
; NumVGPRsForWavesPerEU: 19
; AccumOffset: 20
; Occupancy: 8
; WaveLimiterHint : 0
; COMPUTE_PGM_RSRC2:SCRATCH_EN: 0
; COMPUTE_PGM_RSRC2:USER_SGPR: 6
; COMPUTE_PGM_RSRC2:TRAP_HANDLER: 0
; COMPUTE_PGM_RSRC2:TGID_X_EN: 1
; COMPUTE_PGM_RSRC2:TGID_Y_EN: 0
; COMPUTE_PGM_RSRC2:TGID_Z_EN: 0
; COMPUTE_PGM_RSRC2:TIDIG_COMP_CNT: 1
; COMPUTE_PGM_RSRC3_GFX90A:ACCUM_OFFSET: 4
; COMPUTE_PGM_RSRC3_GFX90A:TG_SPLIT: 0
	.section	.text._ZN12_GLOBAL__N_120softmax_warp_forwardIN3c104HalfES2_fLi6ELb1ELb0ELi32EEEvPT0_PKT_iiiPKbib,"axG",@progbits,_ZN12_GLOBAL__N_120softmax_warp_forwardIN3c104HalfES2_fLi6ELb1ELb0ELi32EEEvPT0_PKT_iiiPKbib,comdat
	.globl	_ZN12_GLOBAL__N_120softmax_warp_forwardIN3c104HalfES2_fLi6ELb1ELb0ELi32EEEvPT0_PKT_iiiPKbib ; -- Begin function _ZN12_GLOBAL__N_120softmax_warp_forwardIN3c104HalfES2_fLi6ELb1ELb0ELi32EEEvPT0_PKT_iiiPKbib
	.p2align	8
	.type	_ZN12_GLOBAL__N_120softmax_warp_forwardIN3c104HalfES2_fLi6ELb1ELb0ELi32EEEvPT0_PKT_iiiPKbib,@function
_ZN12_GLOBAL__N_120softmax_warp_forwardIN3c104HalfES2_fLi6ELb1ELb0ELi32EEEvPT0_PKT_iiiPKbib: ; @_ZN12_GLOBAL__N_120softmax_warp_forwardIN3c104HalfES2_fLi6ELb1ELb0ELi32EEEvPT0_PKT_iiiPKbib
; %bb.0:
	s_load_dword s0, s[4:5], 0x3c
	s_load_dwordx8 s[8:15], s[4:5], 0x0
	v_bfe_u32 v1, v0, 10, 10
	v_and_b32_e32 v8, 0x3ff, v0
	v_mov_b32_e32 v2, 0xff800000
	s_waitcnt lgkmcnt(0)
	s_lshr_b32 s0, s0, 16
	s_mul_i32 s6, s6, s0
	v_add_lshl_u32 v1, s6, v1, 1
	v_sub_u32_e32 v12, s12, v1
	v_mad_u64_u32 v[0:1], s[0:1], v1, s13, v[8:9]
	v_ashrrev_i32_e32 v1, 31, v0
	v_lshlrev_b64 v[4:5], 1, v[0:1]
	v_mov_b32_e32 v0, s11
	v_add_co_u32_e32 v6, vcc, s10, v4
	v_cmp_lt_i32_e64 s[2:3], 0, v12
	v_cmp_gt_i32_e64 s[0:1], s14, v8
	v_addc_co_u32_e32 v7, vcc, v0, v5, vcc
	s_and_b64 s[6:7], s[2:3], s[0:1]
	v_mov_b32_e32 v0, 0xff800000
	s_and_saveexec_b64 s[4:5], s[6:7]
	s_cbranch_execz .LBB83_2
; %bb.1:
	global_load_ushort v1, v[6:7], off
	s_waitcnt vmcnt(0)
	v_cvt_f32_f16_e32 v2, v1
.LBB83_2:
	s_or_b64 exec, exec, s[4:5]
	v_add_u32_e32 v1, 32, v8
	v_cmp_gt_i32_e32 vcc, s14, v1
	s_and_b64 s[6:7], s[2:3], vcc
	s_and_saveexec_b64 s[4:5], s[6:7]
	s_cbranch_execz .LBB83_4
; %bb.3:
	global_load_ushort v0, v[6:7], off offset:64
	s_waitcnt vmcnt(0)
	v_cvt_f32_f16_e32 v0, v0
.LBB83_4:
	s_or_b64 exec, exec, s[4:5]
	v_cmp_lt_i32_e64 s[4:5], 1, v12
	s_and_b64 s[6:7], s[4:5], s[0:1]
	v_mov_b32_e32 v1, 0xff800000
	v_mov_b32_e32 v3, 0xff800000
	s_and_saveexec_b64 s[10:11], s[6:7]
	s_cbranch_execz .LBB83_6
; %bb.5:
	s_mov_b32 s15, 0
	s_lshl_b64 s[6:7], s[14:15], 1
	v_mov_b32_e32 v3, s7
	v_add_co_u32_e64 v8, s[6:7], s6, v6
	v_addc_co_u32_e64 v9, s[6:7], v7, v3, s[6:7]
	global_load_ushort v3, v[8:9], off
	s_waitcnt vmcnt(0)
	v_cvt_f32_f16_e32 v3, v3
.LBB83_6:
	s_or_b64 exec, exec, s[10:11]
	s_and_b64 s[4:5], s[4:5], vcc
	s_and_saveexec_b64 s[6:7], s[4:5]
	s_cbranch_execz .LBB83_8
; %bb.7:
	s_mov_b32 s15, 0
	s_lshl_b64 s[4:5], s[14:15], 1
	v_mov_b32_e32 v1, s5
	v_add_co_u32_e64 v6, s[4:5], s4, v6
	v_addc_co_u32_e64 v7, s[4:5], v7, v1, s[4:5]
	global_load_ushort v1, v[6:7], off offset:64
	s_waitcnt vmcnt(0)
	v_cvt_f32_f16_e32 v1, v1
.LBB83_8:
	s_or_b64 exec, exec, s[6:7]
	v_mbcnt_lo_u32_b32 v6, -1, 0
	v_mbcnt_hi_u32_b32 v6, -1, v6
	v_and_b32_e32 v7, 0x60, v6
	v_add_u32_e32 v7, 32, v7
	v_xor_b32_e32 v8, 16, v6
	v_cmp_lt_i32_e64 s[4:5], v8, v7
	v_cndmask_b32_e64 v8, v6, v8, s[4:5]
	v_lshlrev_b32_e32 v13, 2, v8
	v_xor_b32_e32 v8, 8, v6
	v_cmp_lt_i32_e64 s[4:5], v8, v7
	v_cndmask_b32_e64 v8, v6, v8, s[4:5]
	v_cmp_gt_f32_e64 s[4:5], v3, v1
	v_cndmask_b32_e64 v9, v1, v3, s[4:5]
	v_cmp_gt_f32_e64 s[4:5], v2, v0
	ds_bpermute_b32 v10, v13, v9
	v_cndmask_b32_e64 v11, v0, v2, s[4:5]
	ds_bpermute_b32 v15, v13, v11
	v_lshlrev_b32_e32 v14, 2, v8
	v_xor_b32_e32 v8, 4, v6
	v_cmp_lt_i32_e64 s[4:5], v8, v7
	v_cndmask_b32_e64 v8, v6, v8, s[4:5]
	s_waitcnt lgkmcnt(1)
	v_cmp_lt_f32_e64 s[4:5], v9, v10
	v_cndmask_b32_e64 v9, v9, v10, s[4:5]
	s_waitcnt lgkmcnt(0)
	v_cmp_lt_f32_e64 s[4:5], v11, v15
	ds_bpermute_b32 v10, v14, v9
	v_cndmask_b32_e64 v11, v11, v15, s[4:5]
	ds_bpermute_b32 v15, v14, v11
	v_lshlrev_b32_e32 v16, 2, v8
	v_xor_b32_e32 v17, 1, v6
	s_waitcnt lgkmcnt(1)
	v_cmp_lt_f32_e64 s[4:5], v9, v10
	v_cndmask_b32_e64 v8, v9, v10, s[4:5]
	s_waitcnt lgkmcnt(0)
	v_cmp_lt_f32_e64 s[4:5], v11, v15
	ds_bpermute_b32 v9, v16, v8
	v_cndmask_b32_e64 v10, v11, v15, s[4:5]
	ds_bpermute_b32 v11, v16, v10
	s_mov_b32 s6, 0x3fb8aa3b
	s_mov_b32 s7, 0xc2ce8ed0
	s_waitcnt lgkmcnt(1)
	v_cmp_lt_f32_e64 s[4:5], v8, v9
	v_cndmask_b32_e64 v8, v8, v9, s[4:5]
	s_waitcnt lgkmcnt(0)
	v_cmp_lt_f32_e64 s[4:5], v10, v11
	v_cndmask_b32_e64 v9, v10, v11, s[4:5]
	v_xor_b32_e32 v10, 2, v6
	v_cmp_lt_i32_e64 s[4:5], v10, v7
	v_cndmask_b32_e64 v10, v6, v10, s[4:5]
	v_lshlrev_b32_e32 v15, 2, v10
	ds_bpermute_b32 v11, v15, v8
	ds_bpermute_b32 v10, v15, v9
	v_cmp_lt_i32_e64 s[4:5], v17, v7
	v_cndmask_b32_e64 v6, v6, v17, s[4:5]
	v_lshlrev_b32_e32 v17, 2, v6
	s_waitcnt lgkmcnt(1)
	v_cmp_lt_f32_e64 s[4:5], v8, v11
	v_cndmask_b32_e64 v6, v8, v11, s[4:5]
	s_waitcnt lgkmcnt(0)
	v_cmp_lt_f32_e64 s[4:5], v9, v10
	ds_bpermute_b32 v7, v17, v6
	v_cndmask_b32_e64 v8, v9, v10, s[4:5]
	ds_bpermute_b32 v9, v17, v8
	s_mov_b32 s10, 0x42b17218
	s_waitcnt lgkmcnt(1)
	v_cmp_lt_f32_e64 s[4:5], v6, v7
	v_cndmask_b32_e64 v7, v6, v7, s[4:5]
	s_waitcnt lgkmcnt(0)
	v_cmp_lt_f32_e64 s[4:5], v8, v9
	v_cndmask_b32_e64 v6, v8, v9, s[4:5]
	v_pk_add_f32 v[8:9], v[2:3], v[6:7] neg_lo:[0,1] neg_hi:[0,1]
	v_mul_f32_e32 v10, 0x3fb8aa3b, v9
	v_fma_f32 v11, v9, s6, -v10
	v_rndne_f32_e32 v18, v10
	v_fmac_f32_e32 v11, 0x32a5705f, v9
	v_sub_f32_e32 v10, v10, v18
	v_add_f32_e32 v10, v10, v11
	v_exp_f32_e32 v10, v10
	v_cvt_i32_f32_e32 v11, v18
	v_cmp_ngt_f32_e64 s[4:5], s7, v9
	v_ldexp_f32 v10, v10, v11
	v_mul_f32_e32 v11, 0x3fb8aa3b, v8
	v_fma_f32 v18, v8, s6, -v11
	v_rndne_f32_e32 v19, v11
	v_fmac_f32_e32 v18, 0x32a5705f, v8
	v_sub_f32_e32 v11, v11, v19
	v_add_f32_e32 v11, v11, v18
	v_exp_f32_e32 v11, v11
	v_cvt_i32_f32_e32 v18, v19
	v_cndmask_b32_e64 v10, 0, v10, s[4:5]
	v_mov_b32_e32 v19, 0x7f800000
	v_cmp_nlt_f32_e64 s[4:5], s10, v9
	v_cndmask_b32_e64 v9, v19, v10, s[4:5]
	v_ldexp_f32 v18, v11, v18
	v_pk_add_f32 v[10:11], v[0:1], v[6:7] neg_lo:[0,1] neg_hi:[0,1]
	v_mul_f32_e32 v20, 0x3fb8aa3b, v11
	v_fma_f32 v21, v11, s6, -v20
	v_rndne_f32_e32 v22, v20
	v_fmac_f32_e32 v21, 0x32a5705f, v11
	v_sub_f32_e32 v20, v20, v22
	v_add_f32_e32 v20, v20, v21
	v_exp_f32_e32 v20, v20
	v_cvt_i32_f32_e32 v21, v22
	v_cmp_ngt_f32_e64 s[4:5], s7, v8
	v_cndmask_b32_e64 v18, 0, v18, s[4:5]
	v_cmp_nlt_f32_e64 s[4:5], s10, v8
	v_cndmask_b32_e64 v8, v19, v18, s[4:5]
	v_ldexp_f32 v18, v20, v21
	v_mul_f32_e32 v20, 0x3fb8aa3b, v10
	v_fma_f32 v21, v10, s6, -v20
	v_rndne_f32_e32 v22, v20
	v_fmac_f32_e32 v21, 0x32a5705f, v10
	v_sub_f32_e32 v20, v20, v22
	v_add_f32_e32 v20, v20, v21
	v_exp_f32_e32 v20, v20
	v_cvt_i32_f32_e32 v21, v22
	v_cmp_ngt_f32_e64 s[4:5], s7, v11
	v_cndmask_b32_e64 v18, 0, v18, s[4:5]
	v_cmp_nlt_f32_e64 s[4:5], s10, v11
	v_cndmask_b32_e64 v11, v19, v18, s[4:5]
	v_ldexp_f32 v18, v20, v21
	v_cmp_ngt_f32_e64 s[4:5], s7, v10
	v_cndmask_b32_e64 v18, 0, v18, s[4:5]
	v_cmp_nlt_f32_e64 s[4:5], s10, v10
	v_cndmask_b32_e64 v10, v19, v18, s[4:5]
	v_pk_add_f32 v[8:9], v[8:9], v[10:11]
	ds_bpermute_b32 v10, v13, v8
	ds_bpermute_b32 v11, v13, v9
	s_waitcnt lgkmcnt(0)
	v_pk_add_f32 v[8:9], v[8:9], v[10:11]
	ds_bpermute_b32 v10, v14, v8
	ds_bpermute_b32 v11, v14, v9
	s_waitcnt lgkmcnt(0)
	;; [unrolled: 4-line block ×4, first 2 shown]
	v_pk_add_f32 v[8:9], v[8:9], v[10:11]
	ds_bpermute_b32 v10, v17, v8
	ds_bpermute_b32 v11, v17, v9
	s_and_saveexec_b64 s[4:5], s[2:3]
	s_cbranch_execz .LBB83_16
; %bb.9:
	v_mov_b32_e32 v13, s9
	v_add_co_u32_e64 v4, s[2:3], s8, v4
	v_addc_co_u32_e64 v5, s[2:3], v13, v5, s[2:3]
	s_waitcnt lgkmcnt(0)
	v_pk_add_f32 v[8:9], v[8:9], v[10:11]
	s_and_saveexec_b64 s[6:7], s[0:1]
	s_cbranch_execz .LBB83_12
; %bb.10:
	s_mov_b32 s2, 0x800000
	v_mov_b32_e32 v10, 0x4f800000
	v_cmp_gt_f32_e64 s[2:3], s2, v8
	v_cndmask_b32_e64 v10, 1.0, v10, s[2:3]
	v_mul_f32_e32 v8, v8, v10
	v_log_f32_e32 v8, v8
	s_mov_b32 s4, 0x3f317217
	v_sub_f32_e32 v2, v2, v6
	v_mul_f32_e32 v10, 0x3f317217, v8
	v_fma_f32 v11, v8, s4, -v10
	v_fmac_f32_e32 v11, 0x3377d1cf, v8
	s_mov_b32 s4, 0x7f800000
	v_add_f32_e32 v10, v10, v11
	v_cmp_lt_f32_e64 s[4:5], |v8|, s4
	v_cndmask_b32_e64 v8, v8, v10, s[4:5]
	v_mov_b32_e32 v10, 0x41b17218
	v_cndmask_b32_e64 v10, 0, v10, s[2:3]
	v_sub_f32_e32 v8, v8, v10
	v_sub_f32_e32 v2, v2, v8
	v_cvt_f16_f32_e32 v2, v2
	global_store_short v[4:5], v2, off
	s_and_b64 exec, exec, vcc
	s_cbranch_execz .LBB83_12
; %bb.11:
	v_sub_f32_e32 v0, v0, v6
	v_sub_f32_e32 v0, v0, v8
	v_cvt_f16_f32_e32 v0, v0
	global_store_short v[4:5], v0, off offset:64
.LBB83_12:
	s_or_b64 exec, exec, s[6:7]
	v_cmp_ne_u32_e64 s[2:3], 1, v12
	s_and_b64 exec, exec, s[2:3]
	s_cbranch_execz .LBB83_16
; %bb.13:
	s_and_b64 exec, exec, s[0:1]
	s_cbranch_execz .LBB83_16
; %bb.14:
	s_mov_b32 s0, 0x800000
	v_mov_b32_e32 v0, 0x4f800000
	v_cmp_gt_f32_e64 s[0:1], s0, v9
	v_cndmask_b32_e64 v0, 1.0, v0, s[0:1]
	v_mul_f32_e32 v0, v9, v0
	v_log_f32_e32 v0, v0
	s_mov_b32 s2, 0x3f317217
	s_mov_b32 s15, 0
	v_mul_f32_e32 v2, 0x3f317217, v0
	v_fma_f32 v6, v0, s2, -v2
	v_fmac_f32_e32 v6, 0x3377d1cf, v0
	s_mov_b32 s2, 0x7f800000
	v_add_f32_e32 v2, v2, v6
	v_cmp_lt_f32_e64 s[2:3], |v0|, s2
	v_cndmask_b32_e64 v0, v0, v2, s[2:3]
	v_mov_b32_e32 v2, 0x41b17218
	v_cndmask_b32_e64 v2, 0, v2, s[0:1]
	v_sub_f32_e32 v0, v0, v2
	v_sub_f32_e32 v2, v3, v7
	;; [unrolled: 1-line block ×3, first 2 shown]
	v_cvt_f16_f32_e32 v6, v2
	s_lshl_b64 s[0:1], s[14:15], 1
	v_mov_b32_e32 v3, s1
	v_add_co_u32_e64 v2, s[0:1], s0, v4
	v_addc_co_u32_e64 v3, s[0:1], v5, v3, s[0:1]
	global_store_short v[2:3], v6, off
	s_and_b64 exec, exec, vcc
	s_cbranch_execz .LBB83_16
; %bb.15:
	v_sub_f32_e32 v1, v1, v7
	v_sub_f32_e32 v0, v1, v0
	v_cvt_f16_f32_e32 v2, v0
	s_ashr_i32 s15, s14, 31
	s_lshl_b64 s[0:1], s[14:15], 1
	v_mov_b32_e32 v1, s1
	v_add_co_u32_e32 v0, vcc, s0, v4
	v_addc_co_u32_e32 v1, vcc, v5, v1, vcc
	global_store_short v[0:1], v2, off offset:64
.LBB83_16:
	s_endpgm
	.section	.rodata,"a",@progbits
	.p2align	6, 0x0
	.amdhsa_kernel _ZN12_GLOBAL__N_120softmax_warp_forwardIN3c104HalfES2_fLi6ELb1ELb0ELi32EEEvPT0_PKT_iiiPKbib
		.amdhsa_group_segment_fixed_size 0
		.amdhsa_private_segment_fixed_size 0
		.amdhsa_kernarg_size 304
		.amdhsa_user_sgpr_count 6
		.amdhsa_user_sgpr_private_segment_buffer 1
		.amdhsa_user_sgpr_dispatch_ptr 0
		.amdhsa_user_sgpr_queue_ptr 0
		.amdhsa_user_sgpr_kernarg_segment_ptr 1
		.amdhsa_user_sgpr_dispatch_id 0
		.amdhsa_user_sgpr_flat_scratch_init 0
		.amdhsa_user_sgpr_kernarg_preload_length 0
		.amdhsa_user_sgpr_kernarg_preload_offset 0
		.amdhsa_user_sgpr_private_segment_size 0
		.amdhsa_uses_dynamic_stack 0
		.amdhsa_system_sgpr_private_segment_wavefront_offset 0
		.amdhsa_system_sgpr_workgroup_id_x 1
		.amdhsa_system_sgpr_workgroup_id_y 0
		.amdhsa_system_sgpr_workgroup_id_z 0
		.amdhsa_system_sgpr_workgroup_info 0
		.amdhsa_system_vgpr_workitem_id 1
		.amdhsa_next_free_vgpr 23
		.amdhsa_next_free_sgpr 16
		.amdhsa_accum_offset 24
		.amdhsa_reserve_vcc 1
		.amdhsa_reserve_flat_scratch 0
		.amdhsa_float_round_mode_32 0
		.amdhsa_float_round_mode_16_64 0
		.amdhsa_float_denorm_mode_32 3
		.amdhsa_float_denorm_mode_16_64 3
		.amdhsa_dx10_clamp 1
		.amdhsa_ieee_mode 1
		.amdhsa_fp16_overflow 0
		.amdhsa_tg_split 0
		.amdhsa_exception_fp_ieee_invalid_op 0
		.amdhsa_exception_fp_denorm_src 0
		.amdhsa_exception_fp_ieee_div_zero 0
		.amdhsa_exception_fp_ieee_overflow 0
		.amdhsa_exception_fp_ieee_underflow 0
		.amdhsa_exception_fp_ieee_inexact 0
		.amdhsa_exception_int_div_zero 0
	.end_amdhsa_kernel
	.section	.text._ZN12_GLOBAL__N_120softmax_warp_forwardIN3c104HalfES2_fLi6ELb1ELb0ELi32EEEvPT0_PKT_iiiPKbib,"axG",@progbits,_ZN12_GLOBAL__N_120softmax_warp_forwardIN3c104HalfES2_fLi6ELb1ELb0ELi32EEEvPT0_PKT_iiiPKbib,comdat
.Lfunc_end83:
	.size	_ZN12_GLOBAL__N_120softmax_warp_forwardIN3c104HalfES2_fLi6ELb1ELb0ELi32EEEvPT0_PKT_iiiPKbib, .Lfunc_end83-_ZN12_GLOBAL__N_120softmax_warp_forwardIN3c104HalfES2_fLi6ELb1ELb0ELi32EEEvPT0_PKT_iiiPKbib
                                        ; -- End function
	.section	.AMDGPU.csdata,"",@progbits
; Kernel info:
; codeLenInByte = 1780
; NumSgprs: 20
; NumVgprs: 23
; NumAgprs: 0
; TotalNumVgprs: 23
; ScratchSize: 0
; MemoryBound: 0
; FloatMode: 240
; IeeeMode: 1
; LDSByteSize: 0 bytes/workgroup (compile time only)
; SGPRBlocks: 2
; VGPRBlocks: 2
; NumSGPRsForWavesPerEU: 20
; NumVGPRsForWavesPerEU: 23
; AccumOffset: 24
; Occupancy: 8
; WaveLimiterHint : 0
; COMPUTE_PGM_RSRC2:SCRATCH_EN: 0
; COMPUTE_PGM_RSRC2:USER_SGPR: 6
; COMPUTE_PGM_RSRC2:TRAP_HANDLER: 0
; COMPUTE_PGM_RSRC2:TGID_X_EN: 1
; COMPUTE_PGM_RSRC2:TGID_Y_EN: 0
; COMPUTE_PGM_RSRC2:TGID_Z_EN: 0
; COMPUTE_PGM_RSRC2:TIDIG_COMP_CNT: 1
; COMPUTE_PGM_RSRC3_GFX90A:ACCUM_OFFSET: 5
; COMPUTE_PGM_RSRC3_GFX90A:TG_SPLIT: 0
	.section	.text._ZN12_GLOBAL__N_120softmax_warp_forwardIN3c104HalfES2_fLi7ELb1ELb0ELi64EEEvPT0_PKT_iiiPKbib,"axG",@progbits,_ZN12_GLOBAL__N_120softmax_warp_forwardIN3c104HalfES2_fLi7ELb1ELb0ELi64EEEvPT0_PKT_iiiPKbib,comdat
	.globl	_ZN12_GLOBAL__N_120softmax_warp_forwardIN3c104HalfES2_fLi7ELb1ELb0ELi64EEEvPT0_PKT_iiiPKbib ; -- Begin function _ZN12_GLOBAL__N_120softmax_warp_forwardIN3c104HalfES2_fLi7ELb1ELb0ELi64EEEvPT0_PKT_iiiPKbib
	.p2align	8
	.type	_ZN12_GLOBAL__N_120softmax_warp_forwardIN3c104HalfES2_fLi7ELb1ELb0ELi64EEEvPT0_PKT_iiiPKbib,@function
_ZN12_GLOBAL__N_120softmax_warp_forwardIN3c104HalfES2_fLi7ELb1ELb0ELi64EEEvPT0_PKT_iiiPKbib: ; @_ZN12_GLOBAL__N_120softmax_warp_forwardIN3c104HalfES2_fLi7ELb1ELb0ELi64EEEvPT0_PKT_iiiPKbib
; %bb.0:
	s_load_dword s0, s[4:5], 0x3c
	s_load_dwordx8 s[8:15], s[4:5], 0x0
	v_bfe_u32 v1, v0, 10, 10
	v_and_b32_e32 v8, 0x3ff, v0
	v_mov_b32_e32 v2, 0xff800000
	s_waitcnt lgkmcnt(0)
	s_lshr_b32 s0, s0, 16
	s_mul_i32 s6, s6, s0
	v_add_lshl_u32 v1, s6, v1, 1
	v_sub_u32_e32 v12, s12, v1
	v_mad_u64_u32 v[0:1], s[0:1], v1, s13, v[8:9]
	v_ashrrev_i32_e32 v1, 31, v0
	v_lshlrev_b64 v[4:5], 1, v[0:1]
	v_mov_b32_e32 v0, s11
	v_add_co_u32_e32 v6, vcc, s10, v4
	v_cmp_lt_i32_e64 s[2:3], 0, v12
	v_cmp_gt_i32_e64 s[0:1], s14, v8
	v_addc_co_u32_e32 v7, vcc, v0, v5, vcc
	s_and_b64 s[6:7], s[2:3], s[0:1]
	v_mov_b32_e32 v0, 0xff800000
	s_and_saveexec_b64 s[4:5], s[6:7]
	s_cbranch_execz .LBB84_2
; %bb.1:
	global_load_ushort v1, v[6:7], off
	s_waitcnt vmcnt(0)
	v_cvt_f32_f16_e32 v2, v1
.LBB84_2:
	s_or_b64 exec, exec, s[4:5]
	v_add_u32_e32 v1, 64, v8
	v_cmp_gt_i32_e32 vcc, s14, v1
	s_and_b64 s[6:7], s[2:3], vcc
	s_and_saveexec_b64 s[4:5], s[6:7]
	s_cbranch_execz .LBB84_4
; %bb.3:
	global_load_ushort v0, v[6:7], off offset:128
	s_waitcnt vmcnt(0)
	v_cvt_f32_f16_e32 v0, v0
.LBB84_4:
	s_or_b64 exec, exec, s[4:5]
	v_cmp_lt_i32_e64 s[4:5], 1, v12
	s_and_b64 s[6:7], s[4:5], s[0:1]
	v_mov_b32_e32 v1, 0xff800000
	v_mov_b32_e32 v3, 0xff800000
	s_and_saveexec_b64 s[10:11], s[6:7]
	s_cbranch_execz .LBB84_6
; %bb.5:
	s_mov_b32 s15, 0
	s_lshl_b64 s[6:7], s[14:15], 1
	v_mov_b32_e32 v3, s7
	v_add_co_u32_e64 v8, s[6:7], s6, v6
	v_addc_co_u32_e64 v9, s[6:7], v7, v3, s[6:7]
	global_load_ushort v3, v[8:9], off
	s_waitcnt vmcnt(0)
	v_cvt_f32_f16_e32 v3, v3
.LBB84_6:
	s_or_b64 exec, exec, s[10:11]
	s_and_b64 s[4:5], s[4:5], vcc
	s_and_saveexec_b64 s[6:7], s[4:5]
	s_cbranch_execz .LBB84_8
; %bb.7:
	s_mov_b32 s15, 0
	s_lshl_b64 s[4:5], s[14:15], 1
	v_mov_b32_e32 v1, s5
	v_add_co_u32_e64 v6, s[4:5], s4, v6
	v_addc_co_u32_e64 v7, s[4:5], v7, v1, s[4:5]
	global_load_ushort v1, v[6:7], off offset:128
	s_waitcnt vmcnt(0)
	v_cvt_f32_f16_e32 v1, v1
.LBB84_8:
	s_or_b64 exec, exec, s[6:7]
	v_mbcnt_lo_u32_b32 v6, -1, 0
	v_mbcnt_hi_u32_b32 v6, -1, v6
	v_and_b32_e32 v7, 64, v6
	v_add_u32_e32 v7, 64, v7
	v_xor_b32_e32 v8, 32, v6
	v_cmp_lt_i32_e64 s[4:5], v8, v7
	v_cndmask_b32_e64 v8, v6, v8, s[4:5]
	v_lshlrev_b32_e32 v13, 2, v8
	v_xor_b32_e32 v8, 16, v6
	v_cmp_lt_i32_e64 s[4:5], v8, v7
	v_cndmask_b32_e64 v8, v6, v8, s[4:5]
	v_lshlrev_b32_e32 v14, 2, v8
	v_xor_b32_e32 v8, 8, v6
	v_cmp_lt_i32_e64 s[4:5], v8, v7
	v_cndmask_b32_e64 v8, v6, v8, s[4:5]
	v_cmp_gt_f32_e64 s[4:5], v3, v1
	v_lshlrev_b32_e32 v15, 2, v8
	v_cndmask_b32_e64 v8, v1, v3, s[4:5]
	v_cmp_gt_f32_e64 s[4:5], v2, v0
	ds_bpermute_b32 v9, v13, v8
	v_cndmask_b32_e64 v10, v0, v2, s[4:5]
	ds_bpermute_b32 v11, v13, v10
	v_xor_b32_e32 v16, 4, v6
	v_xor_b32_e32 v18, 1, v6
	s_waitcnt lgkmcnt(1)
	v_cmp_lt_f32_e64 s[4:5], v8, v9
	v_cndmask_b32_e64 v8, v8, v9, s[4:5]
	s_waitcnt lgkmcnt(0)
	v_cmp_lt_f32_e64 s[4:5], v10, v11
	ds_bpermute_b32 v9, v14, v8
	v_cndmask_b32_e64 v10, v10, v11, s[4:5]
	ds_bpermute_b32 v11, v14, v10
	v_cmp_lt_i32_e64 s[4:5], v16, v7
	v_cndmask_b32_e64 v16, v6, v16, s[4:5]
	s_waitcnt lgkmcnt(1)
	v_cmp_lt_f32_e64 s[4:5], v8, v9
	v_cndmask_b32_e64 v8, v8, v9, s[4:5]
	s_waitcnt lgkmcnt(0)
	v_cmp_lt_f32_e64 s[4:5], v10, v11
	ds_bpermute_b32 v9, v15, v8
	v_cndmask_b32_e64 v10, v10, v11, s[4:5]
	ds_bpermute_b32 v11, v15, v10
	v_lshlrev_b32_e32 v16, 2, v16
	s_mov_b32 s6, 0x3fb8aa3b
	s_waitcnt lgkmcnt(1)
	v_cmp_lt_f32_e64 s[4:5], v8, v9
	v_cndmask_b32_e64 v8, v8, v9, s[4:5]
	s_waitcnt lgkmcnt(0)
	v_cmp_lt_f32_e64 s[4:5], v10, v11
	ds_bpermute_b32 v9, v16, v8
	v_cndmask_b32_e64 v10, v10, v11, s[4:5]
	ds_bpermute_b32 v11, v16, v10
	s_mov_b32 s7, 0xc2ce8ed0
	s_mov_b32 s10, 0x42b17218
	s_waitcnt lgkmcnt(1)
	v_cmp_lt_f32_e64 s[4:5], v8, v9
	v_cndmask_b32_e64 v8, v8, v9, s[4:5]
	s_waitcnt lgkmcnt(0)
	v_cmp_lt_f32_e64 s[4:5], v10, v11
	v_cndmask_b32_e64 v9, v10, v11, s[4:5]
	v_xor_b32_e32 v10, 2, v6
	v_cmp_lt_i32_e64 s[4:5], v10, v7
	v_cndmask_b32_e64 v10, v6, v10, s[4:5]
	v_lshlrev_b32_e32 v17, 2, v10
	ds_bpermute_b32 v11, v17, v8
	ds_bpermute_b32 v10, v17, v9
	v_cmp_lt_i32_e64 s[4:5], v18, v7
	v_cndmask_b32_e64 v6, v6, v18, s[4:5]
	v_lshlrev_b32_e32 v18, 2, v6
	s_waitcnt lgkmcnt(1)
	v_cmp_lt_f32_e64 s[4:5], v8, v11
	v_cndmask_b32_e64 v6, v8, v11, s[4:5]
	s_waitcnt lgkmcnt(0)
	v_cmp_lt_f32_e64 s[4:5], v9, v10
	ds_bpermute_b32 v7, v18, v6
	v_cndmask_b32_e64 v8, v9, v10, s[4:5]
	ds_bpermute_b32 v9, v18, v8
	s_waitcnt lgkmcnt(1)
	v_cmp_lt_f32_e64 s[4:5], v6, v7
	v_cndmask_b32_e64 v7, v6, v7, s[4:5]
	s_waitcnt lgkmcnt(0)
	v_cmp_lt_f32_e64 s[4:5], v8, v9
	v_cndmask_b32_e64 v6, v8, v9, s[4:5]
	v_pk_add_f32 v[8:9], v[2:3], v[6:7] neg_lo:[0,1] neg_hi:[0,1]
	v_mul_f32_e32 v10, 0x3fb8aa3b, v9
	v_fma_f32 v11, v9, s6, -v10
	v_rndne_f32_e32 v19, v10
	v_fmac_f32_e32 v11, 0x32a5705f, v9
	v_sub_f32_e32 v10, v10, v19
	v_add_f32_e32 v10, v10, v11
	v_exp_f32_e32 v10, v10
	v_cvt_i32_f32_e32 v11, v19
	v_cmp_ngt_f32_e64 s[4:5], s7, v9
	v_ldexp_f32 v10, v10, v11
	v_mul_f32_e32 v11, 0x3fb8aa3b, v8
	v_fma_f32 v19, v8, s6, -v11
	v_rndne_f32_e32 v20, v11
	v_fmac_f32_e32 v19, 0x32a5705f, v8
	v_sub_f32_e32 v11, v11, v20
	v_add_f32_e32 v11, v11, v19
	v_exp_f32_e32 v11, v11
	v_cvt_i32_f32_e32 v19, v20
	v_cndmask_b32_e64 v10, 0, v10, s[4:5]
	v_mov_b32_e32 v20, 0x7f800000
	v_cmp_nlt_f32_e64 s[4:5], s10, v9
	v_cndmask_b32_e64 v9, v20, v10, s[4:5]
	v_ldexp_f32 v19, v11, v19
	v_pk_add_f32 v[10:11], v[0:1], v[6:7] neg_lo:[0,1] neg_hi:[0,1]
	v_mul_f32_e32 v21, 0x3fb8aa3b, v11
	v_fma_f32 v22, v11, s6, -v21
	v_rndne_f32_e32 v23, v21
	v_fmac_f32_e32 v22, 0x32a5705f, v11
	v_sub_f32_e32 v21, v21, v23
	v_add_f32_e32 v21, v21, v22
	v_exp_f32_e32 v21, v21
	v_cvt_i32_f32_e32 v22, v23
	v_cmp_ngt_f32_e64 s[4:5], s7, v8
	v_cndmask_b32_e64 v19, 0, v19, s[4:5]
	v_cmp_nlt_f32_e64 s[4:5], s10, v8
	v_cndmask_b32_e64 v8, v20, v19, s[4:5]
	v_ldexp_f32 v19, v21, v22
	v_mul_f32_e32 v21, 0x3fb8aa3b, v10
	v_fma_f32 v22, v10, s6, -v21
	v_rndne_f32_e32 v23, v21
	v_fmac_f32_e32 v22, 0x32a5705f, v10
	v_sub_f32_e32 v21, v21, v23
	v_add_f32_e32 v21, v21, v22
	v_exp_f32_e32 v21, v21
	v_cvt_i32_f32_e32 v22, v23
	v_cmp_ngt_f32_e64 s[4:5], s7, v11
	v_cndmask_b32_e64 v19, 0, v19, s[4:5]
	v_cmp_nlt_f32_e64 s[4:5], s10, v11
	v_cndmask_b32_e64 v11, v20, v19, s[4:5]
	v_ldexp_f32 v19, v21, v22
	v_cmp_ngt_f32_e64 s[4:5], s7, v10
	v_cndmask_b32_e64 v19, 0, v19, s[4:5]
	v_cmp_nlt_f32_e64 s[4:5], s10, v10
	v_cndmask_b32_e64 v10, v20, v19, s[4:5]
	v_pk_add_f32 v[8:9], v[8:9], v[10:11]
	ds_bpermute_b32 v10, v13, v8
	ds_bpermute_b32 v11, v13, v9
	s_waitcnt lgkmcnt(0)
	v_pk_add_f32 v[8:9], v[8:9], v[10:11]
	ds_bpermute_b32 v10, v14, v8
	ds_bpermute_b32 v11, v14, v9
	s_waitcnt lgkmcnt(0)
	;; [unrolled: 4-line block ×5, first 2 shown]
	v_pk_add_f32 v[8:9], v[8:9], v[10:11]
	ds_bpermute_b32 v10, v18, v8
	ds_bpermute_b32 v11, v18, v9
	s_and_saveexec_b64 s[4:5], s[2:3]
	s_cbranch_execz .LBB84_16
; %bb.9:
	v_mov_b32_e32 v13, s9
	v_add_co_u32_e64 v4, s[2:3], s8, v4
	v_addc_co_u32_e64 v5, s[2:3], v13, v5, s[2:3]
	s_waitcnt lgkmcnt(0)
	v_pk_add_f32 v[8:9], v[8:9], v[10:11]
	s_and_saveexec_b64 s[6:7], s[0:1]
	s_cbranch_execz .LBB84_12
; %bb.10:
	s_mov_b32 s2, 0x800000
	v_mov_b32_e32 v10, 0x4f800000
	v_cmp_gt_f32_e64 s[2:3], s2, v8
	v_cndmask_b32_e64 v10, 1.0, v10, s[2:3]
	v_mul_f32_e32 v8, v8, v10
	v_log_f32_e32 v8, v8
	s_mov_b32 s4, 0x3f317217
	v_sub_f32_e32 v2, v2, v6
	v_mul_f32_e32 v10, 0x3f317217, v8
	v_fma_f32 v11, v8, s4, -v10
	v_fmac_f32_e32 v11, 0x3377d1cf, v8
	s_mov_b32 s4, 0x7f800000
	v_add_f32_e32 v10, v10, v11
	v_cmp_lt_f32_e64 s[4:5], |v8|, s4
	v_cndmask_b32_e64 v8, v8, v10, s[4:5]
	v_mov_b32_e32 v10, 0x41b17218
	v_cndmask_b32_e64 v10, 0, v10, s[2:3]
	v_sub_f32_e32 v8, v8, v10
	v_sub_f32_e32 v2, v2, v8
	v_cvt_f16_f32_e32 v2, v2
	global_store_short v[4:5], v2, off
	s_and_b64 exec, exec, vcc
	s_cbranch_execz .LBB84_12
; %bb.11:
	v_sub_f32_e32 v0, v0, v6
	v_sub_f32_e32 v0, v0, v8
	v_cvt_f16_f32_e32 v0, v0
	global_store_short v[4:5], v0, off offset:128
.LBB84_12:
	s_or_b64 exec, exec, s[6:7]
	v_cmp_ne_u32_e64 s[2:3], 1, v12
	s_and_b64 exec, exec, s[2:3]
	s_cbranch_execz .LBB84_16
; %bb.13:
	s_and_b64 exec, exec, s[0:1]
	s_cbranch_execz .LBB84_16
; %bb.14:
	s_mov_b32 s0, 0x800000
	v_mov_b32_e32 v0, 0x4f800000
	v_cmp_gt_f32_e64 s[0:1], s0, v9
	v_cndmask_b32_e64 v0, 1.0, v0, s[0:1]
	v_mul_f32_e32 v0, v9, v0
	v_log_f32_e32 v0, v0
	s_mov_b32 s2, 0x3f317217
	s_mov_b32 s15, 0
	v_mul_f32_e32 v2, 0x3f317217, v0
	v_fma_f32 v6, v0, s2, -v2
	v_fmac_f32_e32 v6, 0x3377d1cf, v0
	s_mov_b32 s2, 0x7f800000
	v_add_f32_e32 v2, v2, v6
	v_cmp_lt_f32_e64 s[2:3], |v0|, s2
	v_cndmask_b32_e64 v0, v0, v2, s[2:3]
	v_mov_b32_e32 v2, 0x41b17218
	v_cndmask_b32_e64 v2, 0, v2, s[0:1]
	v_sub_f32_e32 v0, v0, v2
	v_sub_f32_e32 v2, v3, v7
	;; [unrolled: 1-line block ×3, first 2 shown]
	v_cvt_f16_f32_e32 v6, v2
	s_lshl_b64 s[0:1], s[14:15], 1
	v_mov_b32_e32 v3, s1
	v_add_co_u32_e64 v2, s[0:1], s0, v4
	v_addc_co_u32_e64 v3, s[0:1], v5, v3, s[0:1]
	global_store_short v[2:3], v6, off
	s_and_b64 exec, exec, vcc
	s_cbranch_execz .LBB84_16
; %bb.15:
	v_sub_f32_e32 v1, v1, v7
	v_sub_f32_e32 v0, v1, v0
	v_cvt_f16_f32_e32 v2, v0
	s_ashr_i32 s15, s14, 31
	s_lshl_b64 s[0:1], s[14:15], 1
	v_mov_b32_e32 v1, s1
	v_add_co_u32_e32 v0, vcc, s0, v4
	v_addc_co_u32_e32 v1, vcc, v5, v1, vcc
	global_store_short v[0:1], v2, off offset:128
.LBB84_16:
	s_endpgm
	.section	.rodata,"a",@progbits
	.p2align	6, 0x0
	.amdhsa_kernel _ZN12_GLOBAL__N_120softmax_warp_forwardIN3c104HalfES2_fLi7ELb1ELb0ELi64EEEvPT0_PKT_iiiPKbib
		.amdhsa_group_segment_fixed_size 0
		.amdhsa_private_segment_fixed_size 0
		.amdhsa_kernarg_size 304
		.amdhsa_user_sgpr_count 6
		.amdhsa_user_sgpr_private_segment_buffer 1
		.amdhsa_user_sgpr_dispatch_ptr 0
		.amdhsa_user_sgpr_queue_ptr 0
		.amdhsa_user_sgpr_kernarg_segment_ptr 1
		.amdhsa_user_sgpr_dispatch_id 0
		.amdhsa_user_sgpr_flat_scratch_init 0
		.amdhsa_user_sgpr_kernarg_preload_length 0
		.amdhsa_user_sgpr_kernarg_preload_offset 0
		.amdhsa_user_sgpr_private_segment_size 0
		.amdhsa_uses_dynamic_stack 0
		.amdhsa_system_sgpr_private_segment_wavefront_offset 0
		.amdhsa_system_sgpr_workgroup_id_x 1
		.amdhsa_system_sgpr_workgroup_id_y 0
		.amdhsa_system_sgpr_workgroup_id_z 0
		.amdhsa_system_sgpr_workgroup_info 0
		.amdhsa_system_vgpr_workitem_id 1
		.amdhsa_next_free_vgpr 24
		.amdhsa_next_free_sgpr 16
		.amdhsa_accum_offset 24
		.amdhsa_reserve_vcc 1
		.amdhsa_reserve_flat_scratch 0
		.amdhsa_float_round_mode_32 0
		.amdhsa_float_round_mode_16_64 0
		.amdhsa_float_denorm_mode_32 3
		.amdhsa_float_denorm_mode_16_64 3
		.amdhsa_dx10_clamp 1
		.amdhsa_ieee_mode 1
		.amdhsa_fp16_overflow 0
		.amdhsa_tg_split 0
		.amdhsa_exception_fp_ieee_invalid_op 0
		.amdhsa_exception_fp_denorm_src 0
		.amdhsa_exception_fp_ieee_div_zero 0
		.amdhsa_exception_fp_ieee_overflow 0
		.amdhsa_exception_fp_ieee_underflow 0
		.amdhsa_exception_fp_ieee_inexact 0
		.amdhsa_exception_int_div_zero 0
	.end_amdhsa_kernel
	.section	.text._ZN12_GLOBAL__N_120softmax_warp_forwardIN3c104HalfES2_fLi7ELb1ELb0ELi64EEEvPT0_PKT_iiiPKbib,"axG",@progbits,_ZN12_GLOBAL__N_120softmax_warp_forwardIN3c104HalfES2_fLi7ELb1ELb0ELi64EEEvPT0_PKT_iiiPKbib,comdat
.Lfunc_end84:
	.size	_ZN12_GLOBAL__N_120softmax_warp_forwardIN3c104HalfES2_fLi7ELb1ELb0ELi64EEEvPT0_PKT_iiiPKbib, .Lfunc_end84-_ZN12_GLOBAL__N_120softmax_warp_forwardIN3c104HalfES2_fLi7ELb1ELb0ELi64EEEvPT0_PKT_iiiPKbib
                                        ; -- End function
	.section	.AMDGPU.csdata,"",@progbits
; Kernel info:
; codeLenInByte = 1884
; NumSgprs: 20
; NumVgprs: 24
; NumAgprs: 0
; TotalNumVgprs: 24
; ScratchSize: 0
; MemoryBound: 0
; FloatMode: 240
; IeeeMode: 1
; LDSByteSize: 0 bytes/workgroup (compile time only)
; SGPRBlocks: 2
; VGPRBlocks: 2
; NumSGPRsForWavesPerEU: 20
; NumVGPRsForWavesPerEU: 24
; AccumOffset: 24
; Occupancy: 8
; WaveLimiterHint : 0
; COMPUTE_PGM_RSRC2:SCRATCH_EN: 0
; COMPUTE_PGM_RSRC2:USER_SGPR: 6
; COMPUTE_PGM_RSRC2:TRAP_HANDLER: 0
; COMPUTE_PGM_RSRC2:TGID_X_EN: 1
; COMPUTE_PGM_RSRC2:TGID_Y_EN: 0
; COMPUTE_PGM_RSRC2:TGID_Z_EN: 0
; COMPUTE_PGM_RSRC2:TIDIG_COMP_CNT: 1
; COMPUTE_PGM_RSRC3_GFX90A:ACCUM_OFFSET: 5
; COMPUTE_PGM_RSRC3_GFX90A:TG_SPLIT: 0
	.section	.text._ZN12_GLOBAL__N_120softmax_warp_forwardIN3c104HalfES2_fLi7ELb1ELb0ELi32EEEvPT0_PKT_iiiPKbib,"axG",@progbits,_ZN12_GLOBAL__N_120softmax_warp_forwardIN3c104HalfES2_fLi7ELb1ELb0ELi32EEEvPT0_PKT_iiiPKbib,comdat
	.globl	_ZN12_GLOBAL__N_120softmax_warp_forwardIN3c104HalfES2_fLi7ELb1ELb0ELi32EEEvPT0_PKT_iiiPKbib ; -- Begin function _ZN12_GLOBAL__N_120softmax_warp_forwardIN3c104HalfES2_fLi7ELb1ELb0ELi32EEEvPT0_PKT_iiiPKbib
	.p2align	8
	.type	_ZN12_GLOBAL__N_120softmax_warp_forwardIN3c104HalfES2_fLi7ELb1ELb0ELi32EEEvPT0_PKT_iiiPKbib,@function
_ZN12_GLOBAL__N_120softmax_warp_forwardIN3c104HalfES2_fLi7ELb1ELb0ELi32EEEvPT0_PKT_iiiPKbib: ; @_ZN12_GLOBAL__N_120softmax_warp_forwardIN3c104HalfES2_fLi7ELb1ELb0ELi32EEEvPT0_PKT_iiiPKbib
; %bb.0:
	s_load_dword s0, s[4:5], 0x3c
	s_load_dwordx8 s[12:19], s[4:5], 0x0
	v_bfe_u32 v1, v0, 10, 10
	v_and_b32_e32 v12, 0x3ff, v0
	v_mov_b32_e32 v4, 0xff800000
	s_waitcnt lgkmcnt(0)
	s_lshr_b32 s0, s0, 16
	s_mul_i32 s6, s6, s0
	v_add_lshl_u32 v1, s6, v1, 1
	v_sub_u32_e32 v16, s16, v1
	v_mad_u64_u32 v[0:1], s[0:1], v1, s17, v[12:13]
	v_ashrrev_i32_e32 v1, 31, v0
	v_lshlrev_b64 v[8:9], 1, v[0:1]
	v_mov_b32_e32 v0, s15
	v_add_co_u32_e32 v10, vcc, s14, v8
	v_cmp_lt_i32_e64 s[6:7], 0, v16
	v_cmp_gt_i32_e64 s[4:5], s18, v12
	v_addc_co_u32_e32 v11, vcc, v0, v9, vcc
	s_and_b64 s[2:3], s[6:7], s[4:5]
	v_mov_b32_e32 v0, 0xff800000
	s_and_saveexec_b64 s[0:1], s[2:3]
	s_cbranch_execz .LBB85_2
; %bb.1:
	global_load_ushort v1, v[10:11], off
	s_waitcnt vmcnt(0)
	v_cvt_f32_f16_e32 v4, v1
.LBB85_2:
	s_or_b64 exec, exec, s[0:1]
	v_add_u32_e32 v1, 32, v12
	v_cmp_gt_i32_e32 vcc, s18, v1
	s_and_b64 s[2:3], s[6:7], vcc
	s_and_saveexec_b64 s[0:1], s[2:3]
	s_cbranch_execz .LBB85_4
; %bb.3:
	global_load_ushort v0, v[10:11], off offset:64
	s_waitcnt vmcnt(0)
	v_cvt_f32_f16_e32 v0, v0
.LBB85_4:
	s_or_b64 exec, exec, s[0:1]
	v_add_u32_e32 v1, 64, v12
	v_cmp_gt_i32_e64 s[0:1], s18, v1
	s_and_b64 s[8:9], s[6:7], s[0:1]
	v_mov_b32_e32 v2, 0xff800000
	v_mov_b32_e32 v6, 0xff800000
	s_and_saveexec_b64 s[2:3], s[8:9]
	s_cbranch_execz .LBB85_6
; %bb.5:
	global_load_ushort v1, v[10:11], off offset:128
	s_waitcnt vmcnt(0)
	v_cvt_f32_f16_e32 v6, v1
.LBB85_6:
	s_or_b64 exec, exec, s[2:3]
	v_add_u32_e32 v1, 0x60, v12
	v_cmp_gt_i32_e64 s[2:3], s18, v1
	s_and_b64 s[10:11], s[6:7], s[2:3]
	s_and_saveexec_b64 s[8:9], s[10:11]
	s_cbranch_execz .LBB85_8
; %bb.7:
	global_load_ushort v1, v[10:11], off offset:192
	s_waitcnt vmcnt(0)
	v_cvt_f32_f16_e32 v2, v1
.LBB85_8:
	s_or_b64 exec, exec, s[8:9]
	v_cmp_lt_i32_e64 s[8:9], 1, v16
	s_and_b64 s[10:11], s[8:9], s[4:5]
	v_mov_b32_e32 v1, 0xff800000
	v_mov_b32_e32 v5, 0xff800000
	s_and_saveexec_b64 s[14:15], s[10:11]
	s_cbranch_execz .LBB85_10
; %bb.9:
	s_mov_b32 s19, 0
	s_lshl_b64 s[10:11], s[18:19], 1
	v_mov_b32_e32 v3, s11
	v_add_co_u32_e64 v12, s[10:11], s10, v10
	v_addc_co_u32_e64 v13, s[10:11], v11, v3, s[10:11]
	global_load_ushort v3, v[12:13], off
	s_waitcnt vmcnt(0)
	v_cvt_f32_f16_e32 v5, v3
.LBB85_10:
	s_or_b64 exec, exec, s[14:15]
	s_and_b64 s[10:11], s[8:9], vcc
	s_and_saveexec_b64 s[14:15], s[10:11]
	s_cbranch_execz .LBB85_12
; %bb.11:
	s_mov_b32 s19, 0
	s_lshl_b64 s[10:11], s[18:19], 1
	v_mov_b32_e32 v1, s11
	v_add_co_u32_e64 v12, s[10:11], s10, v10
	v_addc_co_u32_e64 v13, s[10:11], v11, v1, s[10:11]
	global_load_ushort v1, v[12:13], off offset:64
	s_waitcnt vmcnt(0)
	v_cvt_f32_f16_e32 v1, v1
.LBB85_12:
	s_or_b64 exec, exec, s[14:15]
	s_and_b64 s[10:11], s[8:9], s[0:1]
	v_mov_b32_e32 v3, 0xff800000
	v_mov_b32_e32 v7, 0xff800000
	s_and_saveexec_b64 s[14:15], s[10:11]
	s_cbranch_execz .LBB85_14
; %bb.13:
	s_mov_b32 s19, 0
	s_lshl_b64 s[10:11], s[18:19], 1
	v_mov_b32_e32 v7, s11
	v_add_co_u32_e64 v12, s[10:11], s10, v10
	v_addc_co_u32_e64 v13, s[10:11], v11, v7, s[10:11]
	global_load_ushort v7, v[12:13], off offset:128
	s_waitcnt vmcnt(0)
	v_cvt_f32_f16_e32 v7, v7
.LBB85_14:
	s_or_b64 exec, exec, s[14:15]
	s_and_b64 s[8:9], s[8:9], s[2:3]
	s_and_saveexec_b64 s[10:11], s[8:9]
	s_cbranch_execz .LBB85_16
; %bb.15:
	s_mov_b32 s19, 0
	s_lshl_b64 s[8:9], s[18:19], 1
	v_mov_b32_e32 v3, s9
	v_add_co_u32_e64 v10, s[8:9], s8, v10
	v_addc_co_u32_e64 v11, s[8:9], v11, v3, s[8:9]
	global_load_ushort v3, v[10:11], off offset:192
	s_waitcnt vmcnt(0)
	v_cvt_f32_f16_e32 v3, v3
.LBB85_16:
	s_or_b64 exec, exec, s[10:11]
	v_mbcnt_lo_u32_b32 v12, -1, 0
	v_mbcnt_hi_u32_b32 v12, -1, v12
	v_cmp_gt_f32_e64 s[8:9], v4, v0
	v_and_b32_e32 v13, 0x60, v12
	v_cndmask_b32_e64 v10, v0, v4, s[8:9]
	v_cmp_gt_f32_e64 s[8:9], v5, v1
	v_add_u32_e32 v13, 32, v13
	v_xor_b32_e32 v14, 16, v12
	v_cndmask_b32_e64 v11, v1, v5, s[8:9]
	v_cmp_lt_i32_e64 s[8:9], v14, v13
	v_cndmask_b32_e64 v14, v12, v14, s[8:9]
	v_lshlrev_b32_e32 v17, 2, v14
	v_xor_b32_e32 v14, 8, v12
	v_cmp_lt_i32_e64 s[8:9], v14, v13
	v_cndmask_b32_e64 v14, v12, v14, s[8:9]
	v_lshlrev_b32_e32 v22, 2, v14
	v_xor_b32_e32 v14, 4, v12
	v_cmp_lt_i32_e64 s[8:9], v14, v13
	v_cndmask_b32_e64 v14, v12, v14, s[8:9]
	v_cmp_gt_f32_e64 s[8:9], v11, v7
	v_cndmask_b32_e64 v11, v7, v11, s[8:9]
	v_cmp_gt_f32_e64 s[8:9], v11, v3
	v_cndmask_b32_e64 v11, v3, v11, s[8:9]
	ds_bpermute_b32 v15, v17, v11
	v_cmp_gt_f32_e64 s[8:9], v10, v6
	v_cndmask_b32_e64 v10, v6, v10, s[8:9]
	v_cmp_gt_f32_e64 s[8:9], v10, v2
	v_cndmask_b32_e64 v10, v2, v10, s[8:9]
	ds_bpermute_b32 v18, v17, v10
	s_waitcnt lgkmcnt(1)
	v_cmp_lt_f32_e64 s[8:9], v11, v15
	v_cndmask_b32_e64 v11, v11, v15, s[8:9]
	v_lshlrev_b32_e32 v23, 2, v14
	v_xor_b32_e32 v14, 2, v12
	ds_bpermute_b32 v15, v22, v11
	v_cmp_lt_i32_e64 s[8:9], v14, v13
	v_cndmask_b32_e64 v14, v12, v14, s[8:9]
	s_waitcnt lgkmcnt(1)
	v_cmp_lt_f32_e64 s[8:9], v10, v18
	v_cndmask_b32_e64 v10, v10, v18, s[8:9]
	ds_bpermute_b32 v18, v22, v10
	s_waitcnt lgkmcnt(1)
	v_cmp_lt_f32_e64 s[8:9], v11, v15
	v_cndmask_b32_e64 v11, v11, v15, s[8:9]
	ds_bpermute_b32 v15, v23, v11
	v_lshlrev_b32_e32 v24, 2, v14
	s_waitcnt lgkmcnt(1)
	v_cmp_lt_f32_e64 s[8:9], v10, v18
	v_cndmask_b32_e64 v10, v10, v18, s[8:9]
	ds_bpermute_b32 v14, v23, v10
	s_waitcnt lgkmcnt(1)
	v_cmp_lt_f32_e64 s[8:9], v11, v15
	v_cndmask_b32_e64 v11, v11, v15, s[8:9]
	ds_bpermute_b32 v15, v24, v11
	s_mov_b32 s10, 0x3fb8aa3b
	s_waitcnt lgkmcnt(1)
	v_cmp_lt_f32_e64 s[8:9], v10, v14
	v_cndmask_b32_e64 v10, v10, v14, s[8:9]
	ds_bpermute_b32 v14, v24, v10
	s_waitcnt lgkmcnt(1)
	v_cmp_lt_f32_e64 s[8:9], v11, v15
	v_cndmask_b32_e64 v11, v11, v15, s[8:9]
	v_xor_b32_e32 v15, 1, v12
	v_cmp_lt_i32_e64 s[8:9], v15, v13
	v_cndmask_b32_e64 v12, v12, v15, s[8:9]
	v_lshlrev_b32_e32 v25, 2, v12
	s_waitcnt lgkmcnt(0)
	v_cmp_lt_f32_e64 s[8:9], v10, v14
	ds_bpermute_b32 v12, v25, v11
	v_cndmask_b32_e64 v10, v10, v14, s[8:9]
	ds_bpermute_b32 v13, v25, v10
	s_mov_b32 s11, 0xc2ce8ed0
	s_mov_b32 s14, 0x42b17218
	s_waitcnt lgkmcnt(1)
	v_cmp_lt_f32_e64 s[8:9], v11, v12
	v_cndmask_b32_e64 v11, v11, v12, s[8:9]
	s_waitcnt lgkmcnt(0)
	v_cmp_lt_f32_e64 s[8:9], v10, v13
	v_cndmask_b32_e64 v10, v10, v13, s[8:9]
	v_pk_add_f32 v[12:13], v[4:5], v[10:11] neg_lo:[0,1] neg_hi:[0,1]
	v_mul_f32_e32 v14, 0x3fb8aa3b, v13
	v_fma_f32 v15, v13, s10, -v14
	v_rndne_f32_e32 v18, v14
	v_fmac_f32_e32 v15, 0x32a5705f, v13
	v_sub_f32_e32 v14, v14, v18
	v_add_f32_e32 v14, v14, v15
	v_exp_f32_e32 v14, v14
	v_cvt_i32_f32_e32 v15, v18
	v_cmp_ngt_f32_e64 s[8:9], s11, v13
	v_mov_b32_e32 v26, 0x7f800000
	v_ldexp_f32 v14, v14, v15
	v_mul_f32_e32 v15, 0x3fb8aa3b, v12
	v_fma_f32 v18, v12, s10, -v15
	v_rndne_f32_e32 v19, v15
	v_fmac_f32_e32 v18, 0x32a5705f, v12
	v_sub_f32_e32 v15, v15, v19
	v_add_f32_e32 v15, v15, v18
	v_exp_f32_e32 v15, v15
	v_cvt_i32_f32_e32 v18, v19
	v_cndmask_b32_e64 v14, 0, v14, s[8:9]
	v_cmp_nlt_f32_e64 s[8:9], s14, v13
	v_cndmask_b32_e64 v13, v26, v14, s[8:9]
	v_ldexp_f32 v18, v15, v18
	v_pk_add_f32 v[14:15], v[0:1], v[10:11] neg_lo:[0,1] neg_hi:[0,1]
	v_mul_f32_e32 v19, 0x3fb8aa3b, v15
	v_fma_f32 v20, v15, s10, -v19
	v_rndne_f32_e32 v21, v19
	v_fmac_f32_e32 v20, 0x32a5705f, v15
	v_sub_f32_e32 v19, v19, v21
	v_add_f32_e32 v19, v19, v20
	v_exp_f32_e32 v19, v19
	v_cvt_i32_f32_e32 v20, v21
	v_cmp_ngt_f32_e64 s[8:9], s11, v12
	v_cndmask_b32_e64 v18, 0, v18, s[8:9]
	v_cmp_nlt_f32_e64 s[8:9], s14, v12
	v_cndmask_b32_e64 v12, v26, v18, s[8:9]
	v_ldexp_f32 v18, v19, v20
	v_mul_f32_e32 v19, 0x3fb8aa3b, v14
	v_fma_f32 v20, v14, s10, -v19
	v_rndne_f32_e32 v21, v19
	v_fmac_f32_e32 v20, 0x32a5705f, v14
	v_sub_f32_e32 v19, v19, v21
	v_add_f32_e32 v19, v19, v20
	v_exp_f32_e32 v19, v19
	v_cvt_i32_f32_e32 v20, v21
	v_cmp_ngt_f32_e64 s[8:9], s11, v15
	v_cndmask_b32_e64 v18, 0, v18, s[8:9]
	v_cmp_nlt_f32_e64 s[8:9], s14, v15
	v_cndmask_b32_e64 v15, v26, v18, s[8:9]
	v_ldexp_f32 v18, v19, v20
	v_cmp_ngt_f32_e64 s[8:9], s11, v14
	v_cndmask_b32_e64 v20, 0, v18, s[8:9]
	v_pk_add_f32 v[18:19], v[6:7], v[10:11] neg_lo:[0,1] neg_hi:[0,1]
	v_mul_f32_e32 v21, 0x3fb8aa3b, v19
	v_fma_f32 v27, v19, s10, -v21
	v_rndne_f32_e32 v28, v21
	v_fmac_f32_e32 v27, 0x32a5705f, v19
	v_sub_f32_e32 v21, v21, v28
	v_add_f32_e32 v21, v21, v27
	v_exp_f32_e32 v21, v21
	v_cvt_i32_f32_e32 v27, v28
	v_cmp_nlt_f32_e64 s[8:9], s14, v14
	v_cndmask_b32_e64 v14, v26, v20, s[8:9]
	v_pk_add_f32 v[12:13], v[12:13], v[14:15]
	v_mul_f32_e32 v15, 0x3fb8aa3b, v18
	v_ldexp_f32 v14, v21, v27
	v_fma_f32 v20, v18, s10, -v15
	v_rndne_f32_e32 v21, v15
	v_fmac_f32_e32 v20, 0x32a5705f, v18
	v_sub_f32_e32 v15, v15, v21
	v_add_f32_e32 v15, v15, v20
	v_exp_f32_e32 v20, v15
	v_cvt_i32_f32_e32 v21, v21
	v_cmp_ngt_f32_e64 s[8:9], s11, v19
	v_cndmask_b32_e64 v14, 0, v14, s[8:9]
	v_cmp_nlt_f32_e64 s[8:9], s14, v19
	v_cndmask_b32_e64 v15, v26, v14, s[8:9]
	v_ldexp_f32 v14, v20, v21
	v_pk_add_f32 v[20:21], v[2:3], v[10:11] neg_lo:[0,1] neg_hi:[0,1]
	v_mul_f32_e32 v19, 0x3fb8aa3b, v21
	v_fma_f32 v27, v21, s10, -v19
	v_rndne_f32_e32 v28, v19
	v_fmac_f32_e32 v27, 0x32a5705f, v21
	v_sub_f32_e32 v19, v19, v28
	v_add_f32_e32 v19, v19, v27
	v_cmp_ngt_f32_e64 s[8:9], s11, v18
	v_exp_f32_e32 v19, v19
	v_cvt_i32_f32_e32 v27, v28
	v_cndmask_b32_e64 v14, 0, v14, s[8:9]
	v_cmp_nlt_f32_e64 s[8:9], s14, v18
	v_cndmask_b32_e64 v14, v26, v14, s[8:9]
	v_pk_add_f32 v[12:13], v[12:13], v[14:15]
	v_mul_f32_e32 v15, 0x3fb8aa3b, v20
	v_ldexp_f32 v14, v19, v27
	v_fma_f32 v18, v20, s10, -v15
	v_rndne_f32_e32 v19, v15
	v_fmac_f32_e32 v18, 0x32a5705f, v20
	v_sub_f32_e32 v15, v15, v19
	v_add_f32_e32 v15, v15, v18
	v_exp_f32_e32 v18, v15
	v_cvt_i32_f32_e32 v19, v19
	v_cmp_ngt_f32_e64 s[8:9], s11, v21
	v_cndmask_b32_e64 v14, 0, v14, s[8:9]
	v_cmp_nlt_f32_e64 s[8:9], s14, v21
	v_cndmask_b32_e64 v15, v26, v14, s[8:9]
	v_ldexp_f32 v14, v18, v19
	v_cmp_ngt_f32_e64 s[8:9], s11, v20
	v_cndmask_b32_e64 v14, 0, v14, s[8:9]
	v_cmp_nlt_f32_e64 s[8:9], s14, v20
	v_cndmask_b32_e64 v14, v26, v14, s[8:9]
	v_pk_add_f32 v[12:13], v[12:13], v[14:15]
	ds_bpermute_b32 v14, v17, v12
	ds_bpermute_b32 v15, v17, v13
	s_waitcnt lgkmcnt(0)
	v_pk_add_f32 v[12:13], v[12:13], v[14:15]
	ds_bpermute_b32 v14, v22, v12
	ds_bpermute_b32 v15, v22, v13
	s_waitcnt lgkmcnt(0)
	;; [unrolled: 4-line block ×4, first 2 shown]
	v_pk_add_f32 v[12:13], v[12:13], v[14:15]
	ds_bpermute_b32 v14, v25, v12
	ds_bpermute_b32 v15, v25, v13
	s_and_saveexec_b64 s[8:9], s[6:7]
	s_cbranch_execz .LBB85_28
; %bb.17:
	v_mov_b32_e32 v17, s13
	v_add_co_u32_e64 v8, s[6:7], s12, v8
	v_addc_co_u32_e64 v9, s[6:7], v17, v9, s[6:7]
	s_waitcnt lgkmcnt(0)
	v_pk_add_f32 v[12:13], v[12:13], v[14:15]
	s_and_saveexec_b64 s[10:11], s[4:5]
	s_cbranch_execz .LBB85_22
; %bb.18:
	s_mov_b32 s6, 0x800000
	v_mov_b32_e32 v14, 0x4f800000
	v_cmp_gt_f32_e64 s[6:7], s6, v12
	v_cndmask_b32_e64 v14, 1.0, v14, s[6:7]
	v_mul_f32_e32 v12, v12, v14
	v_log_f32_e32 v12, v12
	s_mov_b32 s8, 0x3f317217
	v_sub_f32_e32 v4, v4, v10
	v_mul_f32_e32 v14, 0x3f317217, v12
	v_fma_f32 v15, v12, s8, -v14
	v_fmac_f32_e32 v15, 0x3377d1cf, v12
	s_mov_b32 s8, 0x7f800000
	v_add_f32_e32 v14, v14, v15
	v_cmp_lt_f32_e64 s[8:9], |v12|, s8
	v_cndmask_b32_e64 v12, v12, v14, s[8:9]
	v_mov_b32_e32 v14, 0x41b17218
	v_cndmask_b32_e64 v14, 0, v14, s[6:7]
	v_sub_f32_e32 v12, v12, v14
	v_sub_f32_e32 v4, v4, v12
	v_cvt_f16_f32_e32 v4, v4
	global_store_short v[8:9], v4, off
	s_and_b64 exec, exec, vcc
	s_cbranch_execz .LBB85_22
; %bb.19:
	v_sub_f32_e32 v0, v0, v10
	v_sub_f32_e32 v0, v0, v12
	v_cvt_f16_f32_e32 v0, v0
	global_store_short v[8:9], v0, off offset:64
	s_and_b64 exec, exec, s[0:1]
	s_cbranch_execz .LBB85_22
; %bb.20:
	v_sub_f32_e32 v0, v6, v10
	v_sub_f32_e32 v0, v0, v12
	v_cvt_f16_f32_e32 v0, v0
	global_store_short v[8:9], v0, off offset:128
	s_and_b64 exec, exec, s[2:3]
	s_cbranch_execz .LBB85_22
; %bb.21:
	v_sub_f32_e32 v0, v2, v10
	v_sub_f32_e32 v0, v0, v12
	v_cvt_f16_f32_e32 v0, v0
	global_store_short v[8:9], v0, off offset:192
.LBB85_22:
	s_or_b64 exec, exec, s[10:11]
	v_cmp_ne_u32_e64 s[6:7], 1, v16
	s_and_b64 exec, exec, s[6:7]
	s_cbranch_execz .LBB85_28
; %bb.23:
	s_and_b64 exec, exec, s[4:5]
	s_cbranch_execz .LBB85_28
; %bb.24:
	s_mov_b32 s4, 0x800000
	v_mov_b32_e32 v0, 0x4f800000
	v_cmp_gt_f32_e64 s[4:5], s4, v13
	v_cndmask_b32_e64 v0, 1.0, v0, s[4:5]
	v_mul_f32_e32 v0, v13, v0
	v_log_f32_e32 v0, v0
	s_mov_b32 s6, 0x3f317217
	s_ashr_i32 s19, s18, 31
	v_mul_f32_e32 v2, 0x3f317217, v0
	v_fma_f32 v4, v0, s6, -v2
	v_fmac_f32_e32 v4, 0x3377d1cf, v0
	s_mov_b32 s6, 0x7f800000
	v_add_f32_e32 v2, v2, v4
	v_cmp_lt_f32_e64 s[6:7], |v0|, s6
	v_cndmask_b32_e64 v0, v0, v2, s[6:7]
	v_mov_b32_e32 v2, 0x41b17218
	v_cndmask_b32_e64 v2, 0, v2, s[4:5]
	v_sub_f32_e32 v0, v0, v2
	v_sub_f32_e32 v2, v5, v11
	;; [unrolled: 1-line block ×3, first 2 shown]
	v_cvt_f16_f32_e32 v2, v2
	s_lshl_b64 s[4:5], s[18:19], 1
	v_mov_b32_e32 v5, s5
	v_add_co_u32_e64 v4, s[4:5], s4, v8
	v_addc_co_u32_e64 v5, s[4:5], v9, v5, s[4:5]
	global_store_short v[4:5], v2, off
	s_and_b64 exec, exec, vcc
	s_cbranch_execz .LBB85_28
; %bb.25:
	v_sub_f32_e32 v1, v1, v11
	v_sub_f32_e32 v1, v1, v0
	v_cvt_f16_f32_e32 v1, v1
	global_store_short v[4:5], v1, off offset:64
	s_and_b64 exec, exec, s[0:1]
	s_cbranch_execz .LBB85_28
; %bb.26:
	v_sub_f32_e32 v1, v7, v11
	v_sub_f32_e32 v1, v1, v0
	v_cvt_f16_f32_e32 v1, v1
	global_store_short v[4:5], v1, off offset:128
	s_and_b64 exec, exec, s[2:3]
	s_cbranch_execz .LBB85_28
; %bb.27:
	v_sub_f32_e32 v1, v3, v11
	v_sub_f32_e32 v0, v1, v0
	v_cvt_f16_f32_e32 v0, v0
	global_store_short v[4:5], v0, off offset:192
.LBB85_28:
	s_endpgm
	.section	.rodata,"a",@progbits
	.p2align	6, 0x0
	.amdhsa_kernel _ZN12_GLOBAL__N_120softmax_warp_forwardIN3c104HalfES2_fLi7ELb1ELb0ELi32EEEvPT0_PKT_iiiPKbib
		.amdhsa_group_segment_fixed_size 0
		.amdhsa_private_segment_fixed_size 0
		.amdhsa_kernarg_size 304
		.amdhsa_user_sgpr_count 6
		.amdhsa_user_sgpr_private_segment_buffer 1
		.amdhsa_user_sgpr_dispatch_ptr 0
		.amdhsa_user_sgpr_queue_ptr 0
		.amdhsa_user_sgpr_kernarg_segment_ptr 1
		.amdhsa_user_sgpr_dispatch_id 0
		.amdhsa_user_sgpr_flat_scratch_init 0
		.amdhsa_user_sgpr_kernarg_preload_length 0
		.amdhsa_user_sgpr_kernarg_preload_offset 0
		.amdhsa_user_sgpr_private_segment_size 0
		.amdhsa_uses_dynamic_stack 0
		.amdhsa_system_sgpr_private_segment_wavefront_offset 0
		.amdhsa_system_sgpr_workgroup_id_x 1
		.amdhsa_system_sgpr_workgroup_id_y 0
		.amdhsa_system_sgpr_workgroup_id_z 0
		.amdhsa_system_sgpr_workgroup_info 0
		.amdhsa_system_vgpr_workitem_id 1
		.amdhsa_next_free_vgpr 29
		.amdhsa_next_free_sgpr 20
		.amdhsa_accum_offset 32
		.amdhsa_reserve_vcc 1
		.amdhsa_reserve_flat_scratch 0
		.amdhsa_float_round_mode_32 0
		.amdhsa_float_round_mode_16_64 0
		.amdhsa_float_denorm_mode_32 3
		.amdhsa_float_denorm_mode_16_64 3
		.amdhsa_dx10_clamp 1
		.amdhsa_ieee_mode 1
		.amdhsa_fp16_overflow 0
		.amdhsa_tg_split 0
		.amdhsa_exception_fp_ieee_invalid_op 0
		.amdhsa_exception_fp_denorm_src 0
		.amdhsa_exception_fp_ieee_div_zero 0
		.amdhsa_exception_fp_ieee_overflow 0
		.amdhsa_exception_fp_ieee_underflow 0
		.amdhsa_exception_fp_ieee_inexact 0
		.amdhsa_exception_int_div_zero 0
	.end_amdhsa_kernel
	.section	.text._ZN12_GLOBAL__N_120softmax_warp_forwardIN3c104HalfES2_fLi7ELb1ELb0ELi32EEEvPT0_PKT_iiiPKbib,"axG",@progbits,_ZN12_GLOBAL__N_120softmax_warp_forwardIN3c104HalfES2_fLi7ELb1ELb0ELi32EEEvPT0_PKT_iiiPKbib,comdat
.Lfunc_end85:
	.size	_ZN12_GLOBAL__N_120softmax_warp_forwardIN3c104HalfES2_fLi7ELb1ELb0ELi32EEEvPT0_PKT_iiiPKbib, .Lfunc_end85-_ZN12_GLOBAL__N_120softmax_warp_forwardIN3c104HalfES2_fLi7ELb1ELb0ELi32EEEvPT0_PKT_iiiPKbib
                                        ; -- End function
	.section	.AMDGPU.csdata,"",@progbits
; Kernel info:
; codeLenInByte = 2548
; NumSgprs: 24
; NumVgprs: 29
; NumAgprs: 0
; TotalNumVgprs: 29
; ScratchSize: 0
; MemoryBound: 0
; FloatMode: 240
; IeeeMode: 1
; LDSByteSize: 0 bytes/workgroup (compile time only)
; SGPRBlocks: 2
; VGPRBlocks: 3
; NumSGPRsForWavesPerEU: 24
; NumVGPRsForWavesPerEU: 29
; AccumOffset: 32
; Occupancy: 8
; WaveLimiterHint : 0
; COMPUTE_PGM_RSRC2:SCRATCH_EN: 0
; COMPUTE_PGM_RSRC2:USER_SGPR: 6
; COMPUTE_PGM_RSRC2:TRAP_HANDLER: 0
; COMPUTE_PGM_RSRC2:TGID_X_EN: 1
; COMPUTE_PGM_RSRC2:TGID_Y_EN: 0
; COMPUTE_PGM_RSRC2:TGID_Z_EN: 0
; COMPUTE_PGM_RSRC2:TIDIG_COMP_CNT: 1
; COMPUTE_PGM_RSRC3_GFX90A:ACCUM_OFFSET: 7
; COMPUTE_PGM_RSRC3_GFX90A:TG_SPLIT: 0
	.section	.text._ZN12_GLOBAL__N_120softmax_warp_forwardIN3c104HalfES2_fLi8ELb1ELb0ELi64EEEvPT0_PKT_iiiPKbib,"axG",@progbits,_ZN12_GLOBAL__N_120softmax_warp_forwardIN3c104HalfES2_fLi8ELb1ELb0ELi64EEEvPT0_PKT_iiiPKbib,comdat
	.globl	_ZN12_GLOBAL__N_120softmax_warp_forwardIN3c104HalfES2_fLi8ELb1ELb0ELi64EEEvPT0_PKT_iiiPKbib ; -- Begin function _ZN12_GLOBAL__N_120softmax_warp_forwardIN3c104HalfES2_fLi8ELb1ELb0ELi64EEEvPT0_PKT_iiiPKbib
	.p2align	8
	.type	_ZN12_GLOBAL__N_120softmax_warp_forwardIN3c104HalfES2_fLi8ELb1ELb0ELi64EEEvPT0_PKT_iiiPKbib,@function
_ZN12_GLOBAL__N_120softmax_warp_forwardIN3c104HalfES2_fLi8ELb1ELb0ELi64EEEvPT0_PKT_iiiPKbib: ; @_ZN12_GLOBAL__N_120softmax_warp_forwardIN3c104HalfES2_fLi8ELb1ELb0ELi64EEEvPT0_PKT_iiiPKbib
; %bb.0:
	s_load_dword s0, s[4:5], 0x3c
	s_load_dwordx8 s[8:15], s[4:5], 0x0
	v_bfe_u32 v1, v0, 10, 10
	v_and_b32_e32 v4, 0x3ff, v0
	v_mov_b32_e32 v7, 0xff800000
	s_waitcnt lgkmcnt(0)
	s_lshr_b32 s0, s0, 16
	s_mul_i32 s6, s6, s0
	v_add_u32_e32 v1, s6, v1
	v_sub_u32_e32 v5, s12, v1
	v_mad_u64_u32 v[0:1], s[0:1], v1, s13, v[4:5]
	v_ashrrev_i32_e32 v1, 31, v0
	v_lshlrev_b64 v[0:1], 1, v[0:1]
	v_mov_b32_e32 v3, s11
	v_add_co_u32_e32 v2, vcc, s10, v0
	v_cmp_lt_i32_e64 s[6:7], 0, v5
	v_cmp_gt_i32_e64 s[4:5], s14, v4
	v_addc_co_u32_e32 v3, vcc, v3, v1, vcc
	s_and_b64 s[2:3], s[6:7], s[4:5]
	v_mov_b32_e32 v9, 0xff800000
	s_and_saveexec_b64 s[0:1], s[2:3]
	s_cbranch_execz .LBB86_2
; %bb.1:
	global_load_ushort v6, v[2:3], off
	s_waitcnt vmcnt(0)
	v_cvt_f32_f16_e32 v9, v6
.LBB86_2:
	s_or_b64 exec, exec, s[0:1]
	v_add_u32_e32 v6, 64, v4
	v_cmp_gt_i32_e32 vcc, s14, v6
	s_and_b64 s[2:3], s[6:7], vcc
	s_and_saveexec_b64 s[0:1], s[2:3]
	s_cbranch_execz .LBB86_4
; %bb.3:
	global_load_ushort v6, v[2:3], off offset:128
	s_waitcnt vmcnt(0)
	v_cvt_f32_f16_e32 v7, v6
.LBB86_4:
	s_or_b64 exec, exec, s[0:1]
	v_add_u32_e32 v6, 0x80, v4
	v_cmp_gt_i32_e64 s[0:1], s14, v6
	s_and_b64 s[10:11], s[6:7], s[0:1]
	v_mov_b32_e32 v6, 0xff800000
	v_mov_b32_e32 v8, 0xff800000
	s_and_saveexec_b64 s[2:3], s[10:11]
	s_cbranch_execz .LBB86_6
; %bb.5:
	global_load_ushort v8, v[2:3], off offset:256
	s_waitcnt vmcnt(0)
	v_cvt_f32_f16_e32 v8, v8
.LBB86_6:
	s_or_b64 exec, exec, s[2:3]
	v_add_u32_e32 v4, 0xc0, v4
	v_cmp_gt_i32_e64 s[2:3], s14, v4
	s_and_b64 s[10:11], s[6:7], s[2:3]
	s_and_saveexec_b64 s[6:7], s[10:11]
	s_cbranch_execz .LBB86_8
; %bb.7:
	global_load_ushort v2, v[2:3], off offset:384
	s_waitcnt vmcnt(0)
	v_cvt_f32_f16_e32 v6, v2
.LBB86_8:
	s_or_b64 exec, exec, s[6:7]
	v_cmp_gt_f32_e64 s[6:7], v9, v7
	v_cndmask_b32_e64 v2, v7, v9, s[6:7]
	v_mbcnt_lo_u32_b32 v3, -1, 0
	v_cmp_gt_f32_e64 s[6:7], v2, v8
	v_mbcnt_hi_u32_b32 v3, -1, v3
	v_cndmask_b32_e64 v2, v8, v2, s[6:7]
	v_and_b32_e32 v4, 64, v3
	v_cmp_gt_f32_e64 s[6:7], v2, v6
	v_add_u32_e32 v4, 64, v4
	v_xor_b32_e32 v10, 32, v3
	v_cndmask_b32_e64 v2, v6, v2, s[6:7]
	v_cmp_lt_i32_e64 s[6:7], v10, v4
	v_cndmask_b32_e64 v10, v3, v10, s[6:7]
	v_lshlrev_b32_e32 v10, 2, v10
	ds_bpermute_b32 v11, v10, v2
	s_mov_b32 s10, 0x3fb8aa3b
	s_mov_b32 s11, 0xc2ce8ed0
	;; [unrolled: 1-line block ×3, first 2 shown]
	s_waitcnt lgkmcnt(0)
	v_cmp_lt_f32_e64 s[6:7], v2, v11
	v_cndmask_b32_e64 v2, v2, v11, s[6:7]
	v_xor_b32_e32 v11, 16, v3
	v_cmp_lt_i32_e64 s[6:7], v11, v4
	v_cndmask_b32_e64 v11, v3, v11, s[6:7]
	v_lshlrev_b32_e32 v11, 2, v11
	ds_bpermute_b32 v12, v11, v2
	s_waitcnt lgkmcnt(0)
	v_cmp_lt_f32_e64 s[6:7], v2, v12
	v_cndmask_b32_e64 v2, v2, v12, s[6:7]
	v_xor_b32_e32 v12, 8, v3
	v_cmp_lt_i32_e64 s[6:7], v12, v4
	v_cndmask_b32_e64 v12, v3, v12, s[6:7]
	v_lshlrev_b32_e32 v12, 2, v12
	ds_bpermute_b32 v13, v12, v2
	;; [unrolled: 8-line block ×5, first 2 shown]
	s_waitcnt lgkmcnt(0)
	v_cmp_lt_f32_e64 s[6:7], v2, v3
	v_cndmask_b32_e64 v16, v2, v3, s[6:7]
	v_sub_f32_e32 v2, v9, v16
	v_mul_f32_e32 v3, 0x3fb8aa3b, v2
	v_fma_f32 v4, v2, s10, -v3
	v_rndne_f32_e32 v9, v3
	v_fmac_f32_e32 v4, 0x32a5705f, v2
	v_sub_f32_e32 v3, v3, v9
	v_add_f32_e32 v3, v3, v4
	v_exp_f32_e32 v3, v3
	v_cvt_i32_f32_e32 v4, v9
	v_cmp_ngt_f32_e64 s[6:7], s11, v2
	v_sub_f32_e32 v6, v6, v16
	v_ldexp_f32 v3, v3, v4
	v_cndmask_b32_e64 v4, 0, v3, s[6:7]
	v_sub_f32_e32 v3, v7, v16
	v_mul_f32_e32 v7, 0x3fb8aa3b, v3
	v_fma_f32 v9, v3, s10, -v7
	v_rndne_f32_e32 v17, v7
	v_fmac_f32_e32 v9, 0x32a5705f, v3
	v_sub_f32_e32 v7, v7, v17
	v_add_f32_e32 v7, v7, v9
	v_exp_f32_e32 v7, v7
	v_cvt_i32_f32_e32 v9, v17
	v_mov_b32_e32 v17, 0x7f800000
	v_cmp_nlt_f32_e64 s[6:7], s12, v2
	v_cndmask_b32_e64 v18, v17, v4, s[6:7]
	v_ldexp_f32 v4, v7, v9
	v_cmp_ngt_f32_e64 s[6:7], s11, v3
	v_cndmask_b32_e64 v7, 0, v4, s[6:7]
	v_sub_f32_e32 v4, v8, v16
	v_mul_f32_e32 v8, 0x3fb8aa3b, v4
	v_fma_f32 v9, v4, s10, -v8
	v_rndne_f32_e32 v19, v8
	v_fmac_f32_e32 v9, 0x32a5705f, v4
	v_sub_f32_e32 v8, v8, v19
	v_add_f32_e32 v8, v8, v9
	v_exp_f32_e32 v8, v8
	v_cvt_i32_f32_e32 v9, v19
	v_cmp_nlt_f32_e64 s[6:7], s12, v3
	v_cndmask_b32_e64 v7, v17, v7, s[6:7]
	v_add_f32_e32 v7, v18, v7
	v_ldexp_f32 v8, v8, v9
	v_mul_f32_e32 v9, 0x3fb8aa3b, v6
	v_fma_f32 v16, v6, s10, -v9
	v_rndne_f32_e32 v18, v9
	v_fmac_f32_e32 v16, 0x32a5705f, v6
	v_sub_f32_e32 v9, v9, v18
	v_add_f32_e32 v9, v9, v16
	v_exp_f32_e32 v9, v9
	v_cvt_i32_f32_e32 v16, v18
	v_cmp_ngt_f32_e64 s[6:7], s11, v4
	v_cndmask_b32_e64 v8, 0, v8, s[6:7]
	v_cmp_nlt_f32_e64 s[6:7], s12, v4
	v_cndmask_b32_e64 v8, v17, v8, s[6:7]
	v_add_f32_e32 v7, v7, v8
	v_ldexp_f32 v8, v9, v16
	v_cmp_ngt_f32_e64 s[6:7], s11, v6
	v_cndmask_b32_e64 v8, 0, v8, s[6:7]
	v_cmp_nlt_f32_e64 s[6:7], s12, v6
	v_cndmask_b32_e64 v8, v17, v8, s[6:7]
	v_add_f32_e32 v7, v7, v8
	ds_bpermute_b32 v8, v10, v7
	v_cmp_lt_i32_e64 s[6:7], 0, v5
	s_waitcnt lgkmcnt(0)
	v_add_f32_e32 v7, v7, v8
	ds_bpermute_b32 v8, v11, v7
	s_waitcnt lgkmcnt(0)
	v_add_f32_e32 v7, v7, v8
	ds_bpermute_b32 v8, v12, v7
	;; [unrolled: 3-line block ×5, first 2 shown]
	s_and_saveexec_b64 s[10:11], s[6:7]
	s_cbranch_execz .LBB86_14
; %bb.9:
	s_and_b64 exec, exec, s[4:5]
	s_cbranch_execz .LBB86_14
; %bb.10:
	s_waitcnt lgkmcnt(0)
	v_add_f32_e32 v5, v7, v8
	s_mov_b32 s4, 0x800000
	v_mov_b32_e32 v7, 0x4f800000
	v_cmp_gt_f32_e64 s[4:5], s4, v5
	v_cndmask_b32_e64 v7, 1.0, v7, s[4:5]
	v_mul_f32_e32 v5, v5, v7
	v_log_f32_e32 v5, v5
	s_mov_b32 s6, 0x3f317217
	v_mul_f32_e32 v7, 0x3f317217, v5
	v_fma_f32 v8, v5, s6, -v7
	v_fmac_f32_e32 v8, 0x3377d1cf, v5
	s_mov_b32 s6, 0x7f800000
	v_add_f32_e32 v7, v7, v8
	v_cmp_lt_f32_e64 s[6:7], |v5|, s6
	v_cndmask_b32_e64 v5, v5, v7, s[6:7]
	v_mov_b32_e32 v7, 0x41b17218
	v_cndmask_b32_e64 v7, 0, v7, s[4:5]
	v_sub_f32_e32 v5, v5, v7
	v_sub_f32_e32 v2, v2, v5
	v_cvt_f16_f32_e32 v2, v2
	v_mov_b32_e32 v7, s9
	v_add_co_u32_e64 v0, s[4:5], s8, v0
	v_addc_co_u32_e64 v1, s[4:5], v7, v1, s[4:5]
	global_store_short v[0:1], v2, off
	s_and_b64 exec, exec, vcc
	s_cbranch_execz .LBB86_14
; %bb.11:
	v_sub_f32_e32 v2, v3, v5
	v_cvt_f16_f32_e32 v2, v2
	global_store_short v[0:1], v2, off offset:128
	s_and_b64 exec, exec, s[0:1]
	s_cbranch_execz .LBB86_14
; %bb.12:
	v_sub_f32_e32 v2, v4, v5
	v_cvt_f16_f32_e32 v2, v2
	global_store_short v[0:1], v2, off offset:256
	s_and_b64 exec, exec, s[2:3]
	s_cbranch_execz .LBB86_14
; %bb.13:
	v_sub_f32_e32 v2, v6, v5
	v_cvt_f16_f32_e32 v2, v2
	global_store_short v[0:1], v2, off offset:384
.LBB86_14:
	s_endpgm
	.section	.rodata,"a",@progbits
	.p2align	6, 0x0
	.amdhsa_kernel _ZN12_GLOBAL__N_120softmax_warp_forwardIN3c104HalfES2_fLi8ELb1ELb0ELi64EEEvPT0_PKT_iiiPKbib
		.amdhsa_group_segment_fixed_size 0
		.amdhsa_private_segment_fixed_size 0
		.amdhsa_kernarg_size 304
		.amdhsa_user_sgpr_count 6
		.amdhsa_user_sgpr_private_segment_buffer 1
		.amdhsa_user_sgpr_dispatch_ptr 0
		.amdhsa_user_sgpr_queue_ptr 0
		.amdhsa_user_sgpr_kernarg_segment_ptr 1
		.amdhsa_user_sgpr_dispatch_id 0
		.amdhsa_user_sgpr_flat_scratch_init 0
		.amdhsa_user_sgpr_kernarg_preload_length 0
		.amdhsa_user_sgpr_kernarg_preload_offset 0
		.amdhsa_user_sgpr_private_segment_size 0
		.amdhsa_uses_dynamic_stack 0
		.amdhsa_system_sgpr_private_segment_wavefront_offset 0
		.amdhsa_system_sgpr_workgroup_id_x 1
		.amdhsa_system_sgpr_workgroup_id_y 0
		.amdhsa_system_sgpr_workgroup_id_z 0
		.amdhsa_system_sgpr_workgroup_info 0
		.amdhsa_system_vgpr_workitem_id 1
		.amdhsa_next_free_vgpr 20
		.amdhsa_next_free_sgpr 16
		.amdhsa_accum_offset 20
		.amdhsa_reserve_vcc 1
		.amdhsa_reserve_flat_scratch 0
		.amdhsa_float_round_mode_32 0
		.amdhsa_float_round_mode_16_64 0
		.amdhsa_float_denorm_mode_32 3
		.amdhsa_float_denorm_mode_16_64 3
		.amdhsa_dx10_clamp 1
		.amdhsa_ieee_mode 1
		.amdhsa_fp16_overflow 0
		.amdhsa_tg_split 0
		.amdhsa_exception_fp_ieee_invalid_op 0
		.amdhsa_exception_fp_denorm_src 0
		.amdhsa_exception_fp_ieee_div_zero 0
		.amdhsa_exception_fp_ieee_overflow 0
		.amdhsa_exception_fp_ieee_underflow 0
		.amdhsa_exception_fp_ieee_inexact 0
		.amdhsa_exception_int_div_zero 0
	.end_amdhsa_kernel
	.section	.text._ZN12_GLOBAL__N_120softmax_warp_forwardIN3c104HalfES2_fLi8ELb1ELb0ELi64EEEvPT0_PKT_iiiPKbib,"axG",@progbits,_ZN12_GLOBAL__N_120softmax_warp_forwardIN3c104HalfES2_fLi8ELb1ELb0ELi64EEEvPT0_PKT_iiiPKbib,comdat
.Lfunc_end86:
	.size	_ZN12_GLOBAL__N_120softmax_warp_forwardIN3c104HalfES2_fLi8ELb1ELb0ELi64EEEvPT0_PKT_iiiPKbib, .Lfunc_end86-_ZN12_GLOBAL__N_120softmax_warp_forwardIN3c104HalfES2_fLi8ELb1ELb0ELi64EEEvPT0_PKT_iiiPKbib
                                        ; -- End function
	.section	.AMDGPU.csdata,"",@progbits
; Kernel info:
; codeLenInByte = 1432
; NumSgprs: 20
; NumVgprs: 20
; NumAgprs: 0
; TotalNumVgprs: 20
; ScratchSize: 0
; MemoryBound: 0
; FloatMode: 240
; IeeeMode: 1
; LDSByteSize: 0 bytes/workgroup (compile time only)
; SGPRBlocks: 2
; VGPRBlocks: 2
; NumSGPRsForWavesPerEU: 20
; NumVGPRsForWavesPerEU: 20
; AccumOffset: 20
; Occupancy: 8
; WaveLimiterHint : 0
; COMPUTE_PGM_RSRC2:SCRATCH_EN: 0
; COMPUTE_PGM_RSRC2:USER_SGPR: 6
; COMPUTE_PGM_RSRC2:TRAP_HANDLER: 0
; COMPUTE_PGM_RSRC2:TGID_X_EN: 1
; COMPUTE_PGM_RSRC2:TGID_Y_EN: 0
; COMPUTE_PGM_RSRC2:TGID_Z_EN: 0
; COMPUTE_PGM_RSRC2:TIDIG_COMP_CNT: 1
; COMPUTE_PGM_RSRC3_GFX90A:ACCUM_OFFSET: 4
; COMPUTE_PGM_RSRC3_GFX90A:TG_SPLIT: 0
	.section	.text._ZN12_GLOBAL__N_120softmax_warp_forwardIN3c104HalfES2_fLi8ELb1ELb0ELi32EEEvPT0_PKT_iiiPKbib,"axG",@progbits,_ZN12_GLOBAL__N_120softmax_warp_forwardIN3c104HalfES2_fLi8ELb1ELb0ELi32EEEvPT0_PKT_iiiPKbib,comdat
	.globl	_ZN12_GLOBAL__N_120softmax_warp_forwardIN3c104HalfES2_fLi8ELb1ELb0ELi32EEEvPT0_PKT_iiiPKbib ; -- Begin function _ZN12_GLOBAL__N_120softmax_warp_forwardIN3c104HalfES2_fLi8ELb1ELb0ELi32EEEvPT0_PKT_iiiPKbib
	.p2align	8
	.type	_ZN12_GLOBAL__N_120softmax_warp_forwardIN3c104HalfES2_fLi8ELb1ELb0ELi32EEEvPT0_PKT_iiiPKbib,@function
_ZN12_GLOBAL__N_120softmax_warp_forwardIN3c104HalfES2_fLi8ELb1ELb0ELi32EEEvPT0_PKT_iiiPKbib: ; @_ZN12_GLOBAL__N_120softmax_warp_forwardIN3c104HalfES2_fLi8ELb1ELb0ELi32EEEvPT0_PKT_iiiPKbib
; %bb.0:
	s_load_dword s0, s[4:5], 0x3c
	s_load_dwordx8 s[16:23], s[4:5], 0x0
	v_bfe_u32 v1, v0, 10, 10
	v_and_b32_e32 v4, 0x3ff, v0
	v_mov_b32_e32 v9, 0xff800000
	s_waitcnt lgkmcnt(0)
	s_lshr_b32 s0, s0, 16
	s_mul_i32 s6, s6, s0
	v_add_u32_e32 v1, s6, v1
	v_sub_u32_e32 v5, s20, v1
	v_mad_u64_u32 v[0:1], s[0:1], v1, s21, v[4:5]
	v_ashrrev_i32_e32 v1, 31, v0
	v_lshlrev_b64 v[0:1], 1, v[0:1]
	v_mov_b32_e32 v3, s19
	v_add_co_u32_e32 v2, vcc, s18, v0
	v_cmp_lt_i32_e64 s[14:15], 0, v5
	v_cmp_gt_i32_e64 s[4:5], s22, v4
	v_addc_co_u32_e32 v3, vcc, v3, v1, vcc
	s_and_b64 s[2:3], s[14:15], s[4:5]
	v_mov_b32_e32 v13, 0xff800000
	s_and_saveexec_b64 s[0:1], s[2:3]
	s_cbranch_execz .LBB87_2
; %bb.1:
	global_load_ushort v6, v[2:3], off
	s_waitcnt vmcnt(0)
	v_cvt_f32_f16_e32 v13, v6
.LBB87_2:
	s_or_b64 exec, exec, s[0:1]
	v_add_u32_e32 v6, 32, v4
	v_cmp_gt_i32_e32 vcc, s22, v6
	s_and_b64 s[2:3], s[14:15], vcc
	s_and_saveexec_b64 s[0:1], s[2:3]
	s_cbranch_execz .LBB87_4
; %bb.3:
	global_load_ushort v6, v[2:3], off offset:64
	s_waitcnt vmcnt(0)
	v_cvt_f32_f16_e32 v9, v6
.LBB87_4:
	s_or_b64 exec, exec, s[0:1]
	v_add_u32_e32 v6, 64, v4
	v_cmp_gt_i32_e64 s[0:1], s22, v6
	s_and_b64 s[6:7], s[14:15], s[0:1]
	v_mov_b32_e32 v8, 0xff800000
	v_mov_b32_e32 v12, 0xff800000
	s_and_saveexec_b64 s[2:3], s[6:7]
	s_cbranch_execz .LBB87_6
; %bb.5:
	global_load_ushort v6, v[2:3], off offset:128
	s_waitcnt vmcnt(0)
	v_cvt_f32_f16_e32 v12, v6
.LBB87_6:
	s_or_b64 exec, exec, s[2:3]
	v_add_u32_e32 v6, 0x60, v4
	v_cmp_gt_i32_e64 s[2:3], s22, v6
	s_and_b64 s[8:9], s[14:15], s[2:3]
	s_and_saveexec_b64 s[6:7], s[8:9]
	s_cbranch_execz .LBB87_8
; %bb.7:
	global_load_ushort v6, v[2:3], off offset:192
	s_waitcnt vmcnt(0)
	v_cvt_f32_f16_e32 v8, v6
.LBB87_8:
	s_or_b64 exec, exec, s[6:7]
	v_add_u32_e32 v6, 0x80, v4
	v_cmp_gt_i32_e64 s[6:7], s22, v6
	s_and_b64 s[10:11], s[14:15], s[6:7]
	v_mov_b32_e32 v7, 0xff800000
	v_mov_b32_e32 v11, 0xff800000
	s_and_saveexec_b64 s[8:9], s[10:11]
	s_cbranch_execz .LBB87_10
; %bb.9:
	global_load_ushort v6, v[2:3], off offset:256
	s_waitcnt vmcnt(0)
	v_cvt_f32_f16_e32 v11, v6
.LBB87_10:
	s_or_b64 exec, exec, s[8:9]
	v_add_u32_e32 v6, 0xa0, v4
	v_cmp_gt_i32_e64 s[8:9], s22, v6
	s_and_b64 s[12:13], s[14:15], s[8:9]
	;; [unrolled: 24-line block ×3, first 2 shown]
	s_and_saveexec_b64 s[14:15], s[18:19]
	s_cbranch_execz .LBB87_16
; %bb.15:
	global_load_ushort v2, v[2:3], off offset:448
	s_waitcnt vmcnt(0)
	v_cvt_f32_f16_e32 v6, v2
.LBB87_16:
	s_or_b64 exec, exec, s[14:15]
	v_cmp_gt_f32_e64 s[14:15], v13, v9
	v_cndmask_b32_e64 v2, v9, v13, s[14:15]
	v_cmp_gt_f32_e64 s[14:15], v2, v12
	v_cndmask_b32_e64 v2, v12, v2, s[14:15]
	v_cmp_gt_f32_e64 s[14:15], v2, v8
	v_cndmask_b32_e64 v2, v8, v2, s[14:15]
	v_cmp_gt_f32_e64 s[14:15], v2, v11
	v_cndmask_b32_e64 v2, v11, v2, s[14:15]
	v_cmp_gt_f32_e64 s[14:15], v2, v7
	v_cndmask_b32_e64 v2, v7, v2, s[14:15]
	v_mbcnt_lo_u32_b32 v3, -1, 0
	v_cmp_gt_f32_e64 s[14:15], v2, v10
	v_mbcnt_hi_u32_b32 v3, -1, v3
	v_cndmask_b32_e64 v2, v10, v2, s[14:15]
	v_and_b32_e32 v4, 0x60, v3
	v_cmp_gt_f32_e64 s[14:15], v2, v6
	v_add_u32_e32 v4, 32, v4
	v_xor_b32_e32 v14, 16, v3
	v_cndmask_b32_e64 v2, v6, v2, s[14:15]
	v_cmp_lt_i32_e64 s[14:15], v14, v4
	v_cndmask_b32_e64 v14, v3, v14, s[14:15]
	v_lshlrev_b32_e32 v14, 2, v14
	ds_bpermute_b32 v15, v14, v2
	s_mov_b32 s18, 0x3fb8aa3b
	s_mov_b32 s19, 0xc2ce8ed0
	;; [unrolled: 1-line block ×3, first 2 shown]
	s_waitcnt lgkmcnt(0)
	v_cmp_lt_f32_e64 s[14:15], v2, v15
	v_cndmask_b32_e64 v2, v2, v15, s[14:15]
	v_xor_b32_e32 v15, 8, v3
	v_cmp_lt_i32_e64 s[14:15], v15, v4
	v_cndmask_b32_e64 v15, v3, v15, s[14:15]
	v_lshlrev_b32_e32 v15, 2, v15
	ds_bpermute_b32 v16, v15, v2
	s_waitcnt lgkmcnt(0)
	v_cmp_lt_f32_e64 s[14:15], v2, v16
	v_cndmask_b32_e64 v2, v2, v16, s[14:15]
	v_xor_b32_e32 v16, 4, v3
	v_cmp_lt_i32_e64 s[14:15], v16, v4
	v_cndmask_b32_e64 v16, v3, v16, s[14:15]
	v_lshlrev_b32_e32 v16, 2, v16
	ds_bpermute_b32 v17, v16, v2
	;; [unrolled: 8-line block ×4, first 2 shown]
	s_waitcnt lgkmcnt(0)
	v_cmp_lt_f32_e64 s[14:15], v2, v3
	v_cndmask_b32_e64 v19, v2, v3, s[14:15]
	v_sub_f32_e32 v2, v13, v19
	v_mul_f32_e32 v3, 0x3fb8aa3b, v2
	v_fma_f32 v4, v2, s18, -v3
	v_rndne_f32_e32 v13, v3
	v_fmac_f32_e32 v4, 0x32a5705f, v2
	v_sub_f32_e32 v3, v3, v13
	v_add_f32_e32 v3, v3, v4
	v_exp_f32_e32 v3, v3
	v_cvt_i32_f32_e32 v4, v13
	v_cmp_ngt_f32_e64 s[14:15], s19, v2
	v_sub_f32_e32 v8, v8, v19
	v_sub_f32_e32 v7, v7, v19
	v_ldexp_f32 v3, v3, v4
	v_cndmask_b32_e64 v4, 0, v3, s[14:15]
	v_sub_f32_e32 v3, v9, v19
	v_mul_f32_e32 v9, 0x3fb8aa3b, v3
	v_fma_f32 v13, v3, s18, -v9
	v_rndne_f32_e32 v20, v9
	v_fmac_f32_e32 v13, 0x32a5705f, v3
	v_sub_f32_e32 v9, v9, v20
	v_add_f32_e32 v9, v9, v13
	v_exp_f32_e32 v9, v9
	v_cvt_i32_f32_e32 v13, v20
	v_mov_b32_e32 v20, 0x7f800000
	v_cmp_nlt_f32_e64 s[14:15], s20, v2
	v_cndmask_b32_e64 v21, v20, v4, s[14:15]
	v_ldexp_f32 v4, v9, v13
	v_cmp_ngt_f32_e64 s[14:15], s19, v3
	v_cndmask_b32_e64 v9, 0, v4, s[14:15]
	v_sub_f32_e32 v4, v12, v19
	v_mul_f32_e32 v12, 0x3fb8aa3b, v4
	v_fma_f32 v13, v4, s18, -v12
	v_rndne_f32_e32 v22, v12
	v_fmac_f32_e32 v13, 0x32a5705f, v4
	v_sub_f32_e32 v12, v12, v22
	v_add_f32_e32 v12, v12, v13
	v_exp_f32_e32 v12, v12
	v_cvt_i32_f32_e32 v13, v22
	v_cmp_nlt_f32_e64 s[14:15], s20, v3
	v_cndmask_b32_e64 v9, v20, v9, s[14:15]
	v_add_f32_e32 v9, v21, v9
	v_ldexp_f32 v12, v12, v13
	v_mul_f32_e32 v13, 0x3fb8aa3b, v8
	v_fma_f32 v21, v8, s18, -v13
	v_rndne_f32_e32 v22, v13
	v_fmac_f32_e32 v21, 0x32a5705f, v8
	v_sub_f32_e32 v13, v13, v22
	v_add_f32_e32 v13, v13, v21
	v_exp_f32_e32 v13, v13
	v_cvt_i32_f32_e32 v21, v22
	v_cmp_ngt_f32_e64 s[14:15], s19, v4
	v_cndmask_b32_e64 v12, 0, v12, s[14:15]
	v_cmp_nlt_f32_e64 s[14:15], s20, v4
	v_cndmask_b32_e64 v12, v20, v12, s[14:15]
	v_add_f32_e32 v12, v9, v12
	v_ldexp_f32 v9, v13, v21
	v_cmp_ngt_f32_e64 s[14:15], s19, v8
	v_cndmask_b32_e64 v13, 0, v9, s[14:15]
	v_sub_f32_e32 v9, v11, v19
	v_mul_f32_e32 v11, 0x3fb8aa3b, v9
	v_fma_f32 v21, v9, s18, -v11
	v_rndne_f32_e32 v22, v11
	v_fmac_f32_e32 v21, 0x32a5705f, v9
	v_sub_f32_e32 v11, v11, v22
	v_add_f32_e32 v11, v11, v21
	v_exp_f32_e32 v11, v11
	v_cvt_i32_f32_e32 v21, v22
	v_cmp_nlt_f32_e64 s[14:15], s20, v8
	v_cndmask_b32_e64 v13, v20, v13, s[14:15]
	v_add_f32_e32 v12, v12, v13
	v_mul_f32_e32 v13, 0x3fb8aa3b, v7
	v_ldexp_f32 v11, v11, v21
	v_fma_f32 v21, v7, s18, -v13
	v_rndne_f32_e32 v22, v13
	v_fmac_f32_e32 v21, 0x32a5705f, v7
	v_sub_f32_e32 v13, v13, v22
	v_add_f32_e32 v13, v13, v21
	v_exp_f32_e32 v13, v13
	v_cvt_i32_f32_e32 v21, v22
	v_cmp_ngt_f32_e64 s[14:15], s19, v9
	v_cndmask_b32_e64 v11, 0, v11, s[14:15]
	v_cmp_nlt_f32_e64 s[14:15], s20, v9
	v_cndmask_b32_e64 v11, v20, v11, s[14:15]
	v_sub_f32_e32 v10, v10, v19
	v_add_f32_e32 v11, v12, v11
	v_ldexp_f32 v12, v13, v21
	v_mul_f32_e32 v13, 0x3fb8aa3b, v10
	v_fma_f32 v21, v10, s18, -v13
	v_rndne_f32_e32 v22, v13
	v_fmac_f32_e32 v21, 0x32a5705f, v10
	v_sub_f32_e32 v13, v13, v22
	v_add_f32_e32 v13, v13, v21
	v_exp_f32_e32 v13, v13
	v_cvt_i32_f32_e32 v21, v22
	v_cmp_ngt_f32_e64 s[14:15], s19, v7
	v_cndmask_b32_e64 v12, 0, v12, s[14:15]
	v_cmp_nlt_f32_e64 s[14:15], s20, v7
	v_cndmask_b32_e64 v12, v20, v12, s[14:15]
	v_sub_f32_e32 v6, v6, v19
	v_add_f32_e32 v11, v11, v12
	v_ldexp_f32 v12, v13, v21
	v_mul_f32_e32 v13, 0x3fb8aa3b, v6
	v_fma_f32 v19, v6, s18, -v13
	v_rndne_f32_e32 v21, v13
	v_fmac_f32_e32 v19, 0x32a5705f, v6
	v_sub_f32_e32 v13, v13, v21
	v_add_f32_e32 v13, v13, v19
	v_exp_f32_e32 v13, v13
	v_cvt_i32_f32_e32 v19, v21
	v_cmp_ngt_f32_e64 s[14:15], s19, v10
	v_cndmask_b32_e64 v12, 0, v12, s[14:15]
	v_cmp_nlt_f32_e64 s[14:15], s20, v10
	v_cndmask_b32_e64 v12, v20, v12, s[14:15]
	v_add_f32_e32 v11, v11, v12
	v_ldexp_f32 v12, v13, v19
	v_cmp_ngt_f32_e64 s[14:15], s19, v6
	v_cndmask_b32_e64 v12, 0, v12, s[14:15]
	v_cmp_nlt_f32_e64 s[14:15], s20, v6
	v_cndmask_b32_e64 v12, v20, v12, s[14:15]
	v_add_f32_e32 v11, v11, v12
	ds_bpermute_b32 v12, v14, v11
	v_cmp_lt_i32_e64 s[14:15], 0, v5
	s_waitcnt lgkmcnt(0)
	v_add_f32_e32 v11, v11, v12
	ds_bpermute_b32 v12, v15, v11
	s_waitcnt lgkmcnt(0)
	v_add_f32_e32 v11, v11, v12
	ds_bpermute_b32 v12, v16, v11
	;; [unrolled: 3-line block ×4, first 2 shown]
	s_and_saveexec_b64 s[18:19], s[14:15]
	s_cbranch_execz .LBB87_26
; %bb.17:
	s_and_b64 exec, exec, s[4:5]
	s_cbranch_execz .LBB87_26
; %bb.18:
	s_waitcnt lgkmcnt(0)
	v_add_f32_e32 v5, v11, v12
	s_mov_b32 s4, 0x800000
	v_mov_b32_e32 v11, 0x4f800000
	v_cmp_gt_f32_e64 s[4:5], s4, v5
	v_cndmask_b32_e64 v11, 1.0, v11, s[4:5]
	v_mul_f32_e32 v5, v5, v11
	v_log_f32_e32 v5, v5
	s_mov_b32 s14, 0x3f317217
	v_mul_f32_e32 v11, 0x3f317217, v5
	v_fma_f32 v12, v5, s14, -v11
	v_fmac_f32_e32 v12, 0x3377d1cf, v5
	s_mov_b32 s14, 0x7f800000
	v_add_f32_e32 v11, v11, v12
	v_cmp_lt_f32_e64 s[14:15], |v5|, s14
	v_cndmask_b32_e64 v5, v5, v11, s[14:15]
	v_mov_b32_e32 v11, 0x41b17218
	v_cndmask_b32_e64 v11, 0, v11, s[4:5]
	v_sub_f32_e32 v5, v5, v11
	v_sub_f32_e32 v2, v2, v5
	v_cvt_f16_f32_e32 v2, v2
	v_mov_b32_e32 v11, s17
	v_add_co_u32_e64 v0, s[4:5], s16, v0
	v_addc_co_u32_e64 v1, s[4:5], v11, v1, s[4:5]
	global_store_short v[0:1], v2, off
	s_and_b64 exec, exec, vcc
	s_cbranch_execz .LBB87_26
; %bb.19:
	v_sub_f32_e32 v2, v3, v5
	v_cvt_f16_f32_e32 v2, v2
	global_store_short v[0:1], v2, off offset:64
	s_and_b64 exec, exec, s[0:1]
	s_cbranch_execz .LBB87_26
; %bb.20:
	v_sub_f32_e32 v2, v4, v5
	v_cvt_f16_f32_e32 v2, v2
	global_store_short v[0:1], v2, off offset:128
	s_and_b64 exec, exec, s[2:3]
	;; [unrolled: 6-line block ×6, first 2 shown]
	s_cbranch_execz .LBB87_26
; %bb.25:
	v_sub_f32_e32 v2, v6, v5
	v_cvt_f16_f32_e32 v2, v2
	global_store_short v[0:1], v2, off offset:448
.LBB87_26:
	s_endpgm
	.section	.rodata,"a",@progbits
	.p2align	6, 0x0
	.amdhsa_kernel _ZN12_GLOBAL__N_120softmax_warp_forwardIN3c104HalfES2_fLi8ELb1ELb0ELi32EEEvPT0_PKT_iiiPKbib
		.amdhsa_group_segment_fixed_size 0
		.amdhsa_private_segment_fixed_size 0
		.amdhsa_kernarg_size 304
		.amdhsa_user_sgpr_count 6
		.amdhsa_user_sgpr_private_segment_buffer 1
		.amdhsa_user_sgpr_dispatch_ptr 0
		.amdhsa_user_sgpr_queue_ptr 0
		.amdhsa_user_sgpr_kernarg_segment_ptr 1
		.amdhsa_user_sgpr_dispatch_id 0
		.amdhsa_user_sgpr_flat_scratch_init 0
		.amdhsa_user_sgpr_kernarg_preload_length 0
		.amdhsa_user_sgpr_kernarg_preload_offset 0
		.amdhsa_user_sgpr_private_segment_size 0
		.amdhsa_uses_dynamic_stack 0
		.amdhsa_system_sgpr_private_segment_wavefront_offset 0
		.amdhsa_system_sgpr_workgroup_id_x 1
		.amdhsa_system_sgpr_workgroup_id_y 0
		.amdhsa_system_sgpr_workgroup_id_z 0
		.amdhsa_system_sgpr_workgroup_info 0
		.amdhsa_system_vgpr_workitem_id 1
		.amdhsa_next_free_vgpr 23
		.amdhsa_next_free_sgpr 24
		.amdhsa_accum_offset 24
		.amdhsa_reserve_vcc 1
		.amdhsa_reserve_flat_scratch 0
		.amdhsa_float_round_mode_32 0
		.amdhsa_float_round_mode_16_64 0
		.amdhsa_float_denorm_mode_32 3
		.amdhsa_float_denorm_mode_16_64 3
		.amdhsa_dx10_clamp 1
		.amdhsa_ieee_mode 1
		.amdhsa_fp16_overflow 0
		.amdhsa_tg_split 0
		.amdhsa_exception_fp_ieee_invalid_op 0
		.amdhsa_exception_fp_denorm_src 0
		.amdhsa_exception_fp_ieee_div_zero 0
		.amdhsa_exception_fp_ieee_overflow 0
		.amdhsa_exception_fp_ieee_underflow 0
		.amdhsa_exception_fp_ieee_inexact 0
		.amdhsa_exception_int_div_zero 0
	.end_amdhsa_kernel
	.section	.text._ZN12_GLOBAL__N_120softmax_warp_forwardIN3c104HalfES2_fLi8ELb1ELb0ELi32EEEvPT0_PKT_iiiPKbib,"axG",@progbits,_ZN12_GLOBAL__N_120softmax_warp_forwardIN3c104HalfES2_fLi8ELb1ELb0ELi32EEEvPT0_PKT_iiiPKbib,comdat
.Lfunc_end87:
	.size	_ZN12_GLOBAL__N_120softmax_warp_forwardIN3c104HalfES2_fLi8ELb1ELb0ELi32EEEvPT0_PKT_iiiPKbib, .Lfunc_end87-_ZN12_GLOBAL__N_120softmax_warp_forwardIN3c104HalfES2_fLi8ELb1ELb0ELi32EEEvPT0_PKT_iiiPKbib
                                        ; -- End function
	.section	.AMDGPU.csdata,"",@progbits
; Kernel info:
; codeLenInByte = 2116
; NumSgprs: 28
; NumVgprs: 23
; NumAgprs: 0
; TotalNumVgprs: 23
; ScratchSize: 0
; MemoryBound: 0
; FloatMode: 240
; IeeeMode: 1
; LDSByteSize: 0 bytes/workgroup (compile time only)
; SGPRBlocks: 3
; VGPRBlocks: 2
; NumSGPRsForWavesPerEU: 28
; NumVGPRsForWavesPerEU: 23
; AccumOffset: 24
; Occupancy: 8
; WaveLimiterHint : 0
; COMPUTE_PGM_RSRC2:SCRATCH_EN: 0
; COMPUTE_PGM_RSRC2:USER_SGPR: 6
; COMPUTE_PGM_RSRC2:TRAP_HANDLER: 0
; COMPUTE_PGM_RSRC2:TGID_X_EN: 1
; COMPUTE_PGM_RSRC2:TGID_Y_EN: 0
; COMPUTE_PGM_RSRC2:TGID_Z_EN: 0
; COMPUTE_PGM_RSRC2:TIDIG_COMP_CNT: 1
; COMPUTE_PGM_RSRC3_GFX90A:ACCUM_OFFSET: 5
; COMPUTE_PGM_RSRC3_GFX90A:TG_SPLIT: 0
	.section	.text._ZN12_GLOBAL__N_120softmax_warp_forwardIN3c104HalfES2_fLi9ELb1ELb0ELi64EEEvPT0_PKT_iiiPKbib,"axG",@progbits,_ZN12_GLOBAL__N_120softmax_warp_forwardIN3c104HalfES2_fLi9ELb1ELb0ELi64EEEvPT0_PKT_iiiPKbib,comdat
	.globl	_ZN12_GLOBAL__N_120softmax_warp_forwardIN3c104HalfES2_fLi9ELb1ELb0ELi64EEEvPT0_PKT_iiiPKbib ; -- Begin function _ZN12_GLOBAL__N_120softmax_warp_forwardIN3c104HalfES2_fLi9ELb1ELb0ELi64EEEvPT0_PKT_iiiPKbib
	.p2align	8
	.type	_ZN12_GLOBAL__N_120softmax_warp_forwardIN3c104HalfES2_fLi9ELb1ELb0ELi64EEEvPT0_PKT_iiiPKbib,@function
_ZN12_GLOBAL__N_120softmax_warp_forwardIN3c104HalfES2_fLi9ELb1ELb0ELi64EEEvPT0_PKT_iiiPKbib: ; @_ZN12_GLOBAL__N_120softmax_warp_forwardIN3c104HalfES2_fLi9ELb1ELb0ELi64EEEvPT0_PKT_iiiPKbib
; %bb.0:
	s_load_dword s0, s[4:5], 0x3c
	s_load_dwordx8 s[16:23], s[4:5], 0x0
	v_bfe_u32 v1, v0, 10, 10
	v_and_b32_e32 v4, 0x3ff, v0
	v_mov_b32_e32 v9, 0xff800000
	s_waitcnt lgkmcnt(0)
	s_lshr_b32 s0, s0, 16
	s_mul_i32 s6, s6, s0
	v_add_u32_e32 v1, s6, v1
	v_sub_u32_e32 v5, s20, v1
	v_mad_u64_u32 v[0:1], s[0:1], v1, s21, v[4:5]
	v_ashrrev_i32_e32 v1, 31, v0
	v_lshlrev_b64 v[0:1], 1, v[0:1]
	v_mov_b32_e32 v3, s19
	v_add_co_u32_e32 v2, vcc, s18, v0
	v_cmp_lt_i32_e64 s[14:15], 0, v5
	v_cmp_gt_i32_e64 s[4:5], s22, v4
	v_addc_co_u32_e32 v3, vcc, v3, v1, vcc
	s_and_b64 s[2:3], s[14:15], s[4:5]
	v_mov_b32_e32 v13, 0xff800000
	s_and_saveexec_b64 s[0:1], s[2:3]
	s_cbranch_execz .LBB88_2
; %bb.1:
	global_load_ushort v6, v[2:3], off
	s_waitcnt vmcnt(0)
	v_cvt_f32_f16_e32 v13, v6
.LBB88_2:
	s_or_b64 exec, exec, s[0:1]
	v_add_u32_e32 v6, 64, v4
	v_cmp_gt_i32_e32 vcc, s22, v6
	s_and_b64 s[2:3], s[14:15], vcc
	s_and_saveexec_b64 s[0:1], s[2:3]
	s_cbranch_execz .LBB88_4
; %bb.3:
	global_load_ushort v6, v[2:3], off offset:128
	s_waitcnt vmcnt(0)
	v_cvt_f32_f16_e32 v9, v6
.LBB88_4:
	s_or_b64 exec, exec, s[0:1]
	v_add_u32_e32 v6, 0x80, v4
	v_cmp_gt_i32_e64 s[0:1], s22, v6
	s_and_b64 s[6:7], s[14:15], s[0:1]
	v_mov_b32_e32 v8, 0xff800000
	v_mov_b32_e32 v12, 0xff800000
	s_and_saveexec_b64 s[2:3], s[6:7]
	s_cbranch_execz .LBB88_6
; %bb.5:
	global_load_ushort v6, v[2:3], off offset:256
	s_waitcnt vmcnt(0)
	v_cvt_f32_f16_e32 v12, v6
.LBB88_6:
	s_or_b64 exec, exec, s[2:3]
	v_add_u32_e32 v6, 0xc0, v4
	v_cmp_gt_i32_e64 s[2:3], s22, v6
	s_and_b64 s[8:9], s[14:15], s[2:3]
	s_and_saveexec_b64 s[6:7], s[8:9]
	s_cbranch_execz .LBB88_8
; %bb.7:
	global_load_ushort v6, v[2:3], off offset:384
	s_waitcnt vmcnt(0)
	v_cvt_f32_f16_e32 v8, v6
.LBB88_8:
	s_or_b64 exec, exec, s[6:7]
	v_add_u32_e32 v6, 0x100, v4
	v_cmp_gt_i32_e64 s[6:7], s22, v6
	s_and_b64 s[10:11], s[14:15], s[6:7]
	v_mov_b32_e32 v7, 0xff800000
	v_mov_b32_e32 v11, 0xff800000
	s_and_saveexec_b64 s[8:9], s[10:11]
	s_cbranch_execz .LBB88_10
; %bb.9:
	global_load_ushort v6, v[2:3], off offset:512
	s_waitcnt vmcnt(0)
	v_cvt_f32_f16_e32 v11, v6
.LBB88_10:
	s_or_b64 exec, exec, s[8:9]
	v_add_u32_e32 v6, 0x140, v4
	v_cmp_gt_i32_e64 s[8:9], s22, v6
	s_and_b64 s[12:13], s[14:15], s[8:9]
	;; [unrolled: 24-line block ×3, first 2 shown]
	s_and_saveexec_b64 s[14:15], s[18:19]
	s_cbranch_execz .LBB88_16
; %bb.15:
	global_load_ushort v2, v[2:3], off offset:896
	s_waitcnt vmcnt(0)
	v_cvt_f32_f16_e32 v6, v2
.LBB88_16:
	s_or_b64 exec, exec, s[14:15]
	v_cmp_gt_f32_e64 s[14:15], v13, v9
	v_cndmask_b32_e64 v2, v9, v13, s[14:15]
	v_cmp_gt_f32_e64 s[14:15], v2, v12
	v_cndmask_b32_e64 v2, v12, v2, s[14:15]
	;; [unrolled: 2-line block ×5, first 2 shown]
	v_mbcnt_lo_u32_b32 v3, -1, 0
	v_cmp_gt_f32_e64 s[14:15], v2, v10
	v_mbcnt_hi_u32_b32 v3, -1, v3
	v_cndmask_b32_e64 v2, v10, v2, s[14:15]
	v_and_b32_e32 v4, 64, v3
	v_cmp_gt_f32_e64 s[14:15], v2, v6
	v_add_u32_e32 v4, 64, v4
	v_xor_b32_e32 v14, 32, v3
	v_cndmask_b32_e64 v2, v6, v2, s[14:15]
	v_cmp_lt_i32_e64 s[14:15], v14, v4
	v_cndmask_b32_e64 v14, v3, v14, s[14:15]
	v_lshlrev_b32_e32 v14, 2, v14
	ds_bpermute_b32 v15, v14, v2
	s_mov_b32 s18, 0x3fb8aa3b
	s_mov_b32 s19, 0xc2ce8ed0
	;; [unrolled: 1-line block ×3, first 2 shown]
	s_waitcnt lgkmcnt(0)
	v_cmp_lt_f32_e64 s[14:15], v2, v15
	v_cndmask_b32_e64 v2, v2, v15, s[14:15]
	v_xor_b32_e32 v15, 16, v3
	v_cmp_lt_i32_e64 s[14:15], v15, v4
	v_cndmask_b32_e64 v15, v3, v15, s[14:15]
	v_lshlrev_b32_e32 v15, 2, v15
	ds_bpermute_b32 v16, v15, v2
	s_waitcnt lgkmcnt(0)
	v_cmp_lt_f32_e64 s[14:15], v2, v16
	v_cndmask_b32_e64 v2, v2, v16, s[14:15]
	v_xor_b32_e32 v16, 8, v3
	v_cmp_lt_i32_e64 s[14:15], v16, v4
	v_cndmask_b32_e64 v16, v3, v16, s[14:15]
	v_lshlrev_b32_e32 v16, 2, v16
	ds_bpermute_b32 v17, v16, v2
	;; [unrolled: 8-line block ×5, first 2 shown]
	s_waitcnt lgkmcnt(0)
	v_cmp_lt_f32_e64 s[14:15], v2, v3
	v_cndmask_b32_e64 v20, v2, v3, s[14:15]
	v_sub_f32_e32 v2, v13, v20
	v_mul_f32_e32 v3, 0x3fb8aa3b, v2
	v_fma_f32 v4, v2, s18, -v3
	v_rndne_f32_e32 v13, v3
	v_fmac_f32_e32 v4, 0x32a5705f, v2
	v_sub_f32_e32 v3, v3, v13
	v_add_f32_e32 v3, v3, v4
	v_exp_f32_e32 v3, v3
	v_cvt_i32_f32_e32 v4, v13
	v_cmp_ngt_f32_e64 s[14:15], s19, v2
	v_sub_f32_e32 v8, v8, v20
	v_sub_f32_e32 v7, v7, v20
	v_ldexp_f32 v3, v3, v4
	v_cndmask_b32_e64 v4, 0, v3, s[14:15]
	v_sub_f32_e32 v3, v9, v20
	v_mul_f32_e32 v9, 0x3fb8aa3b, v3
	v_fma_f32 v13, v3, s18, -v9
	v_rndne_f32_e32 v21, v9
	v_fmac_f32_e32 v13, 0x32a5705f, v3
	v_sub_f32_e32 v9, v9, v21
	v_add_f32_e32 v9, v9, v13
	v_exp_f32_e32 v9, v9
	v_cvt_i32_f32_e32 v13, v21
	v_mov_b32_e32 v21, 0x7f800000
	v_cmp_nlt_f32_e64 s[14:15], s20, v2
	v_cndmask_b32_e64 v22, v21, v4, s[14:15]
	v_ldexp_f32 v4, v9, v13
	v_cmp_ngt_f32_e64 s[14:15], s19, v3
	v_cndmask_b32_e64 v9, 0, v4, s[14:15]
	v_sub_f32_e32 v4, v12, v20
	v_mul_f32_e32 v12, 0x3fb8aa3b, v4
	v_fma_f32 v13, v4, s18, -v12
	v_rndne_f32_e32 v23, v12
	v_fmac_f32_e32 v13, 0x32a5705f, v4
	v_sub_f32_e32 v12, v12, v23
	v_add_f32_e32 v12, v12, v13
	v_exp_f32_e32 v12, v12
	v_cvt_i32_f32_e32 v13, v23
	v_cmp_nlt_f32_e64 s[14:15], s20, v3
	v_cndmask_b32_e64 v9, v21, v9, s[14:15]
	v_add_f32_e32 v9, v22, v9
	v_ldexp_f32 v12, v12, v13
	v_mul_f32_e32 v13, 0x3fb8aa3b, v8
	v_fma_f32 v22, v8, s18, -v13
	v_rndne_f32_e32 v23, v13
	v_fmac_f32_e32 v22, 0x32a5705f, v8
	v_sub_f32_e32 v13, v13, v23
	v_add_f32_e32 v13, v13, v22
	v_exp_f32_e32 v13, v13
	v_cvt_i32_f32_e32 v22, v23
	v_cmp_ngt_f32_e64 s[14:15], s19, v4
	v_cndmask_b32_e64 v12, 0, v12, s[14:15]
	v_cmp_nlt_f32_e64 s[14:15], s20, v4
	v_cndmask_b32_e64 v12, v21, v12, s[14:15]
	v_add_f32_e32 v12, v9, v12
	v_ldexp_f32 v9, v13, v22
	v_cmp_ngt_f32_e64 s[14:15], s19, v8
	v_cndmask_b32_e64 v13, 0, v9, s[14:15]
	v_sub_f32_e32 v9, v11, v20
	v_mul_f32_e32 v11, 0x3fb8aa3b, v9
	v_fma_f32 v22, v9, s18, -v11
	v_rndne_f32_e32 v23, v11
	v_fmac_f32_e32 v22, 0x32a5705f, v9
	v_sub_f32_e32 v11, v11, v23
	v_add_f32_e32 v11, v11, v22
	v_exp_f32_e32 v11, v11
	v_cvt_i32_f32_e32 v22, v23
	v_cmp_nlt_f32_e64 s[14:15], s20, v8
	v_cndmask_b32_e64 v13, v21, v13, s[14:15]
	v_add_f32_e32 v12, v12, v13
	v_mul_f32_e32 v13, 0x3fb8aa3b, v7
	v_ldexp_f32 v11, v11, v22
	v_fma_f32 v22, v7, s18, -v13
	v_rndne_f32_e32 v23, v13
	v_fmac_f32_e32 v22, 0x32a5705f, v7
	v_sub_f32_e32 v13, v13, v23
	v_add_f32_e32 v13, v13, v22
	v_exp_f32_e32 v13, v13
	v_cvt_i32_f32_e32 v22, v23
	v_cmp_ngt_f32_e64 s[14:15], s19, v9
	v_cndmask_b32_e64 v11, 0, v11, s[14:15]
	v_cmp_nlt_f32_e64 s[14:15], s20, v9
	v_cndmask_b32_e64 v11, v21, v11, s[14:15]
	v_sub_f32_e32 v10, v10, v20
	v_add_f32_e32 v11, v12, v11
	v_ldexp_f32 v12, v13, v22
	v_mul_f32_e32 v13, 0x3fb8aa3b, v10
	v_fma_f32 v22, v10, s18, -v13
	v_rndne_f32_e32 v23, v13
	v_fmac_f32_e32 v22, 0x32a5705f, v10
	v_sub_f32_e32 v13, v13, v23
	v_add_f32_e32 v13, v13, v22
	v_exp_f32_e32 v13, v13
	v_cvt_i32_f32_e32 v22, v23
	v_cmp_ngt_f32_e64 s[14:15], s19, v7
	v_cndmask_b32_e64 v12, 0, v12, s[14:15]
	v_cmp_nlt_f32_e64 s[14:15], s20, v7
	v_cndmask_b32_e64 v12, v21, v12, s[14:15]
	v_sub_f32_e32 v6, v6, v20
	v_add_f32_e32 v11, v11, v12
	v_ldexp_f32 v12, v13, v22
	v_mul_f32_e32 v13, 0x3fb8aa3b, v6
	v_fma_f32 v20, v6, s18, -v13
	v_rndne_f32_e32 v22, v13
	v_fmac_f32_e32 v20, 0x32a5705f, v6
	v_sub_f32_e32 v13, v13, v22
	v_add_f32_e32 v13, v13, v20
	v_exp_f32_e32 v13, v13
	v_cvt_i32_f32_e32 v20, v22
	v_cmp_ngt_f32_e64 s[14:15], s19, v10
	v_cndmask_b32_e64 v12, 0, v12, s[14:15]
	v_cmp_nlt_f32_e64 s[14:15], s20, v10
	v_cndmask_b32_e64 v12, v21, v12, s[14:15]
	v_add_f32_e32 v11, v11, v12
	v_ldexp_f32 v12, v13, v20
	v_cmp_ngt_f32_e64 s[14:15], s19, v6
	v_cndmask_b32_e64 v12, 0, v12, s[14:15]
	v_cmp_nlt_f32_e64 s[14:15], s20, v6
	v_cndmask_b32_e64 v12, v21, v12, s[14:15]
	v_add_f32_e32 v11, v11, v12
	ds_bpermute_b32 v12, v14, v11
	v_cmp_lt_i32_e64 s[14:15], 0, v5
	s_waitcnt lgkmcnt(0)
	v_add_f32_e32 v11, v11, v12
	ds_bpermute_b32 v12, v15, v11
	s_waitcnt lgkmcnt(0)
	v_add_f32_e32 v11, v11, v12
	ds_bpermute_b32 v12, v16, v11
	;; [unrolled: 3-line block ×5, first 2 shown]
	s_and_saveexec_b64 s[18:19], s[14:15]
	s_cbranch_execz .LBB88_26
; %bb.17:
	s_and_b64 exec, exec, s[4:5]
	s_cbranch_execz .LBB88_26
; %bb.18:
	s_waitcnt lgkmcnt(0)
	v_add_f32_e32 v5, v11, v12
	s_mov_b32 s4, 0x800000
	v_mov_b32_e32 v11, 0x4f800000
	v_cmp_gt_f32_e64 s[4:5], s4, v5
	v_cndmask_b32_e64 v11, 1.0, v11, s[4:5]
	v_mul_f32_e32 v5, v5, v11
	v_log_f32_e32 v5, v5
	s_mov_b32 s14, 0x3f317217
	v_mul_f32_e32 v11, 0x3f317217, v5
	v_fma_f32 v12, v5, s14, -v11
	v_fmac_f32_e32 v12, 0x3377d1cf, v5
	s_mov_b32 s14, 0x7f800000
	v_add_f32_e32 v11, v11, v12
	v_cmp_lt_f32_e64 s[14:15], |v5|, s14
	v_cndmask_b32_e64 v5, v5, v11, s[14:15]
	v_mov_b32_e32 v11, 0x41b17218
	v_cndmask_b32_e64 v11, 0, v11, s[4:5]
	v_sub_f32_e32 v5, v5, v11
	v_sub_f32_e32 v2, v2, v5
	v_cvt_f16_f32_e32 v2, v2
	v_mov_b32_e32 v11, s17
	v_add_co_u32_e64 v0, s[4:5], s16, v0
	v_addc_co_u32_e64 v1, s[4:5], v11, v1, s[4:5]
	global_store_short v[0:1], v2, off
	s_and_b64 exec, exec, vcc
	s_cbranch_execz .LBB88_26
; %bb.19:
	v_sub_f32_e32 v2, v3, v5
	v_cvt_f16_f32_e32 v2, v2
	global_store_short v[0:1], v2, off offset:128
	s_and_b64 exec, exec, s[0:1]
	s_cbranch_execz .LBB88_26
; %bb.20:
	v_sub_f32_e32 v2, v4, v5
	v_cvt_f16_f32_e32 v2, v2
	global_store_short v[0:1], v2, off offset:256
	s_and_b64 exec, exec, s[2:3]
	;; [unrolled: 6-line block ×6, first 2 shown]
	s_cbranch_execz .LBB88_26
; %bb.25:
	v_sub_f32_e32 v2, v6, v5
	v_cvt_f16_f32_e32 v2, v2
	global_store_short v[0:1], v2, off offset:896
.LBB88_26:
	s_endpgm
	.section	.rodata,"a",@progbits
	.p2align	6, 0x0
	.amdhsa_kernel _ZN12_GLOBAL__N_120softmax_warp_forwardIN3c104HalfES2_fLi9ELb1ELb0ELi64EEEvPT0_PKT_iiiPKbib
		.amdhsa_group_segment_fixed_size 0
		.amdhsa_private_segment_fixed_size 0
		.amdhsa_kernarg_size 304
		.amdhsa_user_sgpr_count 6
		.amdhsa_user_sgpr_private_segment_buffer 1
		.amdhsa_user_sgpr_dispatch_ptr 0
		.amdhsa_user_sgpr_queue_ptr 0
		.amdhsa_user_sgpr_kernarg_segment_ptr 1
		.amdhsa_user_sgpr_dispatch_id 0
		.amdhsa_user_sgpr_flat_scratch_init 0
		.amdhsa_user_sgpr_kernarg_preload_length 0
		.amdhsa_user_sgpr_kernarg_preload_offset 0
		.amdhsa_user_sgpr_private_segment_size 0
		.amdhsa_uses_dynamic_stack 0
		.amdhsa_system_sgpr_private_segment_wavefront_offset 0
		.amdhsa_system_sgpr_workgroup_id_x 1
		.amdhsa_system_sgpr_workgroup_id_y 0
		.amdhsa_system_sgpr_workgroup_id_z 0
		.amdhsa_system_sgpr_workgroup_info 0
		.amdhsa_system_vgpr_workitem_id 1
		.amdhsa_next_free_vgpr 24
		.amdhsa_next_free_sgpr 24
		.amdhsa_accum_offset 24
		.amdhsa_reserve_vcc 1
		.amdhsa_reserve_flat_scratch 0
		.amdhsa_float_round_mode_32 0
		.amdhsa_float_round_mode_16_64 0
		.amdhsa_float_denorm_mode_32 3
		.amdhsa_float_denorm_mode_16_64 3
		.amdhsa_dx10_clamp 1
		.amdhsa_ieee_mode 1
		.amdhsa_fp16_overflow 0
		.amdhsa_tg_split 0
		.amdhsa_exception_fp_ieee_invalid_op 0
		.amdhsa_exception_fp_denorm_src 0
		.amdhsa_exception_fp_ieee_div_zero 0
		.amdhsa_exception_fp_ieee_overflow 0
		.amdhsa_exception_fp_ieee_underflow 0
		.amdhsa_exception_fp_ieee_inexact 0
		.amdhsa_exception_int_div_zero 0
	.end_amdhsa_kernel
	.section	.text._ZN12_GLOBAL__N_120softmax_warp_forwardIN3c104HalfES2_fLi9ELb1ELb0ELi64EEEvPT0_PKT_iiiPKbib,"axG",@progbits,_ZN12_GLOBAL__N_120softmax_warp_forwardIN3c104HalfES2_fLi9ELb1ELb0ELi64EEEvPT0_PKT_iiiPKbib,comdat
.Lfunc_end88:
	.size	_ZN12_GLOBAL__N_120softmax_warp_forwardIN3c104HalfES2_fLi9ELb1ELb0ELi64EEEvPT0_PKT_iiiPKbib, .Lfunc_end88-_ZN12_GLOBAL__N_120softmax_warp_forwardIN3c104HalfES2_fLi9ELb1ELb0ELi64EEEvPT0_PKT_iiiPKbib
                                        ; -- End function
	.section	.AMDGPU.csdata,"",@progbits
; Kernel info:
; codeLenInByte = 2184
; NumSgprs: 28
; NumVgprs: 24
; NumAgprs: 0
; TotalNumVgprs: 24
; ScratchSize: 0
; MemoryBound: 0
; FloatMode: 240
; IeeeMode: 1
; LDSByteSize: 0 bytes/workgroup (compile time only)
; SGPRBlocks: 3
; VGPRBlocks: 2
; NumSGPRsForWavesPerEU: 28
; NumVGPRsForWavesPerEU: 24
; AccumOffset: 24
; Occupancy: 8
; WaveLimiterHint : 0
; COMPUTE_PGM_RSRC2:SCRATCH_EN: 0
; COMPUTE_PGM_RSRC2:USER_SGPR: 6
; COMPUTE_PGM_RSRC2:TRAP_HANDLER: 0
; COMPUTE_PGM_RSRC2:TGID_X_EN: 1
; COMPUTE_PGM_RSRC2:TGID_Y_EN: 0
; COMPUTE_PGM_RSRC2:TGID_Z_EN: 0
; COMPUTE_PGM_RSRC2:TIDIG_COMP_CNT: 1
; COMPUTE_PGM_RSRC3_GFX90A:ACCUM_OFFSET: 5
; COMPUTE_PGM_RSRC3_GFX90A:TG_SPLIT: 0
	.section	.text._ZN12_GLOBAL__N_120softmax_warp_forwardIN3c104HalfES2_fLi9ELb1ELb0ELi32EEEvPT0_PKT_iiiPKbib,"axG",@progbits,_ZN12_GLOBAL__N_120softmax_warp_forwardIN3c104HalfES2_fLi9ELb1ELb0ELi32EEEvPT0_PKT_iiiPKbib,comdat
	.globl	_ZN12_GLOBAL__N_120softmax_warp_forwardIN3c104HalfES2_fLi9ELb1ELb0ELi32EEEvPT0_PKT_iiiPKbib ; -- Begin function _ZN12_GLOBAL__N_120softmax_warp_forwardIN3c104HalfES2_fLi9ELb1ELb0ELi32EEEvPT0_PKT_iiiPKbib
	.p2align	8
	.type	_ZN12_GLOBAL__N_120softmax_warp_forwardIN3c104HalfES2_fLi9ELb1ELb0ELi32EEEvPT0_PKT_iiiPKbib,@function
_ZN12_GLOBAL__N_120softmax_warp_forwardIN3c104HalfES2_fLi9ELb1ELb0ELi32EEEvPT0_PKT_iiiPKbib: ; @_ZN12_GLOBAL__N_120softmax_warp_forwardIN3c104HalfES2_fLi9ELb1ELb0ELi32EEEvPT0_PKT_iiiPKbib
; %bb.0:
	s_load_dword s0, s[4:5], 0x3c
	s_load_dwordx8 s[36:43], s[4:5], 0x0
	v_bfe_u32 v1, v0, 10, 10
	v_and_b32_e32 v4, 0x3ff, v0
	v_mov_b32_e32 v16, 0xff800000
	s_waitcnt lgkmcnt(0)
	s_lshr_b32 s0, s0, 16
	s_mul_i32 s6, s6, s0
	v_add_u32_e32 v1, s6, v1
	v_sub_u32_e32 v5, s40, v1
	v_mad_u64_u32 v[0:1], s[0:1], v1, s41, v[4:5]
	v_ashrrev_i32_e32 v1, 31, v0
	v_lshlrev_b64 v[0:1], 1, v[0:1]
	v_mov_b32_e32 v3, s39
	v_add_co_u32_e32 v2, vcc, s38, v0
	v_cmp_lt_i32_e64 s[30:31], 0, v5
	v_cmp_gt_i32_e64 s[4:5], s42, v4
	v_addc_co_u32_e32 v3, vcc, v3, v1, vcc
	s_and_b64 s[2:3], s[30:31], s[4:5]
	v_mov_b32_e32 v22, 0xff800000
	s_and_saveexec_b64 s[0:1], s[2:3]
	s_cbranch_execz .LBB89_2
; %bb.1:
	global_load_ushort v6, v[2:3], off
	s_waitcnt vmcnt(0)
	v_cvt_f32_f16_e32 v22, v6
.LBB89_2:
	s_or_b64 exec, exec, s[0:1]
	v_add_u32_e32 v6, 32, v4
	v_cmp_gt_i32_e32 vcc, s42, v6
	s_and_b64 s[2:3], s[30:31], vcc
	s_and_saveexec_b64 s[0:1], s[2:3]
	s_cbranch_execz .LBB89_4
; %bb.3:
	global_load_ushort v6, v[2:3], off offset:64
	s_waitcnt vmcnt(0)
	v_cvt_f32_f16_e32 v16, v6
.LBB89_4:
	s_or_b64 exec, exec, s[0:1]
	v_add_u32_e32 v6, 64, v4
	v_cmp_gt_i32_e64 s[0:1], s42, v6
	s_and_b64 s[6:7], s[30:31], s[0:1]
	v_mov_b32_e32 v14, 0xff800000
	v_mov_b32_e32 v20, 0xff800000
	s_and_saveexec_b64 s[2:3], s[6:7]
	s_cbranch_execz .LBB89_6
; %bb.5:
	global_load_ushort v6, v[2:3], off offset:128
	s_waitcnt vmcnt(0)
	v_cvt_f32_f16_e32 v20, v6
.LBB89_6:
	s_or_b64 exec, exec, s[2:3]
	v_add_u32_e32 v6, 0x60, v4
	v_cmp_gt_i32_e64 s[2:3], s42, v6
	s_and_b64 s[8:9], s[30:31], s[2:3]
	s_and_saveexec_b64 s[6:7], s[8:9]
	s_cbranch_execz .LBB89_8
; %bb.7:
	global_load_ushort v6, v[2:3], off offset:192
	s_waitcnt vmcnt(0)
	v_cvt_f32_f16_e32 v14, v6
.LBB89_8:
	s_or_b64 exec, exec, s[6:7]
	v_add_u32_e32 v6, 0x80, v4
	v_cmp_gt_i32_e64 s[6:7], s42, v6
	s_and_b64 s[10:11], s[30:31], s[6:7]
	v_mov_b32_e32 v12, 0xff800000
	v_mov_b32_e32 v19, 0xff800000
	s_and_saveexec_b64 s[8:9], s[10:11]
	s_cbranch_execz .LBB89_10
; %bb.9:
	global_load_ushort v6, v[2:3], off offset:256
	s_waitcnt vmcnt(0)
	v_cvt_f32_f16_e32 v19, v6
.LBB89_10:
	s_or_b64 exec, exec, s[8:9]
	v_add_u32_e32 v6, 0xa0, v4
	v_cmp_gt_i32_e64 s[8:9], s42, v6
	s_and_b64 s[12:13], s[30:31], s[8:9]
	;; [unrolled: 24-line block ×7, first 2 shown]
	s_and_saveexec_b64 s[30:31], s[34:35]
	s_cbranch_execz .LBB89_32
; %bb.31:
	global_load_ushort v2, v[2:3], off offset:960
	s_waitcnt vmcnt(0)
	v_cvt_f32_f16_e32 v6, v2
.LBB89_32:
	s_or_b64 exec, exec, s[30:31]
	v_cmp_gt_f32_e64 s[30:31], v22, v16
	v_cndmask_b32_e64 v2, v16, v22, s[30:31]
	v_cmp_gt_f32_e64 s[30:31], v2, v20
	v_cndmask_b32_e64 v2, v20, v2, s[30:31]
	;; [unrolled: 2-line block ×13, first 2 shown]
	v_mbcnt_lo_u32_b32 v3, -1, 0
	v_cmp_gt_f32_e64 s[30:31], v2, v11
	v_mbcnt_hi_u32_b32 v3, -1, v3
	v_cndmask_b32_e64 v2, v11, v2, s[30:31]
	v_and_b32_e32 v4, 0x60, v3
	v_cmp_gt_f32_e64 s[30:31], v2, v6
	v_add_u32_e32 v25, 32, v4
	v_xor_b32_e32 v4, 16, v3
	v_cndmask_b32_e64 v2, v6, v2, s[30:31]
	v_cmp_lt_i32_e64 s[30:31], v4, v25
	v_cndmask_b32_e64 v4, v3, v4, s[30:31]
	v_lshlrev_b32_e32 v4, 2, v4
	ds_bpermute_b32 v21, v4, v2
	s_mov_b32 s34, 0x3fb8aa3b
	s_mov_b32 s33, 0xc2ce8ed0
	;; [unrolled: 1-line block ×3, first 2 shown]
	s_waitcnt lgkmcnt(0)
	v_cmp_lt_f32_e64 s[30:31], v2, v21
	v_cndmask_b32_e64 v2, v2, v21, s[30:31]
	v_xor_b32_e32 v21, 8, v3
	v_cmp_lt_i32_e64 s[30:31], v21, v25
	v_cndmask_b32_e64 v21, v3, v21, s[30:31]
	v_lshlrev_b32_e32 v21, 2, v21
	ds_bpermute_b32 v23, v21, v2
	s_waitcnt lgkmcnt(0)
	v_cmp_lt_f32_e64 s[30:31], v2, v23
	v_cndmask_b32_e64 v2, v2, v23, s[30:31]
	v_xor_b32_e32 v23, 4, v3
	v_cmp_lt_i32_e64 s[30:31], v23, v25
	v_cndmask_b32_e64 v23, v3, v23, s[30:31]
	v_lshlrev_b32_e32 v23, 2, v23
	ds_bpermute_b32 v24, v23, v2
	;; [unrolled: 8-line block ×4, first 2 shown]
	s_waitcnt lgkmcnt(0)
	v_cmp_lt_f32_e64 s[30:31], v2, v3
	v_cndmask_b32_e64 v26, v2, v3, s[30:31]
	v_sub_f32_e32 v2, v22, v26
	v_mul_f32_e32 v3, 0x3fb8aa3b, v2
	v_fma_f32 v22, v2, s34, -v3
	v_rndne_f32_e32 v27, v3
	v_fmac_f32_e32 v22, 0x32a5705f, v2
	v_sub_f32_e32 v3, v3, v27
	v_add_f32_e32 v3, v3, v22
	v_exp_f32_e32 v3, v3
	v_cvt_i32_f32_e32 v22, v27
	v_cmp_ngt_f32_e64 s[30:31], s33, v2
	v_sub_f32_e32 v14, v14, v26
	v_sub_f32_e32 v19, v19, v26
	v_ldexp_f32 v3, v3, v22
	v_cndmask_b32_e64 v27, 0, v3, s[30:31]
	v_sub_f32_e32 v3, v16, v26
	v_mul_f32_e32 v16, 0x3fb8aa3b, v3
	v_fma_f32 v22, v3, s34, -v16
	v_rndne_f32_e32 v28, v16
	v_fmac_f32_e32 v22, 0x32a5705f, v3
	v_sub_f32_e32 v16, v16, v28
	v_add_f32_e32 v16, v16, v22
	v_exp_f32_e32 v16, v16
	v_cvt_i32_f32_e32 v28, v28
	v_mov_b32_e32 v22, 0x7f800000
	v_cmp_nlt_f32_e64 s[30:31], s35, v2
	v_cndmask_b32_e64 v27, v22, v27, s[30:31]
	v_ldexp_f32 v16, v16, v28
	v_cmp_ngt_f32_e64 s[30:31], s33, v3
	v_cndmask_b32_e64 v28, 0, v16, s[30:31]
	v_sub_f32_e32 v16, v20, v26
	v_mul_f32_e32 v20, 0x3fb8aa3b, v16
	v_fma_f32 v29, v16, s34, -v20
	v_rndne_f32_e32 v30, v20
	v_fmac_f32_e32 v29, 0x32a5705f, v16
	v_sub_f32_e32 v20, v20, v30
	v_add_f32_e32 v20, v20, v29
	v_exp_f32_e32 v20, v20
	v_cvt_i32_f32_e32 v29, v30
	v_cmp_nlt_f32_e64 s[30:31], s35, v3
	v_cndmask_b32_e64 v28, v22, v28, s[30:31]
	v_add_f32_e32 v27, v27, v28
	v_mul_f32_e32 v28, 0x3fb8aa3b, v14
	v_ldexp_f32 v20, v20, v29
	v_fma_f32 v29, v14, s34, -v28
	v_rndne_f32_e32 v30, v28
	v_fmac_f32_e32 v29, 0x32a5705f, v14
	v_sub_f32_e32 v28, v28, v30
	v_add_f32_e32 v28, v28, v29
	v_exp_f32_e32 v28, v28
	v_cvt_i32_f32_e32 v29, v30
	v_cmp_ngt_f32_e64 s[30:31], s33, v16
	v_cndmask_b32_e64 v20, 0, v20, s[30:31]
	v_cmp_nlt_f32_e64 s[30:31], s35, v16
	v_cndmask_b32_e64 v20, v22, v20, s[30:31]
	v_add_f32_e32 v20, v27, v20
	v_ldexp_f32 v27, v28, v29
	v_mul_f32_e32 v28, 0x3fb8aa3b, v19
	v_fma_f32 v29, v19, s34, -v28
	v_rndne_f32_e32 v30, v28
	v_fmac_f32_e32 v29, 0x32a5705f, v19
	v_sub_f32_e32 v28, v28, v30
	v_add_f32_e32 v28, v28, v29
	v_exp_f32_e32 v28, v28
	v_cvt_i32_f32_e32 v29, v30
	v_cmp_ngt_f32_e64 s[30:31], s33, v14
	v_cndmask_b32_e64 v27, 0, v27, s[30:31]
	v_cmp_nlt_f32_e64 s[30:31], s35, v14
	v_cndmask_b32_e64 v27, v22, v27, s[30:31]
	v_sub_f32_e32 v12, v12, v26
	v_add_f32_e32 v20, v20, v27
	v_ldexp_f32 v27, v28, v29
	v_mul_f32_e32 v28, 0x3fb8aa3b, v12
	v_fma_f32 v29, v12, s34, -v28
	v_rndne_f32_e32 v30, v28
	v_fmac_f32_e32 v29, 0x32a5705f, v12
	v_sub_f32_e32 v28, v28, v30
	v_add_f32_e32 v28, v28, v29
	v_exp_f32_e32 v28, v28
	v_cvt_i32_f32_e32 v29, v30
	v_cmp_ngt_f32_e64 s[30:31], s33, v19
	v_cndmask_b32_e64 v27, 0, v27, s[30:31]
	v_cmp_nlt_f32_e64 s[30:31], s35, v19
	v_cndmask_b32_e64 v27, v22, v27, s[30:31]
	v_sub_f32_e32 v18, v18, v26
	;; [unrolled: 15-line block ×10, first 2 shown]
	v_add_f32_e32 v20, v20, v27
	v_ldexp_f32 v27, v28, v29
	v_mul_f32_e32 v28, 0x3fb8aa3b, v11
	v_fma_f32 v29, v11, s34, -v28
	v_rndne_f32_e32 v30, v28
	v_fmac_f32_e32 v29, 0x32a5705f, v11
	v_sub_f32_e32 v28, v28, v30
	v_add_f32_e32 v28, v28, v29
	v_exp_f32_e32 v28, v28
	v_cvt_i32_f32_e32 v29, v30
	v_cmp_ngt_f32_e64 s[30:31], s33, v7
	v_cndmask_b32_e64 v27, 0, v27, s[30:31]
	v_cmp_nlt_f32_e64 s[30:31], s35, v7
	v_sub_f32_e32 v6, v6, v26
	v_cndmask_b32_e64 v27, v22, v27, s[30:31]
	v_mul_f32_e32 v26, 0x3fb8aa3b, v6
	v_add_f32_e32 v20, v20, v27
	v_ldexp_f32 v27, v28, v29
	v_fma_f32 v28, v6, s34, -v26
	v_rndne_f32_e32 v29, v26
	v_fmac_f32_e32 v28, 0x32a5705f, v6
	v_sub_f32_e32 v26, v26, v29
	v_add_f32_e32 v26, v26, v28
	v_exp_f32_e32 v26, v26
	v_cvt_i32_f32_e32 v28, v29
	v_cmp_ngt_f32_e64 s[30:31], s33, v11
	v_cndmask_b32_e64 v27, 0, v27, s[30:31]
	v_cmp_nlt_f32_e64 s[30:31], s35, v11
	v_cndmask_b32_e64 v27, v22, v27, s[30:31]
	v_ldexp_f32 v26, v26, v28
	v_cmp_ngt_f32_e64 s[30:31], s33, v6
	v_cndmask_b32_e64 v26, 0, v26, s[30:31]
	v_cmp_nlt_f32_e64 s[30:31], s35, v6
	v_add_f32_e32 v20, v20, v27
	v_cndmask_b32_e64 v22, v22, v26, s[30:31]
	v_add_f32_e32 v20, v20, v22
	ds_bpermute_b32 v4, v4, v20
	v_cmp_lt_i32_e64 s[30:31], 0, v5
	s_waitcnt lgkmcnt(0)
	v_add_f32_e32 v4, v20, v4
	ds_bpermute_b32 v20, v21, v4
	s_waitcnt lgkmcnt(0)
	v_add_f32_e32 v4, v4, v20
	ds_bpermute_b32 v20, v23, v4
	;; [unrolled: 3-line block ×4, first 2 shown]
	s_and_saveexec_b64 s[34:35], s[30:31]
	s_cbranch_execz .LBB89_50
; %bb.33:
	s_and_b64 exec, exec, s[4:5]
	s_cbranch_execz .LBB89_50
; %bb.34:
	s_waitcnt lgkmcnt(0)
	v_add_f32_e32 v4, v4, v20
	s_mov_b32 s4, 0x800000
	v_mov_b32_e32 v5, 0x4f800000
	v_cmp_gt_f32_e64 s[4:5], s4, v4
	v_cndmask_b32_e64 v5, 1.0, v5, s[4:5]
	v_mul_f32_e32 v4, v4, v5
	v_log_f32_e32 v4, v4
	s_mov_b32 s30, 0x3f317217
	v_mul_f32_e32 v5, 0x3f317217, v4
	v_fma_f32 v20, v4, s30, -v5
	v_fmac_f32_e32 v20, 0x3377d1cf, v4
	s_mov_b32 s30, 0x7f800000
	v_add_f32_e32 v5, v5, v20
	v_cmp_lt_f32_e64 s[30:31], |v4|, s30
	v_cndmask_b32_e64 v4, v4, v5, s[30:31]
	v_mov_b32_e32 v5, 0x41b17218
	v_cndmask_b32_e64 v5, 0, v5, s[4:5]
	v_sub_f32_e32 v4, v4, v5
	v_sub_f32_e32 v2, v2, v4
	v_cvt_f16_f32_e32 v2, v2
	v_mov_b32_e32 v5, s37
	v_add_co_u32_e64 v0, s[4:5], s36, v0
	v_addc_co_u32_e64 v1, s[4:5], v5, v1, s[4:5]
	global_store_short v[0:1], v2, off
	s_and_b64 exec, exec, vcc
	s_cbranch_execz .LBB89_50
; %bb.35:
	v_sub_f32_e32 v2, v3, v4
	v_cvt_f16_f32_e32 v2, v2
	global_store_short v[0:1], v2, off offset:64
	s_and_b64 exec, exec, s[0:1]
	s_cbranch_execz .LBB89_50
; %bb.36:
	v_sub_f32_e32 v2, v16, v4
	v_cvt_f16_f32_e32 v2, v2
	global_store_short v[0:1], v2, off offset:128
	s_and_b64 exec, exec, s[2:3]
	;; [unrolled: 6-line block ×14, first 2 shown]
	s_cbranch_execz .LBB89_50
; %bb.49:
	v_sub_f32_e32 v2, v6, v4
	v_cvt_f16_f32_e32 v2, v2
	global_store_short v[0:1], v2, off offset:960
.LBB89_50:
	s_endpgm
	.section	.rodata,"a",@progbits
	.p2align	6, 0x0
	.amdhsa_kernel _ZN12_GLOBAL__N_120softmax_warp_forwardIN3c104HalfES2_fLi9ELb1ELb0ELi32EEEvPT0_PKT_iiiPKbib
		.amdhsa_group_segment_fixed_size 0
		.amdhsa_private_segment_fixed_size 0
		.amdhsa_kernarg_size 304
		.amdhsa_user_sgpr_count 6
		.amdhsa_user_sgpr_private_segment_buffer 1
		.amdhsa_user_sgpr_dispatch_ptr 0
		.amdhsa_user_sgpr_queue_ptr 0
		.amdhsa_user_sgpr_kernarg_segment_ptr 1
		.amdhsa_user_sgpr_dispatch_id 0
		.amdhsa_user_sgpr_flat_scratch_init 0
		.amdhsa_user_sgpr_kernarg_preload_length 0
		.amdhsa_user_sgpr_kernarg_preload_offset 0
		.amdhsa_user_sgpr_private_segment_size 0
		.amdhsa_uses_dynamic_stack 0
		.amdhsa_system_sgpr_private_segment_wavefront_offset 0
		.amdhsa_system_sgpr_workgroup_id_x 1
		.amdhsa_system_sgpr_workgroup_id_y 0
		.amdhsa_system_sgpr_workgroup_id_z 0
		.amdhsa_system_sgpr_workgroup_info 0
		.amdhsa_system_vgpr_workitem_id 1
		.amdhsa_next_free_vgpr 31
		.amdhsa_next_free_sgpr 44
		.amdhsa_accum_offset 32
		.amdhsa_reserve_vcc 1
		.amdhsa_reserve_flat_scratch 0
		.amdhsa_float_round_mode_32 0
		.amdhsa_float_round_mode_16_64 0
		.amdhsa_float_denorm_mode_32 3
		.amdhsa_float_denorm_mode_16_64 3
		.amdhsa_dx10_clamp 1
		.amdhsa_ieee_mode 1
		.amdhsa_fp16_overflow 0
		.amdhsa_tg_split 0
		.amdhsa_exception_fp_ieee_invalid_op 0
		.amdhsa_exception_fp_denorm_src 0
		.amdhsa_exception_fp_ieee_div_zero 0
		.amdhsa_exception_fp_ieee_overflow 0
		.amdhsa_exception_fp_ieee_underflow 0
		.amdhsa_exception_fp_ieee_inexact 0
		.amdhsa_exception_int_div_zero 0
	.end_amdhsa_kernel
	.section	.text._ZN12_GLOBAL__N_120softmax_warp_forwardIN3c104HalfES2_fLi9ELb1ELb0ELi32EEEvPT0_PKT_iiiPKbib,"axG",@progbits,_ZN12_GLOBAL__N_120softmax_warp_forwardIN3c104HalfES2_fLi9ELb1ELb0ELi32EEEvPT0_PKT_iiiPKbib,comdat
.Lfunc_end89:
	.size	_ZN12_GLOBAL__N_120softmax_warp_forwardIN3c104HalfES2_fLi9ELb1ELb0ELi32EEEvPT0_PKT_iiiPKbib, .Lfunc_end89-_ZN12_GLOBAL__N_120softmax_warp_forwardIN3c104HalfES2_fLi9ELb1ELb0ELi32EEEvPT0_PKT_iiiPKbib
                                        ; -- End function
	.section	.AMDGPU.csdata,"",@progbits
; Kernel info:
; codeLenInByte = 3620
; NumSgprs: 48
; NumVgprs: 31
; NumAgprs: 0
; TotalNumVgprs: 31
; ScratchSize: 0
; MemoryBound: 0
; FloatMode: 240
; IeeeMode: 1
; LDSByteSize: 0 bytes/workgroup (compile time only)
; SGPRBlocks: 5
; VGPRBlocks: 3
; NumSGPRsForWavesPerEU: 48
; NumVGPRsForWavesPerEU: 31
; AccumOffset: 32
; Occupancy: 8
; WaveLimiterHint : 0
; COMPUTE_PGM_RSRC2:SCRATCH_EN: 0
; COMPUTE_PGM_RSRC2:USER_SGPR: 6
; COMPUTE_PGM_RSRC2:TRAP_HANDLER: 0
; COMPUTE_PGM_RSRC2:TGID_X_EN: 1
; COMPUTE_PGM_RSRC2:TGID_Y_EN: 0
; COMPUTE_PGM_RSRC2:TGID_Z_EN: 0
; COMPUTE_PGM_RSRC2:TIDIG_COMP_CNT: 1
; COMPUTE_PGM_RSRC3_GFX90A:ACCUM_OFFSET: 7
; COMPUTE_PGM_RSRC3_GFX90A:TG_SPLIT: 0
	.section	.text._ZN12_GLOBAL__N_120softmax_warp_forwardIN3c104HalfES2_fLi10ELb1ELb0ELi64EEEvPT0_PKT_iiiPKbib,"axG",@progbits,_ZN12_GLOBAL__N_120softmax_warp_forwardIN3c104HalfES2_fLi10ELb1ELb0ELi64EEEvPT0_PKT_iiiPKbib,comdat
	.globl	_ZN12_GLOBAL__N_120softmax_warp_forwardIN3c104HalfES2_fLi10ELb1ELb0ELi64EEEvPT0_PKT_iiiPKbib ; -- Begin function _ZN12_GLOBAL__N_120softmax_warp_forwardIN3c104HalfES2_fLi10ELb1ELb0ELi64EEEvPT0_PKT_iiiPKbib
	.p2align	8
	.type	_ZN12_GLOBAL__N_120softmax_warp_forwardIN3c104HalfES2_fLi10ELb1ELb0ELi64EEEvPT0_PKT_iiiPKbib,@function
_ZN12_GLOBAL__N_120softmax_warp_forwardIN3c104HalfES2_fLi10ELb1ELb0ELi64EEEvPT0_PKT_iiiPKbib: ; @_ZN12_GLOBAL__N_120softmax_warp_forwardIN3c104HalfES2_fLi10ELb1ELb0ELi64EEEvPT0_PKT_iiiPKbib
; %bb.0:
	s_load_dword s0, s[4:5], 0x3c
	s_load_dwordx8 s[36:43], s[4:5], 0x0
	v_bfe_u32 v1, v0, 10, 10
	v_and_b32_e32 v4, 0x3ff, v0
	v_mov_b32_e32 v16, 0xff800000
	s_waitcnt lgkmcnt(0)
	s_lshr_b32 s0, s0, 16
	s_mul_i32 s6, s6, s0
	v_add_u32_e32 v1, s6, v1
	v_sub_u32_e32 v5, s40, v1
	v_mad_u64_u32 v[0:1], s[0:1], v1, s41, v[4:5]
	v_ashrrev_i32_e32 v1, 31, v0
	v_lshlrev_b64 v[0:1], 1, v[0:1]
	v_mov_b32_e32 v3, s39
	v_add_co_u32_e32 v2, vcc, s38, v0
	v_cmp_lt_i32_e64 s[30:31], 0, v5
	v_cmp_gt_i32_e64 s[4:5], s42, v4
	v_addc_co_u32_e32 v3, vcc, v3, v1, vcc
	s_and_b64 s[2:3], s[30:31], s[4:5]
	v_mov_b32_e32 v22, 0xff800000
	s_and_saveexec_b64 s[0:1], s[2:3]
	s_cbranch_execz .LBB90_2
; %bb.1:
	global_load_ushort v6, v[2:3], off
	s_waitcnt vmcnt(0)
	v_cvt_f32_f16_e32 v22, v6
.LBB90_2:
	s_or_b64 exec, exec, s[0:1]
	v_add_u32_e32 v6, 64, v4
	v_cmp_gt_i32_e32 vcc, s42, v6
	s_and_b64 s[2:3], s[30:31], vcc
	s_and_saveexec_b64 s[0:1], s[2:3]
	s_cbranch_execz .LBB90_4
; %bb.3:
	global_load_ushort v6, v[2:3], off offset:128
	s_waitcnt vmcnt(0)
	v_cvt_f32_f16_e32 v16, v6
.LBB90_4:
	s_or_b64 exec, exec, s[0:1]
	v_add_u32_e32 v6, 0x80, v4
	v_cmp_gt_i32_e64 s[0:1], s42, v6
	s_and_b64 s[6:7], s[30:31], s[0:1]
	v_mov_b32_e32 v14, 0xff800000
	v_mov_b32_e32 v20, 0xff800000
	s_and_saveexec_b64 s[2:3], s[6:7]
	s_cbranch_execz .LBB90_6
; %bb.5:
	global_load_ushort v6, v[2:3], off offset:256
	s_waitcnt vmcnt(0)
	v_cvt_f32_f16_e32 v20, v6
.LBB90_6:
	s_or_b64 exec, exec, s[2:3]
	v_add_u32_e32 v6, 0xc0, v4
	v_cmp_gt_i32_e64 s[2:3], s42, v6
	s_and_b64 s[8:9], s[30:31], s[2:3]
	s_and_saveexec_b64 s[6:7], s[8:9]
	s_cbranch_execz .LBB90_8
; %bb.7:
	global_load_ushort v6, v[2:3], off offset:384
	s_waitcnt vmcnt(0)
	v_cvt_f32_f16_e32 v14, v6
.LBB90_8:
	s_or_b64 exec, exec, s[6:7]
	v_add_u32_e32 v6, 0x100, v4
	v_cmp_gt_i32_e64 s[6:7], s42, v6
	s_and_b64 s[10:11], s[30:31], s[6:7]
	v_mov_b32_e32 v12, 0xff800000
	v_mov_b32_e32 v19, 0xff800000
	s_and_saveexec_b64 s[8:9], s[10:11]
	s_cbranch_execz .LBB90_10
; %bb.9:
	global_load_ushort v6, v[2:3], off offset:512
	s_waitcnt vmcnt(0)
	v_cvt_f32_f16_e32 v19, v6
.LBB90_10:
	s_or_b64 exec, exec, s[8:9]
	v_add_u32_e32 v6, 0x140, v4
	v_cmp_gt_i32_e64 s[8:9], s42, v6
	s_and_b64 s[12:13], s[30:31], s[8:9]
	;; [unrolled: 24-line block ×7, first 2 shown]
	s_and_saveexec_b64 s[30:31], s[34:35]
	s_cbranch_execz .LBB90_32
; %bb.31:
	global_load_ushort v2, v[2:3], off offset:1920
	s_waitcnt vmcnt(0)
	v_cvt_f32_f16_e32 v6, v2
.LBB90_32:
	s_or_b64 exec, exec, s[30:31]
	v_cmp_gt_f32_e64 s[30:31], v22, v16
	v_cndmask_b32_e64 v2, v16, v22, s[30:31]
	v_cmp_gt_f32_e64 s[30:31], v2, v20
	v_cndmask_b32_e64 v2, v20, v2, s[30:31]
	;; [unrolled: 2-line block ×13, first 2 shown]
	v_mbcnt_lo_u32_b32 v3, -1, 0
	v_cmp_gt_f32_e64 s[30:31], v2, v11
	v_mbcnt_hi_u32_b32 v3, -1, v3
	v_cndmask_b32_e64 v2, v11, v2, s[30:31]
	v_and_b32_e32 v4, 64, v3
	v_cmp_gt_f32_e64 s[30:31], v2, v6
	v_add_u32_e32 v26, 64, v4
	v_xor_b32_e32 v4, 32, v3
	v_cndmask_b32_e64 v2, v6, v2, s[30:31]
	v_cmp_lt_i32_e64 s[30:31], v4, v26
	v_cndmask_b32_e64 v4, v3, v4, s[30:31]
	v_lshlrev_b32_e32 v4, 2, v4
	ds_bpermute_b32 v21, v4, v2
	s_mov_b32 s34, 0x3fb8aa3b
	s_mov_b32 s33, 0xc2ce8ed0
	;; [unrolled: 1-line block ×3, first 2 shown]
	s_waitcnt lgkmcnt(0)
	v_cmp_lt_f32_e64 s[30:31], v2, v21
	v_cndmask_b32_e64 v2, v2, v21, s[30:31]
	v_xor_b32_e32 v21, 16, v3
	v_cmp_lt_i32_e64 s[30:31], v21, v26
	v_cndmask_b32_e64 v21, v3, v21, s[30:31]
	v_lshlrev_b32_e32 v21, 2, v21
	ds_bpermute_b32 v23, v21, v2
	s_waitcnt lgkmcnt(0)
	v_cmp_lt_f32_e64 s[30:31], v2, v23
	v_cndmask_b32_e64 v2, v2, v23, s[30:31]
	v_xor_b32_e32 v23, 8, v3
	v_cmp_lt_i32_e64 s[30:31], v23, v26
	v_cndmask_b32_e64 v23, v3, v23, s[30:31]
	v_lshlrev_b32_e32 v23, 2, v23
	ds_bpermute_b32 v24, v23, v2
	;; [unrolled: 8-line block ×5, first 2 shown]
	s_waitcnt lgkmcnt(0)
	v_cmp_lt_f32_e64 s[30:31], v2, v3
	v_cndmask_b32_e64 v27, v2, v3, s[30:31]
	v_sub_f32_e32 v2, v22, v27
	v_mul_f32_e32 v3, 0x3fb8aa3b, v2
	v_fma_f32 v22, v2, s34, -v3
	v_rndne_f32_e32 v28, v3
	v_fmac_f32_e32 v22, 0x32a5705f, v2
	v_sub_f32_e32 v3, v3, v28
	v_add_f32_e32 v3, v3, v22
	v_exp_f32_e32 v3, v3
	v_cvt_i32_f32_e32 v22, v28
	v_cmp_ngt_f32_e64 s[30:31], s33, v2
	v_sub_f32_e32 v14, v14, v27
	v_sub_f32_e32 v19, v19, v27
	v_ldexp_f32 v3, v3, v22
	v_cndmask_b32_e64 v28, 0, v3, s[30:31]
	v_sub_f32_e32 v3, v16, v27
	v_mul_f32_e32 v16, 0x3fb8aa3b, v3
	v_fma_f32 v22, v3, s34, -v16
	v_rndne_f32_e32 v29, v16
	v_fmac_f32_e32 v22, 0x32a5705f, v3
	v_sub_f32_e32 v16, v16, v29
	v_add_f32_e32 v16, v16, v22
	v_exp_f32_e32 v16, v16
	v_cvt_i32_f32_e32 v29, v29
	v_mov_b32_e32 v22, 0x7f800000
	v_cmp_nlt_f32_e64 s[30:31], s35, v2
	v_cndmask_b32_e64 v28, v22, v28, s[30:31]
	v_ldexp_f32 v16, v16, v29
	v_cmp_ngt_f32_e64 s[30:31], s33, v3
	v_cndmask_b32_e64 v29, 0, v16, s[30:31]
	v_sub_f32_e32 v16, v20, v27
	v_mul_f32_e32 v20, 0x3fb8aa3b, v16
	v_fma_f32 v30, v16, s34, -v20
	v_rndne_f32_e32 v31, v20
	v_fmac_f32_e32 v30, 0x32a5705f, v16
	v_sub_f32_e32 v20, v20, v31
	v_add_f32_e32 v20, v20, v30
	v_exp_f32_e32 v20, v20
	v_cvt_i32_f32_e32 v30, v31
	v_cmp_nlt_f32_e64 s[30:31], s35, v3
	v_cndmask_b32_e64 v29, v22, v29, s[30:31]
	v_add_f32_e32 v28, v28, v29
	v_mul_f32_e32 v29, 0x3fb8aa3b, v14
	v_ldexp_f32 v20, v20, v30
	v_fma_f32 v30, v14, s34, -v29
	v_rndne_f32_e32 v31, v29
	v_fmac_f32_e32 v30, 0x32a5705f, v14
	v_sub_f32_e32 v29, v29, v31
	v_add_f32_e32 v29, v29, v30
	v_exp_f32_e32 v29, v29
	v_cvt_i32_f32_e32 v30, v31
	v_cmp_ngt_f32_e64 s[30:31], s33, v16
	v_cndmask_b32_e64 v20, 0, v20, s[30:31]
	v_cmp_nlt_f32_e64 s[30:31], s35, v16
	v_cndmask_b32_e64 v20, v22, v20, s[30:31]
	v_add_f32_e32 v20, v28, v20
	v_ldexp_f32 v28, v29, v30
	v_mul_f32_e32 v29, 0x3fb8aa3b, v19
	v_fma_f32 v30, v19, s34, -v29
	v_rndne_f32_e32 v31, v29
	v_fmac_f32_e32 v30, 0x32a5705f, v19
	v_sub_f32_e32 v29, v29, v31
	v_add_f32_e32 v29, v29, v30
	v_exp_f32_e32 v29, v29
	v_cvt_i32_f32_e32 v30, v31
	v_cmp_ngt_f32_e64 s[30:31], s33, v14
	v_cndmask_b32_e64 v28, 0, v28, s[30:31]
	v_cmp_nlt_f32_e64 s[30:31], s35, v14
	v_cndmask_b32_e64 v28, v22, v28, s[30:31]
	v_sub_f32_e32 v12, v12, v27
	v_add_f32_e32 v20, v20, v28
	v_ldexp_f32 v28, v29, v30
	v_mul_f32_e32 v29, 0x3fb8aa3b, v12
	v_fma_f32 v30, v12, s34, -v29
	v_rndne_f32_e32 v31, v29
	v_fmac_f32_e32 v30, 0x32a5705f, v12
	v_sub_f32_e32 v29, v29, v31
	v_add_f32_e32 v29, v29, v30
	v_exp_f32_e32 v29, v29
	v_cvt_i32_f32_e32 v30, v31
	v_cmp_ngt_f32_e64 s[30:31], s33, v19
	v_cndmask_b32_e64 v28, 0, v28, s[30:31]
	v_cmp_nlt_f32_e64 s[30:31], s35, v19
	v_cndmask_b32_e64 v28, v22, v28, s[30:31]
	v_sub_f32_e32 v18, v18, v27
	;; [unrolled: 15-line block ×10, first 2 shown]
	v_add_f32_e32 v20, v20, v28
	v_ldexp_f32 v28, v29, v30
	v_mul_f32_e32 v29, 0x3fb8aa3b, v11
	v_fma_f32 v30, v11, s34, -v29
	v_rndne_f32_e32 v31, v29
	v_fmac_f32_e32 v30, 0x32a5705f, v11
	v_sub_f32_e32 v29, v29, v31
	v_add_f32_e32 v29, v29, v30
	v_exp_f32_e32 v29, v29
	v_cvt_i32_f32_e32 v30, v31
	v_cmp_ngt_f32_e64 s[30:31], s33, v7
	v_cndmask_b32_e64 v28, 0, v28, s[30:31]
	v_cmp_nlt_f32_e64 s[30:31], s35, v7
	v_sub_f32_e32 v6, v6, v27
	v_cndmask_b32_e64 v28, v22, v28, s[30:31]
	v_mul_f32_e32 v27, 0x3fb8aa3b, v6
	v_add_f32_e32 v20, v20, v28
	v_ldexp_f32 v28, v29, v30
	v_fma_f32 v29, v6, s34, -v27
	v_rndne_f32_e32 v30, v27
	v_fmac_f32_e32 v29, 0x32a5705f, v6
	v_sub_f32_e32 v27, v27, v30
	v_add_f32_e32 v27, v27, v29
	v_exp_f32_e32 v27, v27
	v_cvt_i32_f32_e32 v29, v30
	v_cmp_ngt_f32_e64 s[30:31], s33, v11
	v_cndmask_b32_e64 v28, 0, v28, s[30:31]
	v_cmp_nlt_f32_e64 s[30:31], s35, v11
	v_cndmask_b32_e64 v28, v22, v28, s[30:31]
	v_ldexp_f32 v27, v27, v29
	v_cmp_ngt_f32_e64 s[30:31], s33, v6
	v_cndmask_b32_e64 v27, 0, v27, s[30:31]
	v_cmp_nlt_f32_e64 s[30:31], s35, v6
	v_add_f32_e32 v20, v20, v28
	v_cndmask_b32_e64 v22, v22, v27, s[30:31]
	v_add_f32_e32 v20, v20, v22
	ds_bpermute_b32 v4, v4, v20
	v_cmp_lt_i32_e64 s[30:31], 0, v5
	s_waitcnt lgkmcnt(0)
	v_add_f32_e32 v4, v20, v4
	ds_bpermute_b32 v20, v21, v4
	s_waitcnt lgkmcnt(0)
	v_add_f32_e32 v4, v4, v20
	ds_bpermute_b32 v20, v23, v4
	;; [unrolled: 3-line block ×5, first 2 shown]
	s_and_saveexec_b64 s[34:35], s[30:31]
	s_cbranch_execz .LBB90_50
; %bb.33:
	s_and_b64 exec, exec, s[4:5]
	s_cbranch_execz .LBB90_50
; %bb.34:
	s_waitcnt lgkmcnt(0)
	v_add_f32_e32 v4, v4, v20
	s_mov_b32 s4, 0x800000
	v_mov_b32_e32 v5, 0x4f800000
	v_cmp_gt_f32_e64 s[4:5], s4, v4
	v_cndmask_b32_e64 v5, 1.0, v5, s[4:5]
	v_mul_f32_e32 v4, v4, v5
	v_log_f32_e32 v4, v4
	s_mov_b32 s30, 0x3f317217
	v_mul_f32_e32 v5, 0x3f317217, v4
	v_fma_f32 v20, v4, s30, -v5
	v_fmac_f32_e32 v20, 0x3377d1cf, v4
	s_mov_b32 s30, 0x7f800000
	v_add_f32_e32 v5, v5, v20
	v_cmp_lt_f32_e64 s[30:31], |v4|, s30
	v_cndmask_b32_e64 v4, v4, v5, s[30:31]
	v_mov_b32_e32 v5, 0x41b17218
	v_cndmask_b32_e64 v5, 0, v5, s[4:5]
	v_sub_f32_e32 v4, v4, v5
	v_sub_f32_e32 v2, v2, v4
	v_cvt_f16_f32_e32 v2, v2
	v_mov_b32_e32 v5, s37
	v_add_co_u32_e64 v0, s[4:5], s36, v0
	v_addc_co_u32_e64 v1, s[4:5], v5, v1, s[4:5]
	global_store_short v[0:1], v2, off
	s_and_b64 exec, exec, vcc
	s_cbranch_execz .LBB90_50
; %bb.35:
	v_sub_f32_e32 v2, v3, v4
	v_cvt_f16_f32_e32 v2, v2
	global_store_short v[0:1], v2, off offset:128
	s_and_b64 exec, exec, s[0:1]
	s_cbranch_execz .LBB90_50
; %bb.36:
	v_sub_f32_e32 v2, v16, v4
	v_cvt_f16_f32_e32 v2, v2
	global_store_short v[0:1], v2, off offset:256
	s_and_b64 exec, exec, s[2:3]
	;; [unrolled: 6-line block ×14, first 2 shown]
	s_cbranch_execz .LBB90_50
; %bb.49:
	v_sub_f32_e32 v2, v6, v4
	v_cvt_f16_f32_e32 v2, v2
	global_store_short v[0:1], v2, off offset:1920
.LBB90_50:
	s_endpgm
	.section	.rodata,"a",@progbits
	.p2align	6, 0x0
	.amdhsa_kernel _ZN12_GLOBAL__N_120softmax_warp_forwardIN3c104HalfES2_fLi10ELb1ELb0ELi64EEEvPT0_PKT_iiiPKbib
		.amdhsa_group_segment_fixed_size 0
		.amdhsa_private_segment_fixed_size 0
		.amdhsa_kernarg_size 304
		.amdhsa_user_sgpr_count 6
		.amdhsa_user_sgpr_private_segment_buffer 1
		.amdhsa_user_sgpr_dispatch_ptr 0
		.amdhsa_user_sgpr_queue_ptr 0
		.amdhsa_user_sgpr_kernarg_segment_ptr 1
		.amdhsa_user_sgpr_dispatch_id 0
		.amdhsa_user_sgpr_flat_scratch_init 0
		.amdhsa_user_sgpr_kernarg_preload_length 0
		.amdhsa_user_sgpr_kernarg_preload_offset 0
		.amdhsa_user_sgpr_private_segment_size 0
		.amdhsa_uses_dynamic_stack 0
		.amdhsa_system_sgpr_private_segment_wavefront_offset 0
		.amdhsa_system_sgpr_workgroup_id_x 1
		.amdhsa_system_sgpr_workgroup_id_y 0
		.amdhsa_system_sgpr_workgroup_id_z 0
		.amdhsa_system_sgpr_workgroup_info 0
		.amdhsa_system_vgpr_workitem_id 1
		.amdhsa_next_free_vgpr 32
		.amdhsa_next_free_sgpr 44
		.amdhsa_accum_offset 32
		.amdhsa_reserve_vcc 1
		.amdhsa_reserve_flat_scratch 0
		.amdhsa_float_round_mode_32 0
		.amdhsa_float_round_mode_16_64 0
		.amdhsa_float_denorm_mode_32 3
		.amdhsa_float_denorm_mode_16_64 3
		.amdhsa_dx10_clamp 1
		.amdhsa_ieee_mode 1
		.amdhsa_fp16_overflow 0
		.amdhsa_tg_split 0
		.amdhsa_exception_fp_ieee_invalid_op 0
		.amdhsa_exception_fp_denorm_src 0
		.amdhsa_exception_fp_ieee_div_zero 0
		.amdhsa_exception_fp_ieee_overflow 0
		.amdhsa_exception_fp_ieee_underflow 0
		.amdhsa_exception_fp_ieee_inexact 0
		.amdhsa_exception_int_div_zero 0
	.end_amdhsa_kernel
	.section	.text._ZN12_GLOBAL__N_120softmax_warp_forwardIN3c104HalfES2_fLi10ELb1ELb0ELi64EEEvPT0_PKT_iiiPKbib,"axG",@progbits,_ZN12_GLOBAL__N_120softmax_warp_forwardIN3c104HalfES2_fLi10ELb1ELb0ELi64EEEvPT0_PKT_iiiPKbib,comdat
.Lfunc_end90:
	.size	_ZN12_GLOBAL__N_120softmax_warp_forwardIN3c104HalfES2_fLi10ELb1ELb0ELi64EEEvPT0_PKT_iiiPKbib, .Lfunc_end90-_ZN12_GLOBAL__N_120softmax_warp_forwardIN3c104HalfES2_fLi10ELb1ELb0ELi64EEEvPT0_PKT_iiiPKbib
                                        ; -- End function
	.section	.AMDGPU.csdata,"",@progbits
; Kernel info:
; codeLenInByte = 3688
; NumSgprs: 48
; NumVgprs: 32
; NumAgprs: 0
; TotalNumVgprs: 32
; ScratchSize: 0
; MemoryBound: 0
; FloatMode: 240
; IeeeMode: 1
; LDSByteSize: 0 bytes/workgroup (compile time only)
; SGPRBlocks: 5
; VGPRBlocks: 3
; NumSGPRsForWavesPerEU: 48
; NumVGPRsForWavesPerEU: 32
; AccumOffset: 32
; Occupancy: 8
; WaveLimiterHint : 0
; COMPUTE_PGM_RSRC2:SCRATCH_EN: 0
; COMPUTE_PGM_RSRC2:USER_SGPR: 6
; COMPUTE_PGM_RSRC2:TRAP_HANDLER: 0
; COMPUTE_PGM_RSRC2:TGID_X_EN: 1
; COMPUTE_PGM_RSRC2:TGID_Y_EN: 0
; COMPUTE_PGM_RSRC2:TGID_Z_EN: 0
; COMPUTE_PGM_RSRC2:TIDIG_COMP_CNT: 1
; COMPUTE_PGM_RSRC3_GFX90A:ACCUM_OFFSET: 7
; COMPUTE_PGM_RSRC3_GFX90A:TG_SPLIT: 0
	.section	.text._ZN12_GLOBAL__N_120softmax_warp_forwardIN3c104HalfES2_fLi10ELb1ELb0ELi32EEEvPT0_PKT_iiiPKbib,"axG",@progbits,_ZN12_GLOBAL__N_120softmax_warp_forwardIN3c104HalfES2_fLi10ELb1ELb0ELi32EEEvPT0_PKT_iiiPKbib,comdat
	.globl	_ZN12_GLOBAL__N_120softmax_warp_forwardIN3c104HalfES2_fLi10ELb1ELb0ELi32EEEvPT0_PKT_iiiPKbib ; -- Begin function _ZN12_GLOBAL__N_120softmax_warp_forwardIN3c104HalfES2_fLi10ELb1ELb0ELi32EEEvPT0_PKT_iiiPKbib
	.p2align	8
	.type	_ZN12_GLOBAL__N_120softmax_warp_forwardIN3c104HalfES2_fLi10ELb1ELb0ELi32EEEvPT0_PKT_iiiPKbib,@function
_ZN12_GLOBAL__N_120softmax_warp_forwardIN3c104HalfES2_fLi10ELb1ELb0ELi32EEEvPT0_PKT_iiiPKbib: ; @_ZN12_GLOBAL__N_120softmax_warp_forwardIN3c104HalfES2_fLi10ELb1ELb0ELi32EEEvPT0_PKT_iiiPKbib
; %bb.0:
	s_load_dword s0, s[4:5], 0x3c
	s_load_dwordx8 s[68:75], s[4:5], 0x0
	v_bfe_u32 v1, v0, 10, 10
	v_and_b32_e32 v4, 0x3ff, v0
	v_mov_b32_e32 v32, 0xff800000
	s_waitcnt lgkmcnt(0)
	s_lshr_b32 s0, s0, 16
	s_mul_i32 s6, s6, s0
	v_add_u32_e32 v1, s6, v1
	v_sub_u32_e32 v5, s72, v1
	v_mad_u64_u32 v[0:1], s[0:1], v1, s73, v[4:5]
	v_ashrrev_i32_e32 v1, 31, v0
	v_lshlrev_b64 v[0:1], 1, v[0:1]
	v_mov_b32_e32 v3, s71
	v_add_co_u32_e32 v2, vcc, s70, v0
	v_cmp_lt_i32_e64 s[64:65], 0, v5
	v_cmp_gt_i32_e64 s[4:5], s74, v4
	v_addc_co_u32_e32 v3, vcc, v3, v1, vcc
	s_and_b64 s[2:3], s[64:65], s[4:5]
	v_mov_b32_e32 v40, 0xff800000
	s_and_saveexec_b64 s[0:1], s[2:3]
	s_cbranch_execz .LBB91_2
; %bb.1:
	global_load_ushort v6, v[2:3], off
	s_waitcnt vmcnt(0)
	v_cvt_f32_f16_e32 v40, v6
.LBB91_2:
	s_or_b64 exec, exec, s[0:1]
	v_add_u32_e32 v6, 32, v4
	v_cmp_gt_i32_e32 vcc, s74, v6
	s_and_b64 s[2:3], s[64:65], vcc
	s_and_saveexec_b64 s[0:1], s[2:3]
	s_cbranch_execz .LBB91_4
; %bb.3:
	global_load_ushort v6, v[2:3], off offset:64
	s_waitcnt vmcnt(0)
	v_cvt_f32_f16_e32 v32, v6
.LBB91_4:
	s_or_b64 exec, exec, s[0:1]
	v_add_u32_e32 v6, 64, v4
	v_cmp_gt_i32_e64 s[0:1], s74, v6
	s_and_b64 s[6:7], s[64:65], s[0:1]
	v_mov_b32_e32 v30, 0xff800000
	v_mov_b32_e32 v38, 0xff800000
	s_and_saveexec_b64 s[2:3], s[6:7]
	s_cbranch_execz .LBB91_6
; %bb.5:
	global_load_ushort v6, v[2:3], off offset:128
	s_waitcnt vmcnt(0)
	v_cvt_f32_f16_e32 v38, v6
.LBB91_6:
	s_or_b64 exec, exec, s[2:3]
	v_add_u32_e32 v6, 0x60, v4
	v_cmp_gt_i32_e64 s[2:3], s74, v6
	s_and_b64 s[8:9], s[64:65], s[2:3]
	s_and_saveexec_b64 s[6:7], s[8:9]
	s_cbranch_execz .LBB91_8
; %bb.7:
	global_load_ushort v6, v[2:3], off offset:192
	s_waitcnt vmcnt(0)
	v_cvt_f32_f16_e32 v30, v6
.LBB91_8:
	s_or_b64 exec, exec, s[6:7]
	v_add_u32_e32 v6, 0x80, v4
	v_cmp_gt_i32_e64 s[6:7], s74, v6
	s_and_b64 s[10:11], s[64:65], s[6:7]
	v_mov_b32_e32 v28, 0xff800000
	v_mov_b32_e32 v36, 0xff800000
	s_and_saveexec_b64 s[8:9], s[10:11]
	s_cbranch_execz .LBB91_10
; %bb.9:
	global_load_ushort v6, v[2:3], off offset:256
	s_waitcnt vmcnt(0)
	v_cvt_f32_f16_e32 v36, v6
.LBB91_10:
	s_or_b64 exec, exec, s[8:9]
	v_add_u32_e32 v6, 0xa0, v4
	v_cmp_gt_i32_e64 s[8:9], s74, v6
	s_and_b64 s[12:13], s[64:65], s[8:9]
	;; [unrolled: 24-line block ×15, first 2 shown]
	s_and_saveexec_b64 s[64:65], s[66:67]
	s_cbranch_execz .LBB91_64
; %bb.63:
	global_load_ushort v2, v[2:3], off offset:1984
	s_waitcnt vmcnt(0)
	v_cvt_f32_f16_e32 v6, v2
.LBB91_64:
	s_or_b64 exec, exec, s[64:65]
	v_cmp_gt_f32_e64 s[64:65], v40, v32
	v_cndmask_b32_e64 v2, v32, v40, s[64:65]
	v_cmp_gt_f32_e64 s[64:65], v2, v38
	v_cndmask_b32_e64 v2, v38, v2, s[64:65]
	;; [unrolled: 2-line block ×29, first 2 shown]
	v_mbcnt_lo_u32_b32 v3, -1, 0
	v_cmp_gt_f32_e64 s[64:65], v2, v11
	v_mbcnt_hi_u32_b32 v3, -1, v3
	v_cndmask_b32_e64 v2, v11, v2, s[64:65]
	v_and_b32_e32 v4, 0x60, v3
	v_cmp_gt_f32_e64 s[64:65], v2, v6
	v_add_u32_e32 v41, 32, v4
	v_xor_b32_e32 v4, 16, v3
	v_cndmask_b32_e64 v2, v6, v2, s[64:65]
	v_cmp_lt_i32_e64 s[64:65], v4, v41
	v_cndmask_b32_e64 v4, v3, v4, s[64:65]
	v_lshlrev_b32_e32 v4, 2, v4
	ds_bpermute_b32 v35, v4, v2
	s_mov_b32 s66, 0x3fb8aa3b
	s_mov_b32 s33, 0xc2ce8ed0
	;; [unrolled: 1-line block ×3, first 2 shown]
	s_waitcnt lgkmcnt(0)
	v_cmp_lt_f32_e64 s[64:65], v2, v35
	v_cndmask_b32_e64 v2, v2, v35, s[64:65]
	v_xor_b32_e32 v35, 8, v3
	v_cmp_lt_i32_e64 s[64:65], v35, v41
	v_cndmask_b32_e64 v35, v3, v35, s[64:65]
	v_lshlrev_b32_e32 v35, 2, v35
	ds_bpermute_b32 v37, v35, v2
	s_waitcnt lgkmcnt(0)
	v_cmp_lt_f32_e64 s[64:65], v2, v37
	v_cndmask_b32_e64 v2, v2, v37, s[64:65]
	v_xor_b32_e32 v37, 4, v3
	v_cmp_lt_i32_e64 s[64:65], v37, v41
	v_cndmask_b32_e64 v37, v3, v37, s[64:65]
	v_lshlrev_b32_e32 v37, 2, v37
	ds_bpermute_b32 v39, v37, v2
	;; [unrolled: 8-line block ×4, first 2 shown]
	s_waitcnt lgkmcnt(0)
	v_cmp_lt_f32_e64 s[64:65], v2, v3
	v_cndmask_b32_e64 v42, v2, v3, s[64:65]
	v_sub_f32_e32 v2, v40, v42
	v_mul_f32_e32 v3, 0x3fb8aa3b, v2
	v_fma_f32 v40, v2, s66, -v3
	v_rndne_f32_e32 v43, v3
	v_fmac_f32_e32 v40, 0x32a5705f, v2
	v_sub_f32_e32 v3, v3, v43
	v_add_f32_e32 v3, v3, v40
	v_exp_f32_e32 v3, v3
	v_cvt_i32_f32_e32 v40, v43
	v_cmp_ngt_f32_e64 s[64:65], s33, v2
	v_sub_f32_e32 v30, v30, v42
	v_sub_f32_e32 v36, v36, v42
	v_ldexp_f32 v3, v3, v40
	v_cndmask_b32_e64 v43, 0, v3, s[64:65]
	v_sub_f32_e32 v3, v32, v42
	v_mul_f32_e32 v32, 0x3fb8aa3b, v3
	v_fma_f32 v40, v3, s66, -v32
	v_rndne_f32_e32 v44, v32
	v_fmac_f32_e32 v40, 0x32a5705f, v3
	v_sub_f32_e32 v32, v32, v44
	v_add_f32_e32 v32, v32, v40
	v_exp_f32_e32 v32, v32
	v_cvt_i32_f32_e32 v44, v44
	v_mov_b32_e32 v40, 0x7f800000
	v_cmp_nlt_f32_e64 s[64:65], s67, v2
	v_cndmask_b32_e64 v43, v40, v43, s[64:65]
	v_ldexp_f32 v32, v32, v44
	v_cmp_ngt_f32_e64 s[64:65], s33, v3
	v_cndmask_b32_e64 v44, 0, v32, s[64:65]
	v_sub_f32_e32 v32, v38, v42
	v_mul_f32_e32 v38, 0x3fb8aa3b, v32
	v_fma_f32 v45, v32, s66, -v38
	v_rndne_f32_e32 v46, v38
	v_fmac_f32_e32 v45, 0x32a5705f, v32
	v_sub_f32_e32 v38, v38, v46
	v_add_f32_e32 v38, v38, v45
	v_exp_f32_e32 v38, v38
	v_cvt_i32_f32_e32 v45, v46
	v_cmp_nlt_f32_e64 s[64:65], s67, v3
	v_cndmask_b32_e64 v44, v40, v44, s[64:65]
	v_add_f32_e32 v43, v43, v44
	v_mul_f32_e32 v44, 0x3fb8aa3b, v30
	v_ldexp_f32 v38, v38, v45
	v_fma_f32 v45, v30, s66, -v44
	v_rndne_f32_e32 v46, v44
	v_fmac_f32_e32 v45, 0x32a5705f, v30
	v_sub_f32_e32 v44, v44, v46
	v_add_f32_e32 v44, v44, v45
	v_exp_f32_e32 v44, v44
	v_cvt_i32_f32_e32 v45, v46
	v_cmp_ngt_f32_e64 s[64:65], s33, v32
	v_cndmask_b32_e64 v38, 0, v38, s[64:65]
	v_cmp_nlt_f32_e64 s[64:65], s67, v32
	v_cndmask_b32_e64 v38, v40, v38, s[64:65]
	v_add_f32_e32 v38, v43, v38
	v_ldexp_f32 v43, v44, v45
	v_mul_f32_e32 v44, 0x3fb8aa3b, v36
	v_fma_f32 v45, v36, s66, -v44
	v_rndne_f32_e32 v46, v44
	v_fmac_f32_e32 v45, 0x32a5705f, v36
	v_sub_f32_e32 v44, v44, v46
	v_add_f32_e32 v44, v44, v45
	v_exp_f32_e32 v44, v44
	v_cvt_i32_f32_e32 v45, v46
	v_cmp_ngt_f32_e64 s[64:65], s33, v30
	v_cndmask_b32_e64 v43, 0, v43, s[64:65]
	v_cmp_nlt_f32_e64 s[64:65], s67, v30
	v_cndmask_b32_e64 v43, v40, v43, s[64:65]
	v_sub_f32_e32 v28, v28, v42
	v_add_f32_e32 v38, v38, v43
	v_ldexp_f32 v43, v44, v45
	v_mul_f32_e32 v44, 0x3fb8aa3b, v28
	v_fma_f32 v45, v28, s66, -v44
	v_rndne_f32_e32 v46, v44
	v_fmac_f32_e32 v45, 0x32a5705f, v28
	v_sub_f32_e32 v44, v44, v46
	v_add_f32_e32 v44, v44, v45
	v_exp_f32_e32 v44, v44
	v_cvt_i32_f32_e32 v45, v46
	v_cmp_ngt_f32_e64 s[64:65], s33, v36
	v_cndmask_b32_e64 v43, 0, v43, s[64:65]
	v_cmp_nlt_f32_e64 s[64:65], s67, v36
	v_cndmask_b32_e64 v43, v40, v43, s[64:65]
	v_sub_f32_e32 v34, v34, v42
	;; [unrolled: 15-line block ×26, first 2 shown]
	v_add_f32_e32 v38, v38, v43
	v_ldexp_f32 v43, v44, v45
	v_mul_f32_e32 v44, 0x3fb8aa3b, v11
	v_fma_f32 v45, v11, s66, -v44
	v_rndne_f32_e32 v46, v44
	v_fmac_f32_e32 v45, 0x32a5705f, v11
	v_sub_f32_e32 v44, v44, v46
	v_add_f32_e32 v44, v44, v45
	v_exp_f32_e32 v44, v44
	v_cvt_i32_f32_e32 v45, v46
	v_cmp_ngt_f32_e64 s[64:65], s33, v7
	v_cndmask_b32_e64 v43, 0, v43, s[64:65]
	v_cmp_nlt_f32_e64 s[64:65], s67, v7
	v_sub_f32_e32 v6, v6, v42
	v_cndmask_b32_e64 v43, v40, v43, s[64:65]
	v_mul_f32_e32 v42, 0x3fb8aa3b, v6
	v_add_f32_e32 v38, v38, v43
	v_ldexp_f32 v43, v44, v45
	v_fma_f32 v44, v6, s66, -v42
	v_rndne_f32_e32 v45, v42
	v_fmac_f32_e32 v44, 0x32a5705f, v6
	v_sub_f32_e32 v42, v42, v45
	v_add_f32_e32 v42, v42, v44
	v_exp_f32_e32 v42, v42
	v_cvt_i32_f32_e32 v44, v45
	v_cmp_ngt_f32_e64 s[64:65], s33, v11
	v_cndmask_b32_e64 v43, 0, v43, s[64:65]
	v_cmp_nlt_f32_e64 s[64:65], s67, v11
	v_cndmask_b32_e64 v43, v40, v43, s[64:65]
	v_ldexp_f32 v42, v42, v44
	v_cmp_ngt_f32_e64 s[64:65], s33, v6
	v_cndmask_b32_e64 v42, 0, v42, s[64:65]
	v_cmp_nlt_f32_e64 s[64:65], s67, v6
	v_add_f32_e32 v38, v38, v43
	v_cndmask_b32_e64 v40, v40, v42, s[64:65]
	v_add_f32_e32 v38, v38, v40
	ds_bpermute_b32 v4, v4, v38
	v_cmp_lt_i32_e64 s[64:65], 0, v5
	s_waitcnt lgkmcnt(0)
	v_add_f32_e32 v4, v38, v4
	ds_bpermute_b32 v35, v35, v4
	s_waitcnt lgkmcnt(0)
	v_add_f32_e32 v4, v4, v35
	ds_bpermute_b32 v35, v37, v4
	;; [unrolled: 3-line block ×4, first 2 shown]
	s_and_saveexec_b64 s[66:67], s[64:65]
	s_cbranch_execz .LBB91_98
; %bb.65:
	s_and_b64 exec, exec, s[4:5]
	s_cbranch_execz .LBB91_98
; %bb.66:
	s_waitcnt lgkmcnt(0)
	v_add_f32_e32 v4, v4, v35
	s_mov_b32 s4, 0x800000
	v_mov_b32_e32 v5, 0x4f800000
	v_cmp_gt_f32_e64 s[4:5], s4, v4
	v_cndmask_b32_e64 v5, 1.0, v5, s[4:5]
	v_mul_f32_e32 v4, v4, v5
	v_log_f32_e32 v4, v4
	s_mov_b32 s33, 0x3f317217
	v_mul_f32_e32 v5, 0x3f317217, v4
	v_fma_f32 v35, v4, s33, -v5
	v_fmac_f32_e32 v35, 0x3377d1cf, v4
	s_mov_b32 s33, 0x7f800000
	v_add_f32_e32 v5, v5, v35
	v_cmp_lt_f32_e64 s[64:65], |v4|, s33
	v_cndmask_b32_e64 v4, v4, v5, s[64:65]
	v_mov_b32_e32 v5, 0x41b17218
	v_cndmask_b32_e64 v5, 0, v5, s[4:5]
	v_sub_f32_e32 v4, v4, v5
	v_sub_f32_e32 v2, v2, v4
	v_cvt_f16_f32_e32 v2, v2
	v_mov_b32_e32 v5, s69
	v_add_co_u32_e64 v0, s[4:5], s68, v0
	v_addc_co_u32_e64 v1, s[4:5], v5, v1, s[4:5]
	global_store_short v[0:1], v2, off
	s_and_b64 exec, exec, vcc
	s_cbranch_execz .LBB91_98
; %bb.67:
	v_sub_f32_e32 v2, v3, v4
	v_cvt_f16_f32_e32 v2, v2
	global_store_short v[0:1], v2, off offset:64
	s_and_b64 exec, exec, s[0:1]
	s_cbranch_execz .LBB91_98
; %bb.68:
	v_sub_f32_e32 v2, v32, v4
	v_cvt_f16_f32_e32 v2, v2
	global_store_short v[0:1], v2, off offset:128
	s_and_b64 exec, exec, s[2:3]
	;; [unrolled: 6-line block ×30, first 2 shown]
	s_cbranch_execz .LBB91_98
; %bb.97:
	v_sub_f32_e32 v2, v6, v4
	v_cvt_f16_f32_e32 v2, v2
	global_store_short v[0:1], v2, off offset:1984
.LBB91_98:
	s_endpgm
	.section	.rodata,"a",@progbits
	.p2align	6, 0x0
	.amdhsa_kernel _ZN12_GLOBAL__N_120softmax_warp_forwardIN3c104HalfES2_fLi10ELb1ELb0ELi32EEEvPT0_PKT_iiiPKbib
		.amdhsa_group_segment_fixed_size 0
		.amdhsa_private_segment_fixed_size 0
		.amdhsa_kernarg_size 304
		.amdhsa_user_sgpr_count 6
		.amdhsa_user_sgpr_private_segment_buffer 1
		.amdhsa_user_sgpr_dispatch_ptr 0
		.amdhsa_user_sgpr_queue_ptr 0
		.amdhsa_user_sgpr_kernarg_segment_ptr 1
		.amdhsa_user_sgpr_dispatch_id 0
		.amdhsa_user_sgpr_flat_scratch_init 0
		.amdhsa_user_sgpr_kernarg_preload_length 0
		.amdhsa_user_sgpr_kernarg_preload_offset 0
		.amdhsa_user_sgpr_private_segment_size 0
		.amdhsa_uses_dynamic_stack 0
		.amdhsa_system_sgpr_private_segment_wavefront_offset 0
		.amdhsa_system_sgpr_workgroup_id_x 1
		.amdhsa_system_sgpr_workgroup_id_y 0
		.amdhsa_system_sgpr_workgroup_id_z 0
		.amdhsa_system_sgpr_workgroup_info 0
		.amdhsa_system_vgpr_workitem_id 1
		.amdhsa_next_free_vgpr 47
		.amdhsa_next_free_sgpr 76
		.amdhsa_accum_offset 48
		.amdhsa_reserve_vcc 1
		.amdhsa_reserve_flat_scratch 0
		.amdhsa_float_round_mode_32 0
		.amdhsa_float_round_mode_16_64 0
		.amdhsa_float_denorm_mode_32 3
		.amdhsa_float_denorm_mode_16_64 3
		.amdhsa_dx10_clamp 1
		.amdhsa_ieee_mode 1
		.amdhsa_fp16_overflow 0
		.amdhsa_tg_split 0
		.amdhsa_exception_fp_ieee_invalid_op 0
		.amdhsa_exception_fp_denorm_src 0
		.amdhsa_exception_fp_ieee_div_zero 0
		.amdhsa_exception_fp_ieee_overflow 0
		.amdhsa_exception_fp_ieee_underflow 0
		.amdhsa_exception_fp_ieee_inexact 0
		.amdhsa_exception_int_div_zero 0
	.end_amdhsa_kernel
	.section	.text._ZN12_GLOBAL__N_120softmax_warp_forwardIN3c104HalfES2_fLi10ELb1ELb0ELi32EEEvPT0_PKT_iiiPKbib,"axG",@progbits,_ZN12_GLOBAL__N_120softmax_warp_forwardIN3c104HalfES2_fLi10ELb1ELb0ELi32EEEvPT0_PKT_iiiPKbib,comdat
.Lfunc_end91:
	.size	_ZN12_GLOBAL__N_120softmax_warp_forwardIN3c104HalfES2_fLi10ELb1ELb0ELi32EEEvPT0_PKT_iiiPKbib, .Lfunc_end91-_ZN12_GLOBAL__N_120softmax_warp_forwardIN3c104HalfES2_fLi10ELb1ELb0ELi32EEEvPT0_PKT_iiiPKbib
                                        ; -- End function
	.section	.AMDGPU.csdata,"",@progbits
; Kernel info:
; codeLenInByte = 6628
; NumSgprs: 80
; NumVgprs: 47
; NumAgprs: 0
; TotalNumVgprs: 47
; ScratchSize: 0
; MemoryBound: 0
; FloatMode: 240
; IeeeMode: 1
; LDSByteSize: 0 bytes/workgroup (compile time only)
; SGPRBlocks: 9
; VGPRBlocks: 5
; NumSGPRsForWavesPerEU: 80
; NumVGPRsForWavesPerEU: 47
; AccumOffset: 48
; Occupancy: 8
; WaveLimiterHint : 0
; COMPUTE_PGM_RSRC2:SCRATCH_EN: 0
; COMPUTE_PGM_RSRC2:USER_SGPR: 6
; COMPUTE_PGM_RSRC2:TRAP_HANDLER: 0
; COMPUTE_PGM_RSRC2:TGID_X_EN: 1
; COMPUTE_PGM_RSRC2:TGID_Y_EN: 0
; COMPUTE_PGM_RSRC2:TGID_Z_EN: 0
; COMPUTE_PGM_RSRC2:TIDIG_COMP_CNT: 1
; COMPUTE_PGM_RSRC3_GFX90A:ACCUM_OFFSET: 11
; COMPUTE_PGM_RSRC3_GFX90A:TG_SPLIT: 0
	.section	.text._ZN12_GLOBAL__N_120softmax_warp_forwardIN3c104HalfES2_fLi11ELb1ELb0ELi64EEEvPT0_PKT_iiiPKbib,"axG",@progbits,_ZN12_GLOBAL__N_120softmax_warp_forwardIN3c104HalfES2_fLi11ELb1ELb0ELi64EEEvPT0_PKT_iiiPKbib,comdat
	.globl	_ZN12_GLOBAL__N_120softmax_warp_forwardIN3c104HalfES2_fLi11ELb1ELb0ELi64EEEvPT0_PKT_iiiPKbib ; -- Begin function _ZN12_GLOBAL__N_120softmax_warp_forwardIN3c104HalfES2_fLi11ELb1ELb0ELi64EEEvPT0_PKT_iiiPKbib
	.p2align	8
	.type	_ZN12_GLOBAL__N_120softmax_warp_forwardIN3c104HalfES2_fLi11ELb1ELb0ELi64EEEvPT0_PKT_iiiPKbib,@function
_ZN12_GLOBAL__N_120softmax_warp_forwardIN3c104HalfES2_fLi11ELb1ELb0ELi64EEEvPT0_PKT_iiiPKbib: ; @_ZN12_GLOBAL__N_120softmax_warp_forwardIN3c104HalfES2_fLi11ELb1ELb0ELi64EEEvPT0_PKT_iiiPKbib
; %bb.0:
	s_load_dword s0, s[4:5], 0x3c
	s_load_dwordx8 s[68:75], s[4:5], 0x0
	v_bfe_u32 v1, v0, 10, 10
	v_and_b32_e32 v4, 0x3ff, v0
	v_mov_b32_e32 v32, 0xff800000
	s_waitcnt lgkmcnt(0)
	s_lshr_b32 s0, s0, 16
	s_mul_i32 s6, s6, s0
	v_add_u32_e32 v1, s6, v1
	v_sub_u32_e32 v5, s72, v1
	v_mad_u64_u32 v[0:1], s[0:1], v1, s73, v[4:5]
	v_ashrrev_i32_e32 v1, 31, v0
	v_lshlrev_b64 v[0:1], 1, v[0:1]
	v_mov_b32_e32 v3, s71
	v_add_co_u32_e32 v2, vcc, s70, v0
	v_cmp_lt_i32_e64 s[64:65], 0, v5
	v_cmp_gt_i32_e64 s[4:5], s74, v4
	v_addc_co_u32_e32 v3, vcc, v3, v1, vcc
	s_and_b64 s[2:3], s[64:65], s[4:5]
	v_mov_b32_e32 v40, 0xff800000
	s_and_saveexec_b64 s[0:1], s[2:3]
	s_cbranch_execz .LBB92_2
; %bb.1:
	global_load_ushort v6, v[2:3], off
	s_waitcnt vmcnt(0)
	v_cvt_f32_f16_e32 v40, v6
.LBB92_2:
	s_or_b64 exec, exec, s[0:1]
	v_add_u32_e32 v6, 64, v4
	v_cmp_gt_i32_e32 vcc, s74, v6
	s_and_b64 s[2:3], s[64:65], vcc
	s_and_saveexec_b64 s[0:1], s[2:3]
	s_cbranch_execz .LBB92_4
; %bb.3:
	global_load_ushort v6, v[2:3], off offset:128
	s_waitcnt vmcnt(0)
	v_cvt_f32_f16_e32 v32, v6
.LBB92_4:
	s_or_b64 exec, exec, s[0:1]
	v_add_u32_e32 v6, 0x80, v4
	v_cmp_gt_i32_e64 s[0:1], s74, v6
	s_and_b64 s[6:7], s[64:65], s[0:1]
	v_mov_b32_e32 v30, 0xff800000
	v_mov_b32_e32 v38, 0xff800000
	s_and_saveexec_b64 s[2:3], s[6:7]
	s_cbranch_execz .LBB92_6
; %bb.5:
	global_load_ushort v6, v[2:3], off offset:256
	s_waitcnt vmcnt(0)
	v_cvt_f32_f16_e32 v38, v6
.LBB92_6:
	s_or_b64 exec, exec, s[2:3]
	v_add_u32_e32 v6, 0xc0, v4
	v_cmp_gt_i32_e64 s[2:3], s74, v6
	s_and_b64 s[8:9], s[64:65], s[2:3]
	s_and_saveexec_b64 s[6:7], s[8:9]
	s_cbranch_execz .LBB92_8
; %bb.7:
	global_load_ushort v6, v[2:3], off offset:384
	s_waitcnt vmcnt(0)
	v_cvt_f32_f16_e32 v30, v6
.LBB92_8:
	s_or_b64 exec, exec, s[6:7]
	v_add_u32_e32 v6, 0x100, v4
	v_cmp_gt_i32_e64 s[6:7], s74, v6
	s_and_b64 s[10:11], s[64:65], s[6:7]
	v_mov_b32_e32 v28, 0xff800000
	v_mov_b32_e32 v36, 0xff800000
	s_and_saveexec_b64 s[8:9], s[10:11]
	s_cbranch_execz .LBB92_10
; %bb.9:
	global_load_ushort v6, v[2:3], off offset:512
	s_waitcnt vmcnt(0)
	v_cvt_f32_f16_e32 v36, v6
.LBB92_10:
	s_or_b64 exec, exec, s[8:9]
	v_add_u32_e32 v6, 0x140, v4
	v_cmp_gt_i32_e64 s[8:9], s74, v6
	s_and_b64 s[12:13], s[64:65], s[8:9]
	;; [unrolled: 24-line block ×7, first 2 shown]
	s_and_saveexec_b64 s[30:31], s[34:35]
	s_cbranch_execz .LBB92_32
; %bb.31:
	global_load_ushort v6, v[2:3], off offset:1920
	s_waitcnt vmcnt(0)
	v_cvt_f32_f16_e32 v18, v6
.LBB92_32:
	s_or_b64 exec, exec, s[30:31]
	v_or_b32_e32 v6, 0x400, v4
	v_cmp_gt_i32_e64 s[30:31], s74, v6
	s_and_b64 s[36:37], s[64:65], s[30:31]
	v_mov_b32_e32 v16, 0xff800000
	v_mov_b32_e32 v25, 0xff800000
	s_and_saveexec_b64 s[34:35], s[36:37]
	s_cbranch_execz .LBB92_34
; %bb.33:
	global_load_ushort v6, v[2:3], off offset:2048
	s_waitcnt vmcnt(0)
	v_cvt_f32_f16_e32 v25, v6
.LBB92_34:
	s_or_b64 exec, exec, s[34:35]
	v_add_u32_e32 v6, 0x440, v4
	v_cmp_gt_i32_e64 s[34:35], s74, v6
	s_and_b64 s[38:39], s[64:65], s[34:35]
	s_and_saveexec_b64 s[36:37], s[38:39]
	s_cbranch_execz .LBB92_36
; %bb.35:
	global_load_ushort v6, v[2:3], off offset:2176
	s_waitcnt vmcnt(0)
	v_cvt_f32_f16_e32 v16, v6
.LBB92_36:
	s_or_b64 exec, exec, s[36:37]
	v_add_u32_e32 v6, 0x480, v4
	v_cmp_gt_i32_e64 s[36:37], s74, v6
	s_and_b64 s[40:41], s[64:65], s[36:37]
	v_mov_b32_e32 v14, 0xff800000
	v_mov_b32_e32 v23, 0xff800000
	s_and_saveexec_b64 s[38:39], s[40:41]
	s_cbranch_execz .LBB92_38
; %bb.37:
	global_load_ushort v6, v[2:3], off offset:2304
	s_waitcnt vmcnt(0)
	v_cvt_f32_f16_e32 v23, v6
.LBB92_38:
	s_or_b64 exec, exec, s[38:39]
	v_add_u32_e32 v6, 0x4c0, v4
	v_cmp_gt_i32_e64 s[38:39], s74, v6
	s_and_b64 s[42:43], s[64:65], s[38:39]
	s_and_saveexec_b64 s[40:41], s[42:43]
	s_cbranch_execz .LBB92_40
; %bb.39:
	global_load_ushort v6, v[2:3], off offset:2432
	s_waitcnt vmcnt(0)
	v_cvt_f32_f16_e32 v14, v6
.LBB92_40:
	s_or_b64 exec, exec, s[40:41]
	v_add_u32_e32 v6, 0x500, v4
	;; [unrolled: 24-line block ×7, first 2 shown]
	v_cmp_gt_i32_e64 s[60:61], s74, v6
	s_and_b64 s[66:67], s[64:65], s[60:61]
	v_mov_b32_e32 v6, 0xff800000
	v_mov_b32_e32 v11, 0xff800000
	s_and_saveexec_b64 s[62:63], s[66:67]
	s_cbranch_execz .LBB92_62
; %bb.61:
	global_load_ushort v11, v[2:3], off offset:3840
	s_waitcnt vmcnt(0)
	v_cvt_f32_f16_e32 v11, v11
.LBB92_62:
	s_or_b64 exec, exec, s[62:63]
	v_add_u32_e32 v4, 0x7c0, v4
	v_cmp_gt_i32_e64 s[62:63], s74, v4
	s_and_b64 s[66:67], s[64:65], s[62:63]
	s_and_saveexec_b64 s[64:65], s[66:67]
	s_cbranch_execz .LBB92_64
; %bb.63:
	global_load_ushort v2, v[2:3], off offset:3968
	s_waitcnt vmcnt(0)
	v_cvt_f32_f16_e32 v6, v2
.LBB92_64:
	s_or_b64 exec, exec, s[64:65]
	v_cmp_gt_f32_e64 s[64:65], v40, v32
	v_cndmask_b32_e64 v2, v32, v40, s[64:65]
	v_cmp_gt_f32_e64 s[64:65], v2, v38
	v_cndmask_b32_e64 v2, v38, v2, s[64:65]
	;; [unrolled: 2-line block ×29, first 2 shown]
	v_mbcnt_lo_u32_b32 v3, -1, 0
	v_cmp_gt_f32_e64 s[64:65], v2, v11
	v_mbcnt_hi_u32_b32 v3, -1, v3
	v_cndmask_b32_e64 v2, v11, v2, s[64:65]
	v_and_b32_e32 v4, 64, v3
	v_cmp_gt_f32_e64 s[64:65], v2, v6
	v_add_u32_e32 v42, 64, v4
	v_xor_b32_e32 v4, 32, v3
	v_cndmask_b32_e64 v2, v6, v2, s[64:65]
	v_cmp_lt_i32_e64 s[64:65], v4, v42
	v_cndmask_b32_e64 v4, v3, v4, s[64:65]
	v_lshlrev_b32_e32 v4, 2, v4
	ds_bpermute_b32 v35, v4, v2
	s_mov_b32 s66, 0x3fb8aa3b
	s_mov_b32 s33, 0xc2ce8ed0
	;; [unrolled: 1-line block ×3, first 2 shown]
	s_waitcnt lgkmcnt(0)
	v_cmp_lt_f32_e64 s[64:65], v2, v35
	v_cndmask_b32_e64 v2, v2, v35, s[64:65]
	v_xor_b32_e32 v35, 16, v3
	v_cmp_lt_i32_e64 s[64:65], v35, v42
	v_cndmask_b32_e64 v35, v3, v35, s[64:65]
	v_lshlrev_b32_e32 v35, 2, v35
	ds_bpermute_b32 v37, v35, v2
	s_waitcnt lgkmcnt(0)
	v_cmp_lt_f32_e64 s[64:65], v2, v37
	v_cndmask_b32_e64 v2, v2, v37, s[64:65]
	v_xor_b32_e32 v37, 8, v3
	v_cmp_lt_i32_e64 s[64:65], v37, v42
	v_cndmask_b32_e64 v37, v3, v37, s[64:65]
	v_lshlrev_b32_e32 v37, 2, v37
	ds_bpermute_b32 v39, v37, v2
	s_waitcnt lgkmcnt(0)
	v_cmp_lt_f32_e64 s[64:65], v2, v39
	v_cndmask_b32_e64 v2, v2, v39, s[64:65]
	v_xor_b32_e32 v39, 4, v3
	v_cmp_lt_i32_e64 s[64:65], v39, v42
	v_cndmask_b32_e64 v39, v3, v39, s[64:65]
	v_lshlrev_b32_e32 v39, 2, v39
	ds_bpermute_b32 v41, v39, v2
	s_waitcnt lgkmcnt(0)
	v_cmp_lt_f32_e64 s[64:65], v2, v41
	v_cndmask_b32_e64 v2, v2, v41, s[64:65]
	v_xor_b32_e32 v41, 2, v3
	v_cmp_lt_i32_e64 s[64:65], v41, v42
	v_cndmask_b32_e64 v41, v3, v41, s[64:65]
	v_lshlrev_b32_e32 v41, 2, v41
	ds_bpermute_b32 v43, v41, v2
	s_waitcnt lgkmcnt(0)
	v_cmp_lt_f32_e64 s[64:65], v2, v43
	v_cndmask_b32_e64 v2, v2, v43, s[64:65]
	v_xor_b32_e32 v43, 1, v3
	v_cmp_lt_i32_e64 s[64:65], v43, v42
	v_cndmask_b32_e64 v3, v3, v43, s[64:65]
	v_lshlrev_b32_e32 v42, 2, v3
	ds_bpermute_b32 v3, v42, v2
	s_waitcnt lgkmcnt(0)
	v_cmp_lt_f32_e64 s[64:65], v2, v3
	v_cndmask_b32_e64 v43, v2, v3, s[64:65]
	v_sub_f32_e32 v2, v40, v43
	v_mul_f32_e32 v3, 0x3fb8aa3b, v2
	v_fma_f32 v40, v2, s66, -v3
	v_rndne_f32_e32 v44, v3
	v_fmac_f32_e32 v40, 0x32a5705f, v2
	v_sub_f32_e32 v3, v3, v44
	v_add_f32_e32 v3, v3, v40
	v_exp_f32_e32 v3, v3
	v_cvt_i32_f32_e32 v40, v44
	v_cmp_ngt_f32_e64 s[64:65], s33, v2
	v_sub_f32_e32 v30, v30, v43
	v_sub_f32_e32 v36, v36, v43
	v_ldexp_f32 v3, v3, v40
	v_cndmask_b32_e64 v44, 0, v3, s[64:65]
	v_sub_f32_e32 v3, v32, v43
	v_mul_f32_e32 v32, 0x3fb8aa3b, v3
	v_fma_f32 v40, v3, s66, -v32
	v_rndne_f32_e32 v45, v32
	v_fmac_f32_e32 v40, 0x32a5705f, v3
	v_sub_f32_e32 v32, v32, v45
	v_add_f32_e32 v32, v32, v40
	v_exp_f32_e32 v32, v32
	v_cvt_i32_f32_e32 v45, v45
	v_mov_b32_e32 v40, 0x7f800000
	v_cmp_nlt_f32_e64 s[64:65], s67, v2
	v_cndmask_b32_e64 v44, v40, v44, s[64:65]
	v_ldexp_f32 v32, v32, v45
	v_cmp_ngt_f32_e64 s[64:65], s33, v3
	v_cndmask_b32_e64 v45, 0, v32, s[64:65]
	v_sub_f32_e32 v32, v38, v43
	v_mul_f32_e32 v38, 0x3fb8aa3b, v32
	v_fma_f32 v46, v32, s66, -v38
	v_rndne_f32_e32 v47, v38
	v_fmac_f32_e32 v46, 0x32a5705f, v32
	v_sub_f32_e32 v38, v38, v47
	v_add_f32_e32 v38, v38, v46
	v_exp_f32_e32 v38, v38
	v_cvt_i32_f32_e32 v46, v47
	v_cmp_nlt_f32_e64 s[64:65], s67, v3
	v_cndmask_b32_e64 v45, v40, v45, s[64:65]
	v_add_f32_e32 v44, v44, v45
	v_mul_f32_e32 v45, 0x3fb8aa3b, v30
	v_ldexp_f32 v38, v38, v46
	v_fma_f32 v46, v30, s66, -v45
	v_rndne_f32_e32 v47, v45
	v_fmac_f32_e32 v46, 0x32a5705f, v30
	v_sub_f32_e32 v45, v45, v47
	v_add_f32_e32 v45, v45, v46
	v_exp_f32_e32 v45, v45
	v_cvt_i32_f32_e32 v46, v47
	v_cmp_ngt_f32_e64 s[64:65], s33, v32
	v_cndmask_b32_e64 v38, 0, v38, s[64:65]
	v_cmp_nlt_f32_e64 s[64:65], s67, v32
	v_cndmask_b32_e64 v38, v40, v38, s[64:65]
	v_add_f32_e32 v38, v44, v38
	v_ldexp_f32 v44, v45, v46
	v_mul_f32_e32 v45, 0x3fb8aa3b, v36
	v_fma_f32 v46, v36, s66, -v45
	v_rndne_f32_e32 v47, v45
	v_fmac_f32_e32 v46, 0x32a5705f, v36
	v_sub_f32_e32 v45, v45, v47
	v_add_f32_e32 v45, v45, v46
	v_exp_f32_e32 v45, v45
	v_cvt_i32_f32_e32 v46, v47
	v_cmp_ngt_f32_e64 s[64:65], s33, v30
	v_cndmask_b32_e64 v44, 0, v44, s[64:65]
	v_cmp_nlt_f32_e64 s[64:65], s67, v30
	v_cndmask_b32_e64 v44, v40, v44, s[64:65]
	v_sub_f32_e32 v28, v28, v43
	v_add_f32_e32 v38, v38, v44
	v_ldexp_f32 v44, v45, v46
	v_mul_f32_e32 v45, 0x3fb8aa3b, v28
	v_fma_f32 v46, v28, s66, -v45
	v_rndne_f32_e32 v47, v45
	v_fmac_f32_e32 v46, 0x32a5705f, v28
	v_sub_f32_e32 v45, v45, v47
	v_add_f32_e32 v45, v45, v46
	v_exp_f32_e32 v45, v45
	v_cvt_i32_f32_e32 v46, v47
	v_cmp_ngt_f32_e64 s[64:65], s33, v36
	v_cndmask_b32_e64 v44, 0, v44, s[64:65]
	v_cmp_nlt_f32_e64 s[64:65], s67, v36
	v_cndmask_b32_e64 v44, v40, v44, s[64:65]
	v_sub_f32_e32 v34, v34, v43
	;; [unrolled: 15-line block ×26, first 2 shown]
	v_add_f32_e32 v38, v38, v44
	v_ldexp_f32 v44, v45, v46
	v_mul_f32_e32 v45, 0x3fb8aa3b, v11
	v_fma_f32 v46, v11, s66, -v45
	v_rndne_f32_e32 v47, v45
	v_fmac_f32_e32 v46, 0x32a5705f, v11
	v_sub_f32_e32 v45, v45, v47
	v_add_f32_e32 v45, v45, v46
	v_exp_f32_e32 v45, v45
	v_cvt_i32_f32_e32 v46, v47
	v_cmp_ngt_f32_e64 s[64:65], s33, v7
	v_cndmask_b32_e64 v44, 0, v44, s[64:65]
	v_cmp_nlt_f32_e64 s[64:65], s67, v7
	v_sub_f32_e32 v6, v6, v43
	v_cndmask_b32_e64 v44, v40, v44, s[64:65]
	v_mul_f32_e32 v43, 0x3fb8aa3b, v6
	v_add_f32_e32 v38, v38, v44
	v_ldexp_f32 v44, v45, v46
	v_fma_f32 v45, v6, s66, -v43
	v_rndne_f32_e32 v46, v43
	v_fmac_f32_e32 v45, 0x32a5705f, v6
	v_sub_f32_e32 v43, v43, v46
	v_add_f32_e32 v43, v43, v45
	v_exp_f32_e32 v43, v43
	v_cvt_i32_f32_e32 v45, v46
	v_cmp_ngt_f32_e64 s[64:65], s33, v11
	v_cndmask_b32_e64 v44, 0, v44, s[64:65]
	v_cmp_nlt_f32_e64 s[64:65], s67, v11
	v_cndmask_b32_e64 v44, v40, v44, s[64:65]
	v_ldexp_f32 v43, v43, v45
	v_cmp_ngt_f32_e64 s[64:65], s33, v6
	v_cndmask_b32_e64 v43, 0, v43, s[64:65]
	v_cmp_nlt_f32_e64 s[64:65], s67, v6
	v_add_f32_e32 v38, v38, v44
	v_cndmask_b32_e64 v40, v40, v43, s[64:65]
	v_add_f32_e32 v38, v38, v40
	ds_bpermute_b32 v4, v4, v38
	v_cmp_lt_i32_e64 s[64:65], 0, v5
	s_waitcnt lgkmcnt(0)
	v_add_f32_e32 v4, v38, v4
	ds_bpermute_b32 v35, v35, v4
	s_waitcnt lgkmcnt(0)
	v_add_f32_e32 v4, v4, v35
	ds_bpermute_b32 v35, v37, v4
	;; [unrolled: 3-line block ×5, first 2 shown]
	s_and_saveexec_b64 s[66:67], s[64:65]
	s_cbranch_execz .LBB92_98
; %bb.65:
	s_and_b64 exec, exec, s[4:5]
	s_cbranch_execz .LBB92_98
; %bb.66:
	s_waitcnt lgkmcnt(0)
	v_add_f32_e32 v4, v4, v35
	s_mov_b32 s4, 0x800000
	v_mov_b32_e32 v5, 0x4f800000
	v_cmp_gt_f32_e64 s[4:5], s4, v4
	v_cndmask_b32_e64 v5, 1.0, v5, s[4:5]
	v_mul_f32_e32 v4, v4, v5
	v_log_f32_e32 v4, v4
	s_mov_b32 s33, 0x3f317217
	v_mul_f32_e32 v5, 0x3f317217, v4
	v_fma_f32 v35, v4, s33, -v5
	v_fmac_f32_e32 v35, 0x3377d1cf, v4
	s_mov_b32 s33, 0x7f800000
	v_add_f32_e32 v5, v5, v35
	v_cmp_lt_f32_e64 s[64:65], |v4|, s33
	v_cndmask_b32_e64 v4, v4, v5, s[64:65]
	v_mov_b32_e32 v5, 0x41b17218
	v_cndmask_b32_e64 v5, 0, v5, s[4:5]
	v_sub_f32_e32 v4, v4, v5
	v_sub_f32_e32 v2, v2, v4
	v_cvt_f16_f32_e32 v2, v2
	v_mov_b32_e32 v5, s69
	v_add_co_u32_e64 v0, s[4:5], s68, v0
	v_addc_co_u32_e64 v1, s[4:5], v5, v1, s[4:5]
	global_store_short v[0:1], v2, off
	s_and_b64 exec, exec, vcc
	s_cbranch_execz .LBB92_98
; %bb.67:
	v_sub_f32_e32 v2, v3, v4
	v_cvt_f16_f32_e32 v2, v2
	global_store_short v[0:1], v2, off offset:128
	s_and_b64 exec, exec, s[0:1]
	s_cbranch_execz .LBB92_98
; %bb.68:
	v_sub_f32_e32 v2, v32, v4
	v_cvt_f16_f32_e32 v2, v2
	global_store_short v[0:1], v2, off offset:256
	s_and_b64 exec, exec, s[2:3]
	;; [unrolled: 6-line block ×30, first 2 shown]
	s_cbranch_execz .LBB92_98
; %bb.97:
	v_sub_f32_e32 v2, v6, v4
	v_cvt_f16_f32_e32 v2, v2
	global_store_short v[0:1], v2, off offset:3968
.LBB92_98:
	s_endpgm
	.section	.rodata,"a",@progbits
	.p2align	6, 0x0
	.amdhsa_kernel _ZN12_GLOBAL__N_120softmax_warp_forwardIN3c104HalfES2_fLi11ELb1ELb0ELi64EEEvPT0_PKT_iiiPKbib
		.amdhsa_group_segment_fixed_size 0
		.amdhsa_private_segment_fixed_size 0
		.amdhsa_kernarg_size 304
		.amdhsa_user_sgpr_count 6
		.amdhsa_user_sgpr_private_segment_buffer 1
		.amdhsa_user_sgpr_dispatch_ptr 0
		.amdhsa_user_sgpr_queue_ptr 0
		.amdhsa_user_sgpr_kernarg_segment_ptr 1
		.amdhsa_user_sgpr_dispatch_id 0
		.amdhsa_user_sgpr_flat_scratch_init 0
		.amdhsa_user_sgpr_kernarg_preload_length 0
		.amdhsa_user_sgpr_kernarg_preload_offset 0
		.amdhsa_user_sgpr_private_segment_size 0
		.amdhsa_uses_dynamic_stack 0
		.amdhsa_system_sgpr_private_segment_wavefront_offset 0
		.amdhsa_system_sgpr_workgroup_id_x 1
		.amdhsa_system_sgpr_workgroup_id_y 0
		.amdhsa_system_sgpr_workgroup_id_z 0
		.amdhsa_system_sgpr_workgroup_info 0
		.amdhsa_system_vgpr_workitem_id 1
		.amdhsa_next_free_vgpr 48
		.amdhsa_next_free_sgpr 76
		.amdhsa_accum_offset 48
		.amdhsa_reserve_vcc 1
		.amdhsa_reserve_flat_scratch 0
		.amdhsa_float_round_mode_32 0
		.amdhsa_float_round_mode_16_64 0
		.amdhsa_float_denorm_mode_32 3
		.amdhsa_float_denorm_mode_16_64 3
		.amdhsa_dx10_clamp 1
		.amdhsa_ieee_mode 1
		.amdhsa_fp16_overflow 0
		.amdhsa_tg_split 0
		.amdhsa_exception_fp_ieee_invalid_op 0
		.amdhsa_exception_fp_denorm_src 0
		.amdhsa_exception_fp_ieee_div_zero 0
		.amdhsa_exception_fp_ieee_overflow 0
		.amdhsa_exception_fp_ieee_underflow 0
		.amdhsa_exception_fp_ieee_inexact 0
		.amdhsa_exception_int_div_zero 0
	.end_amdhsa_kernel
	.section	.text._ZN12_GLOBAL__N_120softmax_warp_forwardIN3c104HalfES2_fLi11ELb1ELb0ELi64EEEvPT0_PKT_iiiPKbib,"axG",@progbits,_ZN12_GLOBAL__N_120softmax_warp_forwardIN3c104HalfES2_fLi11ELb1ELb0ELi64EEEvPT0_PKT_iiiPKbib,comdat
.Lfunc_end92:
	.size	_ZN12_GLOBAL__N_120softmax_warp_forwardIN3c104HalfES2_fLi11ELb1ELb0ELi64EEEvPT0_PKT_iiiPKbib, .Lfunc_end92-_ZN12_GLOBAL__N_120softmax_warp_forwardIN3c104HalfES2_fLi11ELb1ELb0ELi64EEEvPT0_PKT_iiiPKbib
                                        ; -- End function
	.section	.AMDGPU.csdata,"",@progbits
; Kernel info:
; codeLenInByte = 6696
; NumSgprs: 80
; NumVgprs: 48
; NumAgprs: 0
; TotalNumVgprs: 48
; ScratchSize: 0
; MemoryBound: 0
; FloatMode: 240
; IeeeMode: 1
; LDSByteSize: 0 bytes/workgroup (compile time only)
; SGPRBlocks: 9
; VGPRBlocks: 5
; NumSGPRsForWavesPerEU: 80
; NumVGPRsForWavesPerEU: 48
; AccumOffset: 48
; Occupancy: 8
; WaveLimiterHint : 0
; COMPUTE_PGM_RSRC2:SCRATCH_EN: 0
; COMPUTE_PGM_RSRC2:USER_SGPR: 6
; COMPUTE_PGM_RSRC2:TRAP_HANDLER: 0
; COMPUTE_PGM_RSRC2:TGID_X_EN: 1
; COMPUTE_PGM_RSRC2:TGID_Y_EN: 0
; COMPUTE_PGM_RSRC2:TGID_Z_EN: 0
; COMPUTE_PGM_RSRC2:TIDIG_COMP_CNT: 1
; COMPUTE_PGM_RSRC3_GFX90A:ACCUM_OFFSET: 11
; COMPUTE_PGM_RSRC3_GFX90A:TG_SPLIT: 0
	.section	.text._ZN12_GLOBAL__N_120softmax_warp_forwardIN3c104HalfES2_fLi11ELb1ELb0ELi32EEEvPT0_PKT_iiiPKbib,"axG",@progbits,_ZN12_GLOBAL__N_120softmax_warp_forwardIN3c104HalfES2_fLi11ELb1ELb0ELi32EEEvPT0_PKT_iiiPKbib,comdat
	.globl	_ZN12_GLOBAL__N_120softmax_warp_forwardIN3c104HalfES2_fLi11ELb1ELb0ELi32EEEvPT0_PKT_iiiPKbib ; -- Begin function _ZN12_GLOBAL__N_120softmax_warp_forwardIN3c104HalfES2_fLi11ELb1ELb0ELi32EEEvPT0_PKT_iiiPKbib
	.p2align	8
	.type	_ZN12_GLOBAL__N_120softmax_warp_forwardIN3c104HalfES2_fLi11ELb1ELb0ELi32EEEvPT0_PKT_iiiPKbib,@function
_ZN12_GLOBAL__N_120softmax_warp_forwardIN3c104HalfES2_fLi11ELb1ELb0ELi32EEEvPT0_PKT_iiiPKbib: ; @_ZN12_GLOBAL__N_120softmax_warp_forwardIN3c104HalfES2_fLi11ELb1ELb0ELi32EEEvPT0_PKT_iiiPKbib
; %bb.0:
	s_load_dword s0, s[4:5], 0x3c
	s_load_dwordx8 s[40:47], s[4:5], 0x0
	v_bfe_u32 v1, v0, 10, 10
	v_and_b32_e32 v4, 0x3ff, v0
	v_mov_b32_e32 v37, 0xff800000
	s_waitcnt lgkmcnt(0)
	s_lshr_b32 s0, s0, 16
	s_mul_i32 s6, s6, s0
	v_add_u32_e32 v1, s6, v1
	v_sub_u32_e32 v5, s44, v1
	v_mad_u64_u32 v[0:1], s[0:1], v1, s45, v[4:5]
	v_ashrrev_i32_e32 v1, 31, v0
	v_lshlrev_b64 v[0:1], 1, v[0:1]
	v_mov_b32_e32 v3, s43
	v_add_co_u32_e32 v2, vcc, s42, v0
	v_addc_co_u32_e32 v3, vcc, v3, v1, vcc
	v_cmp_lt_i32_e32 vcc, 0, v5
	v_cmp_gt_i32_e64 s[4:5], s46, v4
	s_and_b64 s[2:3], vcc, s[4:5]
	v_mov_b32_e32 v74, 0xff800000
	s_and_saveexec_b64 s[0:1], s[2:3]
	s_cbranch_execz .LBB93_2
; %bb.1:
	global_load_ushort v6, v[2:3], off
	s_waitcnt vmcnt(0)
	v_cvt_f32_f16_e32 v74, v6
.LBB93_2:
	s_or_b64 exec, exec, s[0:1]
	v_add_u32_e32 v6, 32, v4
	v_cmp_gt_i32_e64 s[10:11], s46, v6
	s_and_b64 s[2:3], vcc, s[10:11]
	s_and_saveexec_b64 s[0:1], s[2:3]
	s_cbranch_execz .LBB93_4
; %bb.3:
	global_load_ushort v6, v[2:3], off offset:64
	s_waitcnt vmcnt(0)
	v_cvt_f32_f16_e32 v37, v6
.LBB93_4:
	s_or_b64 exec, exec, s[0:1]
	v_add_u32_e32 v6, 64, v4
	v_cmp_gt_i32_e64 s[0:1], s46, v6
                                        ; implicit-def: $vgpr79 : SGPR spill to VGPR lane
	v_mov_b32_e32 v44, 0xff800000
	v_writelane_b32 v79, s0, 0
	s_and_b64 s[2:3], vcc, s[0:1]
	v_mov_b32_e32 v71, 0xff800000
	v_writelane_b32 v79, s1, 1
	s_and_saveexec_b64 s[0:1], s[2:3]
	s_cbranch_execz .LBB93_6
; %bb.5:
	global_load_ushort v6, v[2:3], off offset:128
	s_waitcnt vmcnt(0)
	v_cvt_f32_f16_e32 v71, v6
.LBB93_6:
	s_or_b64 exec, exec, s[0:1]
	v_add_u32_e32 v6, 0x60, v4
	v_cmp_gt_i32_e64 s[0:1], s46, v6
	v_writelane_b32 v79, s0, 2
	s_and_b64 s[2:3], vcc, s[0:1]
	v_writelane_b32 v79, s1, 3
	s_and_saveexec_b64 s[0:1], s[2:3]
	s_cbranch_execz .LBB93_8
; %bb.7:
	global_load_ushort v6, v[2:3], off offset:192
	s_waitcnt vmcnt(0)
	v_cvt_f32_f16_e32 v44, v6
.LBB93_8:
	s_or_b64 exec, exec, s[0:1]
	v_add_u32_e32 v6, 0x80, v4
	v_cmp_gt_i32_e64 s[0:1], s46, v6
	v_writelane_b32 v79, s0, 4
	s_and_b64 s[2:3], vcc, s[0:1]
	v_mov_b32_e32 v51, 0xff800000
	v_mov_b32_e32 v48, 0xff800000
	v_writelane_b32 v79, s1, 5
	s_and_saveexec_b64 s[0:1], s[2:3]
	s_cbranch_execz .LBB93_10
; %bb.9:
	global_load_ushort v6, v[2:3], off offset:256
	s_waitcnt vmcnt(0)
	v_cvt_f32_f16_e32 v48, v6
.LBB93_10:
	s_or_b64 exec, exec, s[0:1]
	v_add_u32_e32 v6, 0xa0, v4
	v_cmp_gt_i32_e64 s[0:1], s46, v6
	v_writelane_b32 v79, s0, 6
	s_and_b64 s[2:3], vcc, s[0:1]
	v_writelane_b32 v79, s1, 7
	s_and_saveexec_b64 s[0:1], s[2:3]
	s_cbranch_execz .LBB93_12
; %bb.11:
	global_load_ushort v6, v[2:3], off offset:320
	s_waitcnt vmcnt(0)
	v_cvt_f32_f16_e32 v51, v6
.LBB93_12:
	s_or_b64 exec, exec, s[0:1]
	v_add_u32_e32 v6, 0xc0, v4
	v_cmp_gt_i32_e64 s[0:1], s46, v6
	v_writelane_b32 v79, s0, 8
	s_and_b64 s[2:3], vcc, s[0:1]
	v_mov_b32_e32 v60, 0xff800000
	;; [unrolled: 28-line block ×9, first 2 shown]
	v_mov_b32_e32 v64, 0xff800000
	v_writelane_b32 v79, s1, 37
	s_and_saveexec_b64 s[0:1], s[2:3]
	s_cbranch_execz .LBB93_42
; %bb.41:
	global_load_ushort v6, v[2:3], off offset:1280
	s_waitcnt vmcnt(0)
	v_cvt_f32_f16_e32 v64, v6
.LBB93_42:
	s_or_b64 exec, exec, s[0:1]
	v_add_u32_e32 v6, 0x2a0, v4
	v_cmp_gt_i32_e64 s[44:45], s46, v6
	s_and_b64 s[2:3], vcc, s[44:45]
	s_and_saveexec_b64 s[0:1], s[2:3]
	s_cbranch_execz .LBB93_44
; %bb.43:
	global_load_ushort v6, v[2:3], off offset:1344
	s_waitcnt vmcnt(0)
	v_cvt_f32_f16_e32 v54, v6
.LBB93_44:
	s_or_b64 exec, exec, s[0:1]
	v_add_u32_e32 v6, 0x2c0, v4
	v_cmp_gt_i32_e64 s[0:1], s46, v6
	v_writelane_b32 v79, s0, 38
	s_and_b64 s[2:3], vcc, s[0:1]
	v_mov_b32_e32 v52, 0xff800000
	v_mov_b32_e32 v62, 0xff800000
	v_writelane_b32 v79, s1, 39
	s_and_saveexec_b64 s[0:1], s[2:3]
	s_cbranch_execz .LBB93_46
; %bb.45:
	global_load_ushort v6, v[2:3], off offset:1408
	s_waitcnt vmcnt(0)
	v_cvt_f32_f16_e32 v62, v6
.LBB93_46:
	s_or_b64 exec, exec, s[0:1]
	v_add_u32_e32 v6, 0x2e0, v4
	v_cmp_gt_i32_e64 s[0:1], s46, v6
	s_and_b64 s[6:7], vcc, s[0:1]
	s_and_saveexec_b64 s[2:3], s[6:7]
	s_cbranch_execz .LBB93_48
; %bb.47:
	global_load_ushort v6, v[2:3], off offset:1472
	s_waitcnt vmcnt(0)
	v_cvt_f32_f16_e32 v52, v6
.LBB93_48:
	s_or_b64 exec, exec, s[2:3]
	v_add_u32_e32 v6, 0x300, v4
	v_cmp_gt_i32_e64 s[48:49], s46, v6
	s_and_b64 s[6:7], vcc, s[48:49]
	v_mov_b32_e32 v49, 0xff800000
	v_mov_b32_e32 v58, 0xff800000
	s_and_saveexec_b64 s[2:3], s[6:7]
	s_cbranch_execz .LBB93_50
; %bb.49:
	global_load_ushort v6, v[2:3], off offset:1536
	s_waitcnt vmcnt(0)
	v_cvt_f32_f16_e32 v58, v6
.LBB93_50:
	s_or_b64 exec, exec, s[2:3]
	v_add_u32_e32 v6, 0x320, v4
	v_cmp_gt_i32_e64 s[50:51], s46, v6
	s_and_b64 s[6:7], vcc, s[50:51]
	s_and_saveexec_b64 s[2:3], s[6:7]
	s_cbranch_execz .LBB93_52
; %bb.51:
	global_load_ushort v6, v[2:3], off offset:1600
	s_waitcnt vmcnt(0)
	v_cvt_f32_f16_e32 v49, v6
.LBB93_52:
	s_or_b64 exec, exec, s[2:3]
	v_add_u32_e32 v6, 0x340, v4
	v_cmp_gt_i32_e64 s[52:53], s46, v6
	s_and_b64 s[6:7], vcc, s[52:53]
	v_mov_b32_e32 v46, 0xff800000
	v_mov_b32_e32 v53, 0xff800000
	;; [unrolled: 24-line block ×4, first 2 shown]
	s_and_saveexec_b64 s[2:3], s[6:7]
	s_cbranch_execz .LBB93_62
; %bb.61:
	global_load_ushort v6, v[2:3], off offset:1920
	s_waitcnt vmcnt(0)
	v_cvt_f32_f16_e32 v47, v6
.LBB93_62:
	s_or_b64 exec, exec, s[2:3]
	v_add_u32_e32 v6, 0x3e0, v4
	v_cmp_gt_i32_e64 s[62:63], s46, v6
	s_and_b64 s[6:7], vcc, s[62:63]
	s_and_saveexec_b64 s[2:3], s[6:7]
	s_cbranch_execz .LBB93_64
; %bb.63:
	global_load_ushort v6, v[2:3], off offset:1984
	s_waitcnt vmcnt(0)
	v_cvt_f32_f16_e32 v36, v6
.LBB93_64:
	s_or_b64 exec, exec, s[2:3]
	v_or_b32_e32 v6, 0x400, v4
	v_cmp_gt_i32_e64 s[64:65], s46, v6
	s_and_b64 s[6:7], vcc, s[64:65]
	v_mov_b32_e32 v34, 0xff800000
	v_mov_b32_e32 v43, 0xff800000
	s_and_saveexec_b64 s[2:3], s[6:7]
	s_cbranch_execz .LBB93_66
; %bb.65:
	global_load_ushort v6, v[2:3], off offset:2048
	s_waitcnt vmcnt(0)
	v_cvt_f32_f16_e32 v43, v6
.LBB93_66:
	s_or_b64 exec, exec, s[2:3]
	v_add_u32_e32 v6, 0x420, v4
	v_cmp_gt_i32_e64 s[66:67], s46, v6
	s_and_b64 s[6:7], vcc, s[66:67]
	s_and_saveexec_b64 s[2:3], s[6:7]
	s_cbranch_execz .LBB93_68
; %bb.67:
	global_load_ushort v6, v[2:3], off offset:2112
	s_waitcnt vmcnt(0)
	v_cvt_f32_f16_e32 v34, v6
.LBB93_68:
	s_or_b64 exec, exec, s[2:3]
	v_add_u32_e32 v6, 0x440, v4
	v_cmp_gt_i32_e64 s[68:69], s46, v6
	s_and_b64 s[6:7], vcc, s[68:69]
	v_mov_b32_e32 v32, 0xff800000
	v_mov_b32_e32 v39, 0xff800000
	s_and_saveexec_b64 s[2:3], s[6:7]
	s_cbranch_execz .LBB93_70
; %bb.69:
	global_load_ushort v6, v[2:3], off offset:2176
	s_waitcnt vmcnt(0)
	v_cvt_f32_f16_e32 v39, v6
.LBB93_70:
	s_or_b64 exec, exec, s[2:3]
	v_add_u32_e32 v6, 0x460, v4
	v_cmp_gt_i32_e64 s[70:71], s46, v6
	s_and_b64 s[6:7], vcc, s[70:71]
	s_and_saveexec_b64 s[2:3], s[6:7]
	s_cbranch_execz .LBB93_72
; %bb.71:
	global_load_ushort v6, v[2:3], off offset:2240
	s_waitcnt vmcnt(0)
	v_cvt_f32_f16_e32 v32, v6
.LBB93_72:
	s_or_b64 exec, exec, s[2:3]
	v_add_u32_e32 v6, 0x480, v4
	;; [unrolled: 24-line block ×15, first 2 shown]
	v_cmp_gt_i32_e64 s[36:37], s46, v6
	s_and_b64 s[42:43], vcc, s[36:37]
	v_mov_b32_e32 v6, 0xff800000
	v_mov_b32_e32 v9, 0xff800000
	s_and_saveexec_b64 s[38:39], s[42:43]
	s_cbranch_execz .LBB93_126
; %bb.125:
	global_load_ushort v9, v[2:3], off offset:3968
	s_waitcnt vmcnt(0)
	v_cvt_f32_f16_e32 v9, v9
.LBB93_126:
	s_or_b64 exec, exec, s[38:39]
	v_add_u32_e32 v4, 0x7e0, v4
	v_cmp_gt_i32_e64 s[38:39], s46, v4
	s_and_b64 s[42:43], vcc, s[38:39]
	s_and_saveexec_b64 s[46:47], s[42:43]
	s_cbranch_execz .LBB93_128
; %bb.127:
	global_load_ushort v2, v[2:3], off offset:4032
	s_waitcnt vmcnt(0)
	v_cvt_f32_f16_e32 v6, v2
.LBB93_128:
	s_or_b64 exec, exec, s[46:47]
	v_cmp_gt_f32_e32 vcc, v74, v37
	v_cndmask_b32_e32 v2, v37, v74, vcc
	v_cmp_gt_f32_e32 vcc, v2, v71
	v_cndmask_b32_e32 v2, v71, v2, vcc
	;; [unrolled: 2-line block ×61, first 2 shown]
	v_mbcnt_lo_u32_b32 v3, -1, 0
	v_cmp_gt_f32_e32 vcc, v2, v9
	v_mbcnt_hi_u32_b32 v3, -1, v3
	v_cndmask_b32_e32 v2, v9, v2, vcc
	v_and_b32_e32 v4, 0x60, v3
	v_cmp_gt_f32_e32 vcc, v2, v6
	v_add_u32_e32 v45, 32, v4
	v_xor_b32_e32 v4, 16, v3
	v_cndmask_b32_e32 v2, v6, v2, vcc
	v_cmp_lt_i32_e32 vcc, v4, v45
	v_cndmask_b32_e32 v4, v3, v4, vcc
	v_lshlrev_b32_e32 v4, 2, v4
	ds_bpermute_b32 v38, v4, v2
	s_mov_b32 s33, 0x3fb8aa3b
	s_mov_b32 s46, 0xc2ce8ed0
	;; [unrolled: 1-line block ×3, first 2 shown]
	s_waitcnt lgkmcnt(0)
	v_cmp_lt_f32_e32 vcc, v2, v38
	v_cndmask_b32_e32 v2, v2, v38, vcc
	v_xor_b32_e32 v38, 8, v3
	v_cmp_lt_i32_e32 vcc, v38, v45
	v_cndmask_b32_e32 v38, v3, v38, vcc
	v_lshlrev_b32_e32 v38, 2, v38
	ds_bpermute_b32 v40, v38, v2
	s_waitcnt lgkmcnt(0)
	v_cmp_lt_f32_e32 vcc, v2, v40
	v_cndmask_b32_e32 v2, v2, v40, vcc
	v_xor_b32_e32 v40, 4, v3
	v_cmp_lt_i32_e32 vcc, v40, v45
	v_cndmask_b32_e32 v40, v3, v40, vcc
	v_lshlrev_b32_e32 v40, 2, v40
	ds_bpermute_b32 v42, v40, v2
	;; [unrolled: 8-line block ×4, first 2 shown]
	s_waitcnt lgkmcnt(0)
	v_cmp_lt_f32_e32 vcc, v2, v3
	v_cndmask_b32_e32 v56, v2, v3, vcc
	v_sub_f32_e32 v2, v74, v56
	v_mul_f32_e32 v3, 0x3fb8aa3b, v2
	v_fma_f32 v74, v2, s33, -v3
	v_rndne_f32_e32 v75, v3
	v_fmac_f32_e32 v74, 0x32a5705f, v2
	v_sub_f32_e32 v3, v3, v75
	v_add_f32_e32 v3, v3, v74
	v_exp_f32_e32 v74, v3
	v_sub_f32_e32 v3, v37, v56
	v_mul_f32_e32 v37, 0x3fb8aa3b, v3
	v_fma_f32 v76, v3, s33, -v37
	v_rndne_f32_e32 v77, v37
	v_fmac_f32_e32 v76, 0x32a5705f, v3
	v_sub_f32_e32 v37, v37, v77
	v_add_f32_e32 v37, v37, v76
	v_cvt_i32_f32_e32 v75, v75
	v_exp_f32_e32 v37, v37
	v_cvt_i32_f32_e32 v76, v77
	v_cmp_ngt_f32_e32 vcc, s46, v2
	v_ldexp_f32 v74, v74, v75
	v_cndmask_b32_e32 v74, 0, v74, vcc
	v_ldexp_f32 v75, v37, v76
	v_sub_f32_e32 v37, v71, v56
	v_mul_f32_e32 v71, 0x3fb8aa3b, v37
	v_fma_f32 v76, v37, s33, -v71
	v_rndne_f32_e32 v77, v71
	v_fmac_f32_e32 v76, 0x32a5705f, v37
	v_sub_f32_e32 v71, v71, v77
	v_add_f32_e32 v76, v71, v76
	v_mov_b32_e32 v71, 0x7f800000
	v_cmp_nlt_f32_e32 vcc, s47, v2
	v_exp_f32_e32 v76, v76
	v_cvt_i32_f32_e32 v77, v77
	v_cndmask_b32_e32 v74, v71, v74, vcc
	v_cmp_ngt_f32_e32 vcc, s46, v3
	v_cndmask_b32_e32 v75, 0, v75, vcc
	v_cmp_nlt_f32_e32 vcc, s47, v3
	v_cndmask_b32_e32 v75, v71, v75, vcc
	v_sub_f32_e32 v44, v44, v56
	v_add_f32_e32 v74, v74, v75
	v_ldexp_f32 v75, v76, v77
	v_mul_f32_e32 v76, 0x3fb8aa3b, v44
	v_fma_f32 v77, v44, s33, -v76
	v_rndne_f32_e32 v78, v76
	v_fmac_f32_e32 v77, 0x32a5705f, v44
	v_sub_f32_e32 v76, v76, v78
	v_add_f32_e32 v76, v76, v77
	v_exp_f32_e32 v76, v76
	v_cvt_i32_f32_e32 v77, v78
	v_cmp_ngt_f32_e32 vcc, s46, v37
	v_cndmask_b32_e32 v75, 0, v75, vcc
	v_cmp_nlt_f32_e32 vcc, s47, v37
	v_cndmask_b32_e32 v75, v71, v75, vcc
	v_sub_f32_e32 v48, v48, v56
	v_add_f32_e32 v74, v74, v75
	v_ldexp_f32 v75, v76, v77
	v_mul_f32_e32 v76, 0x3fb8aa3b, v48
	v_fma_f32 v77, v48, s33, -v76
	v_rndne_f32_e32 v78, v76
	v_fmac_f32_e32 v77, 0x32a5705f, v48
	v_sub_f32_e32 v76, v76, v78
	v_add_f32_e32 v76, v76, v77
	v_exp_f32_e32 v76, v76
	v_cvt_i32_f32_e32 v77, v78
	;; [unrolled: 15-line block ×60, first 2 shown]
	v_cmp_ngt_f32_e32 vcc, s46, v7
	v_cndmask_b32_e32 v75, 0, v75, vcc
	v_cmp_nlt_f32_e32 vcc, s47, v7
	v_sub_f32_e32 v6, v6, v56
	v_cndmask_b32_e32 v75, v71, v75, vcc
	v_mul_f32_e32 v56, 0x3fb8aa3b, v6
	v_add_f32_e32 v74, v74, v75
	v_ldexp_f32 v75, v76, v77
	v_fma_f32 v76, v6, s33, -v56
	v_rndne_f32_e32 v77, v56
	v_fmac_f32_e32 v76, 0x32a5705f, v6
	v_sub_f32_e32 v56, v56, v77
	v_add_f32_e32 v56, v56, v76
	v_exp_f32_e32 v56, v56
	v_cvt_i32_f32_e32 v76, v77
	v_cmp_ngt_f32_e32 vcc, s46, v9
	v_cndmask_b32_e32 v75, 0, v75, vcc
	v_cmp_nlt_f32_e32 vcc, s47, v9
	v_cndmask_b32_e32 v75, v71, v75, vcc
	v_ldexp_f32 v56, v56, v76
	v_cmp_ngt_f32_e32 vcc, s46, v6
	v_cndmask_b32_e32 v56, 0, v56, vcc
	v_cmp_nlt_f32_e32 vcc, s47, v6
	v_add_f32_e32 v74, v74, v75
	v_cndmask_b32_e32 v56, v71, v56, vcc
	v_add_f32_e32 v56, v74, v56
	ds_bpermute_b32 v4, v4, v56
	v_cmp_lt_i32_e32 vcc, 0, v5
	s_waitcnt lgkmcnt(0)
	v_add_f32_e32 v4, v56, v4
	ds_bpermute_b32 v38, v38, v4
	s_waitcnt lgkmcnt(0)
	v_add_f32_e32 v4, v4, v38
	ds_bpermute_b32 v38, v40, v4
	;; [unrolled: 3-line block ×4, first 2 shown]
	s_and_saveexec_b64 s[42:43], vcc
	s_cbranch_execz .LBB93_194
; %bb.129:
	s_and_b64 exec, exec, s[4:5]
	s_cbranch_execz .LBB93_194
; %bb.130:
	s_waitcnt lgkmcnt(0)
	v_add_f32_e32 v4, v4, v38
	s_mov_b32 s4, 0x800000
	v_mov_b32_e32 v5, 0x4f800000
	v_cmp_gt_f32_e32 vcc, s4, v4
	v_cndmask_b32_e32 v5, 1.0, v5, vcc
	v_mul_f32_e32 v4, v4, v5
	v_log_f32_e32 v4, v4
	s_mov_b32 s4, 0x3f317217
	v_mul_f32_e32 v5, 0x3f317217, v4
	v_fma_f32 v38, v4, s4, -v5
	v_fmac_f32_e32 v38, 0x3377d1cf, v4
	s_mov_b32 s4, 0x7f800000
	v_add_f32_e32 v5, v5, v38
	v_cmp_lt_f32_e64 s[4:5], |v4|, s4
	v_cndmask_b32_e64 v4, v4, v5, s[4:5]
	v_mov_b32_e32 v5, 0x41b17218
	v_cndmask_b32_e32 v5, 0, v5, vcc
	v_sub_f32_e32 v4, v4, v5
	v_sub_f32_e32 v2, v2, v4
	v_cvt_f16_f32_e32 v2, v2
	v_mov_b32_e32 v5, s41
	v_add_co_u32_e32 v0, vcc, s40, v0
	v_addc_co_u32_e32 v1, vcc, v5, v1, vcc
	global_store_short v[0:1], v2, off
	s_and_b64 exec, exec, s[10:11]
	s_cbranch_execz .LBB93_194
; %bb.131:
	v_sub_f32_e32 v2, v3, v4
	v_cvt_f16_f32_e32 v2, v2
	v_readlane_b32 s4, v79, 0
	v_readlane_b32 s5, v79, 1
	global_store_short v[0:1], v2, off offset:64
	s_and_b64 exec, exec, s[4:5]
	s_cbranch_execz .LBB93_194
; %bb.132:
	v_sub_f32_e32 v2, v37, v4
	v_cvt_f16_f32_e32 v2, v2
	v_readlane_b32 s4, v79, 2
	v_readlane_b32 s5, v79, 3
	global_store_short v[0:1], v2, off offset:128
	;; [unrolled: 8-line block ×19, first 2 shown]
	s_and_b64 exec, exec, s[4:5]
	s_cbranch_execz .LBB93_194
; %bb.150:
	v_sub_f32_e32 v2, v64, v4
	v_cvt_f16_f32_e32 v2, v2
	global_store_short v[0:1], v2, off offset:1280
	s_and_b64 exec, exec, s[44:45]
	s_cbranch_execz .LBB93_194
; %bb.151:
	v_sub_f32_e32 v2, v54, v4
	v_cvt_f16_f32_e32 v2, v2
	v_readlane_b32 s4, v79, 38
	v_readlane_b32 s5, v79, 39
	global_store_short v[0:1], v2, off offset:1344
	s_and_b64 exec, exec, s[4:5]
	s_cbranch_execz .LBB93_194
; %bb.152:
	v_sub_f32_e32 v2, v62, v4
	v_cvt_f16_f32_e32 v2, v2
	global_store_short v[0:1], v2, off offset:1408
	s_and_b64 exec, exec, s[0:1]
	s_cbranch_execz .LBB93_194
; %bb.153:
	v_sub_f32_e32 v2, v52, v4
	v_cvt_f16_f32_e32 v2, v2
	;; [unrolled: 6-line block ×42, first 2 shown]
	global_store_short v[0:1], v2, off offset:4032
.LBB93_194:
	s_endpgm
	.section	.rodata,"a",@progbits
	.p2align	6, 0x0
	.amdhsa_kernel _ZN12_GLOBAL__N_120softmax_warp_forwardIN3c104HalfES2_fLi11ELb1ELb0ELi32EEEvPT0_PKT_iiiPKbib
		.amdhsa_group_segment_fixed_size 0
		.amdhsa_private_segment_fixed_size 0
		.amdhsa_kernarg_size 304
		.amdhsa_user_sgpr_count 6
		.amdhsa_user_sgpr_private_segment_buffer 1
		.amdhsa_user_sgpr_dispatch_ptr 0
		.amdhsa_user_sgpr_queue_ptr 0
		.amdhsa_user_sgpr_kernarg_segment_ptr 1
		.amdhsa_user_sgpr_dispatch_id 0
		.amdhsa_user_sgpr_flat_scratch_init 0
		.amdhsa_user_sgpr_kernarg_preload_length 0
		.amdhsa_user_sgpr_kernarg_preload_offset 0
		.amdhsa_user_sgpr_private_segment_size 0
		.amdhsa_uses_dynamic_stack 0
		.amdhsa_system_sgpr_private_segment_wavefront_offset 0
		.amdhsa_system_sgpr_workgroup_id_x 1
		.amdhsa_system_sgpr_workgroup_id_y 0
		.amdhsa_system_sgpr_workgroup_id_z 0
		.amdhsa_system_sgpr_workgroup_info 0
		.amdhsa_system_vgpr_workitem_id 1
		.amdhsa_next_free_vgpr 80
		.amdhsa_next_free_sgpr 96
		.amdhsa_accum_offset 80
		.amdhsa_reserve_vcc 1
		.amdhsa_reserve_flat_scratch 0
		.amdhsa_float_round_mode_32 0
		.amdhsa_float_round_mode_16_64 0
		.amdhsa_float_denorm_mode_32 3
		.amdhsa_float_denorm_mode_16_64 3
		.amdhsa_dx10_clamp 1
		.amdhsa_ieee_mode 1
		.amdhsa_fp16_overflow 0
		.amdhsa_tg_split 0
		.amdhsa_exception_fp_ieee_invalid_op 0
		.amdhsa_exception_fp_denorm_src 0
		.amdhsa_exception_fp_ieee_div_zero 0
		.amdhsa_exception_fp_ieee_overflow 0
		.amdhsa_exception_fp_ieee_underflow 0
		.amdhsa_exception_fp_ieee_inexact 0
		.amdhsa_exception_int_div_zero 0
	.end_amdhsa_kernel
	.section	.text._ZN12_GLOBAL__N_120softmax_warp_forwardIN3c104HalfES2_fLi11ELb1ELb0ELi32EEEvPT0_PKT_iiiPKbib,"axG",@progbits,_ZN12_GLOBAL__N_120softmax_warp_forwardIN3c104HalfES2_fLi11ELb1ELb0ELi32EEEvPT0_PKT_iiiPKbib,comdat
.Lfunc_end93:
	.size	_ZN12_GLOBAL__N_120softmax_warp_forwardIN3c104HalfES2_fLi11ELb1ELb0ELi32EEEvPT0_PKT_iiiPKbib, .Lfunc_end93-_ZN12_GLOBAL__N_120softmax_warp_forwardIN3c104HalfES2_fLi11ELb1ELb0ELi32EEEvPT0_PKT_iiiPKbib
                                        ; -- End function
	.section	.AMDGPU.csdata,"",@progbits
; Kernel info:
; codeLenInByte = 11652
; NumSgprs: 100
; NumVgprs: 80
; NumAgprs: 0
; TotalNumVgprs: 80
; ScratchSize: 0
; MemoryBound: 0
; FloatMode: 240
; IeeeMode: 1
; LDSByteSize: 0 bytes/workgroup (compile time only)
; SGPRBlocks: 12
; VGPRBlocks: 9
; NumSGPRsForWavesPerEU: 100
; NumVGPRsForWavesPerEU: 80
; AccumOffset: 80
; Occupancy: 6
; WaveLimiterHint : 0
; COMPUTE_PGM_RSRC2:SCRATCH_EN: 0
; COMPUTE_PGM_RSRC2:USER_SGPR: 6
; COMPUTE_PGM_RSRC2:TRAP_HANDLER: 0
; COMPUTE_PGM_RSRC2:TGID_X_EN: 1
; COMPUTE_PGM_RSRC2:TGID_Y_EN: 0
; COMPUTE_PGM_RSRC2:TGID_Z_EN: 0
; COMPUTE_PGM_RSRC2:TIDIG_COMP_CNT: 1
; COMPUTE_PGM_RSRC3_GFX90A:ACCUM_OFFSET: 19
; COMPUTE_PGM_RSRC3_GFX90A:TG_SPLIT: 0
	.section	.text._ZN2at6native12_GLOBAL__N_122cunn_SoftMaxForwardRegIN3c104HalfEfS4_NS1_25LogSoftMaxForwardEpilogueElLi1EEEvPT1_PKT_T3_,"axG",@progbits,_ZN2at6native12_GLOBAL__N_122cunn_SoftMaxForwardRegIN3c104HalfEfS4_NS1_25LogSoftMaxForwardEpilogueElLi1EEEvPT1_PKT_T3_,comdat
	.globl	_ZN2at6native12_GLOBAL__N_122cunn_SoftMaxForwardRegIN3c104HalfEfS4_NS1_25LogSoftMaxForwardEpilogueElLi1EEEvPT1_PKT_T3_ ; -- Begin function _ZN2at6native12_GLOBAL__N_122cunn_SoftMaxForwardRegIN3c104HalfEfS4_NS1_25LogSoftMaxForwardEpilogueElLi1EEEvPT1_PKT_T3_
	.p2align	8
	.type	_ZN2at6native12_GLOBAL__N_122cunn_SoftMaxForwardRegIN3c104HalfEfS4_NS1_25LogSoftMaxForwardEpilogueElLi1EEEvPT1_PKT_T3_,@function
_ZN2at6native12_GLOBAL__N_122cunn_SoftMaxForwardRegIN3c104HalfEfS4_NS1_25LogSoftMaxForwardEpilogueElLi1EEEvPT1_PKT_T3_: ; @_ZN2at6native12_GLOBAL__N_122cunn_SoftMaxForwardRegIN3c104HalfEfS4_NS1_25LogSoftMaxForwardEpilogueElLi1EEEvPT1_PKT_T3_
; %bb.0:
	s_load_dwordx2 s[0:1], s[4:5], 0x10
	s_load_dwordx4 s[12:15], s[4:5], 0x0
	v_mov_b32_e32 v1, 0
	v_mov_b32_e32 v3, 0xff7fffff
                                        ; implicit-def: $vgpr8
	s_waitcnt lgkmcnt(0)
	s_mul_i32 s2, s6, s1
	s_mul_hi_u32 s3, s6, s0
	s_add_i32 s11, s3, s2
	s_mul_i32 s10, s6, s0
	v_cmp_gt_i64_e32 vcc, s[0:1], v[0:1]
	v_lshlrev_b32_e32 v1, 1, v0
	s_and_saveexec_b64 s[0:1], vcc
	s_cbranch_execz .LBB94_2
; %bb.1:
	s_lshl_b64 s[2:3], s[10:11], 1
	s_add_u32 s2, s14, s2
	s_addc_u32 s3, s15, s3
	global_load_ushort v2, v1, s[2:3]
	s_waitcnt vmcnt(0)
	v_cvt_f32_f16_e32 v8, v2
	v_max_f32_e32 v3, 0xff7fffff, v8
.LBB94_2:
	s_or_b64 exec, exec, s[0:1]
	v_mbcnt_lo_u32_b32 v2, -1, 0
	v_mbcnt_hi_u32_b32 v7, -1, v2
	v_and_b32_e32 v9, 63, v7
	v_cmp_gt_u32_e64 s[0:1], 32, v9
	v_cndmask_b32_e64 v2, 0, 1, s[0:1]
	v_lshlrev_b32_e32 v2, 5, v2
	v_add_lshl_u32 v2, v2, v7, 2
	ds_bpermute_b32 v4, v2, v3
	v_cmp_gt_u32_e64 s[0:1], 48, v9
	v_cndmask_b32_e64 v5, 0, 1, s[0:1]
	s_waitcnt lgkmcnt(0)
	s_barrier
	v_cmp_lt_f32_e64 s[0:1], v3, v4
	v_cndmask_b32_e64 v4, v3, v4, s[0:1]
	v_lshlrev_b32_e32 v3, 4, v5
	v_add_lshl_u32 v3, v3, v7, 2
	ds_bpermute_b32 v5, v3, v4
	s_waitcnt lgkmcnt(0)
	v_cmp_lt_f32_e64 s[0:1], v4, v5
	v_cndmask_b32_e64 v5, v4, v5, s[0:1]
	v_cmp_gt_u32_e64 s[0:1], 56, v9
	v_cndmask_b32_e64 v4, 0, 1, s[0:1]
	v_lshlrev_b32_e32 v4, 3, v4
	v_add_lshl_u32 v4, v4, v7, 2
	ds_bpermute_b32 v6, v4, v5
	s_waitcnt lgkmcnt(0)
	v_cmp_lt_f32_e64 s[0:1], v5, v6
	v_cndmask_b32_e64 v6, v5, v6, s[0:1]
	v_cmp_gt_u32_e64 s[0:1], 60, v9
	;; [unrolled: 8-line block ×3, first 2 shown]
	v_cndmask_b32_e64 v6, 0, 1, s[0:1]
	v_lshlrev_b32_e32 v6, 1, v6
	v_add_lshl_u32 v6, v6, v7, 2
	ds_bpermute_b32 v12, v6, v11
	v_and_b32_e32 v10, 63, v0
	s_waitcnt lgkmcnt(0)
	v_cmp_lt_f32_e64 s[0:1], v11, v12
	v_cndmask_b32_e64 v11, v11, v12, s[0:1]
	v_cmp_ne_u32_e64 s[0:1], 63, v9
	v_addc_co_u32_e64 v7, s[0:1], 0, v7, s[0:1]
	v_lshlrev_b32_e32 v7, 2, v7
	ds_bpermute_b32 v12, v7, v11
	v_cmp_eq_u32_e64 s[0:1], 0, v10
	v_lshrrev_b32_e32 v9, 4, v0
	s_and_saveexec_b64 s[2:3], s[0:1]
	s_xor_b64 s[6:7], exec, s[2:3]
	s_cbranch_execz .LBB94_4
; %bb.3:
	s_waitcnt lgkmcnt(0)
	v_cmp_lt_f32_e64 s[2:3], v11, v12
	v_add_u32_e32 v13, 0, v9
	v_cndmask_b32_e64 v11, v11, v12, s[2:3]
	ds_write_b32 v13, v11
.LBB94_4:
	s_or_b64 exec, exec, s[6:7]
	s_waitcnt lgkmcnt(0)
	s_barrier
	s_load_dword s2, s[4:5], 0x24
	v_mov_b32_e32 v11, 0xff7fffff
	v_lshl_add_u32 v10, v10, 2, 0
	s_waitcnt lgkmcnt(0)
	s_bfe_u32 s2, s2, 0xa0006
	v_cmp_gt_u32_e64 s[2:3], s2, v0
	s_and_saveexec_b64 s[4:5], s[2:3]
	s_cbranch_execnz .LBB94_17
; %bb.5:
	s_or_b64 exec, exec, s[4:5]
	v_cmp_gt_u32_e64 s[4:5], 64, v0
	s_and_saveexec_b64 s[8:9], s[4:5]
	s_cbranch_execnz .LBB94_18
.LBB94_6:
	s_or_b64 exec, exec, s[8:9]
	v_cmp_eq_u32_e64 s[6:7], 0, v0
	s_and_saveexec_b64 s[8:9], s[6:7]
	s_cbranch_execz .LBB94_8
.LBB94_7:
	v_mov_b32_e32 v0, 0
	s_waitcnt lgkmcnt(0)
	ds_write_b32 v0, v11
.LBB94_8:
	s_or_b64 exec, exec, s[8:9]
	s_waitcnt lgkmcnt(0)
	v_mov_b32_e32 v11, 0
	s_barrier
	ds_read_b32 v0, v11
	s_mov_b32 s8, 0x3fb8aa3b
	s_waitcnt lgkmcnt(0)
	s_barrier
	v_sub_f32_e32 v0, v8, v0
	v_mul_f32_e32 v8, 0x3fb8aa3b, v0
	v_fma_f32 v12, v0, s8, -v8
	v_rndne_f32_e32 v13, v8
	v_fmac_f32_e32 v12, 0x32a5705f, v0
	v_sub_f32_e32 v8, v8, v13
	v_add_f32_e32 v8, v8, v12
	v_cvt_i32_f32_e32 v12, v13
	v_exp_f32_e32 v8, v8
	s_mov_b32 s8, 0xc2ce8ed0
	v_cmp_ngt_f32_e64 s[8:9], s8, v0
	v_ldexp_f32 v8, v8, v12
	v_cndmask_b32_e64 v8, 0, v8, s[8:9]
	s_mov_b32 s8, 0x42b17218
	v_mov_b32_e32 v12, 0x7f800000
	v_cmp_nlt_f32_e64 s[8:9], s8, v0
	v_cndmask_b32_e64 v8, v12, v8, s[8:9]
	v_cndmask_b32_e32 v8, 0, v8, vcc
	ds_bpermute_b32 v12, v2, v8
	s_waitcnt lgkmcnt(0)
	v_add_f32_e32 v8, v8, v12
	ds_bpermute_b32 v12, v3, v8
	s_waitcnt lgkmcnt(0)
	v_add_f32_e32 v8, v8, v12
	;; [unrolled: 3-line block ×5, first 2 shown]
	ds_bpermute_b32 v12, v7, v8
	s_and_saveexec_b64 s[8:9], s[0:1]
	s_cbranch_execz .LBB94_10
; %bb.9:
	v_add_u32_e32 v9, 0, v9
	s_waitcnt lgkmcnt(0)
	v_add_f32_e32 v8, v8, v12
	ds_write_b32 v9, v8
.LBB94_10:
	s_or_b64 exec, exec, s[8:9]
	s_waitcnt lgkmcnt(0)
	s_barrier
	s_and_saveexec_b64 s[0:1], s[2:3]
	s_cbranch_execnz .LBB94_19
; %bb.11:
	s_or_b64 exec, exec, s[0:1]
	s_and_saveexec_b64 s[0:1], s[4:5]
	s_cbranch_execnz .LBB94_20
.LBB94_12:
	s_or_b64 exec, exec, s[0:1]
	s_and_saveexec_b64 s[0:1], s[6:7]
	s_cbranch_execz .LBB94_14
.LBB94_13:
	v_mov_b32_e32 v2, 0
	s_waitcnt lgkmcnt(0)
	ds_write_b32 v2, v11
.LBB94_14:
	s_or_b64 exec, exec, s[0:1]
	s_waitcnt lgkmcnt(0)
	s_barrier
	s_and_saveexec_b64 s[0:1], vcc
	s_cbranch_execz .LBB94_16
; %bb.15:
	v_mov_b32_e32 v2, 0
	ds_read_b32 v2, v2
	s_mov_b32 s0, 0x800000
	v_mov_b32_e32 v3, 0x4f800000
	s_mov_b32 s1, 0x7f800000
	s_waitcnt lgkmcnt(0)
	v_cmp_gt_f32_e32 vcc, s0, v2
	v_cndmask_b32_e32 v3, 1.0, v3, vcc
	v_mul_f32_e32 v2, v2, v3
	v_log_f32_e32 v2, v2
	s_mov_b32 s0, 0x3f317217
	v_mov_b32_e32 v3, 0x41b17218
	v_cndmask_b32_e32 v3, 0, v3, vcc
	v_mul_f32_e32 v4, 0x3f317217, v2
	v_fma_f32 v5, v2, s0, -v4
	v_fmac_f32_e32 v5, 0x3377d1cf, v2
	v_add_f32_e32 v4, v4, v5
	v_cmp_lt_f32_e64 s[0:1], |v2|, s1
	v_cndmask_b32_e64 v2, v2, v4, s[0:1]
	v_sub_f32_e32 v2, v2, v3
	v_sub_f32_e32 v0, v0, v2
	v_cvt_f16_f32_e32 v0, v0
	s_lshl_b64 s[0:1], s[10:11], 1
	s_add_u32 s0, s12, s0
	s_addc_u32 s1, s13, s1
	global_store_short v1, v0, s[0:1]
.LBB94_16:
	s_endpgm
.LBB94_17:
	ds_read_b32 v11, v10
	s_or_b64 exec, exec, s[4:5]
	v_cmp_gt_u32_e64 s[4:5], 64, v0
	s_and_saveexec_b64 s[8:9], s[4:5]
	s_cbranch_execz .LBB94_6
.LBB94_18:
	s_waitcnt lgkmcnt(0)
	ds_bpermute_b32 v12, v2, v11
	s_waitcnt lgkmcnt(0)
	v_cmp_lt_f32_e64 s[6:7], v11, v12
	v_cndmask_b32_e64 v11, v11, v12, s[6:7]
	ds_bpermute_b32 v12, v3, v11
	s_waitcnt lgkmcnt(0)
	v_cmp_lt_f32_e64 s[6:7], v11, v12
	v_cndmask_b32_e64 v11, v11, v12, s[6:7]
	;; [unrolled: 4-line block ×6, first 2 shown]
	s_or_b64 exec, exec, s[8:9]
	v_cmp_eq_u32_e64 s[6:7], 0, v0
	s_and_saveexec_b64 s[8:9], s[6:7]
	s_cbranch_execnz .LBB94_7
	s_branch .LBB94_8
.LBB94_19:
	ds_read_b32 v11, v10
	s_or_b64 exec, exec, s[0:1]
	s_and_saveexec_b64 s[0:1], s[4:5]
	s_cbranch_execz .LBB94_12
.LBB94_20:
	s_waitcnt lgkmcnt(0)
	ds_bpermute_b32 v2, v2, v11
	s_waitcnt lgkmcnt(0)
	v_add_f32_e32 v2, v11, v2
	ds_bpermute_b32 v3, v3, v2
	s_waitcnt lgkmcnt(0)
	v_add_f32_e32 v2, v2, v3
	;; [unrolled: 3-line block ×6, first 2 shown]
	s_or_b64 exec, exec, s[0:1]
	s_and_saveexec_b64 s[0:1], s[6:7]
	s_cbranch_execnz .LBB94_13
	s_branch .LBB94_14
	.section	.rodata,"a",@progbits
	.p2align	6, 0x0
	.amdhsa_kernel _ZN2at6native12_GLOBAL__N_122cunn_SoftMaxForwardRegIN3c104HalfEfS4_NS1_25LogSoftMaxForwardEpilogueElLi1EEEvPT1_PKT_T3_
		.amdhsa_group_segment_fixed_size 0
		.amdhsa_private_segment_fixed_size 0
		.amdhsa_kernarg_size 280
		.amdhsa_user_sgpr_count 6
		.amdhsa_user_sgpr_private_segment_buffer 1
		.amdhsa_user_sgpr_dispatch_ptr 0
		.amdhsa_user_sgpr_queue_ptr 0
		.amdhsa_user_sgpr_kernarg_segment_ptr 1
		.amdhsa_user_sgpr_dispatch_id 0
		.amdhsa_user_sgpr_flat_scratch_init 0
		.amdhsa_user_sgpr_kernarg_preload_length 0
		.amdhsa_user_sgpr_kernarg_preload_offset 0
		.amdhsa_user_sgpr_private_segment_size 0
		.amdhsa_uses_dynamic_stack 0
		.amdhsa_system_sgpr_private_segment_wavefront_offset 0
		.amdhsa_system_sgpr_workgroup_id_x 1
		.amdhsa_system_sgpr_workgroup_id_y 0
		.amdhsa_system_sgpr_workgroup_id_z 0
		.amdhsa_system_sgpr_workgroup_info 0
		.amdhsa_system_vgpr_workitem_id 0
		.amdhsa_next_free_vgpr 14
		.amdhsa_next_free_sgpr 16
		.amdhsa_accum_offset 16
		.amdhsa_reserve_vcc 1
		.amdhsa_reserve_flat_scratch 0
		.amdhsa_float_round_mode_32 0
		.amdhsa_float_round_mode_16_64 0
		.amdhsa_float_denorm_mode_32 3
		.amdhsa_float_denorm_mode_16_64 3
		.amdhsa_dx10_clamp 1
		.amdhsa_ieee_mode 1
		.amdhsa_fp16_overflow 0
		.amdhsa_tg_split 0
		.amdhsa_exception_fp_ieee_invalid_op 0
		.amdhsa_exception_fp_denorm_src 0
		.amdhsa_exception_fp_ieee_div_zero 0
		.amdhsa_exception_fp_ieee_overflow 0
		.amdhsa_exception_fp_ieee_underflow 0
		.amdhsa_exception_fp_ieee_inexact 0
		.amdhsa_exception_int_div_zero 0
	.end_amdhsa_kernel
	.section	.text._ZN2at6native12_GLOBAL__N_122cunn_SoftMaxForwardRegIN3c104HalfEfS4_NS1_25LogSoftMaxForwardEpilogueElLi1EEEvPT1_PKT_T3_,"axG",@progbits,_ZN2at6native12_GLOBAL__N_122cunn_SoftMaxForwardRegIN3c104HalfEfS4_NS1_25LogSoftMaxForwardEpilogueElLi1EEEvPT1_PKT_T3_,comdat
.Lfunc_end94:
	.size	_ZN2at6native12_GLOBAL__N_122cunn_SoftMaxForwardRegIN3c104HalfEfS4_NS1_25LogSoftMaxForwardEpilogueElLi1EEEvPT1_PKT_T3_, .Lfunc_end94-_ZN2at6native12_GLOBAL__N_122cunn_SoftMaxForwardRegIN3c104HalfEfS4_NS1_25LogSoftMaxForwardEpilogueElLi1EEEvPT1_PKT_T3_
                                        ; -- End function
	.section	.AMDGPU.csdata,"",@progbits
; Kernel info:
; codeLenInByte = 1484
; NumSgprs: 20
; NumVgprs: 14
; NumAgprs: 0
; TotalNumVgprs: 14
; ScratchSize: 0
; MemoryBound: 0
; FloatMode: 240
; IeeeMode: 1
; LDSByteSize: 0 bytes/workgroup (compile time only)
; SGPRBlocks: 2
; VGPRBlocks: 1
; NumSGPRsForWavesPerEU: 20
; NumVGPRsForWavesPerEU: 14
; AccumOffset: 16
; Occupancy: 8
; WaveLimiterHint : 0
; COMPUTE_PGM_RSRC2:SCRATCH_EN: 0
; COMPUTE_PGM_RSRC2:USER_SGPR: 6
; COMPUTE_PGM_RSRC2:TRAP_HANDLER: 0
; COMPUTE_PGM_RSRC2:TGID_X_EN: 1
; COMPUTE_PGM_RSRC2:TGID_Y_EN: 0
; COMPUTE_PGM_RSRC2:TGID_Z_EN: 0
; COMPUTE_PGM_RSRC2:TIDIG_COMP_CNT: 0
; COMPUTE_PGM_RSRC3_GFX90A:ACCUM_OFFSET: 3
; COMPUTE_PGM_RSRC3_GFX90A:TG_SPLIT: 0
	.section	.text._ZN2at6native12_GLOBAL__N_122cunn_SoftMaxForwardRegIN3c104HalfEfS4_NS1_25LogSoftMaxForwardEpilogueElLi2EEEvPT1_PKT_T3_,"axG",@progbits,_ZN2at6native12_GLOBAL__N_122cunn_SoftMaxForwardRegIN3c104HalfEfS4_NS1_25LogSoftMaxForwardEpilogueElLi2EEEvPT1_PKT_T3_,comdat
	.globl	_ZN2at6native12_GLOBAL__N_122cunn_SoftMaxForwardRegIN3c104HalfEfS4_NS1_25LogSoftMaxForwardEpilogueElLi2EEEvPT1_PKT_T3_ ; -- Begin function _ZN2at6native12_GLOBAL__N_122cunn_SoftMaxForwardRegIN3c104HalfEfS4_NS1_25LogSoftMaxForwardEpilogueElLi2EEEvPT1_PKT_T3_
	.p2align	8
	.type	_ZN2at6native12_GLOBAL__N_122cunn_SoftMaxForwardRegIN3c104HalfEfS4_NS1_25LogSoftMaxForwardEpilogueElLi2EEEvPT1_PKT_T3_,@function
_ZN2at6native12_GLOBAL__N_122cunn_SoftMaxForwardRegIN3c104HalfEfS4_NS1_25LogSoftMaxForwardEpilogueElLi2EEEvPT1_PKT_T3_: ; @_ZN2at6native12_GLOBAL__N_122cunn_SoftMaxForwardRegIN3c104HalfEfS4_NS1_25LogSoftMaxForwardEpilogueElLi2EEEvPT1_PKT_T3_
; %bb.0:
	s_load_dwordx2 s[0:1], s[4:5], 0x10
	s_load_dwordx4 s[12:15], s[4:5], 0x0
	s_load_dword s7, s[4:5], 0x24
	v_mov_b32_e32 v1, 0
	v_mov_b32_e32 v4, 0xff7fffff
	s_waitcnt lgkmcnt(0)
	s_mul_i32 s2, s6, s1
	s_mul_hi_u32 s3, s6, s0
	s_add_i32 s3, s3, s2
	s_mul_i32 s2, s6, s0
	s_lshl_b64 s[16:17], s[2:3], 1
	s_add_u32 s2, s14, s16
	s_addc_u32 s3, s15, s17
	v_cmp_gt_i64_e32 vcc, s[0:1], v[0:1]
	v_lshlrev_b32_e32 v2, 1, v0
                                        ; implicit-def: $vgpr9
	s_and_saveexec_b64 s[4:5], vcc
	s_cbranch_execz .LBB95_2
; %bb.1:
	global_load_ushort v3, v2, s[2:3]
	s_waitcnt vmcnt(0)
	v_cvt_f32_f16_e32 v9, v3
	v_max_f32_e32 v4, 0xff7fffff, v9
.LBB95_2:
	s_or_b64 exec, exec, s[4:5]
	s_and_b32 s8, 0xffff, s7
	v_add_u32_e32 v6, s8, v0
	v_mov_b32_e32 v7, v1
	v_cmp_gt_i64_e64 s[0:1], s[0:1], v[6:7]
	v_lshlrev_b32_e32 v1, 1, v6
                                        ; implicit-def: $vgpr10
	s_and_saveexec_b64 s[4:5], s[0:1]
	s_cbranch_execz .LBB95_4
; %bb.3:
	global_load_ushort v3, v1, s[2:3]
	s_waitcnt vmcnt(0)
	v_cvt_f32_f16_e32 v10, v3
	v_max_f32_e32 v3, v4, v4
	v_max_f32_e32 v4, v3, v10
.LBB95_4:
	s_or_b64 exec, exec, s[4:5]
	v_mbcnt_lo_u32_b32 v3, -1, 0
	v_mbcnt_hi_u32_b32 v8, -1, v3
	v_and_b32_e32 v11, 63, v8
	v_cmp_gt_u32_e64 s[2:3], 32, v11
	v_cndmask_b32_e64 v3, 0, 1, s[2:3]
	v_lshlrev_b32_e32 v3, 5, v3
	v_add_lshl_u32 v3, v3, v8, 2
	ds_bpermute_b32 v5, v3, v4
	v_cmp_gt_u32_e64 s[2:3], 48, v11
	v_cndmask_b32_e64 v6, 0, 1, s[2:3]
	s_waitcnt lgkmcnt(0)
	s_barrier
	v_cmp_lt_f32_e64 s[2:3], v4, v5
	v_cndmask_b32_e64 v5, v4, v5, s[2:3]
	v_lshlrev_b32_e32 v4, 4, v6
	v_add_lshl_u32 v4, v4, v8, 2
	ds_bpermute_b32 v6, v4, v5
	s_waitcnt lgkmcnt(0)
	v_cmp_lt_f32_e64 s[2:3], v5, v6
	v_cndmask_b32_e64 v6, v5, v6, s[2:3]
	v_cmp_gt_u32_e64 s[2:3], 56, v11
	v_cndmask_b32_e64 v5, 0, 1, s[2:3]
	v_lshlrev_b32_e32 v5, 3, v5
	v_add_lshl_u32 v5, v5, v8, 2
	ds_bpermute_b32 v7, v5, v6
	s_waitcnt lgkmcnt(0)
	v_cmp_lt_f32_e64 s[2:3], v6, v7
	v_cndmask_b32_e64 v7, v6, v7, s[2:3]
	v_cmp_gt_u32_e64 s[2:3], 60, v11
	;; [unrolled: 8-line block ×3, first 2 shown]
	v_cndmask_b32_e64 v7, 0, 1, s[2:3]
	v_lshlrev_b32_e32 v7, 1, v7
	v_add_lshl_u32 v7, v7, v8, 2
	ds_bpermute_b32 v14, v7, v13
	v_and_b32_e32 v12, 63, v0
	s_waitcnt lgkmcnt(0)
	v_cmp_lt_f32_e64 s[2:3], v13, v14
	v_cndmask_b32_e64 v13, v13, v14, s[2:3]
	v_cmp_ne_u32_e64 s[2:3], 63, v11
	v_addc_co_u32_e64 v8, s[2:3], 0, v8, s[2:3]
	v_lshlrev_b32_e32 v8, 2, v8
	ds_bpermute_b32 v14, v8, v13
	v_cmp_eq_u32_e64 s[2:3], 0, v12
	v_lshrrev_b32_e32 v11, 4, v0
	s_and_saveexec_b64 s[4:5], s[2:3]
	s_xor_b64 s[6:7], exec, s[4:5]
	s_cbranch_execz .LBB95_6
; %bb.5:
	s_waitcnt lgkmcnt(0)
	v_cmp_lt_f32_e64 s[4:5], v13, v14
	v_add_u32_e32 v15, 0, v11
	v_cndmask_b32_e64 v13, v13, v14, s[4:5]
	ds_write_b32 v15, v13
.LBB95_6:
	s_or_b64 exec, exec, s[6:7]
	s_lshr_b32 s4, s8, 6
	v_cmp_gt_u32_e64 s[4:5], s4, v0
	v_mov_b32_e32 v13, 0xff7fffff
	v_lshl_add_u32 v12, v12, 2, 0
	s_waitcnt lgkmcnt(0)
	s_barrier
	s_and_saveexec_b64 s[6:7], s[4:5]
	s_cbranch_execnz .LBB95_19
; %bb.7:
	s_or_b64 exec, exec, s[6:7]
	v_cmp_gt_u32_e64 s[6:7], 64, v0
	s_and_saveexec_b64 s[10:11], s[6:7]
	s_cbranch_execnz .LBB95_20
.LBB95_8:
	s_or_b64 exec, exec, s[10:11]
	v_cmp_eq_u32_e64 s[8:9], 0, v0
	s_and_saveexec_b64 s[10:11], s[8:9]
	s_cbranch_execz .LBB95_10
.LBB95_9:
	v_mov_b32_e32 v0, 0
	s_waitcnt lgkmcnt(0)
	ds_write_b32 v0, v13
.LBB95_10:
	s_or_b64 exec, exec, s[10:11]
	s_waitcnt lgkmcnt(0)
	v_mov_b32_e32 v13, 0
	s_barrier
	ds_read_b32 v14, v13
	s_mov_b32 s14, 0x3fb8aa3b
	s_mov_b32 s15, 0xc2ce8ed0
	;; [unrolled: 1-line block ×3, first 2 shown]
	s_waitcnt lgkmcnt(0)
	v_sub_f32_e32 v0, v9, v14
	v_mul_f32_e32 v9, 0x3fb8aa3b, v0
	v_fma_f32 v15, v0, s14, -v9
	v_rndne_f32_e32 v16, v9
	v_fmac_f32_e32 v15, 0x32a5705f, v0
	v_sub_f32_e32 v9, v9, v16
	v_add_f32_e32 v9, v9, v15
	v_cvt_i32_f32_e32 v15, v16
	v_exp_f32_e32 v9, v9
	v_cmp_ngt_f32_e64 s[10:11], s15, v0
	v_mov_b32_e32 v16, 0x7f800000
	s_barrier
	v_ldexp_f32 v9, v9, v15
	v_cndmask_b32_e64 v15, 0, v9, s[10:11]
	v_sub_f32_e32 v9, v10, v14
	v_mul_f32_e32 v10, 0x3fb8aa3b, v9
	v_fma_f32 v14, v9, s14, -v10
	v_rndne_f32_e32 v17, v10
	v_fmac_f32_e32 v14, 0x32a5705f, v9
	v_sub_f32_e32 v10, v10, v17
	v_add_f32_e32 v10, v10, v14
	v_exp_f32_e32 v10, v10
	v_cvt_i32_f32_e32 v14, v17
	v_cmp_nlt_f32_e64 s[10:11], s18, v0
	v_cndmask_b32_e64 v15, v16, v15, s[10:11]
	v_cmp_ngt_f32_e64 s[10:11], s15, v9
	v_ldexp_f32 v10, v10, v14
	v_cndmask_b32_e64 v10, 0, v10, s[10:11]
	v_cmp_nlt_f32_e64 s[10:11], s18, v9
	v_cndmask_b32_e32 v15, 0, v15, vcc
	v_cndmask_b32_e64 v10, v16, v10, s[10:11]
	v_add_f32_e32 v10, v15, v10
	v_cndmask_b32_e64 v10, v15, v10, s[0:1]
	ds_bpermute_b32 v14, v3, v10
	s_waitcnt lgkmcnt(0)
	v_add_f32_e32 v10, v10, v14
	ds_bpermute_b32 v14, v4, v10
	s_waitcnt lgkmcnt(0)
	v_add_f32_e32 v10, v10, v14
	;; [unrolled: 3-line block ×5, first 2 shown]
	ds_bpermute_b32 v14, v8, v10
	s_and_saveexec_b64 s[10:11], s[2:3]
	s_cbranch_execz .LBB95_12
; %bb.11:
	v_add_u32_e32 v11, 0, v11
	s_waitcnt lgkmcnt(0)
	v_add_f32_e32 v10, v10, v14
	ds_write_b32 v11, v10
.LBB95_12:
	s_or_b64 exec, exec, s[10:11]
	s_waitcnt lgkmcnt(0)
	s_barrier
	s_and_saveexec_b64 s[2:3], s[4:5]
	s_cbranch_execnz .LBB95_21
; %bb.13:
	s_or_b64 exec, exec, s[2:3]
	s_and_saveexec_b64 s[2:3], s[6:7]
	s_cbranch_execnz .LBB95_22
.LBB95_14:
	s_or_b64 exec, exec, s[2:3]
	s_and_saveexec_b64 s[2:3], s[8:9]
	s_cbranch_execz .LBB95_16
.LBB95_15:
	v_mov_b32_e32 v3, 0
	s_waitcnt lgkmcnt(0)
	ds_write_b32 v3, v13
.LBB95_16:
	s_or_b64 exec, exec, s[2:3]
	v_mov_b32_e32 v3, 0
	s_waitcnt lgkmcnt(0)
	s_barrier
	ds_read_b32 v3, v3
	s_mov_b32 s2, 0x800000
	v_mov_b32_e32 v4, 0x4f800000
	s_mov_b32 s4, 0x3f317217
	s_add_u32 s6, s12, s16
	s_waitcnt lgkmcnt(0)
	v_cmp_gt_f32_e64 s[2:3], s2, v3
	v_cndmask_b32_e64 v4, 1.0, v4, s[2:3]
	v_mul_f32_e32 v3, v3, v4
	v_log_f32_e32 v3, v3
	s_addc_u32 s7, s13, s17
	v_mul_f32_e32 v4, 0x3f317217, v3
	v_fma_f32 v5, v3, s4, -v4
	v_fmac_f32_e32 v5, 0x3377d1cf, v3
	s_mov_b32 s4, 0x7f800000
	v_add_f32_e32 v4, v4, v5
	v_cmp_lt_f32_e64 s[4:5], |v3|, s4
	v_cndmask_b32_e64 v3, v3, v4, s[4:5]
	v_mov_b32_e32 v4, 0x41b17218
	v_cndmask_b32_e64 v4, 0, v4, s[2:3]
	v_sub_f32_e32 v3, v3, v4
	s_and_saveexec_b64 s[2:3], vcc
	s_cbranch_execnz .LBB95_23
; %bb.17:
	s_or_b64 exec, exec, s[2:3]
	s_and_saveexec_b64 s[2:3], s[0:1]
	s_cbranch_execnz .LBB95_24
.LBB95_18:
	s_endpgm
.LBB95_19:
	ds_read_b32 v13, v12
	s_or_b64 exec, exec, s[6:7]
	v_cmp_gt_u32_e64 s[6:7], 64, v0
	s_and_saveexec_b64 s[10:11], s[6:7]
	s_cbranch_execz .LBB95_8
.LBB95_20:
	s_waitcnt lgkmcnt(0)
	ds_bpermute_b32 v14, v3, v13
	s_waitcnt lgkmcnt(0)
	v_cmp_lt_f32_e64 s[8:9], v13, v14
	v_cndmask_b32_e64 v13, v13, v14, s[8:9]
	ds_bpermute_b32 v14, v4, v13
	s_waitcnt lgkmcnt(0)
	v_cmp_lt_f32_e64 s[8:9], v13, v14
	v_cndmask_b32_e64 v13, v13, v14, s[8:9]
	;; [unrolled: 4-line block ×6, first 2 shown]
	s_or_b64 exec, exec, s[10:11]
	v_cmp_eq_u32_e64 s[8:9], 0, v0
	s_and_saveexec_b64 s[10:11], s[8:9]
	s_cbranch_execnz .LBB95_9
	s_branch .LBB95_10
.LBB95_21:
	ds_read_b32 v13, v12
	s_or_b64 exec, exec, s[2:3]
	s_and_saveexec_b64 s[2:3], s[6:7]
	s_cbranch_execz .LBB95_14
.LBB95_22:
	s_waitcnt lgkmcnt(0)
	ds_bpermute_b32 v3, v3, v13
	s_waitcnt lgkmcnt(0)
	v_add_f32_e32 v3, v13, v3
	ds_bpermute_b32 v4, v4, v3
	s_waitcnt lgkmcnt(0)
	v_add_f32_e32 v3, v3, v4
	;; [unrolled: 3-line block ×6, first 2 shown]
	s_or_b64 exec, exec, s[2:3]
	s_and_saveexec_b64 s[2:3], s[8:9]
	s_cbranch_execnz .LBB95_15
	s_branch .LBB95_16
.LBB95_23:
	v_sub_f32_e32 v0, v0, v3
	v_cvt_f16_f32_e32 v0, v0
	global_store_short v2, v0, s[6:7]
	s_or_b64 exec, exec, s[2:3]
	s_and_saveexec_b64 s[2:3], s[0:1]
	s_cbranch_execz .LBB95_18
.LBB95_24:
	v_sub_f32_e32 v0, v9, v3
	v_cvt_f16_f32_e32 v0, v0
	global_store_short v1, v0, s[6:7]
	s_endpgm
	.section	.rodata,"a",@progbits
	.p2align	6, 0x0
	.amdhsa_kernel _ZN2at6native12_GLOBAL__N_122cunn_SoftMaxForwardRegIN3c104HalfEfS4_NS1_25LogSoftMaxForwardEpilogueElLi2EEEvPT1_PKT_T3_
		.amdhsa_group_segment_fixed_size 0
		.amdhsa_private_segment_fixed_size 0
		.amdhsa_kernarg_size 280
		.amdhsa_user_sgpr_count 6
		.amdhsa_user_sgpr_private_segment_buffer 1
		.amdhsa_user_sgpr_dispatch_ptr 0
		.amdhsa_user_sgpr_queue_ptr 0
		.amdhsa_user_sgpr_kernarg_segment_ptr 1
		.amdhsa_user_sgpr_dispatch_id 0
		.amdhsa_user_sgpr_flat_scratch_init 0
		.amdhsa_user_sgpr_kernarg_preload_length 0
		.amdhsa_user_sgpr_kernarg_preload_offset 0
		.amdhsa_user_sgpr_private_segment_size 0
		.amdhsa_uses_dynamic_stack 0
		.amdhsa_system_sgpr_private_segment_wavefront_offset 0
		.amdhsa_system_sgpr_workgroup_id_x 1
		.amdhsa_system_sgpr_workgroup_id_y 0
		.amdhsa_system_sgpr_workgroup_id_z 0
		.amdhsa_system_sgpr_workgroup_info 0
		.amdhsa_system_vgpr_workitem_id 0
		.amdhsa_next_free_vgpr 18
		.amdhsa_next_free_sgpr 19
		.amdhsa_accum_offset 20
		.amdhsa_reserve_vcc 1
		.amdhsa_reserve_flat_scratch 0
		.amdhsa_float_round_mode_32 0
		.amdhsa_float_round_mode_16_64 0
		.amdhsa_float_denorm_mode_32 3
		.amdhsa_float_denorm_mode_16_64 3
		.amdhsa_dx10_clamp 1
		.amdhsa_ieee_mode 1
		.amdhsa_fp16_overflow 0
		.amdhsa_tg_split 0
		.amdhsa_exception_fp_ieee_invalid_op 0
		.amdhsa_exception_fp_denorm_src 0
		.amdhsa_exception_fp_ieee_div_zero 0
		.amdhsa_exception_fp_ieee_overflow 0
		.amdhsa_exception_fp_ieee_underflow 0
		.amdhsa_exception_fp_ieee_inexact 0
		.amdhsa_exception_int_div_zero 0
	.end_amdhsa_kernel
	.section	.text._ZN2at6native12_GLOBAL__N_122cunn_SoftMaxForwardRegIN3c104HalfEfS4_NS1_25LogSoftMaxForwardEpilogueElLi2EEEvPT1_PKT_T3_,"axG",@progbits,_ZN2at6native12_GLOBAL__N_122cunn_SoftMaxForwardRegIN3c104HalfEfS4_NS1_25LogSoftMaxForwardEpilogueElLi2EEEvPT1_PKT_T3_,comdat
.Lfunc_end95:
	.size	_ZN2at6native12_GLOBAL__N_122cunn_SoftMaxForwardRegIN3c104HalfEfS4_NS1_25LogSoftMaxForwardEpilogueElLi2EEEvPT1_PKT_T3_, .Lfunc_end95-_ZN2at6native12_GLOBAL__N_122cunn_SoftMaxForwardRegIN3c104HalfEfS4_NS1_25LogSoftMaxForwardEpilogueElLi2EEEvPT1_PKT_T3_
                                        ; -- End function
	.section	.AMDGPU.csdata,"",@progbits
; Kernel info:
; codeLenInByte = 1692
; NumSgprs: 23
; NumVgprs: 18
; NumAgprs: 0
; TotalNumVgprs: 18
; ScratchSize: 0
; MemoryBound: 0
; FloatMode: 240
; IeeeMode: 1
; LDSByteSize: 0 bytes/workgroup (compile time only)
; SGPRBlocks: 2
; VGPRBlocks: 2
; NumSGPRsForWavesPerEU: 23
; NumVGPRsForWavesPerEU: 18
; AccumOffset: 20
; Occupancy: 8
; WaveLimiterHint : 0
; COMPUTE_PGM_RSRC2:SCRATCH_EN: 0
; COMPUTE_PGM_RSRC2:USER_SGPR: 6
; COMPUTE_PGM_RSRC2:TRAP_HANDLER: 0
; COMPUTE_PGM_RSRC2:TGID_X_EN: 1
; COMPUTE_PGM_RSRC2:TGID_Y_EN: 0
; COMPUTE_PGM_RSRC2:TGID_Z_EN: 0
; COMPUTE_PGM_RSRC2:TIDIG_COMP_CNT: 0
; COMPUTE_PGM_RSRC3_GFX90A:ACCUM_OFFSET: 4
; COMPUTE_PGM_RSRC3_GFX90A:TG_SPLIT: 0
	.section	.text._ZN2at6native12_GLOBAL__N_122cunn_SoftMaxForwardRegIN3c104HalfEfS4_NS1_25LogSoftMaxForwardEpilogueElLi3EEEvPT1_PKT_T3_,"axG",@progbits,_ZN2at6native12_GLOBAL__N_122cunn_SoftMaxForwardRegIN3c104HalfEfS4_NS1_25LogSoftMaxForwardEpilogueElLi3EEEvPT1_PKT_T3_,comdat
	.globl	_ZN2at6native12_GLOBAL__N_122cunn_SoftMaxForwardRegIN3c104HalfEfS4_NS1_25LogSoftMaxForwardEpilogueElLi3EEEvPT1_PKT_T3_ ; -- Begin function _ZN2at6native12_GLOBAL__N_122cunn_SoftMaxForwardRegIN3c104HalfEfS4_NS1_25LogSoftMaxForwardEpilogueElLi3EEEvPT1_PKT_T3_
	.p2align	8
	.type	_ZN2at6native12_GLOBAL__N_122cunn_SoftMaxForwardRegIN3c104HalfEfS4_NS1_25LogSoftMaxForwardEpilogueElLi3EEEvPT1_PKT_T3_,@function
_ZN2at6native12_GLOBAL__N_122cunn_SoftMaxForwardRegIN3c104HalfEfS4_NS1_25LogSoftMaxForwardEpilogueElLi3EEEvPT1_PKT_T3_: ; @_ZN2at6native12_GLOBAL__N_122cunn_SoftMaxForwardRegIN3c104HalfEfS4_NS1_25LogSoftMaxForwardEpilogueElLi3EEEvPT1_PKT_T3_
; %bb.0:
	s_load_dwordx2 s[2:3], s[4:5], 0x10
	s_load_dwordx4 s[16:19], s[4:5], 0x0
	s_load_dword s7, s[4:5], 0x24
	v_mov_b32_e32 v3, 0
	v_mov_b32_e32 v1, v3
	s_waitcnt lgkmcnt(0)
	s_mul_i32 s0, s6, s3
	s_mul_hi_u32 s1, s6, s2
	s_add_i32 s1, s1, s0
	s_mul_i32 s0, s6, s2
	s_lshl_b64 s[14:15], s[0:1], 1
	s_add_u32 s4, s18, s14
	s_addc_u32 s5, s19, s15
	v_cmp_gt_i64_e32 vcc, s[2:3], v[0:1]
	v_mov_b32_e32 v5, 0xff7fffff
	v_lshlrev_b32_e32 v1, 1, v0
                                        ; implicit-def: $vgpr10
	s_and_saveexec_b64 s[0:1], vcc
	s_cbranch_execz .LBB96_2
; %bb.1:
	global_load_ushort v2, v1, s[4:5]
	s_waitcnt vmcnt(0)
	v_cvt_f32_f16_e32 v10, v2
	v_max_f32_e32 v5, 0xff7fffff, v10
.LBB96_2:
	s_or_b64 exec, exec, s[0:1]
	s_and_b32 s10, 0xffff, s7
	v_add_u32_e32 v2, s10, v0
	v_cmp_gt_i64_e64 s[0:1], s[2:3], v[2:3]
	v_lshlrev_b32_e32 v3, 1, v2
                                        ; implicit-def: $vgpr11
	s_and_saveexec_b64 s[6:7], s[0:1]
	s_cbranch_execz .LBB96_4
; %bb.3:
	global_load_ushort v4, v3, s[4:5]
	s_waitcnt vmcnt(0)
	v_cvt_f32_f16_e32 v11, v4
	v_max_f32_e32 v4, v5, v5
	v_max_f32_e32 v5, v4, v11
.LBB96_4:
	s_or_b64 exec, exec, s[6:7]
	v_add_u32_e32 v6, s10, v2
	v_mov_b32_e32 v7, 0
	v_cmp_gt_i64_e64 s[2:3], s[2:3], v[6:7]
	v_lshlrev_b32_e32 v2, 1, v6
                                        ; implicit-def: $vgpr12
	s_and_saveexec_b64 s[6:7], s[2:3]
	s_cbranch_execz .LBB96_6
; %bb.5:
	global_load_ushort v4, v2, s[4:5]
	s_waitcnt vmcnt(0)
	v_cvt_f32_f16_e32 v12, v4
	v_max_f32_e32 v4, v5, v5
	v_max_f32_e32 v5, v4, v12
.LBB96_6:
	s_or_b64 exec, exec, s[6:7]
	v_mbcnt_lo_u32_b32 v4, -1, 0
	v_mbcnt_hi_u32_b32 v9, -1, v4
	v_and_b32_e32 v13, 63, v9
	v_cmp_gt_u32_e64 s[4:5], 32, v13
	v_cndmask_b32_e64 v4, 0, 1, s[4:5]
	v_lshlrev_b32_e32 v4, 5, v4
	v_add_lshl_u32 v4, v4, v9, 2
	ds_bpermute_b32 v6, v4, v5
	v_cmp_gt_u32_e64 s[4:5], 48, v13
	v_cndmask_b32_e64 v7, 0, 1, s[4:5]
	s_waitcnt lgkmcnt(0)
	s_barrier
	v_cmp_lt_f32_e64 s[4:5], v5, v6
	v_cndmask_b32_e64 v6, v5, v6, s[4:5]
	v_lshlrev_b32_e32 v5, 4, v7
	v_add_lshl_u32 v5, v5, v9, 2
	ds_bpermute_b32 v7, v5, v6
	s_waitcnt lgkmcnt(0)
	v_cmp_lt_f32_e64 s[4:5], v6, v7
	v_cndmask_b32_e64 v7, v6, v7, s[4:5]
	v_cmp_gt_u32_e64 s[4:5], 56, v13
	v_cndmask_b32_e64 v6, 0, 1, s[4:5]
	v_lshlrev_b32_e32 v6, 3, v6
	v_add_lshl_u32 v6, v6, v9, 2
	ds_bpermute_b32 v8, v6, v7
	s_waitcnt lgkmcnt(0)
	v_cmp_lt_f32_e64 s[4:5], v7, v8
	v_cndmask_b32_e64 v8, v7, v8, s[4:5]
	v_cmp_gt_u32_e64 s[4:5], 60, v13
	;; [unrolled: 8-line block ×3, first 2 shown]
	v_cndmask_b32_e64 v8, 0, 1, s[4:5]
	v_lshlrev_b32_e32 v8, 1, v8
	v_add_lshl_u32 v8, v8, v9, 2
	ds_bpermute_b32 v16, v8, v15
	v_and_b32_e32 v14, 63, v0
	s_waitcnt lgkmcnt(0)
	v_cmp_lt_f32_e64 s[4:5], v15, v16
	v_cndmask_b32_e64 v15, v15, v16, s[4:5]
	v_cmp_ne_u32_e64 s[4:5], 63, v13
	v_addc_co_u32_e64 v9, s[4:5], 0, v9, s[4:5]
	v_lshlrev_b32_e32 v9, 2, v9
	ds_bpermute_b32 v16, v9, v15
	v_cmp_eq_u32_e64 s[4:5], 0, v14
	v_lshrrev_b32_e32 v13, 4, v0
	s_and_saveexec_b64 s[6:7], s[4:5]
	s_xor_b64 s[8:9], exec, s[6:7]
	s_cbranch_execz .LBB96_8
; %bb.7:
	s_waitcnt lgkmcnt(0)
	v_cmp_lt_f32_e64 s[6:7], v15, v16
	v_add_u32_e32 v17, 0, v13
	v_cndmask_b32_e64 v15, v15, v16, s[6:7]
	ds_write_b32 v17, v15
.LBB96_8:
	s_or_b64 exec, exec, s[8:9]
	s_lshr_b32 s6, s10, 6
	v_cmp_gt_u32_e64 s[6:7], s6, v0
	v_mov_b32_e32 v15, 0xff7fffff
	v_lshl_add_u32 v14, v14, 2, 0
	s_waitcnt lgkmcnt(0)
	s_barrier
	s_and_saveexec_b64 s[8:9], s[6:7]
	s_cbranch_execnz .LBB96_22
; %bb.9:
	s_or_b64 exec, exec, s[8:9]
	v_cmp_gt_u32_e64 s[8:9], 64, v0
	s_and_saveexec_b64 s[12:13], s[8:9]
	s_cbranch_execnz .LBB96_23
.LBB96_10:
	s_or_b64 exec, exec, s[12:13]
	v_cmp_eq_u32_e64 s[10:11], 0, v0
	s_and_saveexec_b64 s[12:13], s[10:11]
	s_cbranch_execz .LBB96_12
.LBB96_11:
	v_mov_b32_e32 v0, 0
	s_waitcnt lgkmcnt(0)
	ds_write_b32 v0, v15
.LBB96_12:
	s_or_b64 exec, exec, s[12:13]
	s_waitcnt lgkmcnt(0)
	v_mov_b32_e32 v15, 0
	s_barrier
	ds_read_b32 v16, v15
	s_mov_b32 s18, 0x3fb8aa3b
	s_mov_b32 s19, 0xc2ce8ed0
	;; [unrolled: 1-line block ×3, first 2 shown]
	s_waitcnt lgkmcnt(0)
	v_sub_f32_e32 v0, v10, v16
	v_mul_f32_e32 v10, 0x3fb8aa3b, v0
	v_fma_f32 v17, v0, s18, -v10
	v_rndne_f32_e32 v18, v10
	v_fmac_f32_e32 v17, 0x32a5705f, v0
	v_sub_f32_e32 v10, v10, v18
	v_add_f32_e32 v10, v10, v17
	v_cvt_i32_f32_e32 v17, v18
	v_exp_f32_e32 v10, v10
	v_cmp_ngt_f32_e64 s[12:13], s19, v0
	v_mov_b32_e32 v18, 0x7f800000
	s_barrier
	v_ldexp_f32 v10, v10, v17
	v_cndmask_b32_e64 v17, 0, v10, s[12:13]
	v_sub_f32_e32 v10, v11, v16
	v_mul_f32_e32 v11, 0x3fb8aa3b, v10
	v_fma_f32 v19, v10, s18, -v11
	v_rndne_f32_e32 v20, v11
	v_fmac_f32_e32 v19, 0x32a5705f, v10
	v_sub_f32_e32 v11, v11, v20
	v_add_f32_e32 v11, v11, v19
	v_exp_f32_e32 v11, v11
	v_cvt_i32_f32_e32 v19, v20
	v_cmp_nlt_f32_e64 s[12:13], s20, v0
	v_cndmask_b32_e64 v17, v18, v17, s[12:13]
	v_cmp_ngt_f32_e64 s[12:13], s19, v10
	v_ldexp_f32 v11, v11, v19
	v_cndmask_b32_e64 v19, 0, v11, s[12:13]
	v_sub_f32_e32 v11, v12, v16
	v_mul_f32_e32 v12, 0x3fb8aa3b, v11
	v_fma_f32 v16, v11, s18, -v12
	v_rndne_f32_e32 v20, v12
	v_fmac_f32_e32 v16, 0x32a5705f, v11
	v_sub_f32_e32 v12, v12, v20
	v_add_f32_e32 v12, v12, v16
	v_exp_f32_e32 v12, v12
	v_cvt_i32_f32_e32 v16, v20
	v_cmp_nlt_f32_e64 s[12:13], s20, v10
	v_cndmask_b32_e32 v17, 0, v17, vcc
	v_cndmask_b32_e64 v19, v18, v19, s[12:13]
	v_ldexp_f32 v12, v12, v16
	v_cmp_ngt_f32_e64 s[12:13], s19, v11
	v_add_f32_e32 v19, v17, v19
	v_cndmask_b32_e64 v12, 0, v12, s[12:13]
	v_cmp_nlt_f32_e64 s[12:13], s20, v11
	v_cndmask_b32_e64 v17, v17, v19, s[0:1]
	v_cndmask_b32_e64 v12, v18, v12, s[12:13]
	v_add_f32_e32 v12, v17, v12
	v_cndmask_b32_e64 v12, v17, v12, s[2:3]
	ds_bpermute_b32 v16, v4, v12
	s_waitcnt lgkmcnt(0)
	v_add_f32_e32 v12, v12, v16
	ds_bpermute_b32 v16, v5, v12
	s_waitcnt lgkmcnt(0)
	v_add_f32_e32 v12, v12, v16
	;; [unrolled: 3-line block ×5, first 2 shown]
	ds_bpermute_b32 v16, v9, v12
	s_and_saveexec_b64 s[12:13], s[4:5]
	s_cbranch_execz .LBB96_14
; %bb.13:
	v_add_u32_e32 v13, 0, v13
	s_waitcnt lgkmcnt(0)
	v_add_f32_e32 v12, v12, v16
	ds_write_b32 v13, v12
.LBB96_14:
	s_or_b64 exec, exec, s[12:13]
	s_waitcnt lgkmcnt(0)
	s_barrier
	s_and_saveexec_b64 s[4:5], s[6:7]
	s_cbranch_execnz .LBB96_24
; %bb.15:
	s_or_b64 exec, exec, s[4:5]
	s_and_saveexec_b64 s[4:5], s[8:9]
	s_cbranch_execnz .LBB96_25
.LBB96_16:
	s_or_b64 exec, exec, s[4:5]
	s_and_saveexec_b64 s[4:5], s[10:11]
	s_cbranch_execz .LBB96_18
.LBB96_17:
	v_mov_b32_e32 v4, 0
	s_waitcnt lgkmcnt(0)
	ds_write_b32 v4, v15
.LBB96_18:
	s_or_b64 exec, exec, s[4:5]
	v_mov_b32_e32 v4, 0
	s_waitcnt lgkmcnt(0)
	s_barrier
	ds_read_b32 v4, v4
	s_mov_b32 s4, 0x800000
	v_mov_b32_e32 v5, 0x4f800000
	s_mov_b32 s6, 0x3f317217
	s_add_u32 s8, s16, s14
	s_waitcnt lgkmcnt(0)
	v_cmp_gt_f32_e64 s[4:5], s4, v4
	v_cndmask_b32_e64 v5, 1.0, v5, s[4:5]
	v_mul_f32_e32 v4, v4, v5
	v_log_f32_e32 v4, v4
	s_addc_u32 s9, s17, s15
	v_mul_f32_e32 v5, 0x3f317217, v4
	v_fma_f32 v6, v4, s6, -v5
	v_fmac_f32_e32 v6, 0x3377d1cf, v4
	s_mov_b32 s6, 0x7f800000
	v_add_f32_e32 v5, v5, v6
	v_cmp_lt_f32_e64 s[6:7], |v4|, s6
	v_cndmask_b32_e64 v4, v4, v5, s[6:7]
	v_mov_b32_e32 v5, 0x41b17218
	v_cndmask_b32_e64 v5, 0, v5, s[4:5]
	v_sub_f32_e32 v4, v4, v5
	s_and_saveexec_b64 s[4:5], vcc
	s_cbranch_execnz .LBB96_26
; %bb.19:
	s_or_b64 exec, exec, s[4:5]
	s_and_saveexec_b64 s[4:5], s[0:1]
	s_cbranch_execnz .LBB96_27
.LBB96_20:
	s_or_b64 exec, exec, s[4:5]
	s_and_saveexec_b64 s[0:1], s[2:3]
	s_cbranch_execnz .LBB96_28
.LBB96_21:
	s_endpgm
.LBB96_22:
	ds_read_b32 v15, v14
	s_or_b64 exec, exec, s[8:9]
	v_cmp_gt_u32_e64 s[8:9], 64, v0
	s_and_saveexec_b64 s[12:13], s[8:9]
	s_cbranch_execz .LBB96_10
.LBB96_23:
	s_waitcnt lgkmcnt(0)
	ds_bpermute_b32 v16, v4, v15
	s_waitcnt lgkmcnt(0)
	v_cmp_lt_f32_e64 s[10:11], v15, v16
	v_cndmask_b32_e64 v15, v15, v16, s[10:11]
	ds_bpermute_b32 v16, v5, v15
	s_waitcnt lgkmcnt(0)
	v_cmp_lt_f32_e64 s[10:11], v15, v16
	v_cndmask_b32_e64 v15, v15, v16, s[10:11]
	;; [unrolled: 4-line block ×6, first 2 shown]
	s_or_b64 exec, exec, s[12:13]
	v_cmp_eq_u32_e64 s[10:11], 0, v0
	s_and_saveexec_b64 s[12:13], s[10:11]
	s_cbranch_execnz .LBB96_11
	s_branch .LBB96_12
.LBB96_24:
	ds_read_b32 v15, v14
	s_or_b64 exec, exec, s[4:5]
	s_and_saveexec_b64 s[4:5], s[8:9]
	s_cbranch_execz .LBB96_16
.LBB96_25:
	s_waitcnt lgkmcnt(0)
	ds_bpermute_b32 v4, v4, v15
	s_waitcnt lgkmcnt(0)
	v_add_f32_e32 v4, v15, v4
	ds_bpermute_b32 v5, v5, v4
	s_waitcnt lgkmcnt(0)
	v_add_f32_e32 v4, v4, v5
	;; [unrolled: 3-line block ×6, first 2 shown]
	s_or_b64 exec, exec, s[4:5]
	s_and_saveexec_b64 s[4:5], s[10:11]
	s_cbranch_execnz .LBB96_17
	s_branch .LBB96_18
.LBB96_26:
	v_sub_f32_e32 v0, v0, v4
	v_cvt_f16_f32_e32 v0, v0
	global_store_short v1, v0, s[8:9]
	s_or_b64 exec, exec, s[4:5]
	s_and_saveexec_b64 s[4:5], s[0:1]
	s_cbranch_execz .LBB96_20
.LBB96_27:
	v_sub_f32_e32 v0, v10, v4
	v_cvt_f16_f32_e32 v0, v0
	global_store_short v3, v0, s[8:9]
	s_or_b64 exec, exec, s[4:5]
	s_and_saveexec_b64 s[0:1], s[2:3]
	s_cbranch_execz .LBB96_21
.LBB96_28:
	v_sub_f32_e32 v0, v11, v4
	v_cvt_f16_f32_e32 v0, v0
	global_store_short v2, v0, s[8:9]
	s_endpgm
	.section	.rodata,"a",@progbits
	.p2align	6, 0x0
	.amdhsa_kernel _ZN2at6native12_GLOBAL__N_122cunn_SoftMaxForwardRegIN3c104HalfEfS4_NS1_25LogSoftMaxForwardEpilogueElLi3EEEvPT1_PKT_T3_
		.amdhsa_group_segment_fixed_size 0
		.amdhsa_private_segment_fixed_size 0
		.amdhsa_kernarg_size 280
		.amdhsa_user_sgpr_count 6
		.amdhsa_user_sgpr_private_segment_buffer 1
		.amdhsa_user_sgpr_dispatch_ptr 0
		.amdhsa_user_sgpr_queue_ptr 0
		.amdhsa_user_sgpr_kernarg_segment_ptr 1
		.amdhsa_user_sgpr_dispatch_id 0
		.amdhsa_user_sgpr_flat_scratch_init 0
		.amdhsa_user_sgpr_kernarg_preload_length 0
		.amdhsa_user_sgpr_kernarg_preload_offset 0
		.amdhsa_user_sgpr_private_segment_size 0
		.amdhsa_uses_dynamic_stack 0
		.amdhsa_system_sgpr_private_segment_wavefront_offset 0
		.amdhsa_system_sgpr_workgroup_id_x 1
		.amdhsa_system_sgpr_workgroup_id_y 0
		.amdhsa_system_sgpr_workgroup_id_z 0
		.amdhsa_system_sgpr_workgroup_info 0
		.amdhsa_system_vgpr_workitem_id 0
		.amdhsa_next_free_vgpr 21
		.amdhsa_next_free_sgpr 21
		.amdhsa_accum_offset 24
		.amdhsa_reserve_vcc 1
		.amdhsa_reserve_flat_scratch 0
		.amdhsa_float_round_mode_32 0
		.amdhsa_float_round_mode_16_64 0
		.amdhsa_float_denorm_mode_32 3
		.amdhsa_float_denorm_mode_16_64 3
		.amdhsa_dx10_clamp 1
		.amdhsa_ieee_mode 1
		.amdhsa_fp16_overflow 0
		.amdhsa_tg_split 0
		.amdhsa_exception_fp_ieee_invalid_op 0
		.amdhsa_exception_fp_denorm_src 0
		.amdhsa_exception_fp_ieee_div_zero 0
		.amdhsa_exception_fp_ieee_overflow 0
		.amdhsa_exception_fp_ieee_underflow 0
		.amdhsa_exception_fp_ieee_inexact 0
		.amdhsa_exception_int_div_zero 0
	.end_amdhsa_kernel
	.section	.text._ZN2at6native12_GLOBAL__N_122cunn_SoftMaxForwardRegIN3c104HalfEfS4_NS1_25LogSoftMaxForwardEpilogueElLi3EEEvPT1_PKT_T3_,"axG",@progbits,_ZN2at6native12_GLOBAL__N_122cunn_SoftMaxForwardRegIN3c104HalfEfS4_NS1_25LogSoftMaxForwardEpilogueElLi3EEEvPT1_PKT_T3_,comdat
.Lfunc_end96:
	.size	_ZN2at6native12_GLOBAL__N_122cunn_SoftMaxForwardRegIN3c104HalfEfS4_NS1_25LogSoftMaxForwardEpilogueElLi3EEEvPT1_PKT_T3_, .Lfunc_end96-_ZN2at6native12_GLOBAL__N_122cunn_SoftMaxForwardRegIN3c104HalfEfS4_NS1_25LogSoftMaxForwardEpilogueElLi3EEEvPT1_PKT_T3_
                                        ; -- End function
	.section	.AMDGPU.csdata,"",@progbits
; Kernel info:
; codeLenInByte = 1888
; NumSgprs: 25
; NumVgprs: 21
; NumAgprs: 0
; TotalNumVgprs: 21
; ScratchSize: 0
; MemoryBound: 0
; FloatMode: 240
; IeeeMode: 1
; LDSByteSize: 0 bytes/workgroup (compile time only)
; SGPRBlocks: 3
; VGPRBlocks: 2
; NumSGPRsForWavesPerEU: 25
; NumVGPRsForWavesPerEU: 21
; AccumOffset: 24
; Occupancy: 8
; WaveLimiterHint : 0
; COMPUTE_PGM_RSRC2:SCRATCH_EN: 0
; COMPUTE_PGM_RSRC2:USER_SGPR: 6
; COMPUTE_PGM_RSRC2:TRAP_HANDLER: 0
; COMPUTE_PGM_RSRC2:TGID_X_EN: 1
; COMPUTE_PGM_RSRC2:TGID_Y_EN: 0
; COMPUTE_PGM_RSRC2:TGID_Z_EN: 0
; COMPUTE_PGM_RSRC2:TIDIG_COMP_CNT: 0
; COMPUTE_PGM_RSRC3_GFX90A:ACCUM_OFFSET: 5
; COMPUTE_PGM_RSRC3_GFX90A:TG_SPLIT: 0
	.section	.text._ZN2at6native12_GLOBAL__N_122cunn_SoftMaxForwardRegIN3c104HalfEfS4_NS1_25LogSoftMaxForwardEpilogueElLi4EEEvPT1_PKT_T3_,"axG",@progbits,_ZN2at6native12_GLOBAL__N_122cunn_SoftMaxForwardRegIN3c104HalfEfS4_NS1_25LogSoftMaxForwardEpilogueElLi4EEEvPT1_PKT_T3_,comdat
	.globl	_ZN2at6native12_GLOBAL__N_122cunn_SoftMaxForwardRegIN3c104HalfEfS4_NS1_25LogSoftMaxForwardEpilogueElLi4EEEvPT1_PKT_T3_ ; -- Begin function _ZN2at6native12_GLOBAL__N_122cunn_SoftMaxForwardRegIN3c104HalfEfS4_NS1_25LogSoftMaxForwardEpilogueElLi4EEEvPT1_PKT_T3_
	.p2align	8
	.type	_ZN2at6native12_GLOBAL__N_122cunn_SoftMaxForwardRegIN3c104HalfEfS4_NS1_25LogSoftMaxForwardEpilogueElLi4EEEvPT1_PKT_T3_,@function
_ZN2at6native12_GLOBAL__N_122cunn_SoftMaxForwardRegIN3c104HalfEfS4_NS1_25LogSoftMaxForwardEpilogueElLi4EEEvPT1_PKT_T3_: ; @_ZN2at6native12_GLOBAL__N_122cunn_SoftMaxForwardRegIN3c104HalfEfS4_NS1_25LogSoftMaxForwardEpilogueElLi4EEEvPT1_PKT_T3_
; %bb.0:
	s_load_dwordx2 s[8:9], s[4:5], 0x10
	s_load_dwordx4 s[16:19], s[4:5], 0x0
	s_load_dword s2, s[4:5], 0x24
	v_mov_b32_e32 v3, 0
	v_mov_b32_e32 v1, v3
	s_waitcnt lgkmcnt(0)
	s_mul_i32 s0, s6, s9
	s_mul_hi_u32 s1, s6, s8
	s_add_i32 s1, s1, s0
	s_mul_i32 s0, s6, s8
	s_lshl_b64 s[20:21], s[0:1], 1
	s_add_u32 s6, s18, s20
	s_addc_u32 s7, s19, s21
	v_cmp_gt_i64_e32 vcc, s[8:9], v[0:1]
	v_mov_b32_e32 v6, 0xff7fffff
	v_lshlrev_b32_e32 v1, 1, v0
                                        ; implicit-def: $vgpr16
	s_and_saveexec_b64 s[0:1], vcc
	s_cbranch_execz .LBB97_2
; %bb.1:
	global_load_ushort v16, v1, s[6:7]
	s_waitcnt vmcnt(0)
	v_cvt_f32_f16_e32 v2, v16
	v_max_f32_e32 v6, 0xff7fffff, v2
.LBB97_2:
	s_or_b64 exec, exec, s[0:1]
	s_and_b32 s12, 0xffff, s2
	v_add_u32_e32 v2, s12, v0
	v_cmp_gt_i64_e64 s[0:1], s[8:9], v[2:3]
	v_lshlrev_b32_e32 v4, 1, v2
                                        ; implicit-def: $vgpr14
	s_and_saveexec_b64 s[2:3], s[0:1]
	s_cbranch_execz .LBB97_4
; %bb.3:
	global_load_ushort v14, v4, s[6:7]
	v_max_f32_e32 v5, v6, v6
	s_waitcnt vmcnt(0)
	v_cvt_f32_f16_e32 v3, v14
	v_max_f32_e32 v6, v5, v3
.LBB97_4:
	s_or_b64 exec, exec, s[2:3]
	v_add_u32_e32 v2, s12, v2
	v_mov_b32_e32 v3, 0
	v_cmp_gt_i64_e64 s[2:3], s[8:9], v[2:3]
	v_lshlrev_b32_e32 v5, 1, v2
                                        ; implicit-def: $vgpr12
	s_and_saveexec_b64 s[4:5], s[2:3]
	s_cbranch_execz .LBB97_6
; %bb.5:
	global_load_ushort v12, v5, s[6:7]
	v_max_f32_e32 v6, v6, v6
	s_waitcnt vmcnt(0)
	v_cvt_f32_f16_e32 v7, v12
	v_max_f32_e32 v6, v6, v7
.LBB97_6:
	s_or_b64 exec, exec, s[4:5]
	v_add_u32_e32 v2, s12, v2
	v_cmp_gt_i64_e64 s[4:5], s[8:9], v[2:3]
	v_lshlrev_b32_e32 v2, 1, v2
                                        ; implicit-def: $vgpr11
	s_and_saveexec_b64 s[8:9], s[4:5]
	s_cbranch_execz .LBB97_8
; %bb.7:
	global_load_ushort v11, v2, s[6:7]
	v_max_f32_e32 v6, v6, v6
	s_waitcnt vmcnt(0)
	v_cvt_f32_f16_e32 v3, v11
	v_max_f32_e32 v6, v6, v3
.LBB97_8:
	s_or_b64 exec, exec, s[8:9]
	v_mbcnt_lo_u32_b32 v3, -1, 0
	v_mbcnt_hi_u32_b32 v10, -1, v3
	v_and_b32_e32 v13, 63, v10
	v_cmp_gt_u32_e64 s[6:7], 32, v13
	v_cndmask_b32_e64 v3, 0, 1, s[6:7]
	v_lshlrev_b32_e32 v3, 5, v3
	v_add_lshl_u32 v3, v3, v10, 2
	ds_bpermute_b32 v7, v3, v6
	v_cmp_gt_u32_e64 s[6:7], 48, v13
	v_cndmask_b32_e64 v8, 0, 1, s[6:7]
	s_waitcnt lgkmcnt(0)
	s_barrier
	v_cmp_lt_f32_e64 s[6:7], v6, v7
	v_cndmask_b32_e64 v7, v6, v7, s[6:7]
	v_lshlrev_b32_e32 v6, 4, v8
	v_add_lshl_u32 v6, v6, v10, 2
	ds_bpermute_b32 v8, v6, v7
	s_waitcnt lgkmcnt(0)
	v_cmp_lt_f32_e64 s[6:7], v7, v8
	v_cndmask_b32_e64 v8, v7, v8, s[6:7]
	v_cmp_gt_u32_e64 s[6:7], 56, v13
	v_cndmask_b32_e64 v7, 0, 1, s[6:7]
	v_lshlrev_b32_e32 v7, 3, v7
	v_add_lshl_u32 v7, v7, v10, 2
	ds_bpermute_b32 v9, v7, v8
	s_waitcnt lgkmcnt(0)
	v_cmp_lt_f32_e64 s[6:7], v8, v9
	v_cndmask_b32_e64 v9, v8, v9, s[6:7]
	v_cmp_gt_u32_e64 s[6:7], 60, v13
	;; [unrolled: 8-line block ×3, first 2 shown]
	v_cndmask_b32_e64 v9, 0, 1, s[6:7]
	v_lshlrev_b32_e32 v9, 1, v9
	v_add_lshl_u32 v9, v9, v10, 2
	ds_bpermute_b32 v18, v9, v17
	v_and_b32_e32 v15, 63, v0
	s_waitcnt lgkmcnt(0)
	v_cmp_lt_f32_e64 s[6:7], v17, v18
	v_cndmask_b32_e64 v17, v17, v18, s[6:7]
	v_cmp_ne_u32_e64 s[6:7], 63, v13
	v_addc_co_u32_e64 v10, s[6:7], 0, v10, s[6:7]
	v_lshlrev_b32_e32 v10, 2, v10
	ds_bpermute_b32 v18, v10, v17
	v_cmp_eq_u32_e64 s[6:7], 0, v15
	v_lshrrev_b32_e32 v13, 4, v0
	s_and_saveexec_b64 s[8:9], s[6:7]
	s_xor_b64 s[10:11], exec, s[8:9]
	s_cbranch_execz .LBB97_10
; %bb.9:
	s_waitcnt lgkmcnt(0)
	v_cmp_lt_f32_e64 s[8:9], v17, v18
	v_add_u32_e32 v19, 0, v13
	v_cndmask_b32_e64 v17, v17, v18, s[8:9]
	ds_write_b32 v19, v17
.LBB97_10:
	s_or_b64 exec, exec, s[10:11]
	s_lshr_b32 s8, s12, 6
	v_cmp_gt_u32_e64 s[8:9], s8, v0
	v_mov_b32_e32 v17, 0xff7fffff
	v_lshl_add_u32 v15, v15, 2, 0
	s_waitcnt lgkmcnt(0)
	s_barrier
	s_and_saveexec_b64 s[10:11], s[8:9]
	s_cbranch_execnz .LBB97_33
; %bb.11:
	s_or_b64 exec, exec, s[10:11]
	v_cmp_gt_u32_e64 s[10:11], 64, v0
	s_and_saveexec_b64 s[14:15], s[10:11]
	s_cbranch_execnz .LBB97_34
.LBB97_12:
	s_or_b64 exec, exec, s[14:15]
	v_cmp_eq_u32_e64 s[12:13], 0, v0
	s_and_saveexec_b64 s[14:15], s[12:13]
	s_cbranch_execz .LBB97_14
.LBB97_13:
	v_mov_b32_e32 v0, 0
	s_waitcnt lgkmcnt(0)
	ds_write_b32 v0, v17
.LBB97_14:
	s_or_b64 exec, exec, s[14:15]
	s_waitcnt lgkmcnt(0)
	v_mov_b32_e32 v17, 0
	s_barrier
	ds_read_b32 v18, v17
	v_cvt_f32_f16_e32 v0, v16
	s_waitcnt lgkmcnt(0)
	v_sub_f32_e32 v0, v0, v18
	s_and_saveexec_b64 s[18:19], vcc
	s_cbranch_execz .LBB97_16
; %bb.15:
	s_mov_b32 s14, 0x3fb8aa3b
	v_mul_f32_e32 v16, 0x3fb8aa3b, v0
	v_fma_f32 v17, v0, s14, -v16
	v_rndne_f32_e32 v19, v16
	v_fmac_f32_e32 v17, 0x32a5705f, v0
	v_sub_f32_e32 v16, v16, v19
	v_add_f32_e32 v16, v16, v17
	v_exp_f32_e32 v16, v16
	v_cvt_i32_f32_e32 v17, v19
	s_mov_b32 s14, 0xc2ce8ed0
	v_cmp_ngt_f32_e64 s[14:15], s14, v0
	v_ldexp_f32 v16, v16, v17
	v_cndmask_b32_e64 v16, 0, v16, s[14:15]
	s_mov_b32 s14, 0x42b17218
	v_mov_b32_e32 v17, 0x7f800000
	v_cmp_nlt_f32_e64 s[14:15], s14, v0
	v_cndmask_b32_e64 v17, v17, v16, s[14:15]
.LBB97_16:
	s_or_b64 exec, exec, s[18:19]
	v_cvt_f32_f16_e32 v14, v14
	v_sub_f32_e32 v14, v14, v18
	s_and_saveexec_b64 s[18:19], s[0:1]
	s_cbranch_execz .LBB97_18
; %bb.17:
	s_mov_b32 s14, 0x3fb8aa3b
	v_mul_f32_e32 v16, 0x3fb8aa3b, v14
	v_fma_f32 v19, v14, s14, -v16
	v_rndne_f32_e32 v20, v16
	v_fmac_f32_e32 v19, 0x32a5705f, v14
	v_sub_f32_e32 v16, v16, v20
	v_add_f32_e32 v16, v16, v19
	v_exp_f32_e32 v16, v16
	v_cvt_i32_f32_e32 v19, v20
	s_mov_b32 s14, 0xc2ce8ed0
	v_cmp_ngt_f32_e64 s[14:15], s14, v14
	v_ldexp_f32 v16, v16, v19
	v_cndmask_b32_e64 v16, 0, v16, s[14:15]
	s_mov_b32 s14, 0x42b17218
	v_mov_b32_e32 v19, 0x7f800000
	v_cmp_nlt_f32_e64 s[14:15], s14, v14
	v_cndmask_b32_e64 v16, v19, v16, s[14:15]
	v_add_f32_e32 v17, v17, v16
.LBB97_18:
	s_or_b64 exec, exec, s[18:19]
	v_cvt_f32_f16_e32 v12, v12
	v_sub_f32_e32 v12, v12, v18
	s_and_saveexec_b64 s[18:19], s[2:3]
	s_cbranch_execz .LBB97_20
; %bb.19:
	s_mov_b32 s14, 0x3fb8aa3b
	v_mul_f32_e32 v16, 0x3fb8aa3b, v12
	v_fma_f32 v19, v12, s14, -v16
	v_rndne_f32_e32 v20, v16
	v_fmac_f32_e32 v19, 0x32a5705f, v12
	v_sub_f32_e32 v16, v16, v20
	v_add_f32_e32 v16, v16, v19
	v_exp_f32_e32 v16, v16
	v_cvt_i32_f32_e32 v19, v20
	s_mov_b32 s14, 0xc2ce8ed0
	v_cmp_ngt_f32_e64 s[14:15], s14, v12
	v_ldexp_f32 v16, v16, v19
	v_cndmask_b32_e64 v16, 0, v16, s[14:15]
	s_mov_b32 s14, 0x42b17218
	v_mov_b32_e32 v19, 0x7f800000
	v_cmp_nlt_f32_e64 s[14:15], s14, v12
	v_cndmask_b32_e64 v16, v19, v16, s[14:15]
	v_add_f32_e32 v17, v17, v16
.LBB97_20:
	;; [unrolled: 25-line block ×3, first 2 shown]
	s_or_b64 exec, exec, s[18:19]
	ds_bpermute_b32 v16, v3, v17
	s_waitcnt lgkmcnt(0)
	s_barrier
	v_add_f32_e32 v16, v17, v16
	ds_bpermute_b32 v17, v6, v16
	s_waitcnt lgkmcnt(0)
	v_add_f32_e32 v16, v16, v17
	ds_bpermute_b32 v17, v7, v16
	s_waitcnt lgkmcnt(0)
	;; [unrolled: 3-line block ×4, first 2 shown]
	v_add_f32_e32 v16, v16, v17
	ds_bpermute_b32 v17, v10, v16
	s_and_saveexec_b64 s[14:15], s[6:7]
	s_xor_b64 s[6:7], exec, s[14:15]
	s_cbranch_execz .LBB97_24
; %bb.23:
	v_add_u32_e32 v13, 0, v13
	s_waitcnt lgkmcnt(0)
	v_add_f32_e32 v16, v16, v17
	ds_write_b32 v13, v16
.LBB97_24:
	s_or_b64 exec, exec, s[6:7]
	v_mov_b32_e32 v13, 0
	s_waitcnt lgkmcnt(0)
	s_barrier
	s_and_saveexec_b64 s[6:7], s[8:9]
	s_cbranch_execnz .LBB97_35
; %bb.25:
	s_or_b64 exec, exec, s[6:7]
	s_and_saveexec_b64 s[6:7], s[10:11]
	s_cbranch_execnz .LBB97_36
.LBB97_26:
	s_or_b64 exec, exec, s[6:7]
	s_and_saveexec_b64 s[6:7], s[12:13]
	s_cbranch_execz .LBB97_28
.LBB97_27:
	v_mov_b32_e32 v3, 0
	s_waitcnt lgkmcnt(0)
	ds_write_b32 v3, v13
.LBB97_28:
	s_or_b64 exec, exec, s[6:7]
	v_mov_b32_e32 v3, 0
	s_waitcnt lgkmcnt(0)
	s_barrier
	ds_read_b32 v3, v3
	s_mov_b32 s6, 0x800000
	v_mov_b32_e32 v6, 0x4f800000
	s_mov_b32 s8, 0x3f317217
	s_add_u32 s10, s16, s20
	s_waitcnt lgkmcnt(0)
	v_cmp_gt_f32_e64 s[6:7], s6, v3
	v_cndmask_b32_e64 v6, 1.0, v6, s[6:7]
	v_mul_f32_e32 v3, v3, v6
	v_log_f32_e32 v3, v3
	s_addc_u32 s11, s17, s21
	v_mul_f32_e32 v6, 0x3f317217, v3
	v_fma_f32 v7, v3, s8, -v6
	v_fmac_f32_e32 v7, 0x3377d1cf, v3
	s_mov_b32 s8, 0x7f800000
	v_add_f32_e32 v6, v6, v7
	v_cmp_lt_f32_e64 s[8:9], |v3|, s8
	v_cndmask_b32_e64 v3, v3, v6, s[8:9]
	v_mov_b32_e32 v6, 0x41b17218
	v_cndmask_b32_e64 v6, 0, v6, s[6:7]
	v_sub_f32_e32 v3, v3, v6
	s_and_saveexec_b64 s[6:7], vcc
	s_cbranch_execnz .LBB97_37
; %bb.29:
	s_or_b64 exec, exec, s[6:7]
	s_and_saveexec_b64 s[6:7], s[0:1]
	s_cbranch_execnz .LBB97_38
.LBB97_30:
	s_or_b64 exec, exec, s[6:7]
	s_and_saveexec_b64 s[0:1], s[2:3]
	s_cbranch_execnz .LBB97_39
.LBB97_31:
	s_or_b64 exec, exec, s[0:1]
	s_and_saveexec_b64 s[0:1], s[4:5]
	s_cbranch_execnz .LBB97_40
.LBB97_32:
	s_endpgm
.LBB97_33:
	ds_read_b32 v17, v15
	s_or_b64 exec, exec, s[10:11]
	v_cmp_gt_u32_e64 s[10:11], 64, v0
	s_and_saveexec_b64 s[14:15], s[10:11]
	s_cbranch_execz .LBB97_12
.LBB97_34:
	s_waitcnt lgkmcnt(0)
	ds_bpermute_b32 v18, v3, v17
	s_waitcnt lgkmcnt(0)
	v_cmp_lt_f32_e64 s[12:13], v17, v18
	v_cndmask_b32_e64 v17, v17, v18, s[12:13]
	ds_bpermute_b32 v18, v6, v17
	s_waitcnt lgkmcnt(0)
	v_cmp_lt_f32_e64 s[12:13], v17, v18
	v_cndmask_b32_e64 v17, v17, v18, s[12:13]
	ds_bpermute_b32 v18, v7, v17
	s_waitcnt lgkmcnt(0)
	v_cmp_lt_f32_e64 s[12:13], v17, v18
	v_cndmask_b32_e64 v17, v17, v18, s[12:13]
	ds_bpermute_b32 v18, v8, v17
	s_waitcnt lgkmcnt(0)
	v_cmp_lt_f32_e64 s[12:13], v17, v18
	v_cndmask_b32_e64 v17, v17, v18, s[12:13]
	ds_bpermute_b32 v18, v9, v17
	s_waitcnt lgkmcnt(0)
	v_cmp_lt_f32_e64 s[12:13], v17, v18
	v_cndmask_b32_e64 v17, v17, v18, s[12:13]
	ds_bpermute_b32 v18, v10, v17
	s_waitcnt lgkmcnt(0)
	v_cmp_lt_f32_e64 s[12:13], v17, v18
	v_cndmask_b32_e64 v17, v17, v18, s[12:13]
	s_or_b64 exec, exec, s[14:15]
	v_cmp_eq_u32_e64 s[12:13], 0, v0
	s_and_saveexec_b64 s[14:15], s[12:13]
	s_cbranch_execnz .LBB97_13
	s_branch .LBB97_14
.LBB97_35:
	ds_read_b32 v13, v15
	s_or_b64 exec, exec, s[6:7]
	s_and_saveexec_b64 s[6:7], s[10:11]
	s_cbranch_execz .LBB97_26
.LBB97_36:
	s_waitcnt lgkmcnt(0)
	ds_bpermute_b32 v3, v3, v13
	s_waitcnt lgkmcnt(0)
	v_add_f32_e32 v3, v13, v3
	ds_bpermute_b32 v6, v6, v3
	s_waitcnt lgkmcnt(0)
	v_add_f32_e32 v3, v3, v6
	;; [unrolled: 3-line block ×6, first 2 shown]
	s_or_b64 exec, exec, s[6:7]
	s_and_saveexec_b64 s[6:7], s[12:13]
	s_cbranch_execnz .LBB97_27
	s_branch .LBB97_28
.LBB97_37:
	v_sub_f32_e32 v0, v0, v3
	v_cvt_f16_f32_e32 v0, v0
	global_store_short v1, v0, s[10:11]
	s_or_b64 exec, exec, s[6:7]
	s_and_saveexec_b64 s[6:7], s[0:1]
	s_cbranch_execz .LBB97_30
.LBB97_38:
	v_sub_f32_e32 v0, v14, v3
	v_cvt_f16_f32_e32 v0, v0
	global_store_short v4, v0, s[10:11]
	s_or_b64 exec, exec, s[6:7]
	s_and_saveexec_b64 s[0:1], s[2:3]
	s_cbranch_execz .LBB97_31
.LBB97_39:
	v_sub_f32_e32 v0, v12, v3
	v_cvt_f16_f32_e32 v0, v0
	global_store_short v5, v0, s[10:11]
	s_or_b64 exec, exec, s[0:1]
	s_and_saveexec_b64 s[0:1], s[4:5]
	s_cbranch_execz .LBB97_32
.LBB97_40:
	v_sub_f32_e32 v0, v11, v3
	v_cvt_f16_f32_e32 v0, v0
	global_store_short v2, v0, s[10:11]
	s_endpgm
	.section	.rodata,"a",@progbits
	.p2align	6, 0x0
	.amdhsa_kernel _ZN2at6native12_GLOBAL__N_122cunn_SoftMaxForwardRegIN3c104HalfEfS4_NS1_25LogSoftMaxForwardEpilogueElLi4EEEvPT1_PKT_T3_
		.amdhsa_group_segment_fixed_size 0
		.amdhsa_private_segment_fixed_size 0
		.amdhsa_kernarg_size 280
		.amdhsa_user_sgpr_count 6
		.amdhsa_user_sgpr_private_segment_buffer 1
		.amdhsa_user_sgpr_dispatch_ptr 0
		.amdhsa_user_sgpr_queue_ptr 0
		.amdhsa_user_sgpr_kernarg_segment_ptr 1
		.amdhsa_user_sgpr_dispatch_id 0
		.amdhsa_user_sgpr_flat_scratch_init 0
		.amdhsa_user_sgpr_kernarg_preload_length 0
		.amdhsa_user_sgpr_kernarg_preload_offset 0
		.amdhsa_user_sgpr_private_segment_size 0
		.amdhsa_uses_dynamic_stack 0
		.amdhsa_system_sgpr_private_segment_wavefront_offset 0
		.amdhsa_system_sgpr_workgroup_id_x 1
		.amdhsa_system_sgpr_workgroup_id_y 0
		.amdhsa_system_sgpr_workgroup_id_z 0
		.amdhsa_system_sgpr_workgroup_info 0
		.amdhsa_system_vgpr_workitem_id 0
		.amdhsa_next_free_vgpr 21
		.amdhsa_next_free_sgpr 22
		.amdhsa_accum_offset 24
		.amdhsa_reserve_vcc 1
		.amdhsa_reserve_flat_scratch 0
		.amdhsa_float_round_mode_32 0
		.amdhsa_float_round_mode_16_64 0
		.amdhsa_float_denorm_mode_32 3
		.amdhsa_float_denorm_mode_16_64 3
		.amdhsa_dx10_clamp 1
		.amdhsa_ieee_mode 1
		.amdhsa_fp16_overflow 0
		.amdhsa_tg_split 0
		.amdhsa_exception_fp_ieee_invalid_op 0
		.amdhsa_exception_fp_denorm_src 0
		.amdhsa_exception_fp_ieee_div_zero 0
		.amdhsa_exception_fp_ieee_overflow 0
		.amdhsa_exception_fp_ieee_underflow 0
		.amdhsa_exception_fp_ieee_inexact 0
		.amdhsa_exception_int_div_zero 0
	.end_amdhsa_kernel
	.section	.text._ZN2at6native12_GLOBAL__N_122cunn_SoftMaxForwardRegIN3c104HalfEfS4_NS1_25LogSoftMaxForwardEpilogueElLi4EEEvPT1_PKT_T3_,"axG",@progbits,_ZN2at6native12_GLOBAL__N_122cunn_SoftMaxForwardRegIN3c104HalfEfS4_NS1_25LogSoftMaxForwardEpilogueElLi4EEEvPT1_PKT_T3_,comdat
.Lfunc_end97:
	.size	_ZN2at6native12_GLOBAL__N_122cunn_SoftMaxForwardRegIN3c104HalfEfS4_NS1_25LogSoftMaxForwardEpilogueElLi4EEEvPT1_PKT_T3_, .Lfunc_end97-_ZN2at6native12_GLOBAL__N_122cunn_SoftMaxForwardRegIN3c104HalfEfS4_NS1_25LogSoftMaxForwardEpilogueElLi4EEEvPT1_PKT_T3_
                                        ; -- End function
	.section	.AMDGPU.csdata,"",@progbits
; Kernel info:
; codeLenInByte = 2220
; NumSgprs: 26
; NumVgprs: 21
; NumAgprs: 0
; TotalNumVgprs: 21
; ScratchSize: 0
; MemoryBound: 0
; FloatMode: 240
; IeeeMode: 1
; LDSByteSize: 0 bytes/workgroup (compile time only)
; SGPRBlocks: 3
; VGPRBlocks: 2
; NumSGPRsForWavesPerEU: 26
; NumVGPRsForWavesPerEU: 21
; AccumOffset: 24
; Occupancy: 8
; WaveLimiterHint : 0
; COMPUTE_PGM_RSRC2:SCRATCH_EN: 0
; COMPUTE_PGM_RSRC2:USER_SGPR: 6
; COMPUTE_PGM_RSRC2:TRAP_HANDLER: 0
; COMPUTE_PGM_RSRC2:TGID_X_EN: 1
; COMPUTE_PGM_RSRC2:TGID_Y_EN: 0
; COMPUTE_PGM_RSRC2:TGID_Z_EN: 0
; COMPUTE_PGM_RSRC2:TIDIG_COMP_CNT: 0
; COMPUTE_PGM_RSRC3_GFX90A:ACCUM_OFFSET: 5
; COMPUTE_PGM_RSRC3_GFX90A:TG_SPLIT: 0
	.section	.text._ZN2at6native12_GLOBAL__N_122cunn_SoftMaxForwardRegIN3c104HalfEfS4_NS1_25LogSoftMaxForwardEpilogueElLi5EEEvPT1_PKT_T3_,"axG",@progbits,_ZN2at6native12_GLOBAL__N_122cunn_SoftMaxForwardRegIN3c104HalfEfS4_NS1_25LogSoftMaxForwardEpilogueElLi5EEEvPT1_PKT_T3_,comdat
	.globl	_ZN2at6native12_GLOBAL__N_122cunn_SoftMaxForwardRegIN3c104HalfEfS4_NS1_25LogSoftMaxForwardEpilogueElLi5EEEvPT1_PKT_T3_ ; -- Begin function _ZN2at6native12_GLOBAL__N_122cunn_SoftMaxForwardRegIN3c104HalfEfS4_NS1_25LogSoftMaxForwardEpilogueElLi5EEEvPT1_PKT_T3_
	.p2align	8
	.type	_ZN2at6native12_GLOBAL__N_122cunn_SoftMaxForwardRegIN3c104HalfEfS4_NS1_25LogSoftMaxForwardEpilogueElLi5EEEvPT1_PKT_T3_,@function
_ZN2at6native12_GLOBAL__N_122cunn_SoftMaxForwardRegIN3c104HalfEfS4_NS1_25LogSoftMaxForwardEpilogueElLi5EEEvPT1_PKT_T3_: ; @_ZN2at6native12_GLOBAL__N_122cunn_SoftMaxForwardRegIN3c104HalfEfS4_NS1_25LogSoftMaxForwardEpilogueElLi5EEEvPT1_PKT_T3_
; %bb.0:
	s_load_dwordx2 s[8:9], s[4:5], 0x10
	s_load_dwordx4 s[20:23], s[4:5], 0x0
	s_load_dword s2, s[4:5], 0x24
	v_mov_b32_e32 v3, 0
	v_mov_b32_e32 v1, v3
	s_waitcnt lgkmcnt(0)
	s_mul_i32 s0, s6, s9
	s_mul_hi_u32 s1, s6, s8
	s_add_i32 s1, s1, s0
	s_mul_i32 s0, s6, s8
	s_lshl_b64 s[18:19], s[0:1], 1
	s_add_u32 s10, s22, s18
	s_addc_u32 s11, s23, s19
	v_cmp_gt_i64_e32 vcc, s[8:9], v[0:1]
	v_mov_b32_e32 v7, 0xff7fffff
	v_lshlrev_b32_e32 v1, 1, v0
                                        ; implicit-def: $vgpr18
	s_and_saveexec_b64 s[0:1], vcc
	s_cbranch_execz .LBB98_2
; %bb.1:
	global_load_ushort v18, v1, s[10:11]
	s_waitcnt vmcnt(0)
	v_cvt_f32_f16_e32 v2, v18
	v_max_f32_e32 v7, 0xff7fffff, v2
.LBB98_2:
	s_or_b64 exec, exec, s[0:1]
	s_and_b32 s14, 0xffff, s2
	v_add_u32_e32 v2, s14, v0
	v_cmp_gt_i64_e64 s[0:1], s[8:9], v[2:3]
	v_lshlrev_b32_e32 v4, 1, v2
                                        ; implicit-def: $vgpr17
	s_and_saveexec_b64 s[2:3], s[0:1]
	s_cbranch_execz .LBB98_4
; %bb.3:
	global_load_ushort v17, v4, s[10:11]
	v_max_f32_e32 v5, v7, v7
	s_waitcnt vmcnt(0)
	v_cvt_f32_f16_e32 v3, v17
	v_max_f32_e32 v7, v5, v3
.LBB98_4:
	s_or_b64 exec, exec, s[2:3]
	v_add_u32_e32 v2, s14, v2
	v_mov_b32_e32 v3, 0
	v_cmp_gt_i64_e64 s[2:3], s[8:9], v[2:3]
	v_lshlrev_b32_e32 v5, 1, v2
                                        ; implicit-def: $vgpr15
	s_and_saveexec_b64 s[4:5], s[2:3]
	s_cbranch_execz .LBB98_6
; %bb.5:
	global_load_ushort v15, v5, s[10:11]
	v_max_f32_e32 v7, v7, v7
	s_waitcnt vmcnt(0)
	v_cvt_f32_f16_e32 v6, v15
	v_max_f32_e32 v7, v7, v6
.LBB98_6:
	s_or_b64 exec, exec, s[4:5]
	v_add_u32_e32 v2, s14, v2
	v_cmp_gt_i64_e64 s[4:5], s[8:9], v[2:3]
	v_lshlrev_b32_e32 v3, 1, v2
                                        ; implicit-def: $vgpr13
	s_and_saveexec_b64 s[6:7], s[4:5]
	s_cbranch_execz .LBB98_8
; %bb.7:
	global_load_ushort v13, v3, s[10:11]
	v_max_f32_e32 v7, v7, v7
	s_waitcnt vmcnt(0)
	v_cvt_f32_f16_e32 v6, v13
	v_max_f32_e32 v7, v7, v6
.LBB98_8:
	s_or_b64 exec, exec, s[6:7]
	v_add_u32_e32 v8, s14, v2
	v_mov_b32_e32 v9, 0
	v_cmp_gt_i64_e64 s[6:7], s[8:9], v[8:9]
	v_lshlrev_b32_e32 v2, 1, v8
                                        ; implicit-def: $vgpr12
	s_and_saveexec_b64 s[8:9], s[6:7]
	s_cbranch_execz .LBB98_10
; %bb.9:
	global_load_ushort v12, v2, s[10:11]
	v_max_f32_e32 v7, v7, v7
	s_waitcnt vmcnt(0)
	v_cvt_f32_f16_e32 v6, v12
	v_max_f32_e32 v7, v7, v6
.LBB98_10:
	s_or_b64 exec, exec, s[8:9]
	v_mbcnt_lo_u32_b32 v6, -1, 0
	v_mbcnt_hi_u32_b32 v11, -1, v6
	v_and_b32_e32 v14, 63, v11
	v_cmp_gt_u32_e64 s[8:9], 32, v14
	v_cndmask_b32_e64 v6, 0, 1, s[8:9]
	v_lshlrev_b32_e32 v6, 5, v6
	v_add_lshl_u32 v6, v6, v11, 2
	ds_bpermute_b32 v8, v6, v7
	v_cmp_gt_u32_e64 s[8:9], 48, v14
	v_cndmask_b32_e64 v9, 0, 1, s[8:9]
	s_waitcnt lgkmcnt(0)
	s_barrier
	v_cmp_lt_f32_e64 s[8:9], v7, v8
	v_cndmask_b32_e64 v8, v7, v8, s[8:9]
	v_lshlrev_b32_e32 v7, 4, v9
	v_add_lshl_u32 v7, v7, v11, 2
	ds_bpermute_b32 v9, v7, v8
	s_waitcnt lgkmcnt(0)
	v_cmp_lt_f32_e64 s[8:9], v8, v9
	v_cndmask_b32_e64 v9, v8, v9, s[8:9]
	v_cmp_gt_u32_e64 s[8:9], 56, v14
	v_cndmask_b32_e64 v8, 0, 1, s[8:9]
	v_lshlrev_b32_e32 v8, 3, v8
	v_add_lshl_u32 v8, v8, v11, 2
	ds_bpermute_b32 v10, v8, v9
	s_waitcnt lgkmcnt(0)
	v_cmp_lt_f32_e64 s[8:9], v9, v10
	v_cndmask_b32_e64 v10, v9, v10, s[8:9]
	v_cmp_gt_u32_e64 s[8:9], 60, v14
	;; [unrolled: 8-line block ×3, first 2 shown]
	v_cndmask_b32_e64 v10, 0, 1, s[8:9]
	v_lshlrev_b32_e32 v10, 1, v10
	v_add_lshl_u32 v10, v10, v11, 2
	ds_bpermute_b32 v20, v10, v19
	v_and_b32_e32 v16, 63, v0
	s_waitcnt lgkmcnt(0)
	v_cmp_lt_f32_e64 s[8:9], v19, v20
	v_cndmask_b32_e64 v19, v19, v20, s[8:9]
	v_cmp_ne_u32_e64 s[8:9], 63, v14
	v_addc_co_u32_e64 v11, s[8:9], 0, v11, s[8:9]
	v_lshlrev_b32_e32 v11, 2, v11
	ds_bpermute_b32 v20, v11, v19
	v_cmp_eq_u32_e64 s[8:9], 0, v16
	v_lshrrev_b32_e32 v14, 4, v0
	s_and_saveexec_b64 s[10:11], s[8:9]
	s_xor_b64 s[12:13], exec, s[10:11]
	s_cbranch_execz .LBB98_12
; %bb.11:
	s_waitcnt lgkmcnt(0)
	v_cmp_lt_f32_e64 s[10:11], v19, v20
	v_add_u32_e32 v21, 0, v14
	v_cndmask_b32_e64 v19, v19, v20, s[10:11]
	ds_write_b32 v21, v19
.LBB98_12:
	s_or_b64 exec, exec, s[12:13]
	s_lshr_b32 s10, s14, 6
	v_cmp_gt_u32_e64 s[10:11], s10, v0
	v_mov_b32_e32 v19, 0xff7fffff
	v_lshl_add_u32 v16, v16, 2, 0
	s_waitcnt lgkmcnt(0)
	s_barrier
	s_and_saveexec_b64 s[12:13], s[10:11]
	s_cbranch_execnz .LBB98_38
; %bb.13:
	s_or_b64 exec, exec, s[12:13]
	v_cmp_gt_u32_e64 s[12:13], 64, v0
	s_and_saveexec_b64 s[16:17], s[12:13]
	s_cbranch_execnz .LBB98_39
.LBB98_14:
	s_or_b64 exec, exec, s[16:17]
	v_cmp_eq_u32_e64 s[14:15], 0, v0
	s_and_saveexec_b64 s[16:17], s[14:15]
	s_cbranch_execz .LBB98_16
.LBB98_15:
	v_mov_b32_e32 v0, 0
	s_waitcnt lgkmcnt(0)
	ds_write_b32 v0, v19
.LBB98_16:
	s_or_b64 exec, exec, s[16:17]
	s_waitcnt lgkmcnt(0)
	v_mov_b32_e32 v19, 0
	s_barrier
	ds_read_b32 v20, v19
	v_cvt_f32_f16_e32 v0, v18
	s_waitcnt lgkmcnt(0)
	v_sub_f32_e32 v0, v0, v20
	s_and_saveexec_b64 s[22:23], vcc
	s_cbranch_execz .LBB98_18
; %bb.17:
	s_mov_b32 s16, 0x3fb8aa3b
	v_mul_f32_e32 v18, 0x3fb8aa3b, v0
	v_fma_f32 v19, v0, s16, -v18
	v_rndne_f32_e32 v21, v18
	v_fmac_f32_e32 v19, 0x32a5705f, v0
	v_sub_f32_e32 v18, v18, v21
	v_add_f32_e32 v18, v18, v19
	v_exp_f32_e32 v18, v18
	v_cvt_i32_f32_e32 v19, v21
	s_mov_b32 s16, 0xc2ce8ed0
	v_cmp_ngt_f32_e64 s[16:17], s16, v0
	v_ldexp_f32 v18, v18, v19
	v_cndmask_b32_e64 v18, 0, v18, s[16:17]
	s_mov_b32 s16, 0x42b17218
	v_mov_b32_e32 v19, 0x7f800000
	v_cmp_nlt_f32_e64 s[16:17], s16, v0
	v_cndmask_b32_e64 v19, v19, v18, s[16:17]
.LBB98_18:
	s_or_b64 exec, exec, s[22:23]
	v_cvt_f32_f16_e32 v17, v17
	v_sub_f32_e32 v17, v17, v20
	s_and_saveexec_b64 s[22:23], s[0:1]
	s_cbranch_execz .LBB98_20
; %bb.19:
	s_mov_b32 s16, 0x3fb8aa3b
	v_mul_f32_e32 v18, 0x3fb8aa3b, v17
	v_fma_f32 v21, v17, s16, -v18
	v_rndne_f32_e32 v22, v18
	v_fmac_f32_e32 v21, 0x32a5705f, v17
	v_sub_f32_e32 v18, v18, v22
	v_add_f32_e32 v18, v18, v21
	v_exp_f32_e32 v18, v18
	v_cvt_i32_f32_e32 v21, v22
	s_mov_b32 s16, 0xc2ce8ed0
	v_cmp_ngt_f32_e64 s[16:17], s16, v17
	v_ldexp_f32 v18, v18, v21
	v_cndmask_b32_e64 v18, 0, v18, s[16:17]
	s_mov_b32 s16, 0x42b17218
	v_mov_b32_e32 v21, 0x7f800000
	v_cmp_nlt_f32_e64 s[16:17], s16, v17
	v_cndmask_b32_e64 v18, v21, v18, s[16:17]
	v_add_f32_e32 v19, v19, v18
.LBB98_20:
	s_or_b64 exec, exec, s[22:23]
	v_cvt_f32_f16_e32 v15, v15
	v_sub_f32_e32 v15, v15, v20
	s_and_saveexec_b64 s[22:23], s[2:3]
	s_cbranch_execz .LBB98_22
; %bb.21:
	s_mov_b32 s16, 0x3fb8aa3b
	v_mul_f32_e32 v18, 0x3fb8aa3b, v15
	v_fma_f32 v21, v15, s16, -v18
	v_rndne_f32_e32 v22, v18
	v_fmac_f32_e32 v21, 0x32a5705f, v15
	v_sub_f32_e32 v18, v18, v22
	v_add_f32_e32 v18, v18, v21
	v_exp_f32_e32 v18, v18
	v_cvt_i32_f32_e32 v21, v22
	s_mov_b32 s16, 0xc2ce8ed0
	v_cmp_ngt_f32_e64 s[16:17], s16, v15
	v_ldexp_f32 v18, v18, v21
	v_cndmask_b32_e64 v18, 0, v18, s[16:17]
	s_mov_b32 s16, 0x42b17218
	v_mov_b32_e32 v21, 0x7f800000
	v_cmp_nlt_f32_e64 s[16:17], s16, v15
	v_cndmask_b32_e64 v18, v21, v18, s[16:17]
	v_add_f32_e32 v19, v19, v18
.LBB98_22:
	;; [unrolled: 25-line block ×4, first 2 shown]
	s_or_b64 exec, exec, s[22:23]
	ds_bpermute_b32 v18, v6, v19
	s_waitcnt lgkmcnt(0)
	s_barrier
	v_add_f32_e32 v18, v19, v18
	ds_bpermute_b32 v19, v7, v18
	s_waitcnt lgkmcnt(0)
	v_add_f32_e32 v18, v18, v19
	ds_bpermute_b32 v19, v8, v18
	s_waitcnt lgkmcnt(0)
	;; [unrolled: 3-line block ×4, first 2 shown]
	v_add_f32_e32 v18, v18, v19
	ds_bpermute_b32 v19, v11, v18
	s_and_saveexec_b64 s[16:17], s[8:9]
	s_xor_b64 s[8:9], exec, s[16:17]
	s_cbranch_execz .LBB98_28
; %bb.27:
	v_add_u32_e32 v14, 0, v14
	s_waitcnt lgkmcnt(0)
	v_add_f32_e32 v18, v18, v19
	ds_write_b32 v14, v18
.LBB98_28:
	s_or_b64 exec, exec, s[8:9]
	v_mov_b32_e32 v14, 0
	s_waitcnt lgkmcnt(0)
	s_barrier
	s_and_saveexec_b64 s[8:9], s[10:11]
	s_cbranch_execnz .LBB98_40
; %bb.29:
	s_or_b64 exec, exec, s[8:9]
	s_and_saveexec_b64 s[8:9], s[12:13]
	s_cbranch_execnz .LBB98_41
.LBB98_30:
	s_or_b64 exec, exec, s[8:9]
	s_and_saveexec_b64 s[8:9], s[14:15]
	s_cbranch_execz .LBB98_32
.LBB98_31:
	v_mov_b32_e32 v6, 0
	s_waitcnt lgkmcnt(0)
	ds_write_b32 v6, v14
.LBB98_32:
	s_or_b64 exec, exec, s[8:9]
	v_mov_b32_e32 v6, 0
	s_waitcnt lgkmcnt(0)
	s_barrier
	ds_read_b32 v6, v6
	s_mov_b32 s8, 0x800000
	v_mov_b32_e32 v7, 0x4f800000
	s_mov_b32 s10, 0x3f317217
	s_add_u32 s12, s20, s18
	s_waitcnt lgkmcnt(0)
	v_cmp_gt_f32_e64 s[8:9], s8, v6
	v_cndmask_b32_e64 v7, 1.0, v7, s[8:9]
	v_mul_f32_e32 v6, v6, v7
	v_log_f32_e32 v6, v6
	s_addc_u32 s13, s21, s19
	v_mul_f32_e32 v7, 0x3f317217, v6
	v_fma_f32 v8, v6, s10, -v7
	v_fmac_f32_e32 v8, 0x3377d1cf, v6
	s_mov_b32 s10, 0x7f800000
	v_add_f32_e32 v7, v7, v8
	v_cmp_lt_f32_e64 s[10:11], |v6|, s10
	v_cndmask_b32_e64 v6, v6, v7, s[10:11]
	v_mov_b32_e32 v7, 0x41b17218
	v_cndmask_b32_e64 v7, 0, v7, s[8:9]
	v_sub_f32_e32 v6, v6, v7
	s_and_saveexec_b64 s[8:9], vcc
	s_cbranch_execnz .LBB98_42
; %bb.33:
	s_or_b64 exec, exec, s[8:9]
	s_and_saveexec_b64 s[8:9], s[0:1]
	s_cbranch_execnz .LBB98_43
.LBB98_34:
	s_or_b64 exec, exec, s[8:9]
	s_and_saveexec_b64 s[0:1], s[2:3]
	s_cbranch_execnz .LBB98_44
.LBB98_35:
	s_or_b64 exec, exec, s[0:1]
	s_and_saveexec_b64 s[0:1], s[4:5]
	s_cbranch_execnz .LBB98_45
.LBB98_36:
	s_or_b64 exec, exec, s[0:1]
	s_and_saveexec_b64 s[0:1], s[6:7]
	s_cbranch_execnz .LBB98_46
.LBB98_37:
	s_endpgm
.LBB98_38:
	ds_read_b32 v19, v16
	s_or_b64 exec, exec, s[12:13]
	v_cmp_gt_u32_e64 s[12:13], 64, v0
	s_and_saveexec_b64 s[16:17], s[12:13]
	s_cbranch_execz .LBB98_14
.LBB98_39:
	s_waitcnt lgkmcnt(0)
	ds_bpermute_b32 v20, v6, v19
	s_waitcnt lgkmcnt(0)
	v_cmp_lt_f32_e64 s[14:15], v19, v20
	v_cndmask_b32_e64 v19, v19, v20, s[14:15]
	ds_bpermute_b32 v20, v7, v19
	s_waitcnt lgkmcnt(0)
	v_cmp_lt_f32_e64 s[14:15], v19, v20
	v_cndmask_b32_e64 v19, v19, v20, s[14:15]
	;; [unrolled: 4-line block ×6, first 2 shown]
	s_or_b64 exec, exec, s[16:17]
	v_cmp_eq_u32_e64 s[14:15], 0, v0
	s_and_saveexec_b64 s[16:17], s[14:15]
	s_cbranch_execnz .LBB98_15
	s_branch .LBB98_16
.LBB98_40:
	ds_read_b32 v14, v16
	s_or_b64 exec, exec, s[8:9]
	s_and_saveexec_b64 s[8:9], s[12:13]
	s_cbranch_execz .LBB98_30
.LBB98_41:
	s_waitcnt lgkmcnt(0)
	ds_bpermute_b32 v6, v6, v14
	s_waitcnt lgkmcnt(0)
	v_add_f32_e32 v6, v14, v6
	ds_bpermute_b32 v7, v7, v6
	s_waitcnt lgkmcnt(0)
	v_add_f32_e32 v6, v6, v7
	;; [unrolled: 3-line block ×6, first 2 shown]
	s_or_b64 exec, exec, s[8:9]
	s_and_saveexec_b64 s[8:9], s[14:15]
	s_cbranch_execnz .LBB98_31
	s_branch .LBB98_32
.LBB98_42:
	v_sub_f32_e32 v0, v0, v6
	v_cvt_f16_f32_e32 v0, v0
	global_store_short v1, v0, s[12:13]
	s_or_b64 exec, exec, s[8:9]
	s_and_saveexec_b64 s[8:9], s[0:1]
	s_cbranch_execz .LBB98_34
.LBB98_43:
	v_sub_f32_e32 v0, v17, v6
	v_cvt_f16_f32_e32 v0, v0
	global_store_short v4, v0, s[12:13]
	s_or_b64 exec, exec, s[8:9]
	s_and_saveexec_b64 s[0:1], s[2:3]
	s_cbranch_execz .LBB98_35
.LBB98_44:
	v_sub_f32_e32 v0, v15, v6
	v_cvt_f16_f32_e32 v0, v0
	global_store_short v5, v0, s[12:13]
	s_or_b64 exec, exec, s[0:1]
	s_and_saveexec_b64 s[0:1], s[4:5]
	s_cbranch_execz .LBB98_36
.LBB98_45:
	v_sub_f32_e32 v0, v13, v6
	v_cvt_f16_f32_e32 v0, v0
	global_store_short v3, v0, s[12:13]
	s_or_b64 exec, exec, s[0:1]
	s_and_saveexec_b64 s[0:1], s[6:7]
	s_cbranch_execz .LBB98_37
.LBB98_46:
	v_sub_f32_e32 v0, v12, v6
	v_cvt_f16_f32_e32 v0, v0
	global_store_short v2, v0, s[12:13]
	s_endpgm
	.section	.rodata,"a",@progbits
	.p2align	6, 0x0
	.amdhsa_kernel _ZN2at6native12_GLOBAL__N_122cunn_SoftMaxForwardRegIN3c104HalfEfS4_NS1_25LogSoftMaxForwardEpilogueElLi5EEEvPT1_PKT_T3_
		.amdhsa_group_segment_fixed_size 0
		.amdhsa_private_segment_fixed_size 0
		.amdhsa_kernarg_size 280
		.amdhsa_user_sgpr_count 6
		.amdhsa_user_sgpr_private_segment_buffer 1
		.amdhsa_user_sgpr_dispatch_ptr 0
		.amdhsa_user_sgpr_queue_ptr 0
		.amdhsa_user_sgpr_kernarg_segment_ptr 1
		.amdhsa_user_sgpr_dispatch_id 0
		.amdhsa_user_sgpr_flat_scratch_init 0
		.amdhsa_user_sgpr_kernarg_preload_length 0
		.amdhsa_user_sgpr_kernarg_preload_offset 0
		.amdhsa_user_sgpr_private_segment_size 0
		.amdhsa_uses_dynamic_stack 0
		.amdhsa_system_sgpr_private_segment_wavefront_offset 0
		.amdhsa_system_sgpr_workgroup_id_x 1
		.amdhsa_system_sgpr_workgroup_id_y 0
		.amdhsa_system_sgpr_workgroup_id_z 0
		.amdhsa_system_sgpr_workgroup_info 0
		.amdhsa_system_vgpr_workitem_id 0
		.amdhsa_next_free_vgpr 23
		.amdhsa_next_free_sgpr 24
		.amdhsa_accum_offset 24
		.amdhsa_reserve_vcc 1
		.amdhsa_reserve_flat_scratch 0
		.amdhsa_float_round_mode_32 0
		.amdhsa_float_round_mode_16_64 0
		.amdhsa_float_denorm_mode_32 3
		.amdhsa_float_denorm_mode_16_64 3
		.amdhsa_dx10_clamp 1
		.amdhsa_ieee_mode 1
		.amdhsa_fp16_overflow 0
		.amdhsa_tg_split 0
		.amdhsa_exception_fp_ieee_invalid_op 0
		.amdhsa_exception_fp_denorm_src 0
		.amdhsa_exception_fp_ieee_div_zero 0
		.amdhsa_exception_fp_ieee_overflow 0
		.amdhsa_exception_fp_ieee_underflow 0
		.amdhsa_exception_fp_ieee_inexact 0
		.amdhsa_exception_int_div_zero 0
	.end_amdhsa_kernel
	.section	.text._ZN2at6native12_GLOBAL__N_122cunn_SoftMaxForwardRegIN3c104HalfEfS4_NS1_25LogSoftMaxForwardEpilogueElLi5EEEvPT1_PKT_T3_,"axG",@progbits,_ZN2at6native12_GLOBAL__N_122cunn_SoftMaxForwardRegIN3c104HalfEfS4_NS1_25LogSoftMaxForwardEpilogueElLi5EEEvPT1_PKT_T3_,comdat
.Lfunc_end98:
	.size	_ZN2at6native12_GLOBAL__N_122cunn_SoftMaxForwardRegIN3c104HalfEfS4_NS1_25LogSoftMaxForwardEpilogueElLi5EEEvPT1_PKT_T3_, .Lfunc_end98-_ZN2at6native12_GLOBAL__N_122cunn_SoftMaxForwardRegIN3c104HalfEfS4_NS1_25LogSoftMaxForwardEpilogueElLi5EEEvPT1_PKT_T3_
                                        ; -- End function
	.section	.AMDGPU.csdata,"",@progbits
; Kernel info:
; codeLenInByte = 2456
; NumSgprs: 28
; NumVgprs: 23
; NumAgprs: 0
; TotalNumVgprs: 23
; ScratchSize: 0
; MemoryBound: 0
; FloatMode: 240
; IeeeMode: 1
; LDSByteSize: 0 bytes/workgroup (compile time only)
; SGPRBlocks: 3
; VGPRBlocks: 2
; NumSGPRsForWavesPerEU: 28
; NumVGPRsForWavesPerEU: 23
; AccumOffset: 24
; Occupancy: 8
; WaveLimiterHint : 0
; COMPUTE_PGM_RSRC2:SCRATCH_EN: 0
; COMPUTE_PGM_RSRC2:USER_SGPR: 6
; COMPUTE_PGM_RSRC2:TRAP_HANDLER: 0
; COMPUTE_PGM_RSRC2:TGID_X_EN: 1
; COMPUTE_PGM_RSRC2:TGID_Y_EN: 0
; COMPUTE_PGM_RSRC2:TGID_Z_EN: 0
; COMPUTE_PGM_RSRC2:TIDIG_COMP_CNT: 0
; COMPUTE_PGM_RSRC3_GFX90A:ACCUM_OFFSET: 5
; COMPUTE_PGM_RSRC3_GFX90A:TG_SPLIT: 0
	.section	.text._ZN2at6native12_GLOBAL__N_122cunn_SoftMaxForwardRegIN3c104HalfEfS4_NS1_25LogSoftMaxForwardEpilogueElLi6EEEvPT1_PKT_T3_,"axG",@progbits,_ZN2at6native12_GLOBAL__N_122cunn_SoftMaxForwardRegIN3c104HalfEfS4_NS1_25LogSoftMaxForwardEpilogueElLi6EEEvPT1_PKT_T3_,comdat
	.globl	_ZN2at6native12_GLOBAL__N_122cunn_SoftMaxForwardRegIN3c104HalfEfS4_NS1_25LogSoftMaxForwardEpilogueElLi6EEEvPT1_PKT_T3_ ; -- Begin function _ZN2at6native12_GLOBAL__N_122cunn_SoftMaxForwardRegIN3c104HalfEfS4_NS1_25LogSoftMaxForwardEpilogueElLi6EEEvPT1_PKT_T3_
	.p2align	8
	.type	_ZN2at6native12_GLOBAL__N_122cunn_SoftMaxForwardRegIN3c104HalfEfS4_NS1_25LogSoftMaxForwardEpilogueElLi6EEEvPT1_PKT_T3_,@function
_ZN2at6native12_GLOBAL__N_122cunn_SoftMaxForwardRegIN3c104HalfEfS4_NS1_25LogSoftMaxForwardEpilogueElLi6EEEvPT1_PKT_T3_: ; @_ZN2at6native12_GLOBAL__N_122cunn_SoftMaxForwardRegIN3c104HalfEfS4_NS1_25LogSoftMaxForwardEpilogueElLi6EEEvPT1_PKT_T3_
; %bb.0:
	s_load_dwordx2 s[8:9], s[4:5], 0x10
	s_load_dwordx4 s[20:23], s[4:5], 0x0
	s_load_dword s2, s[4:5], 0x24
	v_mov_b32_e32 v3, 0
	v_mov_b32_e32 v1, v3
	s_waitcnt lgkmcnt(0)
	s_mul_i32 s0, s6, s9
	s_mul_hi_u32 s1, s6, s8
	s_add_i32 s1, s1, s0
	s_mul_i32 s0, s6, s8
	s_lshl_b64 s[24:25], s[0:1], 1
	s_add_u32 s10, s22, s24
	s_addc_u32 s11, s23, s25
	v_cmp_gt_i64_e32 vcc, s[8:9], v[0:1]
	v_mov_b32_e32 v8, 0xff7fffff
	v_lshlrev_b32_e32 v1, 1, v0
                                        ; implicit-def: $vgpr20
	s_and_saveexec_b64 s[0:1], vcc
	s_cbranch_execz .LBB99_2
; %bb.1:
	global_load_ushort v20, v1, s[10:11]
	s_waitcnt vmcnt(0)
	v_cvt_f32_f16_e32 v2, v20
	v_max_f32_e32 v8, 0xff7fffff, v2
.LBB99_2:
	s_or_b64 exec, exec, s[0:1]
	s_and_b32 s16, 0xffff, s2
	v_add_u32_e32 v2, s16, v0
	v_cmp_gt_i64_e64 s[0:1], s[8:9], v[2:3]
	v_lshlrev_b32_e32 v4, 1, v2
                                        ; implicit-def: $vgpr18
	s_and_saveexec_b64 s[2:3], s[0:1]
	s_cbranch_execz .LBB99_4
; %bb.3:
	global_load_ushort v18, v4, s[10:11]
	v_max_f32_e32 v5, v8, v8
	s_waitcnt vmcnt(0)
	v_cvt_f32_f16_e32 v3, v18
	v_max_f32_e32 v8, v5, v3
.LBB99_4:
	s_or_b64 exec, exec, s[2:3]
	v_add_u32_e32 v2, s16, v2
	v_mov_b32_e32 v3, 0
	v_cmp_gt_i64_e64 s[2:3], s[8:9], v[2:3]
	v_lshlrev_b32_e32 v5, 1, v2
                                        ; implicit-def: $vgpr19
	s_and_saveexec_b64 s[4:5], s[2:3]
	s_cbranch_execz .LBB99_6
; %bb.5:
	global_load_ushort v19, v5, s[10:11]
	v_max_f32_e32 v7, v8, v8
	s_waitcnt vmcnt(0)
	v_cvt_f32_f16_e32 v6, v19
	v_max_f32_e32 v8, v7, v6
.LBB99_6:
	s_or_b64 exec, exec, s[4:5]
	v_add_u32_e32 v2, s16, v2
	v_cmp_gt_i64_e64 s[4:5], s[8:9], v[2:3]
	v_lshlrev_b32_e32 v6, 1, v2
                                        ; implicit-def: $vgpr16
	s_and_saveexec_b64 s[6:7], s[4:5]
	s_cbranch_execz .LBB99_8
; %bb.7:
	global_load_ushort v16, v6, s[10:11]
	v_max_f32_e32 v7, v8, v8
	s_waitcnt vmcnt(0)
	v_cvt_f32_f16_e32 v3, v16
	v_max_f32_e32 v8, v7, v3
.LBB99_8:
	s_or_b64 exec, exec, s[6:7]
	v_add_u32_e32 v2, s16, v2
	v_mov_b32_e32 v3, 0
	v_cmp_gt_i64_e64 s[6:7], s[8:9], v[2:3]
	v_lshlrev_b32_e32 v7, 1, v2
                                        ; implicit-def: $vgpr14
	s_and_saveexec_b64 s[12:13], s[6:7]
	s_cbranch_execz .LBB99_10
; %bb.9:
	global_load_ushort v14, v7, s[10:11]
	v_max_f32_e32 v8, v8, v8
	s_waitcnt vmcnt(0)
	v_cvt_f32_f16_e32 v9, v14
	v_max_f32_e32 v8, v8, v9
.LBB99_10:
	s_or_b64 exec, exec, s[12:13]
	v_add_u32_e32 v2, s16, v2
	v_cmp_gt_i64_e64 s[8:9], s[8:9], v[2:3]
	v_lshlrev_b32_e32 v2, 1, v2
                                        ; implicit-def: $vgpr13
	s_and_saveexec_b64 s[12:13], s[8:9]
	s_cbranch_execz .LBB99_12
; %bb.11:
	global_load_ushort v13, v2, s[10:11]
	v_max_f32_e32 v8, v8, v8
	s_waitcnt vmcnt(0)
	v_cvt_f32_f16_e32 v3, v13
	v_max_f32_e32 v8, v8, v3
.LBB99_12:
	s_or_b64 exec, exec, s[12:13]
	v_mbcnt_lo_u32_b32 v3, -1, 0
	v_mbcnt_hi_u32_b32 v12, -1, v3
	v_and_b32_e32 v15, 63, v12
	v_cmp_gt_u32_e64 s[10:11], 32, v15
	v_cndmask_b32_e64 v3, 0, 1, s[10:11]
	v_lshlrev_b32_e32 v3, 5, v3
	v_add_lshl_u32 v3, v3, v12, 2
	ds_bpermute_b32 v9, v3, v8
	v_cmp_gt_u32_e64 s[10:11], 48, v15
	v_cndmask_b32_e64 v10, 0, 1, s[10:11]
	s_waitcnt lgkmcnt(0)
	s_barrier
	v_cmp_lt_f32_e64 s[10:11], v8, v9
	v_cndmask_b32_e64 v9, v8, v9, s[10:11]
	v_lshlrev_b32_e32 v8, 4, v10
	v_add_lshl_u32 v8, v8, v12, 2
	ds_bpermute_b32 v10, v8, v9
	s_waitcnt lgkmcnt(0)
	v_cmp_lt_f32_e64 s[10:11], v9, v10
	v_cndmask_b32_e64 v10, v9, v10, s[10:11]
	v_cmp_gt_u32_e64 s[10:11], 56, v15
	v_cndmask_b32_e64 v9, 0, 1, s[10:11]
	v_lshlrev_b32_e32 v9, 3, v9
	v_add_lshl_u32 v9, v9, v12, 2
	ds_bpermute_b32 v11, v9, v10
	s_waitcnt lgkmcnt(0)
	v_cmp_lt_f32_e64 s[10:11], v10, v11
	v_cndmask_b32_e64 v11, v10, v11, s[10:11]
	v_cmp_gt_u32_e64 s[10:11], 60, v15
	;; [unrolled: 8-line block ×3, first 2 shown]
	v_cndmask_b32_e64 v11, 0, 1, s[10:11]
	v_lshlrev_b32_e32 v11, 1, v11
	v_add_lshl_u32 v11, v11, v12, 2
	ds_bpermute_b32 v22, v11, v21
	v_and_b32_e32 v17, 63, v0
	s_waitcnt lgkmcnt(0)
	v_cmp_lt_f32_e64 s[10:11], v21, v22
	v_cndmask_b32_e64 v21, v21, v22, s[10:11]
	v_cmp_ne_u32_e64 s[10:11], 63, v15
	v_addc_co_u32_e64 v12, s[10:11], 0, v12, s[10:11]
	v_lshlrev_b32_e32 v12, 2, v12
	ds_bpermute_b32 v22, v12, v21
	v_cmp_eq_u32_e64 s[10:11], 0, v17
	v_lshrrev_b32_e32 v15, 4, v0
	s_and_saveexec_b64 s[12:13], s[10:11]
	s_xor_b64 s[14:15], exec, s[12:13]
	s_cbranch_execz .LBB99_14
; %bb.13:
	s_waitcnt lgkmcnt(0)
	v_cmp_lt_f32_e64 s[12:13], v21, v22
	v_add_u32_e32 v23, 0, v15
	v_cndmask_b32_e64 v21, v21, v22, s[12:13]
	ds_write_b32 v23, v21
.LBB99_14:
	s_or_b64 exec, exec, s[14:15]
	s_lshr_b32 s12, s16, 6
	v_cmp_gt_u32_e64 s[12:13], s12, v0
	v_mov_b32_e32 v21, 0xff7fffff
	v_lshl_add_u32 v17, v17, 2, 0
	s_waitcnt lgkmcnt(0)
	s_barrier
	s_and_saveexec_b64 s[14:15], s[12:13]
	s_cbranch_execnz .LBB99_43
; %bb.15:
	s_or_b64 exec, exec, s[14:15]
	v_cmp_gt_u32_e64 s[14:15], 64, v0
	s_and_saveexec_b64 s[18:19], s[14:15]
	s_cbranch_execnz .LBB99_44
.LBB99_16:
	s_or_b64 exec, exec, s[18:19]
	v_cmp_eq_u32_e64 s[16:17], 0, v0
	s_and_saveexec_b64 s[18:19], s[16:17]
	s_cbranch_execz .LBB99_18
.LBB99_17:
	v_mov_b32_e32 v0, 0
	s_waitcnt lgkmcnt(0)
	ds_write_b32 v0, v21
.LBB99_18:
	s_or_b64 exec, exec, s[18:19]
	s_waitcnt lgkmcnt(0)
	v_mov_b32_e32 v21, 0
	s_barrier
	ds_read_b32 v22, v21
	v_cvt_f32_f16_e32 v0, v20
	s_waitcnt lgkmcnt(0)
	v_sub_f32_e32 v0, v0, v22
	s_and_saveexec_b64 s[22:23], vcc
	s_cbranch_execz .LBB99_20
; %bb.19:
	s_mov_b32 s18, 0x3fb8aa3b
	v_mul_f32_e32 v20, 0x3fb8aa3b, v0
	v_fma_f32 v21, v0, s18, -v20
	v_rndne_f32_e32 v23, v20
	v_fmac_f32_e32 v21, 0x32a5705f, v0
	v_sub_f32_e32 v20, v20, v23
	v_add_f32_e32 v20, v20, v21
	v_exp_f32_e32 v20, v20
	v_cvt_i32_f32_e32 v21, v23
	s_mov_b32 s18, 0xc2ce8ed0
	v_cmp_ngt_f32_e64 s[18:19], s18, v0
	v_ldexp_f32 v20, v20, v21
	v_cndmask_b32_e64 v20, 0, v20, s[18:19]
	s_mov_b32 s18, 0x42b17218
	v_mov_b32_e32 v21, 0x7f800000
	v_cmp_nlt_f32_e64 s[18:19], s18, v0
	v_cndmask_b32_e64 v21, v21, v20, s[18:19]
.LBB99_20:
	s_or_b64 exec, exec, s[22:23]
	v_cvt_f32_f16_e32 v18, v18
	v_sub_f32_e32 v18, v18, v22
	s_and_saveexec_b64 s[22:23], s[0:1]
	s_cbranch_execz .LBB99_22
; %bb.21:
	s_mov_b32 s18, 0x3fb8aa3b
	v_mul_f32_e32 v20, 0x3fb8aa3b, v18
	v_fma_f32 v23, v18, s18, -v20
	v_rndne_f32_e32 v24, v20
	v_fmac_f32_e32 v23, 0x32a5705f, v18
	v_sub_f32_e32 v20, v20, v24
	v_add_f32_e32 v20, v20, v23
	v_exp_f32_e32 v20, v20
	v_cvt_i32_f32_e32 v23, v24
	s_mov_b32 s18, 0xc2ce8ed0
	v_cmp_ngt_f32_e64 s[18:19], s18, v18
	v_ldexp_f32 v20, v20, v23
	v_cndmask_b32_e64 v20, 0, v20, s[18:19]
	s_mov_b32 s18, 0x42b17218
	v_mov_b32_e32 v23, 0x7f800000
	v_cmp_nlt_f32_e64 s[18:19], s18, v18
	v_cndmask_b32_e64 v20, v23, v20, s[18:19]
	v_add_f32_e32 v21, v21, v20
.LBB99_22:
	s_or_b64 exec, exec, s[22:23]
	v_cvt_f32_f16_e32 v19, v19
	v_sub_f32_e32 v19, v19, v22
	s_and_saveexec_b64 s[22:23], s[2:3]
	s_cbranch_execz .LBB99_24
; %bb.23:
	s_mov_b32 s18, 0x3fb8aa3b
	v_mul_f32_e32 v20, 0x3fb8aa3b, v19
	v_fma_f32 v23, v19, s18, -v20
	v_rndne_f32_e32 v24, v20
	v_fmac_f32_e32 v23, 0x32a5705f, v19
	v_sub_f32_e32 v20, v20, v24
	v_add_f32_e32 v20, v20, v23
	v_exp_f32_e32 v20, v20
	v_cvt_i32_f32_e32 v23, v24
	s_mov_b32 s18, 0xc2ce8ed0
	v_cmp_ngt_f32_e64 s[18:19], s18, v19
	v_ldexp_f32 v20, v20, v23
	v_cndmask_b32_e64 v20, 0, v20, s[18:19]
	s_mov_b32 s18, 0x42b17218
	v_mov_b32_e32 v23, 0x7f800000
	v_cmp_nlt_f32_e64 s[18:19], s18, v19
	v_cndmask_b32_e64 v20, v23, v20, s[18:19]
	v_add_f32_e32 v21, v21, v20
.LBB99_24:
	;; [unrolled: 25-line block ×5, first 2 shown]
	s_or_b64 exec, exec, s[22:23]
	ds_bpermute_b32 v20, v3, v21
	s_waitcnt lgkmcnt(0)
	s_barrier
	v_add_f32_e32 v20, v21, v20
	ds_bpermute_b32 v21, v8, v20
	s_waitcnt lgkmcnt(0)
	v_add_f32_e32 v20, v20, v21
	ds_bpermute_b32 v21, v9, v20
	s_waitcnt lgkmcnt(0)
	;; [unrolled: 3-line block ×4, first 2 shown]
	v_add_f32_e32 v20, v20, v21
	ds_bpermute_b32 v21, v12, v20
	s_and_saveexec_b64 s[18:19], s[10:11]
	s_xor_b64 s[10:11], exec, s[18:19]
	s_cbranch_execz .LBB99_32
; %bb.31:
	v_add_u32_e32 v15, 0, v15
	s_waitcnt lgkmcnt(0)
	v_add_f32_e32 v20, v20, v21
	ds_write_b32 v15, v20
.LBB99_32:
	s_or_b64 exec, exec, s[10:11]
	v_mov_b32_e32 v15, 0
	s_waitcnt lgkmcnt(0)
	s_barrier
	s_and_saveexec_b64 s[10:11], s[12:13]
	s_cbranch_execnz .LBB99_45
; %bb.33:
	s_or_b64 exec, exec, s[10:11]
	s_and_saveexec_b64 s[10:11], s[14:15]
	s_cbranch_execnz .LBB99_46
.LBB99_34:
	s_or_b64 exec, exec, s[10:11]
	s_and_saveexec_b64 s[10:11], s[16:17]
	s_cbranch_execz .LBB99_36
.LBB99_35:
	v_mov_b32_e32 v3, 0
	s_waitcnt lgkmcnt(0)
	ds_write_b32 v3, v15
.LBB99_36:
	s_or_b64 exec, exec, s[10:11]
	v_mov_b32_e32 v3, 0
	s_waitcnt lgkmcnt(0)
	s_barrier
	ds_read_b32 v3, v3
	s_mov_b32 s10, 0x800000
	v_mov_b32_e32 v8, 0x4f800000
	s_mov_b32 s12, 0x3f317217
	s_add_u32 s14, s20, s24
	s_waitcnt lgkmcnt(0)
	v_cmp_gt_f32_e64 s[10:11], s10, v3
	v_cndmask_b32_e64 v8, 1.0, v8, s[10:11]
	v_mul_f32_e32 v3, v3, v8
	v_log_f32_e32 v3, v3
	s_addc_u32 s15, s21, s25
	v_mul_f32_e32 v8, 0x3f317217, v3
	v_fma_f32 v9, v3, s12, -v8
	v_fmac_f32_e32 v9, 0x3377d1cf, v3
	s_mov_b32 s12, 0x7f800000
	v_add_f32_e32 v8, v8, v9
	v_cmp_lt_f32_e64 s[12:13], |v3|, s12
	v_cndmask_b32_e64 v3, v3, v8, s[12:13]
	v_mov_b32_e32 v8, 0x41b17218
	v_cndmask_b32_e64 v8, 0, v8, s[10:11]
	v_sub_f32_e32 v3, v3, v8
	s_and_saveexec_b64 s[10:11], vcc
	s_cbranch_execnz .LBB99_47
; %bb.37:
	s_or_b64 exec, exec, s[10:11]
	s_and_saveexec_b64 s[10:11], s[0:1]
	s_cbranch_execnz .LBB99_48
.LBB99_38:
	s_or_b64 exec, exec, s[10:11]
	s_and_saveexec_b64 s[0:1], s[2:3]
	s_cbranch_execnz .LBB99_49
.LBB99_39:
	s_or_b64 exec, exec, s[0:1]
	s_and_saveexec_b64 s[0:1], s[4:5]
	s_cbranch_execnz .LBB99_50
.LBB99_40:
	s_or_b64 exec, exec, s[0:1]
	s_and_saveexec_b64 s[0:1], s[6:7]
	s_cbranch_execnz .LBB99_51
.LBB99_41:
	s_or_b64 exec, exec, s[0:1]
	s_and_saveexec_b64 s[0:1], s[8:9]
	s_cbranch_execnz .LBB99_52
.LBB99_42:
	s_endpgm
.LBB99_43:
	ds_read_b32 v21, v17
	s_or_b64 exec, exec, s[14:15]
	v_cmp_gt_u32_e64 s[14:15], 64, v0
	s_and_saveexec_b64 s[18:19], s[14:15]
	s_cbranch_execz .LBB99_16
.LBB99_44:
	s_waitcnt lgkmcnt(0)
	ds_bpermute_b32 v22, v3, v21
	s_waitcnt lgkmcnt(0)
	v_cmp_lt_f32_e64 s[16:17], v21, v22
	v_cndmask_b32_e64 v21, v21, v22, s[16:17]
	ds_bpermute_b32 v22, v8, v21
	s_waitcnt lgkmcnt(0)
	v_cmp_lt_f32_e64 s[16:17], v21, v22
	v_cndmask_b32_e64 v21, v21, v22, s[16:17]
	;; [unrolled: 4-line block ×6, first 2 shown]
	s_or_b64 exec, exec, s[18:19]
	v_cmp_eq_u32_e64 s[16:17], 0, v0
	s_and_saveexec_b64 s[18:19], s[16:17]
	s_cbranch_execnz .LBB99_17
	s_branch .LBB99_18
.LBB99_45:
	ds_read_b32 v15, v17
	s_or_b64 exec, exec, s[10:11]
	s_and_saveexec_b64 s[10:11], s[14:15]
	s_cbranch_execz .LBB99_34
.LBB99_46:
	s_waitcnt lgkmcnt(0)
	ds_bpermute_b32 v3, v3, v15
	s_waitcnt lgkmcnt(0)
	v_add_f32_e32 v3, v15, v3
	ds_bpermute_b32 v8, v8, v3
	s_waitcnt lgkmcnt(0)
	v_add_f32_e32 v3, v3, v8
	;; [unrolled: 3-line block ×6, first 2 shown]
	s_or_b64 exec, exec, s[10:11]
	s_and_saveexec_b64 s[10:11], s[16:17]
	s_cbranch_execnz .LBB99_35
	s_branch .LBB99_36
.LBB99_47:
	v_sub_f32_e32 v0, v0, v3
	v_cvt_f16_f32_e32 v0, v0
	global_store_short v1, v0, s[14:15]
	s_or_b64 exec, exec, s[10:11]
	s_and_saveexec_b64 s[10:11], s[0:1]
	s_cbranch_execz .LBB99_38
.LBB99_48:
	v_sub_f32_e32 v0, v18, v3
	v_cvt_f16_f32_e32 v0, v0
	global_store_short v4, v0, s[14:15]
	s_or_b64 exec, exec, s[10:11]
	s_and_saveexec_b64 s[0:1], s[2:3]
	s_cbranch_execz .LBB99_39
.LBB99_49:
	v_sub_f32_e32 v0, v19, v3
	v_cvt_f16_f32_e32 v0, v0
	global_store_short v5, v0, s[14:15]
	s_or_b64 exec, exec, s[0:1]
	s_and_saveexec_b64 s[0:1], s[4:5]
	s_cbranch_execz .LBB99_40
.LBB99_50:
	v_sub_f32_e32 v0, v16, v3
	v_cvt_f16_f32_e32 v0, v0
	global_store_short v6, v0, s[14:15]
	s_or_b64 exec, exec, s[0:1]
	s_and_saveexec_b64 s[0:1], s[6:7]
	s_cbranch_execz .LBB99_41
.LBB99_51:
	v_sub_f32_e32 v0, v14, v3
	v_cvt_f16_f32_e32 v0, v0
	global_store_short v7, v0, s[14:15]
	s_or_b64 exec, exec, s[0:1]
	s_and_saveexec_b64 s[0:1], s[8:9]
	s_cbranch_execz .LBB99_42
.LBB99_52:
	v_sub_f32_e32 v0, v13, v3
	v_cvt_f16_f32_e32 v0, v0
	global_store_short v2, v0, s[14:15]
	s_endpgm
	.section	.rodata,"a",@progbits
	.p2align	6, 0x0
	.amdhsa_kernel _ZN2at6native12_GLOBAL__N_122cunn_SoftMaxForwardRegIN3c104HalfEfS4_NS1_25LogSoftMaxForwardEpilogueElLi6EEEvPT1_PKT_T3_
		.amdhsa_group_segment_fixed_size 0
		.amdhsa_private_segment_fixed_size 0
		.amdhsa_kernarg_size 280
		.amdhsa_user_sgpr_count 6
		.amdhsa_user_sgpr_private_segment_buffer 1
		.amdhsa_user_sgpr_dispatch_ptr 0
		.amdhsa_user_sgpr_queue_ptr 0
		.amdhsa_user_sgpr_kernarg_segment_ptr 1
		.amdhsa_user_sgpr_dispatch_id 0
		.amdhsa_user_sgpr_flat_scratch_init 0
		.amdhsa_user_sgpr_kernarg_preload_length 0
		.amdhsa_user_sgpr_kernarg_preload_offset 0
		.amdhsa_user_sgpr_private_segment_size 0
		.amdhsa_uses_dynamic_stack 0
		.amdhsa_system_sgpr_private_segment_wavefront_offset 0
		.amdhsa_system_sgpr_workgroup_id_x 1
		.amdhsa_system_sgpr_workgroup_id_y 0
		.amdhsa_system_sgpr_workgroup_id_z 0
		.amdhsa_system_sgpr_workgroup_info 0
		.amdhsa_system_vgpr_workitem_id 0
		.amdhsa_next_free_vgpr 25
		.amdhsa_next_free_sgpr 26
		.amdhsa_accum_offset 28
		.amdhsa_reserve_vcc 1
		.amdhsa_reserve_flat_scratch 0
		.amdhsa_float_round_mode_32 0
		.amdhsa_float_round_mode_16_64 0
		.amdhsa_float_denorm_mode_32 3
		.amdhsa_float_denorm_mode_16_64 3
		.amdhsa_dx10_clamp 1
		.amdhsa_ieee_mode 1
		.amdhsa_fp16_overflow 0
		.amdhsa_tg_split 0
		.amdhsa_exception_fp_ieee_invalid_op 0
		.amdhsa_exception_fp_denorm_src 0
		.amdhsa_exception_fp_ieee_div_zero 0
		.amdhsa_exception_fp_ieee_overflow 0
		.amdhsa_exception_fp_ieee_underflow 0
		.amdhsa_exception_fp_ieee_inexact 0
		.amdhsa_exception_int_div_zero 0
	.end_amdhsa_kernel
	.section	.text._ZN2at6native12_GLOBAL__N_122cunn_SoftMaxForwardRegIN3c104HalfEfS4_NS1_25LogSoftMaxForwardEpilogueElLi6EEEvPT1_PKT_T3_,"axG",@progbits,_ZN2at6native12_GLOBAL__N_122cunn_SoftMaxForwardRegIN3c104HalfEfS4_NS1_25LogSoftMaxForwardEpilogueElLi6EEEvPT1_PKT_T3_,comdat
.Lfunc_end99:
	.size	_ZN2at6native12_GLOBAL__N_122cunn_SoftMaxForwardRegIN3c104HalfEfS4_NS1_25LogSoftMaxForwardEpilogueElLi6EEEvPT1_PKT_T3_, .Lfunc_end99-_ZN2at6native12_GLOBAL__N_122cunn_SoftMaxForwardRegIN3c104HalfEfS4_NS1_25LogSoftMaxForwardEpilogueElLi6EEEvPT1_PKT_T3_
                                        ; -- End function
	.section	.AMDGPU.csdata,"",@progbits
; Kernel info:
; codeLenInByte = 2688
; NumSgprs: 30
; NumVgprs: 25
; NumAgprs: 0
; TotalNumVgprs: 25
; ScratchSize: 0
; MemoryBound: 0
; FloatMode: 240
; IeeeMode: 1
; LDSByteSize: 0 bytes/workgroup (compile time only)
; SGPRBlocks: 3
; VGPRBlocks: 3
; NumSGPRsForWavesPerEU: 30
; NumVGPRsForWavesPerEU: 25
; AccumOffset: 28
; Occupancy: 8
; WaveLimiterHint : 0
; COMPUTE_PGM_RSRC2:SCRATCH_EN: 0
; COMPUTE_PGM_RSRC2:USER_SGPR: 6
; COMPUTE_PGM_RSRC2:TRAP_HANDLER: 0
; COMPUTE_PGM_RSRC2:TGID_X_EN: 1
; COMPUTE_PGM_RSRC2:TGID_Y_EN: 0
; COMPUTE_PGM_RSRC2:TGID_Z_EN: 0
; COMPUTE_PGM_RSRC2:TIDIG_COMP_CNT: 0
; COMPUTE_PGM_RSRC3_GFX90A:ACCUM_OFFSET: 6
; COMPUTE_PGM_RSRC3_GFX90A:TG_SPLIT: 0
	.section	.text._ZN2at6native12_GLOBAL__N_122cunn_SoftMaxForwardRegIN3c104HalfEfS4_NS1_25LogSoftMaxForwardEpilogueElLi7EEEvPT1_PKT_T3_,"axG",@progbits,_ZN2at6native12_GLOBAL__N_122cunn_SoftMaxForwardRegIN3c104HalfEfS4_NS1_25LogSoftMaxForwardEpilogueElLi7EEEvPT1_PKT_T3_,comdat
	.globl	_ZN2at6native12_GLOBAL__N_122cunn_SoftMaxForwardRegIN3c104HalfEfS4_NS1_25LogSoftMaxForwardEpilogueElLi7EEEvPT1_PKT_T3_ ; -- Begin function _ZN2at6native12_GLOBAL__N_122cunn_SoftMaxForwardRegIN3c104HalfEfS4_NS1_25LogSoftMaxForwardEpilogueElLi7EEEvPT1_PKT_T3_
	.p2align	8
	.type	_ZN2at6native12_GLOBAL__N_122cunn_SoftMaxForwardRegIN3c104HalfEfS4_NS1_25LogSoftMaxForwardEpilogueElLi7EEEvPT1_PKT_T3_,@function
_ZN2at6native12_GLOBAL__N_122cunn_SoftMaxForwardRegIN3c104HalfEfS4_NS1_25LogSoftMaxForwardEpilogueElLi7EEEvPT1_PKT_T3_: ; @_ZN2at6native12_GLOBAL__N_122cunn_SoftMaxForwardRegIN3c104HalfEfS4_NS1_25LogSoftMaxForwardEpilogueElLi7EEEvPT1_PKT_T3_
; %bb.0:
	s_load_dwordx2 s[10:11], s[4:5], 0x10
	s_load_dwordx4 s[24:27], s[4:5], 0x0
	s_load_dword s2, s[4:5], 0x24
	v_mov_b32_e32 v3, 0
	v_mov_b32_e32 v1, v3
	s_waitcnt lgkmcnt(0)
	s_mul_i32 s0, s6, s11
	s_mul_hi_u32 s1, s6, s10
	s_add_i32 s1, s1, s0
	s_mul_i32 s0, s6, s10
	s_lshl_b64 s[22:23], s[0:1], 1
	s_add_u32 s12, s26, s22
	s_addc_u32 s13, s27, s23
	v_cmp_gt_i64_e32 vcc, s[10:11], v[0:1]
	v_mov_b32_e32 v9, 0xff7fffff
	v_lshlrev_b32_e32 v1, 1, v0
                                        ; implicit-def: $vgpr22
	s_and_saveexec_b64 s[0:1], vcc
	s_cbranch_execz .LBB100_2
; %bb.1:
	global_load_ushort v22, v1, s[12:13]
	s_waitcnt vmcnt(0)
	v_cvt_f32_f16_e32 v2, v22
	v_max_f32_e32 v9, 0xff7fffff, v2
.LBB100_2:
	s_or_b64 exec, exec, s[0:1]
	s_and_b32 s18, 0xffff, s2
	v_add_u32_e32 v2, s18, v0
	v_cmp_gt_i64_e64 s[0:1], s[10:11], v[2:3]
	v_lshlrev_b32_e32 v4, 1, v2
                                        ; implicit-def: $vgpr19
	s_and_saveexec_b64 s[2:3], s[0:1]
	s_cbranch_execz .LBB100_4
; %bb.3:
	global_load_ushort v19, v4, s[12:13]
	v_max_f32_e32 v5, v9, v9
	s_waitcnt vmcnt(0)
	v_cvt_f32_f16_e32 v3, v19
	v_max_f32_e32 v9, v5, v3
.LBB100_4:
	s_or_b64 exec, exec, s[2:3]
	v_add_u32_e32 v2, s18, v2
	v_mov_b32_e32 v3, 0
	v_cmp_gt_i64_e64 s[2:3], s[10:11], v[2:3]
	v_lshlrev_b32_e32 v5, 1, v2
                                        ; implicit-def: $vgpr21
	s_and_saveexec_b64 s[4:5], s[2:3]
	s_cbranch_execz .LBB100_6
; %bb.5:
	global_load_ushort v21, v5, s[12:13]
	v_max_f32_e32 v7, v9, v9
	s_waitcnt vmcnt(0)
	v_cvt_f32_f16_e32 v6, v21
	v_max_f32_e32 v9, v7, v6
.LBB100_6:
	s_or_b64 exec, exec, s[4:5]
	v_add_u32_e32 v2, s18, v2
	v_cmp_gt_i64_e64 s[4:5], s[10:11], v[2:3]
	v_lshlrev_b32_e32 v6, 1, v2
                                        ; implicit-def: $vgpr20
	s_and_saveexec_b64 s[6:7], s[4:5]
	s_cbranch_execz .LBB100_8
; %bb.7:
	global_load_ushort v20, v6, s[12:13]
	v_max_f32_e32 v7, v9, v9
	s_waitcnt vmcnt(0)
	v_cvt_f32_f16_e32 v3, v20
	v_max_f32_e32 v9, v7, v3
.LBB100_8:
	s_or_b64 exec, exec, s[6:7]
	v_add_u32_e32 v2, s18, v2
	v_mov_b32_e32 v3, 0
	v_cmp_gt_i64_e64 s[6:7], s[10:11], v[2:3]
	v_lshlrev_b32_e32 v7, 1, v2
                                        ; implicit-def: $vgpr17
	s_and_saveexec_b64 s[8:9], s[6:7]
	s_cbranch_execz .LBB100_10
; %bb.9:
	global_load_ushort v17, v7, s[12:13]
	v_max_f32_e32 v9, v9, v9
	s_waitcnt vmcnt(0)
	v_cvt_f32_f16_e32 v8, v17
	v_max_f32_e32 v9, v9, v8
.LBB100_10:
	s_or_b64 exec, exec, s[8:9]
	v_add_u32_e32 v2, s18, v2
	v_cmp_gt_i64_e64 s[8:9], s[10:11], v[2:3]
	v_lshlrev_b32_e32 v3, 1, v2
                                        ; implicit-def: $vgpr15
	s_and_saveexec_b64 s[14:15], s[8:9]
	s_cbranch_execz .LBB100_12
; %bb.11:
	global_load_ushort v15, v3, s[12:13]
	v_max_f32_e32 v9, v9, v9
	s_waitcnt vmcnt(0)
	v_cvt_f32_f16_e32 v8, v15
	v_max_f32_e32 v9, v9, v8
.LBB100_12:
	s_or_b64 exec, exec, s[14:15]
	v_add_u32_e32 v10, s18, v2
	v_mov_b32_e32 v11, 0
	v_cmp_gt_i64_e64 s[10:11], s[10:11], v[10:11]
	v_lshlrev_b32_e32 v2, 1, v10
                                        ; implicit-def: $vgpr14
	s_and_saveexec_b64 s[14:15], s[10:11]
	s_cbranch_execz .LBB100_14
; %bb.13:
	global_load_ushort v14, v2, s[12:13]
	v_max_f32_e32 v9, v9, v9
	s_waitcnt vmcnt(0)
	v_cvt_f32_f16_e32 v8, v14
	v_max_f32_e32 v9, v9, v8
.LBB100_14:
	s_or_b64 exec, exec, s[14:15]
	v_mbcnt_lo_u32_b32 v8, -1, 0
	v_mbcnt_hi_u32_b32 v13, -1, v8
	v_and_b32_e32 v16, 63, v13
	v_cmp_gt_u32_e64 s[12:13], 32, v16
	v_cndmask_b32_e64 v8, 0, 1, s[12:13]
	v_lshlrev_b32_e32 v8, 5, v8
	v_add_lshl_u32 v8, v8, v13, 2
	ds_bpermute_b32 v10, v8, v9
	v_cmp_gt_u32_e64 s[12:13], 48, v16
	v_cndmask_b32_e64 v11, 0, 1, s[12:13]
	s_waitcnt lgkmcnt(0)
	s_barrier
	v_cmp_lt_f32_e64 s[12:13], v9, v10
	v_cndmask_b32_e64 v10, v9, v10, s[12:13]
	v_lshlrev_b32_e32 v9, 4, v11
	v_add_lshl_u32 v9, v9, v13, 2
	ds_bpermute_b32 v11, v9, v10
	s_waitcnt lgkmcnt(0)
	v_cmp_lt_f32_e64 s[12:13], v10, v11
	v_cndmask_b32_e64 v11, v10, v11, s[12:13]
	v_cmp_gt_u32_e64 s[12:13], 56, v16
	v_cndmask_b32_e64 v10, 0, 1, s[12:13]
	v_lshlrev_b32_e32 v10, 3, v10
	v_add_lshl_u32 v10, v10, v13, 2
	ds_bpermute_b32 v12, v10, v11
	s_waitcnt lgkmcnt(0)
	v_cmp_lt_f32_e64 s[12:13], v11, v12
	v_cndmask_b32_e64 v12, v11, v12, s[12:13]
	v_cmp_gt_u32_e64 s[12:13], 60, v16
	;; [unrolled: 8-line block ×3, first 2 shown]
	v_cndmask_b32_e64 v12, 0, 1, s[12:13]
	v_lshlrev_b32_e32 v12, 1, v12
	v_add_lshl_u32 v12, v12, v13, 2
	ds_bpermute_b32 v24, v12, v23
	v_and_b32_e32 v18, 63, v0
	s_waitcnt lgkmcnt(0)
	v_cmp_lt_f32_e64 s[12:13], v23, v24
	v_cndmask_b32_e64 v23, v23, v24, s[12:13]
	v_cmp_ne_u32_e64 s[12:13], 63, v16
	v_addc_co_u32_e64 v13, s[12:13], 0, v13, s[12:13]
	v_lshlrev_b32_e32 v13, 2, v13
	ds_bpermute_b32 v24, v13, v23
	v_cmp_eq_u32_e64 s[12:13], 0, v18
	v_lshrrev_b32_e32 v16, 4, v0
	s_and_saveexec_b64 s[14:15], s[12:13]
	s_xor_b64 s[16:17], exec, s[14:15]
	s_cbranch_execz .LBB100_16
; %bb.15:
	s_waitcnt lgkmcnt(0)
	v_cmp_lt_f32_e64 s[14:15], v23, v24
	v_add_u32_e32 v25, 0, v16
	v_cndmask_b32_e64 v23, v23, v24, s[14:15]
	ds_write_b32 v25, v23
.LBB100_16:
	s_or_b64 exec, exec, s[16:17]
	s_lshr_b32 s14, s18, 6
	v_cmp_gt_u32_e64 s[14:15], s14, v0
	v_mov_b32_e32 v23, 0xff7fffff
	v_lshl_add_u32 v18, v18, 2, 0
	s_waitcnt lgkmcnt(0)
	s_barrier
	s_and_saveexec_b64 s[16:17], s[14:15]
	s_cbranch_execnz .LBB100_48
; %bb.17:
	s_or_b64 exec, exec, s[16:17]
	v_cmp_gt_u32_e64 s[16:17], 64, v0
	s_and_saveexec_b64 s[20:21], s[16:17]
	s_cbranch_execnz .LBB100_49
.LBB100_18:
	s_or_b64 exec, exec, s[20:21]
	v_cmp_eq_u32_e64 s[18:19], 0, v0
	s_and_saveexec_b64 s[20:21], s[18:19]
	s_cbranch_execz .LBB100_20
.LBB100_19:
	v_mov_b32_e32 v0, 0
	s_waitcnt lgkmcnt(0)
	ds_write_b32 v0, v23
.LBB100_20:
	s_or_b64 exec, exec, s[20:21]
	s_waitcnt lgkmcnt(0)
	v_mov_b32_e32 v23, 0
	s_barrier
	ds_read_b32 v24, v23
	v_cvt_f32_f16_e32 v0, v22
	s_waitcnt lgkmcnt(0)
	v_sub_f32_e32 v0, v0, v24
	s_and_saveexec_b64 s[26:27], vcc
	s_cbranch_execz .LBB100_22
; %bb.21:
	s_mov_b32 s20, 0x3fb8aa3b
	v_mul_f32_e32 v22, 0x3fb8aa3b, v0
	v_fma_f32 v23, v0, s20, -v22
	v_rndne_f32_e32 v25, v22
	v_fmac_f32_e32 v23, 0x32a5705f, v0
	v_sub_f32_e32 v22, v22, v25
	v_add_f32_e32 v22, v22, v23
	v_exp_f32_e32 v22, v22
	v_cvt_i32_f32_e32 v23, v25
	s_mov_b32 s20, 0xc2ce8ed0
	v_cmp_ngt_f32_e64 s[20:21], s20, v0
	v_ldexp_f32 v22, v22, v23
	v_cndmask_b32_e64 v22, 0, v22, s[20:21]
	s_mov_b32 s20, 0x42b17218
	v_mov_b32_e32 v23, 0x7f800000
	v_cmp_nlt_f32_e64 s[20:21], s20, v0
	v_cndmask_b32_e64 v23, v23, v22, s[20:21]
.LBB100_22:
	s_or_b64 exec, exec, s[26:27]
	v_cvt_f32_f16_e32 v19, v19
	v_sub_f32_e32 v19, v19, v24
	s_and_saveexec_b64 s[26:27], s[0:1]
	s_cbranch_execz .LBB100_24
; %bb.23:
	s_mov_b32 s20, 0x3fb8aa3b
	v_mul_f32_e32 v22, 0x3fb8aa3b, v19
	v_fma_f32 v25, v19, s20, -v22
	v_rndne_f32_e32 v26, v22
	v_fmac_f32_e32 v25, 0x32a5705f, v19
	v_sub_f32_e32 v22, v22, v26
	v_add_f32_e32 v22, v22, v25
	v_exp_f32_e32 v22, v22
	v_cvt_i32_f32_e32 v25, v26
	s_mov_b32 s20, 0xc2ce8ed0
	v_cmp_ngt_f32_e64 s[20:21], s20, v19
	v_ldexp_f32 v22, v22, v25
	v_cndmask_b32_e64 v22, 0, v22, s[20:21]
	s_mov_b32 s20, 0x42b17218
	v_mov_b32_e32 v25, 0x7f800000
	v_cmp_nlt_f32_e64 s[20:21], s20, v19
	v_cndmask_b32_e64 v22, v25, v22, s[20:21]
	v_add_f32_e32 v23, v23, v22
.LBB100_24:
	s_or_b64 exec, exec, s[26:27]
	v_cvt_f32_f16_e32 v21, v21
	v_sub_f32_e32 v21, v21, v24
	s_and_saveexec_b64 s[26:27], s[2:3]
	s_cbranch_execz .LBB100_26
; %bb.25:
	s_mov_b32 s20, 0x3fb8aa3b
	v_mul_f32_e32 v22, 0x3fb8aa3b, v21
	v_fma_f32 v25, v21, s20, -v22
	v_rndne_f32_e32 v26, v22
	v_fmac_f32_e32 v25, 0x32a5705f, v21
	v_sub_f32_e32 v22, v22, v26
	v_add_f32_e32 v22, v22, v25
	v_exp_f32_e32 v22, v22
	v_cvt_i32_f32_e32 v25, v26
	s_mov_b32 s20, 0xc2ce8ed0
	v_cmp_ngt_f32_e64 s[20:21], s20, v21
	v_ldexp_f32 v22, v22, v25
	v_cndmask_b32_e64 v22, 0, v22, s[20:21]
	s_mov_b32 s20, 0x42b17218
	v_mov_b32_e32 v25, 0x7f800000
	v_cmp_nlt_f32_e64 s[20:21], s20, v21
	v_cndmask_b32_e64 v22, v25, v22, s[20:21]
	v_add_f32_e32 v23, v23, v22
.LBB100_26:
	;; [unrolled: 25-line block ×6, first 2 shown]
	s_or_b64 exec, exec, s[26:27]
	ds_bpermute_b32 v22, v8, v23
	s_waitcnt lgkmcnt(0)
	s_barrier
	v_add_f32_e32 v22, v23, v22
	ds_bpermute_b32 v23, v9, v22
	s_waitcnt lgkmcnt(0)
	v_add_f32_e32 v22, v22, v23
	ds_bpermute_b32 v23, v10, v22
	s_waitcnt lgkmcnt(0)
	;; [unrolled: 3-line block ×4, first 2 shown]
	v_add_f32_e32 v22, v22, v23
	ds_bpermute_b32 v23, v13, v22
	s_and_saveexec_b64 s[20:21], s[12:13]
	s_xor_b64 s[12:13], exec, s[20:21]
	s_cbranch_execz .LBB100_36
; %bb.35:
	v_add_u32_e32 v16, 0, v16
	s_waitcnt lgkmcnt(0)
	v_add_f32_e32 v22, v22, v23
	ds_write_b32 v16, v22
.LBB100_36:
	s_or_b64 exec, exec, s[12:13]
	v_mov_b32_e32 v16, 0
	s_waitcnt lgkmcnt(0)
	s_barrier
	s_and_saveexec_b64 s[12:13], s[14:15]
	s_cbranch_execnz .LBB100_50
; %bb.37:
	s_or_b64 exec, exec, s[12:13]
	s_and_saveexec_b64 s[12:13], s[16:17]
	s_cbranch_execnz .LBB100_51
.LBB100_38:
	s_or_b64 exec, exec, s[12:13]
	s_and_saveexec_b64 s[12:13], s[18:19]
	s_cbranch_execz .LBB100_40
.LBB100_39:
	v_mov_b32_e32 v8, 0
	s_waitcnt lgkmcnt(0)
	ds_write_b32 v8, v16
.LBB100_40:
	s_or_b64 exec, exec, s[12:13]
	v_mov_b32_e32 v8, 0
	s_waitcnt lgkmcnt(0)
	s_barrier
	ds_read_b32 v8, v8
	s_mov_b32 s12, 0x800000
	v_mov_b32_e32 v9, 0x4f800000
	s_mov_b32 s14, 0x3f317217
	s_add_u32 s16, s24, s22
	s_waitcnt lgkmcnt(0)
	v_cmp_gt_f32_e64 s[12:13], s12, v8
	v_cndmask_b32_e64 v9, 1.0, v9, s[12:13]
	v_mul_f32_e32 v8, v8, v9
	v_log_f32_e32 v8, v8
	s_addc_u32 s17, s25, s23
	v_mul_f32_e32 v9, 0x3f317217, v8
	v_fma_f32 v10, v8, s14, -v9
	v_fmac_f32_e32 v10, 0x3377d1cf, v8
	s_mov_b32 s14, 0x7f800000
	v_add_f32_e32 v9, v9, v10
	v_cmp_lt_f32_e64 s[14:15], |v8|, s14
	v_cndmask_b32_e64 v8, v8, v9, s[14:15]
	v_mov_b32_e32 v9, 0x41b17218
	v_cndmask_b32_e64 v9, 0, v9, s[12:13]
	v_sub_f32_e32 v8, v8, v9
	s_and_saveexec_b64 s[12:13], vcc
	s_cbranch_execnz .LBB100_52
; %bb.41:
	s_or_b64 exec, exec, s[12:13]
	s_and_saveexec_b64 s[12:13], s[0:1]
	s_cbranch_execnz .LBB100_53
.LBB100_42:
	s_or_b64 exec, exec, s[12:13]
	s_and_saveexec_b64 s[0:1], s[2:3]
	s_cbranch_execnz .LBB100_54
.LBB100_43:
	s_or_b64 exec, exec, s[0:1]
	s_and_saveexec_b64 s[0:1], s[4:5]
	s_cbranch_execnz .LBB100_55
.LBB100_44:
	s_or_b64 exec, exec, s[0:1]
	s_and_saveexec_b64 s[0:1], s[6:7]
	s_cbranch_execnz .LBB100_56
.LBB100_45:
	s_or_b64 exec, exec, s[0:1]
	s_and_saveexec_b64 s[0:1], s[8:9]
	s_cbranch_execnz .LBB100_57
.LBB100_46:
	s_or_b64 exec, exec, s[0:1]
	s_and_saveexec_b64 s[0:1], s[10:11]
	s_cbranch_execnz .LBB100_58
.LBB100_47:
	s_endpgm
.LBB100_48:
	ds_read_b32 v23, v18
	s_or_b64 exec, exec, s[16:17]
	v_cmp_gt_u32_e64 s[16:17], 64, v0
	s_and_saveexec_b64 s[20:21], s[16:17]
	s_cbranch_execz .LBB100_18
.LBB100_49:
	s_waitcnt lgkmcnt(0)
	ds_bpermute_b32 v24, v8, v23
	s_waitcnt lgkmcnt(0)
	v_cmp_lt_f32_e64 s[18:19], v23, v24
	v_cndmask_b32_e64 v23, v23, v24, s[18:19]
	ds_bpermute_b32 v24, v9, v23
	s_waitcnt lgkmcnt(0)
	v_cmp_lt_f32_e64 s[18:19], v23, v24
	v_cndmask_b32_e64 v23, v23, v24, s[18:19]
	;; [unrolled: 4-line block ×6, first 2 shown]
	s_or_b64 exec, exec, s[20:21]
	v_cmp_eq_u32_e64 s[18:19], 0, v0
	s_and_saveexec_b64 s[20:21], s[18:19]
	s_cbranch_execnz .LBB100_19
	s_branch .LBB100_20
.LBB100_50:
	ds_read_b32 v16, v18
	s_or_b64 exec, exec, s[12:13]
	s_and_saveexec_b64 s[12:13], s[16:17]
	s_cbranch_execz .LBB100_38
.LBB100_51:
	s_waitcnt lgkmcnt(0)
	ds_bpermute_b32 v8, v8, v16
	s_waitcnt lgkmcnt(0)
	v_add_f32_e32 v8, v16, v8
	ds_bpermute_b32 v9, v9, v8
	s_waitcnt lgkmcnt(0)
	v_add_f32_e32 v8, v8, v9
	;; [unrolled: 3-line block ×6, first 2 shown]
	s_or_b64 exec, exec, s[12:13]
	s_and_saveexec_b64 s[12:13], s[18:19]
	s_cbranch_execnz .LBB100_39
	s_branch .LBB100_40
.LBB100_52:
	v_sub_f32_e32 v0, v0, v8
	v_cvt_f16_f32_e32 v0, v0
	global_store_short v1, v0, s[16:17]
	s_or_b64 exec, exec, s[12:13]
	s_and_saveexec_b64 s[12:13], s[0:1]
	s_cbranch_execz .LBB100_42
.LBB100_53:
	v_sub_f32_e32 v0, v19, v8
	v_cvt_f16_f32_e32 v0, v0
	global_store_short v4, v0, s[16:17]
	s_or_b64 exec, exec, s[12:13]
	s_and_saveexec_b64 s[0:1], s[2:3]
	s_cbranch_execz .LBB100_43
.LBB100_54:
	v_sub_f32_e32 v0, v21, v8
	v_cvt_f16_f32_e32 v0, v0
	global_store_short v5, v0, s[16:17]
	s_or_b64 exec, exec, s[0:1]
	s_and_saveexec_b64 s[0:1], s[4:5]
	s_cbranch_execz .LBB100_44
.LBB100_55:
	v_sub_f32_e32 v0, v20, v8
	v_cvt_f16_f32_e32 v0, v0
	global_store_short v6, v0, s[16:17]
	s_or_b64 exec, exec, s[0:1]
	s_and_saveexec_b64 s[0:1], s[6:7]
	s_cbranch_execz .LBB100_45
.LBB100_56:
	v_sub_f32_e32 v0, v17, v8
	v_cvt_f16_f32_e32 v0, v0
	global_store_short v7, v0, s[16:17]
	s_or_b64 exec, exec, s[0:1]
	s_and_saveexec_b64 s[0:1], s[8:9]
	s_cbranch_execz .LBB100_46
.LBB100_57:
	v_sub_f32_e32 v0, v15, v8
	v_cvt_f16_f32_e32 v0, v0
	global_store_short v3, v0, s[16:17]
	s_or_b64 exec, exec, s[0:1]
	s_and_saveexec_b64 s[0:1], s[10:11]
	s_cbranch_execz .LBB100_47
.LBB100_58:
	v_sub_f32_e32 v0, v14, v8
	v_cvt_f16_f32_e32 v0, v0
	global_store_short v2, v0, s[16:17]
	s_endpgm
	.section	.rodata,"a",@progbits
	.p2align	6, 0x0
	.amdhsa_kernel _ZN2at6native12_GLOBAL__N_122cunn_SoftMaxForwardRegIN3c104HalfEfS4_NS1_25LogSoftMaxForwardEpilogueElLi7EEEvPT1_PKT_T3_
		.amdhsa_group_segment_fixed_size 0
		.amdhsa_private_segment_fixed_size 0
		.amdhsa_kernarg_size 280
		.amdhsa_user_sgpr_count 6
		.amdhsa_user_sgpr_private_segment_buffer 1
		.amdhsa_user_sgpr_dispatch_ptr 0
		.amdhsa_user_sgpr_queue_ptr 0
		.amdhsa_user_sgpr_kernarg_segment_ptr 1
		.amdhsa_user_sgpr_dispatch_id 0
		.amdhsa_user_sgpr_flat_scratch_init 0
		.amdhsa_user_sgpr_kernarg_preload_length 0
		.amdhsa_user_sgpr_kernarg_preload_offset 0
		.amdhsa_user_sgpr_private_segment_size 0
		.amdhsa_uses_dynamic_stack 0
		.amdhsa_system_sgpr_private_segment_wavefront_offset 0
		.amdhsa_system_sgpr_workgroup_id_x 1
		.amdhsa_system_sgpr_workgroup_id_y 0
		.amdhsa_system_sgpr_workgroup_id_z 0
		.amdhsa_system_sgpr_workgroup_info 0
		.amdhsa_system_vgpr_workitem_id 0
		.amdhsa_next_free_vgpr 27
		.amdhsa_next_free_sgpr 28
		.amdhsa_accum_offset 28
		.amdhsa_reserve_vcc 1
		.amdhsa_reserve_flat_scratch 0
		.amdhsa_float_round_mode_32 0
		.amdhsa_float_round_mode_16_64 0
		.amdhsa_float_denorm_mode_32 3
		.amdhsa_float_denorm_mode_16_64 3
		.amdhsa_dx10_clamp 1
		.amdhsa_ieee_mode 1
		.amdhsa_fp16_overflow 0
		.amdhsa_tg_split 0
		.amdhsa_exception_fp_ieee_invalid_op 0
		.amdhsa_exception_fp_denorm_src 0
		.amdhsa_exception_fp_ieee_div_zero 0
		.amdhsa_exception_fp_ieee_overflow 0
		.amdhsa_exception_fp_ieee_underflow 0
		.amdhsa_exception_fp_ieee_inexact 0
		.amdhsa_exception_int_div_zero 0
	.end_amdhsa_kernel
	.section	.text._ZN2at6native12_GLOBAL__N_122cunn_SoftMaxForwardRegIN3c104HalfEfS4_NS1_25LogSoftMaxForwardEpilogueElLi7EEEvPT1_PKT_T3_,"axG",@progbits,_ZN2at6native12_GLOBAL__N_122cunn_SoftMaxForwardRegIN3c104HalfEfS4_NS1_25LogSoftMaxForwardEpilogueElLi7EEEvPT1_PKT_T3_,comdat
.Lfunc_end100:
	.size	_ZN2at6native12_GLOBAL__N_122cunn_SoftMaxForwardRegIN3c104HalfEfS4_NS1_25LogSoftMaxForwardEpilogueElLi7EEEvPT1_PKT_T3_, .Lfunc_end100-_ZN2at6native12_GLOBAL__N_122cunn_SoftMaxForwardRegIN3c104HalfEfS4_NS1_25LogSoftMaxForwardEpilogueElLi7EEEvPT1_PKT_T3_
                                        ; -- End function
	.section	.AMDGPU.csdata,"",@progbits
; Kernel info:
; codeLenInByte = 2924
; NumSgprs: 32
; NumVgprs: 27
; NumAgprs: 0
; TotalNumVgprs: 27
; ScratchSize: 0
; MemoryBound: 0
; FloatMode: 240
; IeeeMode: 1
; LDSByteSize: 0 bytes/workgroup (compile time only)
; SGPRBlocks: 3
; VGPRBlocks: 3
; NumSGPRsForWavesPerEU: 32
; NumVGPRsForWavesPerEU: 27
; AccumOffset: 28
; Occupancy: 8
; WaveLimiterHint : 0
; COMPUTE_PGM_RSRC2:SCRATCH_EN: 0
; COMPUTE_PGM_RSRC2:USER_SGPR: 6
; COMPUTE_PGM_RSRC2:TRAP_HANDLER: 0
; COMPUTE_PGM_RSRC2:TGID_X_EN: 1
; COMPUTE_PGM_RSRC2:TGID_Y_EN: 0
; COMPUTE_PGM_RSRC2:TGID_Z_EN: 0
; COMPUTE_PGM_RSRC2:TIDIG_COMP_CNT: 0
; COMPUTE_PGM_RSRC3_GFX90A:ACCUM_OFFSET: 6
; COMPUTE_PGM_RSRC3_GFX90A:TG_SPLIT: 0
	.section	.text._ZN2at6native12_GLOBAL__N_122cunn_SoftMaxForwardRegIN3c104HalfEfS4_NS1_25LogSoftMaxForwardEpilogueElLi8EEEvPT1_PKT_T3_,"axG",@progbits,_ZN2at6native12_GLOBAL__N_122cunn_SoftMaxForwardRegIN3c104HalfEfS4_NS1_25LogSoftMaxForwardEpilogueElLi8EEEvPT1_PKT_T3_,comdat
	.globl	_ZN2at6native12_GLOBAL__N_122cunn_SoftMaxForwardRegIN3c104HalfEfS4_NS1_25LogSoftMaxForwardEpilogueElLi8EEEvPT1_PKT_T3_ ; -- Begin function _ZN2at6native12_GLOBAL__N_122cunn_SoftMaxForwardRegIN3c104HalfEfS4_NS1_25LogSoftMaxForwardEpilogueElLi8EEEvPT1_PKT_T3_
	.p2align	8
	.type	_ZN2at6native12_GLOBAL__N_122cunn_SoftMaxForwardRegIN3c104HalfEfS4_NS1_25LogSoftMaxForwardEpilogueElLi8EEEvPT1_PKT_T3_,@function
_ZN2at6native12_GLOBAL__N_122cunn_SoftMaxForwardRegIN3c104HalfEfS4_NS1_25LogSoftMaxForwardEpilogueElLi8EEEvPT1_PKT_T3_: ; @_ZN2at6native12_GLOBAL__N_122cunn_SoftMaxForwardRegIN3c104HalfEfS4_NS1_25LogSoftMaxForwardEpilogueElLi8EEEvPT1_PKT_T3_
; %bb.0:
	s_load_dwordx2 s[12:13], s[4:5], 0x10
	s_load_dwordx4 s[24:27], s[4:5], 0x0
	s_load_dword s2, s[4:5], 0x24
	v_mov_b32_e32 v3, 0
	v_mov_b32_e32 v1, v3
	s_waitcnt lgkmcnt(0)
	s_mul_i32 s0, s6, s13
	s_mul_hi_u32 s1, s6, s12
	s_add_i32 s1, s1, s0
	s_mul_i32 s0, s6, s12
	s_lshl_b64 s[28:29], s[0:1], 1
	s_add_u32 s14, s26, s28
	s_addc_u32 s15, s27, s29
	v_cmp_gt_i64_e32 vcc, s[12:13], v[0:1]
	v_mov_b32_e32 v10, 0xff7fffff
	v_lshlrev_b32_e32 v1, 1, v0
                                        ; implicit-def: $vgpr24
	s_and_saveexec_b64 s[0:1], vcc
	s_cbranch_execz .LBB101_2
; %bb.1:
	global_load_ushort v24, v1, s[14:15]
	s_waitcnt vmcnt(0)
	v_cvt_f32_f16_e32 v2, v24
	v_max_f32_e32 v10, 0xff7fffff, v2
.LBB101_2:
	s_or_b64 exec, exec, s[0:1]
	s_and_b32 s20, 0xffff, s2
	v_add_u32_e32 v2, s20, v0
	v_cmp_gt_i64_e64 s[0:1], s[12:13], v[2:3]
	v_lshlrev_b32_e32 v4, 1, v2
                                        ; implicit-def: $vgpr20
	s_and_saveexec_b64 s[2:3], s[0:1]
	s_cbranch_execz .LBB101_4
; %bb.3:
	global_load_ushort v20, v4, s[14:15]
	v_max_f32_e32 v5, v10, v10
	s_waitcnt vmcnt(0)
	v_cvt_f32_f16_e32 v3, v20
	v_max_f32_e32 v10, v5, v3
.LBB101_4:
	s_or_b64 exec, exec, s[2:3]
	v_add_u32_e32 v2, s20, v2
	v_mov_b32_e32 v3, 0
	v_cmp_gt_i64_e64 s[2:3], s[12:13], v[2:3]
	v_lshlrev_b32_e32 v5, 1, v2
                                        ; implicit-def: $vgpr23
	s_and_saveexec_b64 s[4:5], s[2:3]
	s_cbranch_execz .LBB101_6
; %bb.5:
	global_load_ushort v23, v5, s[14:15]
	v_max_f32_e32 v7, v10, v10
	s_waitcnt vmcnt(0)
	v_cvt_f32_f16_e32 v6, v23
	v_max_f32_e32 v10, v7, v6
.LBB101_6:
	s_or_b64 exec, exec, s[4:5]
	v_add_u32_e32 v2, s20, v2
	v_cmp_gt_i64_e64 s[4:5], s[12:13], v[2:3]
	v_lshlrev_b32_e32 v6, 1, v2
                                        ; implicit-def: $vgpr22
	s_and_saveexec_b64 s[6:7], s[4:5]
	s_cbranch_execz .LBB101_8
; %bb.7:
	global_load_ushort v22, v6, s[14:15]
	v_max_f32_e32 v7, v10, v10
	s_waitcnt vmcnt(0)
	v_cvt_f32_f16_e32 v3, v22
	v_max_f32_e32 v10, v7, v3
.LBB101_8:
	s_or_b64 exec, exec, s[6:7]
	v_add_u32_e32 v2, s20, v2
	v_mov_b32_e32 v3, 0
	v_cmp_gt_i64_e64 s[6:7], s[12:13], v[2:3]
	v_lshlrev_b32_e32 v7, 1, v2
                                        ; implicit-def: $vgpr21
	s_and_saveexec_b64 s[8:9], s[6:7]
	s_cbranch_execz .LBB101_10
; %bb.9:
	global_load_ushort v21, v7, s[14:15]
	v_max_f32_e32 v9, v10, v10
	s_waitcnt vmcnt(0)
	v_cvt_f32_f16_e32 v8, v21
	v_max_f32_e32 v10, v9, v8
.LBB101_10:
	s_or_b64 exec, exec, s[8:9]
	v_add_u32_e32 v2, s20, v2
	v_cmp_gt_i64_e64 s[8:9], s[12:13], v[2:3]
	v_lshlrev_b32_e32 v8, 1, v2
                                        ; implicit-def: $vgpr18
	s_and_saveexec_b64 s[10:11], s[8:9]
	s_cbranch_execz .LBB101_12
; %bb.11:
	global_load_ushort v18, v8, s[14:15]
	v_max_f32_e32 v9, v10, v10
	s_waitcnt vmcnt(0)
	v_cvt_f32_f16_e32 v3, v18
	v_max_f32_e32 v10, v9, v3
.LBB101_12:
	s_or_b64 exec, exec, s[10:11]
	v_add_u32_e32 v2, s20, v2
	v_mov_b32_e32 v3, 0
	v_cmp_gt_i64_e64 s[10:11], s[12:13], v[2:3]
	v_lshlrev_b32_e32 v9, 1, v2
                                        ; implicit-def: $vgpr16
	s_and_saveexec_b64 s[16:17], s[10:11]
	s_cbranch_execz .LBB101_14
; %bb.13:
	global_load_ushort v16, v9, s[14:15]
	v_max_f32_e32 v10, v10, v10
	s_waitcnt vmcnt(0)
	v_cvt_f32_f16_e32 v11, v16
	v_max_f32_e32 v10, v10, v11
.LBB101_14:
	s_or_b64 exec, exec, s[16:17]
	v_add_u32_e32 v2, s20, v2
	v_cmp_gt_i64_e64 s[12:13], s[12:13], v[2:3]
	v_lshlrev_b32_e32 v2, 1, v2
                                        ; implicit-def: $vgpr15
	s_and_saveexec_b64 s[16:17], s[12:13]
	s_cbranch_execz .LBB101_16
; %bb.15:
	global_load_ushort v15, v2, s[14:15]
	v_max_f32_e32 v10, v10, v10
	s_waitcnt vmcnt(0)
	v_cvt_f32_f16_e32 v3, v15
	v_max_f32_e32 v10, v10, v3
.LBB101_16:
	s_or_b64 exec, exec, s[16:17]
	v_mbcnt_lo_u32_b32 v3, -1, 0
	v_mbcnt_hi_u32_b32 v14, -1, v3
	v_and_b32_e32 v17, 63, v14
	v_cmp_gt_u32_e64 s[14:15], 32, v17
	v_cndmask_b32_e64 v3, 0, 1, s[14:15]
	v_lshlrev_b32_e32 v3, 5, v3
	v_add_lshl_u32 v3, v3, v14, 2
	ds_bpermute_b32 v11, v3, v10
	v_cmp_gt_u32_e64 s[14:15], 48, v17
	v_cndmask_b32_e64 v12, 0, 1, s[14:15]
	s_waitcnt lgkmcnt(0)
	s_barrier
	v_cmp_lt_f32_e64 s[14:15], v10, v11
	v_cndmask_b32_e64 v11, v10, v11, s[14:15]
	v_lshlrev_b32_e32 v10, 4, v12
	v_add_lshl_u32 v10, v10, v14, 2
	ds_bpermute_b32 v12, v10, v11
	s_waitcnt lgkmcnt(0)
	v_cmp_lt_f32_e64 s[14:15], v11, v12
	v_cndmask_b32_e64 v12, v11, v12, s[14:15]
	v_cmp_gt_u32_e64 s[14:15], 56, v17
	v_cndmask_b32_e64 v11, 0, 1, s[14:15]
	v_lshlrev_b32_e32 v11, 3, v11
	v_add_lshl_u32 v11, v11, v14, 2
	ds_bpermute_b32 v13, v11, v12
	s_waitcnt lgkmcnt(0)
	v_cmp_lt_f32_e64 s[14:15], v12, v13
	v_cndmask_b32_e64 v13, v12, v13, s[14:15]
	v_cmp_gt_u32_e64 s[14:15], 60, v17
	;; [unrolled: 8-line block ×3, first 2 shown]
	v_cndmask_b32_e64 v13, 0, 1, s[14:15]
	v_lshlrev_b32_e32 v13, 1, v13
	v_add_lshl_u32 v13, v13, v14, 2
	ds_bpermute_b32 v26, v13, v25
	v_and_b32_e32 v19, 63, v0
	s_waitcnt lgkmcnt(0)
	v_cmp_lt_f32_e64 s[14:15], v25, v26
	v_cndmask_b32_e64 v25, v25, v26, s[14:15]
	v_cmp_ne_u32_e64 s[14:15], 63, v17
	v_addc_co_u32_e64 v14, s[14:15], 0, v14, s[14:15]
	v_lshlrev_b32_e32 v14, 2, v14
	ds_bpermute_b32 v26, v14, v25
	v_cmp_eq_u32_e64 s[14:15], 0, v19
	v_lshrrev_b32_e32 v17, 4, v0
	s_and_saveexec_b64 s[16:17], s[14:15]
	s_xor_b64 s[18:19], exec, s[16:17]
	s_cbranch_execz .LBB101_18
; %bb.17:
	s_waitcnt lgkmcnt(0)
	v_cmp_lt_f32_e64 s[16:17], v25, v26
	v_add_u32_e32 v27, 0, v17
	v_cndmask_b32_e64 v25, v25, v26, s[16:17]
	ds_write_b32 v27, v25
.LBB101_18:
	s_or_b64 exec, exec, s[18:19]
	s_lshr_b32 s16, s20, 6
	v_cmp_gt_u32_e64 s[16:17], s16, v0
	v_mov_b32_e32 v25, 0xff7fffff
	v_lshl_add_u32 v19, v19, 2, 0
	s_waitcnt lgkmcnt(0)
	s_barrier
	s_and_saveexec_b64 s[18:19], s[16:17]
	s_cbranch_execnz .LBB101_53
; %bb.19:
	s_or_b64 exec, exec, s[18:19]
	v_cmp_gt_u32_e64 s[18:19], 64, v0
	s_and_saveexec_b64 s[22:23], s[18:19]
	s_cbranch_execnz .LBB101_54
.LBB101_20:
	s_or_b64 exec, exec, s[22:23]
	v_cmp_eq_u32_e64 s[20:21], 0, v0
	s_and_saveexec_b64 s[22:23], s[20:21]
	s_cbranch_execz .LBB101_22
.LBB101_21:
	v_mov_b32_e32 v0, 0
	s_waitcnt lgkmcnt(0)
	ds_write_b32 v0, v25
.LBB101_22:
	s_or_b64 exec, exec, s[22:23]
	s_waitcnt lgkmcnt(0)
	v_mov_b32_e32 v25, 0
	s_barrier
	ds_read_b32 v26, v25
	v_cvt_f32_f16_e32 v0, v24
	s_waitcnt lgkmcnt(0)
	v_sub_f32_e32 v0, v0, v26
	s_and_saveexec_b64 s[26:27], vcc
	s_cbranch_execz .LBB101_24
; %bb.23:
	s_mov_b32 s22, 0x3fb8aa3b
	v_mul_f32_e32 v24, 0x3fb8aa3b, v0
	v_fma_f32 v25, v0, s22, -v24
	v_rndne_f32_e32 v27, v24
	v_fmac_f32_e32 v25, 0x32a5705f, v0
	v_sub_f32_e32 v24, v24, v27
	v_add_f32_e32 v24, v24, v25
	v_exp_f32_e32 v24, v24
	v_cvt_i32_f32_e32 v25, v27
	s_mov_b32 s22, 0xc2ce8ed0
	v_cmp_ngt_f32_e64 s[22:23], s22, v0
	v_ldexp_f32 v24, v24, v25
	v_cndmask_b32_e64 v24, 0, v24, s[22:23]
	s_mov_b32 s22, 0x42b17218
	v_mov_b32_e32 v25, 0x7f800000
	v_cmp_nlt_f32_e64 s[22:23], s22, v0
	v_cndmask_b32_e64 v25, v25, v24, s[22:23]
.LBB101_24:
	s_or_b64 exec, exec, s[26:27]
	v_cvt_f32_f16_e32 v20, v20
	v_sub_f32_e32 v20, v20, v26
	s_and_saveexec_b64 s[26:27], s[0:1]
	s_cbranch_execz .LBB101_26
; %bb.25:
	s_mov_b32 s22, 0x3fb8aa3b
	v_mul_f32_e32 v24, 0x3fb8aa3b, v20
	v_fma_f32 v27, v20, s22, -v24
	v_rndne_f32_e32 v28, v24
	v_fmac_f32_e32 v27, 0x32a5705f, v20
	v_sub_f32_e32 v24, v24, v28
	v_add_f32_e32 v24, v24, v27
	v_exp_f32_e32 v24, v24
	v_cvt_i32_f32_e32 v27, v28
	s_mov_b32 s22, 0xc2ce8ed0
	v_cmp_ngt_f32_e64 s[22:23], s22, v20
	v_ldexp_f32 v24, v24, v27
	v_cndmask_b32_e64 v24, 0, v24, s[22:23]
	s_mov_b32 s22, 0x42b17218
	v_mov_b32_e32 v27, 0x7f800000
	v_cmp_nlt_f32_e64 s[22:23], s22, v20
	v_cndmask_b32_e64 v24, v27, v24, s[22:23]
	v_add_f32_e32 v25, v25, v24
.LBB101_26:
	s_or_b64 exec, exec, s[26:27]
	v_cvt_f32_f16_e32 v23, v23
	v_sub_f32_e32 v23, v23, v26
	s_and_saveexec_b64 s[26:27], s[2:3]
	s_cbranch_execz .LBB101_28
; %bb.27:
	s_mov_b32 s22, 0x3fb8aa3b
	v_mul_f32_e32 v24, 0x3fb8aa3b, v23
	v_fma_f32 v27, v23, s22, -v24
	v_rndne_f32_e32 v28, v24
	v_fmac_f32_e32 v27, 0x32a5705f, v23
	v_sub_f32_e32 v24, v24, v28
	v_add_f32_e32 v24, v24, v27
	v_exp_f32_e32 v24, v24
	v_cvt_i32_f32_e32 v27, v28
	s_mov_b32 s22, 0xc2ce8ed0
	v_cmp_ngt_f32_e64 s[22:23], s22, v23
	v_ldexp_f32 v24, v24, v27
	v_cndmask_b32_e64 v24, 0, v24, s[22:23]
	s_mov_b32 s22, 0x42b17218
	v_mov_b32_e32 v27, 0x7f800000
	v_cmp_nlt_f32_e64 s[22:23], s22, v23
	v_cndmask_b32_e64 v24, v27, v24, s[22:23]
	v_add_f32_e32 v25, v25, v24
.LBB101_28:
	;; [unrolled: 25-line block ×7, first 2 shown]
	s_or_b64 exec, exec, s[26:27]
	ds_bpermute_b32 v24, v3, v25
	s_waitcnt lgkmcnt(0)
	s_barrier
	v_add_f32_e32 v24, v25, v24
	ds_bpermute_b32 v25, v10, v24
	s_waitcnt lgkmcnt(0)
	v_add_f32_e32 v24, v24, v25
	ds_bpermute_b32 v25, v11, v24
	s_waitcnt lgkmcnt(0)
	;; [unrolled: 3-line block ×4, first 2 shown]
	v_add_f32_e32 v24, v24, v25
	ds_bpermute_b32 v25, v14, v24
	s_and_saveexec_b64 s[22:23], s[14:15]
	s_xor_b64 s[14:15], exec, s[22:23]
	s_cbranch_execz .LBB101_40
; %bb.39:
	v_add_u32_e32 v17, 0, v17
	s_waitcnt lgkmcnt(0)
	v_add_f32_e32 v24, v24, v25
	ds_write_b32 v17, v24
.LBB101_40:
	s_or_b64 exec, exec, s[14:15]
	v_mov_b32_e32 v17, 0
	s_waitcnt lgkmcnt(0)
	s_barrier
	s_and_saveexec_b64 s[14:15], s[16:17]
	s_cbranch_execnz .LBB101_55
; %bb.41:
	s_or_b64 exec, exec, s[14:15]
	s_and_saveexec_b64 s[14:15], s[18:19]
	s_cbranch_execnz .LBB101_56
.LBB101_42:
	s_or_b64 exec, exec, s[14:15]
	s_and_saveexec_b64 s[14:15], s[20:21]
	s_cbranch_execz .LBB101_44
.LBB101_43:
	v_mov_b32_e32 v3, 0
	s_waitcnt lgkmcnt(0)
	ds_write_b32 v3, v17
.LBB101_44:
	s_or_b64 exec, exec, s[14:15]
	v_mov_b32_e32 v3, 0
	s_waitcnt lgkmcnt(0)
	s_barrier
	ds_read_b32 v3, v3
	s_mov_b32 s14, 0x800000
	v_mov_b32_e32 v10, 0x4f800000
	s_mov_b32 s16, 0x3f317217
	s_add_u32 s18, s24, s28
	s_waitcnt lgkmcnt(0)
	v_cmp_gt_f32_e64 s[14:15], s14, v3
	v_cndmask_b32_e64 v10, 1.0, v10, s[14:15]
	v_mul_f32_e32 v3, v3, v10
	v_log_f32_e32 v3, v3
	s_addc_u32 s19, s25, s29
	v_mul_f32_e32 v10, 0x3f317217, v3
	v_fma_f32 v11, v3, s16, -v10
	v_fmac_f32_e32 v11, 0x3377d1cf, v3
	s_mov_b32 s16, 0x7f800000
	v_add_f32_e32 v10, v10, v11
	v_cmp_lt_f32_e64 s[16:17], |v3|, s16
	v_cndmask_b32_e64 v3, v3, v10, s[16:17]
	v_mov_b32_e32 v10, 0x41b17218
	v_cndmask_b32_e64 v10, 0, v10, s[14:15]
	v_sub_f32_e32 v3, v3, v10
	s_and_saveexec_b64 s[14:15], vcc
	s_cbranch_execnz .LBB101_57
; %bb.45:
	s_or_b64 exec, exec, s[14:15]
	s_and_saveexec_b64 s[14:15], s[0:1]
	s_cbranch_execnz .LBB101_58
.LBB101_46:
	s_or_b64 exec, exec, s[14:15]
	s_and_saveexec_b64 s[0:1], s[2:3]
	s_cbranch_execnz .LBB101_59
.LBB101_47:
	s_or_b64 exec, exec, s[0:1]
	s_and_saveexec_b64 s[0:1], s[4:5]
	s_cbranch_execnz .LBB101_60
.LBB101_48:
	s_or_b64 exec, exec, s[0:1]
	s_and_saveexec_b64 s[0:1], s[6:7]
	s_cbranch_execnz .LBB101_61
.LBB101_49:
	s_or_b64 exec, exec, s[0:1]
	s_and_saveexec_b64 s[0:1], s[8:9]
	s_cbranch_execnz .LBB101_62
.LBB101_50:
	s_or_b64 exec, exec, s[0:1]
	s_and_saveexec_b64 s[0:1], s[10:11]
	s_cbranch_execnz .LBB101_63
.LBB101_51:
	s_or_b64 exec, exec, s[0:1]
	s_and_saveexec_b64 s[0:1], s[12:13]
	s_cbranch_execnz .LBB101_64
.LBB101_52:
	s_endpgm
.LBB101_53:
	ds_read_b32 v25, v19
	s_or_b64 exec, exec, s[18:19]
	v_cmp_gt_u32_e64 s[18:19], 64, v0
	s_and_saveexec_b64 s[22:23], s[18:19]
	s_cbranch_execz .LBB101_20
.LBB101_54:
	s_waitcnt lgkmcnt(0)
	ds_bpermute_b32 v26, v3, v25
	s_waitcnt lgkmcnt(0)
	v_cmp_lt_f32_e64 s[20:21], v25, v26
	v_cndmask_b32_e64 v25, v25, v26, s[20:21]
	ds_bpermute_b32 v26, v10, v25
	s_waitcnt lgkmcnt(0)
	v_cmp_lt_f32_e64 s[20:21], v25, v26
	v_cndmask_b32_e64 v25, v25, v26, s[20:21]
	;; [unrolled: 4-line block ×6, first 2 shown]
	s_or_b64 exec, exec, s[22:23]
	v_cmp_eq_u32_e64 s[20:21], 0, v0
	s_and_saveexec_b64 s[22:23], s[20:21]
	s_cbranch_execnz .LBB101_21
	s_branch .LBB101_22
.LBB101_55:
	ds_read_b32 v17, v19
	s_or_b64 exec, exec, s[14:15]
	s_and_saveexec_b64 s[14:15], s[18:19]
	s_cbranch_execz .LBB101_42
.LBB101_56:
	s_waitcnt lgkmcnt(0)
	ds_bpermute_b32 v3, v3, v17
	s_waitcnt lgkmcnt(0)
	v_add_f32_e32 v3, v17, v3
	ds_bpermute_b32 v10, v10, v3
	s_waitcnt lgkmcnt(0)
	v_add_f32_e32 v3, v3, v10
	;; [unrolled: 3-line block ×6, first 2 shown]
	s_or_b64 exec, exec, s[14:15]
	s_and_saveexec_b64 s[14:15], s[20:21]
	s_cbranch_execnz .LBB101_43
	s_branch .LBB101_44
.LBB101_57:
	v_sub_f32_e32 v0, v0, v3
	v_cvt_f16_f32_e32 v0, v0
	global_store_short v1, v0, s[18:19]
	s_or_b64 exec, exec, s[14:15]
	s_and_saveexec_b64 s[14:15], s[0:1]
	s_cbranch_execz .LBB101_46
.LBB101_58:
	v_sub_f32_e32 v0, v20, v3
	v_cvt_f16_f32_e32 v0, v0
	global_store_short v4, v0, s[18:19]
	s_or_b64 exec, exec, s[14:15]
	s_and_saveexec_b64 s[0:1], s[2:3]
	s_cbranch_execz .LBB101_47
.LBB101_59:
	v_sub_f32_e32 v0, v23, v3
	v_cvt_f16_f32_e32 v0, v0
	global_store_short v5, v0, s[18:19]
	s_or_b64 exec, exec, s[0:1]
	s_and_saveexec_b64 s[0:1], s[4:5]
	s_cbranch_execz .LBB101_48
.LBB101_60:
	v_sub_f32_e32 v0, v22, v3
	v_cvt_f16_f32_e32 v0, v0
	global_store_short v6, v0, s[18:19]
	s_or_b64 exec, exec, s[0:1]
	s_and_saveexec_b64 s[0:1], s[6:7]
	s_cbranch_execz .LBB101_49
.LBB101_61:
	v_sub_f32_e32 v0, v21, v3
	v_cvt_f16_f32_e32 v0, v0
	global_store_short v7, v0, s[18:19]
	s_or_b64 exec, exec, s[0:1]
	s_and_saveexec_b64 s[0:1], s[8:9]
	s_cbranch_execz .LBB101_50
.LBB101_62:
	v_sub_f32_e32 v0, v18, v3
	v_cvt_f16_f32_e32 v0, v0
	global_store_short v8, v0, s[18:19]
	s_or_b64 exec, exec, s[0:1]
	s_and_saveexec_b64 s[0:1], s[10:11]
	s_cbranch_execz .LBB101_51
.LBB101_63:
	v_sub_f32_e32 v0, v16, v3
	v_cvt_f16_f32_e32 v0, v0
	global_store_short v9, v0, s[18:19]
	s_or_b64 exec, exec, s[0:1]
	s_and_saveexec_b64 s[0:1], s[12:13]
	s_cbranch_execz .LBB101_52
.LBB101_64:
	v_sub_f32_e32 v0, v15, v3
	v_cvt_f16_f32_e32 v0, v0
	global_store_short v2, v0, s[18:19]
	s_endpgm
	.section	.rodata,"a",@progbits
	.p2align	6, 0x0
	.amdhsa_kernel _ZN2at6native12_GLOBAL__N_122cunn_SoftMaxForwardRegIN3c104HalfEfS4_NS1_25LogSoftMaxForwardEpilogueElLi8EEEvPT1_PKT_T3_
		.amdhsa_group_segment_fixed_size 0
		.amdhsa_private_segment_fixed_size 0
		.amdhsa_kernarg_size 280
		.amdhsa_user_sgpr_count 6
		.amdhsa_user_sgpr_private_segment_buffer 1
		.amdhsa_user_sgpr_dispatch_ptr 0
		.amdhsa_user_sgpr_queue_ptr 0
		.amdhsa_user_sgpr_kernarg_segment_ptr 1
		.amdhsa_user_sgpr_dispatch_id 0
		.amdhsa_user_sgpr_flat_scratch_init 0
		.amdhsa_user_sgpr_kernarg_preload_length 0
		.amdhsa_user_sgpr_kernarg_preload_offset 0
		.amdhsa_user_sgpr_private_segment_size 0
		.amdhsa_uses_dynamic_stack 0
		.amdhsa_system_sgpr_private_segment_wavefront_offset 0
		.amdhsa_system_sgpr_workgroup_id_x 1
		.amdhsa_system_sgpr_workgroup_id_y 0
		.amdhsa_system_sgpr_workgroup_id_z 0
		.amdhsa_system_sgpr_workgroup_info 0
		.amdhsa_system_vgpr_workitem_id 0
		.amdhsa_next_free_vgpr 29
		.amdhsa_next_free_sgpr 30
		.amdhsa_accum_offset 32
		.amdhsa_reserve_vcc 1
		.amdhsa_reserve_flat_scratch 0
		.amdhsa_float_round_mode_32 0
		.amdhsa_float_round_mode_16_64 0
		.amdhsa_float_denorm_mode_32 3
		.amdhsa_float_denorm_mode_16_64 3
		.amdhsa_dx10_clamp 1
		.amdhsa_ieee_mode 1
		.amdhsa_fp16_overflow 0
		.amdhsa_tg_split 0
		.amdhsa_exception_fp_ieee_invalid_op 0
		.amdhsa_exception_fp_denorm_src 0
		.amdhsa_exception_fp_ieee_div_zero 0
		.amdhsa_exception_fp_ieee_overflow 0
		.amdhsa_exception_fp_ieee_underflow 0
		.amdhsa_exception_fp_ieee_inexact 0
		.amdhsa_exception_int_div_zero 0
	.end_amdhsa_kernel
	.section	.text._ZN2at6native12_GLOBAL__N_122cunn_SoftMaxForwardRegIN3c104HalfEfS4_NS1_25LogSoftMaxForwardEpilogueElLi8EEEvPT1_PKT_T3_,"axG",@progbits,_ZN2at6native12_GLOBAL__N_122cunn_SoftMaxForwardRegIN3c104HalfEfS4_NS1_25LogSoftMaxForwardEpilogueElLi8EEEvPT1_PKT_T3_,comdat
.Lfunc_end101:
	.size	_ZN2at6native12_GLOBAL__N_122cunn_SoftMaxForwardRegIN3c104HalfEfS4_NS1_25LogSoftMaxForwardEpilogueElLi8EEEvPT1_PKT_T3_, .Lfunc_end101-_ZN2at6native12_GLOBAL__N_122cunn_SoftMaxForwardRegIN3c104HalfEfS4_NS1_25LogSoftMaxForwardEpilogueElLi8EEEvPT1_PKT_T3_
                                        ; -- End function
	.section	.AMDGPU.csdata,"",@progbits
; Kernel info:
; codeLenInByte = 3156
; NumSgprs: 34
; NumVgprs: 29
; NumAgprs: 0
; TotalNumVgprs: 29
; ScratchSize: 0
; MemoryBound: 0
; FloatMode: 240
; IeeeMode: 1
; LDSByteSize: 0 bytes/workgroup (compile time only)
; SGPRBlocks: 4
; VGPRBlocks: 3
; NumSGPRsForWavesPerEU: 34
; NumVGPRsForWavesPerEU: 29
; AccumOffset: 32
; Occupancy: 8
; WaveLimiterHint : 0
; COMPUTE_PGM_RSRC2:SCRATCH_EN: 0
; COMPUTE_PGM_RSRC2:USER_SGPR: 6
; COMPUTE_PGM_RSRC2:TRAP_HANDLER: 0
; COMPUTE_PGM_RSRC2:TGID_X_EN: 1
; COMPUTE_PGM_RSRC2:TGID_Y_EN: 0
; COMPUTE_PGM_RSRC2:TGID_Z_EN: 0
; COMPUTE_PGM_RSRC2:TIDIG_COMP_CNT: 0
; COMPUTE_PGM_RSRC3_GFX90A:ACCUM_OFFSET: 7
; COMPUTE_PGM_RSRC3_GFX90A:TG_SPLIT: 0
	.section	.text._ZN2at6native12_GLOBAL__N_122cunn_SoftMaxForwardRegIN3c104HalfEfS4_NS1_25LogSoftMaxForwardEpilogueElLi9EEEvPT1_PKT_T3_,"axG",@progbits,_ZN2at6native12_GLOBAL__N_122cunn_SoftMaxForwardRegIN3c104HalfEfS4_NS1_25LogSoftMaxForwardEpilogueElLi9EEEvPT1_PKT_T3_,comdat
	.globl	_ZN2at6native12_GLOBAL__N_122cunn_SoftMaxForwardRegIN3c104HalfEfS4_NS1_25LogSoftMaxForwardEpilogueElLi9EEEvPT1_PKT_T3_ ; -- Begin function _ZN2at6native12_GLOBAL__N_122cunn_SoftMaxForwardRegIN3c104HalfEfS4_NS1_25LogSoftMaxForwardEpilogueElLi9EEEvPT1_PKT_T3_
	.p2align	8
	.type	_ZN2at6native12_GLOBAL__N_122cunn_SoftMaxForwardRegIN3c104HalfEfS4_NS1_25LogSoftMaxForwardEpilogueElLi9EEEvPT1_PKT_T3_,@function
_ZN2at6native12_GLOBAL__N_122cunn_SoftMaxForwardRegIN3c104HalfEfS4_NS1_25LogSoftMaxForwardEpilogueElLi9EEEvPT1_PKT_T3_: ; @_ZN2at6native12_GLOBAL__N_122cunn_SoftMaxForwardRegIN3c104HalfEfS4_NS1_25LogSoftMaxForwardEpilogueElLi9EEEvPT1_PKT_T3_
; %bb.0:
	s_load_dwordx2 s[14:15], s[4:5], 0x10
	s_load_dwordx4 s[28:31], s[4:5], 0x0
	s_load_dword s2, s[4:5], 0x24
	v_mov_b32_e32 v3, 0
	v_mov_b32_e32 v1, v3
	s_waitcnt lgkmcnt(0)
	s_mul_i32 s0, s6, s15
	s_mul_hi_u32 s1, s6, s14
	s_add_i32 s1, s1, s0
	s_mul_i32 s0, s6, s14
	s_lshl_b64 s[26:27], s[0:1], 1
	s_add_u32 s16, s30, s26
	s_addc_u32 s17, s31, s27
	v_cmp_gt_i64_e32 vcc, s[14:15], v[0:1]
	v_mov_b32_e32 v11, 0xff7fffff
	v_lshlrev_b32_e32 v1, 1, v0
                                        ; implicit-def: $vgpr26
	s_and_saveexec_b64 s[0:1], vcc
	s_cbranch_execz .LBB102_2
; %bb.1:
	global_load_ushort v26, v1, s[16:17]
	s_waitcnt vmcnt(0)
	v_cvt_f32_f16_e32 v2, v26
	v_max_f32_e32 v11, 0xff7fffff, v2
.LBB102_2:
	s_or_b64 exec, exec, s[0:1]
	s_and_b32 s22, 0xffff, s2
	v_add_u32_e32 v2, s22, v0
	v_cmp_gt_i64_e64 s[0:1], s[14:15], v[2:3]
	v_lshlrev_b32_e32 v4, 1, v2
                                        ; implicit-def: $vgpr21
	s_and_saveexec_b64 s[2:3], s[0:1]
	s_cbranch_execz .LBB102_4
; %bb.3:
	global_load_ushort v21, v4, s[16:17]
	v_max_f32_e32 v5, v11, v11
	s_waitcnt vmcnt(0)
	v_cvt_f32_f16_e32 v3, v21
	v_max_f32_e32 v11, v5, v3
.LBB102_4:
	s_or_b64 exec, exec, s[2:3]
	v_add_u32_e32 v2, s22, v2
	v_mov_b32_e32 v3, 0
	v_cmp_gt_i64_e64 s[2:3], s[14:15], v[2:3]
	v_lshlrev_b32_e32 v5, 1, v2
                                        ; implicit-def: $vgpr25
	s_and_saveexec_b64 s[4:5], s[2:3]
	s_cbranch_execz .LBB102_6
; %bb.5:
	global_load_ushort v25, v5, s[16:17]
	v_max_f32_e32 v7, v11, v11
	s_waitcnt vmcnt(0)
	v_cvt_f32_f16_e32 v6, v25
	v_max_f32_e32 v11, v7, v6
.LBB102_6:
	s_or_b64 exec, exec, s[4:5]
	v_add_u32_e32 v2, s22, v2
	v_cmp_gt_i64_e64 s[4:5], s[14:15], v[2:3]
	v_lshlrev_b32_e32 v6, 1, v2
                                        ; implicit-def: $vgpr24
	s_and_saveexec_b64 s[6:7], s[4:5]
	s_cbranch_execz .LBB102_8
; %bb.7:
	global_load_ushort v24, v6, s[16:17]
	v_max_f32_e32 v7, v11, v11
	s_waitcnt vmcnt(0)
	v_cvt_f32_f16_e32 v3, v24
	v_max_f32_e32 v11, v7, v3
.LBB102_8:
	s_or_b64 exec, exec, s[6:7]
	v_add_u32_e32 v2, s22, v2
	v_mov_b32_e32 v3, 0
	v_cmp_gt_i64_e64 s[6:7], s[14:15], v[2:3]
	v_lshlrev_b32_e32 v7, 1, v2
                                        ; implicit-def: $vgpr23
	s_and_saveexec_b64 s[8:9], s[6:7]
	s_cbranch_execz .LBB102_10
; %bb.9:
	global_load_ushort v23, v7, s[16:17]
	v_max_f32_e32 v9, v11, v11
	s_waitcnt vmcnt(0)
	v_cvt_f32_f16_e32 v8, v23
	v_max_f32_e32 v11, v9, v8
.LBB102_10:
	s_or_b64 exec, exec, s[8:9]
	v_add_u32_e32 v2, s22, v2
	v_cmp_gt_i64_e64 s[8:9], s[14:15], v[2:3]
	v_lshlrev_b32_e32 v8, 1, v2
                                        ; implicit-def: $vgpr22
	s_and_saveexec_b64 s[10:11], s[8:9]
	s_cbranch_execz .LBB102_12
; %bb.11:
	global_load_ushort v22, v8, s[16:17]
	v_max_f32_e32 v9, v11, v11
	s_waitcnt vmcnt(0)
	v_cvt_f32_f16_e32 v3, v22
	v_max_f32_e32 v11, v9, v3
.LBB102_12:
	s_or_b64 exec, exec, s[10:11]
	v_add_u32_e32 v2, s22, v2
	v_mov_b32_e32 v3, 0
	v_cmp_gt_i64_e64 s[10:11], s[14:15], v[2:3]
	v_lshlrev_b32_e32 v9, 1, v2
                                        ; implicit-def: $vgpr19
	s_and_saveexec_b64 s[12:13], s[10:11]
	s_cbranch_execz .LBB102_14
; %bb.13:
	global_load_ushort v19, v9, s[16:17]
	v_max_f32_e32 v11, v11, v11
	s_waitcnt vmcnt(0)
	v_cvt_f32_f16_e32 v10, v19
	v_max_f32_e32 v11, v11, v10
.LBB102_14:
	s_or_b64 exec, exec, s[12:13]
	v_add_u32_e32 v2, s22, v2
	v_cmp_gt_i64_e64 s[12:13], s[14:15], v[2:3]
	v_lshlrev_b32_e32 v3, 1, v2
                                        ; implicit-def: $vgpr17
	s_and_saveexec_b64 s[18:19], s[12:13]
	s_cbranch_execz .LBB102_16
; %bb.15:
	global_load_ushort v17, v3, s[16:17]
	v_max_f32_e32 v11, v11, v11
	s_waitcnt vmcnt(0)
	v_cvt_f32_f16_e32 v10, v17
	v_max_f32_e32 v11, v11, v10
.LBB102_16:
	s_or_b64 exec, exec, s[18:19]
	v_add_u32_e32 v12, s22, v2
	v_mov_b32_e32 v13, 0
	v_cmp_gt_i64_e64 s[14:15], s[14:15], v[12:13]
	v_lshlrev_b32_e32 v2, 1, v12
                                        ; implicit-def: $vgpr16
	s_and_saveexec_b64 s[18:19], s[14:15]
	s_cbranch_execz .LBB102_18
; %bb.17:
	global_load_ushort v16, v2, s[16:17]
	v_max_f32_e32 v11, v11, v11
	s_waitcnt vmcnt(0)
	v_cvt_f32_f16_e32 v10, v16
	v_max_f32_e32 v11, v11, v10
.LBB102_18:
	s_or_b64 exec, exec, s[18:19]
	v_mbcnt_lo_u32_b32 v10, -1, 0
	v_mbcnt_hi_u32_b32 v15, -1, v10
	v_and_b32_e32 v18, 63, v15
	v_cmp_gt_u32_e64 s[16:17], 32, v18
	v_cndmask_b32_e64 v10, 0, 1, s[16:17]
	v_lshlrev_b32_e32 v10, 5, v10
	v_add_lshl_u32 v10, v10, v15, 2
	ds_bpermute_b32 v12, v10, v11
	v_cmp_gt_u32_e64 s[16:17], 48, v18
	v_cndmask_b32_e64 v13, 0, 1, s[16:17]
	s_waitcnt lgkmcnt(0)
	s_barrier
	v_cmp_lt_f32_e64 s[16:17], v11, v12
	v_cndmask_b32_e64 v12, v11, v12, s[16:17]
	v_lshlrev_b32_e32 v11, 4, v13
	v_add_lshl_u32 v11, v11, v15, 2
	ds_bpermute_b32 v13, v11, v12
	s_waitcnt lgkmcnt(0)
	v_cmp_lt_f32_e64 s[16:17], v12, v13
	v_cndmask_b32_e64 v13, v12, v13, s[16:17]
	v_cmp_gt_u32_e64 s[16:17], 56, v18
	v_cndmask_b32_e64 v12, 0, 1, s[16:17]
	v_lshlrev_b32_e32 v12, 3, v12
	v_add_lshl_u32 v12, v12, v15, 2
	ds_bpermute_b32 v14, v12, v13
	s_waitcnt lgkmcnt(0)
	v_cmp_lt_f32_e64 s[16:17], v13, v14
	v_cndmask_b32_e64 v14, v13, v14, s[16:17]
	v_cmp_gt_u32_e64 s[16:17], 60, v18
	;; [unrolled: 8-line block ×3, first 2 shown]
	v_cndmask_b32_e64 v14, 0, 1, s[16:17]
	v_lshlrev_b32_e32 v14, 1, v14
	v_add_lshl_u32 v14, v14, v15, 2
	ds_bpermute_b32 v28, v14, v27
	v_and_b32_e32 v20, 63, v0
	s_waitcnt lgkmcnt(0)
	v_cmp_lt_f32_e64 s[16:17], v27, v28
	v_cndmask_b32_e64 v27, v27, v28, s[16:17]
	v_cmp_ne_u32_e64 s[16:17], 63, v18
	v_addc_co_u32_e64 v15, s[16:17], 0, v15, s[16:17]
	v_lshlrev_b32_e32 v15, 2, v15
	ds_bpermute_b32 v28, v15, v27
	v_cmp_eq_u32_e64 s[16:17], 0, v20
	v_lshrrev_b32_e32 v18, 4, v0
	s_and_saveexec_b64 s[18:19], s[16:17]
	s_xor_b64 s[20:21], exec, s[18:19]
	s_cbranch_execz .LBB102_20
; %bb.19:
	s_waitcnt lgkmcnt(0)
	v_cmp_lt_f32_e64 s[18:19], v27, v28
	v_add_u32_e32 v29, 0, v18
	v_cndmask_b32_e64 v27, v27, v28, s[18:19]
	ds_write_b32 v29, v27
.LBB102_20:
	s_or_b64 exec, exec, s[20:21]
	s_lshr_b32 s18, s22, 6
	v_cmp_gt_u32_e64 s[18:19], s18, v0
	v_mov_b32_e32 v27, 0xff7fffff
	v_lshl_add_u32 v20, v20, 2, 0
	s_waitcnt lgkmcnt(0)
	s_barrier
	s_and_saveexec_b64 s[20:21], s[18:19]
	s_cbranch_execnz .LBB102_58
; %bb.21:
	s_or_b64 exec, exec, s[20:21]
	v_cmp_gt_u32_e64 s[20:21], 64, v0
	s_and_saveexec_b64 s[24:25], s[20:21]
	s_cbranch_execnz .LBB102_59
.LBB102_22:
	s_or_b64 exec, exec, s[24:25]
	v_cmp_eq_u32_e64 s[22:23], 0, v0
	s_and_saveexec_b64 s[24:25], s[22:23]
	s_cbranch_execz .LBB102_24
.LBB102_23:
	v_mov_b32_e32 v0, 0
	s_waitcnt lgkmcnt(0)
	ds_write_b32 v0, v27
.LBB102_24:
	s_or_b64 exec, exec, s[24:25]
	s_waitcnt lgkmcnt(0)
	v_mov_b32_e32 v27, 0
	s_barrier
	ds_read_b32 v28, v27
	v_cvt_f32_f16_e32 v0, v26
	s_waitcnt lgkmcnt(0)
	v_sub_f32_e32 v0, v0, v28
	s_and_saveexec_b64 s[30:31], vcc
	s_cbranch_execz .LBB102_26
; %bb.25:
	s_mov_b32 s24, 0x3fb8aa3b
	v_mul_f32_e32 v26, 0x3fb8aa3b, v0
	v_fma_f32 v27, v0, s24, -v26
	v_rndne_f32_e32 v29, v26
	v_fmac_f32_e32 v27, 0x32a5705f, v0
	v_sub_f32_e32 v26, v26, v29
	v_add_f32_e32 v26, v26, v27
	v_exp_f32_e32 v26, v26
	v_cvt_i32_f32_e32 v27, v29
	s_mov_b32 s24, 0xc2ce8ed0
	v_cmp_ngt_f32_e64 s[24:25], s24, v0
	v_ldexp_f32 v26, v26, v27
	v_cndmask_b32_e64 v26, 0, v26, s[24:25]
	s_mov_b32 s24, 0x42b17218
	v_mov_b32_e32 v27, 0x7f800000
	v_cmp_nlt_f32_e64 s[24:25], s24, v0
	v_cndmask_b32_e64 v27, v27, v26, s[24:25]
.LBB102_26:
	s_or_b64 exec, exec, s[30:31]
	v_cvt_f32_f16_e32 v21, v21
	v_sub_f32_e32 v21, v21, v28
	s_and_saveexec_b64 s[30:31], s[0:1]
	s_cbranch_execz .LBB102_28
; %bb.27:
	s_mov_b32 s24, 0x3fb8aa3b
	v_mul_f32_e32 v26, 0x3fb8aa3b, v21
	v_fma_f32 v29, v21, s24, -v26
	v_rndne_f32_e32 v30, v26
	v_fmac_f32_e32 v29, 0x32a5705f, v21
	v_sub_f32_e32 v26, v26, v30
	v_add_f32_e32 v26, v26, v29
	v_exp_f32_e32 v26, v26
	v_cvt_i32_f32_e32 v29, v30
	s_mov_b32 s24, 0xc2ce8ed0
	v_cmp_ngt_f32_e64 s[24:25], s24, v21
	v_ldexp_f32 v26, v26, v29
	v_cndmask_b32_e64 v26, 0, v26, s[24:25]
	s_mov_b32 s24, 0x42b17218
	v_mov_b32_e32 v29, 0x7f800000
	v_cmp_nlt_f32_e64 s[24:25], s24, v21
	v_cndmask_b32_e64 v26, v29, v26, s[24:25]
	v_add_f32_e32 v27, v27, v26
.LBB102_28:
	s_or_b64 exec, exec, s[30:31]
	v_cvt_f32_f16_e32 v25, v25
	v_sub_f32_e32 v25, v25, v28
	s_and_saveexec_b64 s[30:31], s[2:3]
	s_cbranch_execz .LBB102_30
; %bb.29:
	s_mov_b32 s24, 0x3fb8aa3b
	v_mul_f32_e32 v26, 0x3fb8aa3b, v25
	v_fma_f32 v29, v25, s24, -v26
	v_rndne_f32_e32 v30, v26
	v_fmac_f32_e32 v29, 0x32a5705f, v25
	v_sub_f32_e32 v26, v26, v30
	v_add_f32_e32 v26, v26, v29
	v_exp_f32_e32 v26, v26
	v_cvt_i32_f32_e32 v29, v30
	s_mov_b32 s24, 0xc2ce8ed0
	v_cmp_ngt_f32_e64 s[24:25], s24, v25
	v_ldexp_f32 v26, v26, v29
	v_cndmask_b32_e64 v26, 0, v26, s[24:25]
	s_mov_b32 s24, 0x42b17218
	v_mov_b32_e32 v29, 0x7f800000
	v_cmp_nlt_f32_e64 s[24:25], s24, v25
	v_cndmask_b32_e64 v26, v29, v26, s[24:25]
	v_add_f32_e32 v27, v27, v26
.LBB102_30:
	;; [unrolled: 25-line block ×8, first 2 shown]
	s_or_b64 exec, exec, s[30:31]
	ds_bpermute_b32 v26, v10, v27
	s_waitcnt lgkmcnt(0)
	s_barrier
	v_add_f32_e32 v26, v27, v26
	ds_bpermute_b32 v27, v11, v26
	s_waitcnt lgkmcnt(0)
	v_add_f32_e32 v26, v26, v27
	ds_bpermute_b32 v27, v12, v26
	s_waitcnt lgkmcnt(0)
	;; [unrolled: 3-line block ×4, first 2 shown]
	v_add_f32_e32 v26, v26, v27
	ds_bpermute_b32 v27, v15, v26
	s_and_saveexec_b64 s[24:25], s[16:17]
	s_xor_b64 s[16:17], exec, s[24:25]
	s_cbranch_execz .LBB102_44
; %bb.43:
	v_add_u32_e32 v18, 0, v18
	s_waitcnt lgkmcnt(0)
	v_add_f32_e32 v26, v26, v27
	ds_write_b32 v18, v26
.LBB102_44:
	s_or_b64 exec, exec, s[16:17]
	v_mov_b32_e32 v18, 0
	s_waitcnt lgkmcnt(0)
	s_barrier
	s_and_saveexec_b64 s[16:17], s[18:19]
	s_cbranch_execnz .LBB102_60
; %bb.45:
	s_or_b64 exec, exec, s[16:17]
	s_and_saveexec_b64 s[16:17], s[20:21]
	s_cbranch_execnz .LBB102_61
.LBB102_46:
	s_or_b64 exec, exec, s[16:17]
	s_and_saveexec_b64 s[16:17], s[22:23]
	s_cbranch_execz .LBB102_48
.LBB102_47:
	v_mov_b32_e32 v10, 0
	s_waitcnt lgkmcnt(0)
	ds_write_b32 v10, v18
.LBB102_48:
	s_or_b64 exec, exec, s[16:17]
	v_mov_b32_e32 v10, 0
	s_waitcnt lgkmcnt(0)
	s_barrier
	ds_read_b32 v10, v10
	s_mov_b32 s16, 0x800000
	v_mov_b32_e32 v11, 0x4f800000
	s_mov_b32 s18, 0x3f317217
	s_add_u32 s20, s28, s26
	s_waitcnt lgkmcnt(0)
	v_cmp_gt_f32_e64 s[16:17], s16, v10
	v_cndmask_b32_e64 v11, 1.0, v11, s[16:17]
	v_mul_f32_e32 v10, v10, v11
	v_log_f32_e32 v10, v10
	s_addc_u32 s21, s29, s27
	v_mul_f32_e32 v11, 0x3f317217, v10
	v_fma_f32 v12, v10, s18, -v11
	v_fmac_f32_e32 v12, 0x3377d1cf, v10
	s_mov_b32 s18, 0x7f800000
	v_add_f32_e32 v11, v11, v12
	v_cmp_lt_f32_e64 s[18:19], |v10|, s18
	v_cndmask_b32_e64 v10, v10, v11, s[18:19]
	v_mov_b32_e32 v11, 0x41b17218
	v_cndmask_b32_e64 v11, 0, v11, s[16:17]
	v_sub_f32_e32 v10, v10, v11
	s_and_saveexec_b64 s[16:17], vcc
	s_cbranch_execnz .LBB102_62
; %bb.49:
	s_or_b64 exec, exec, s[16:17]
	s_and_saveexec_b64 s[16:17], s[0:1]
	s_cbranch_execnz .LBB102_63
.LBB102_50:
	s_or_b64 exec, exec, s[16:17]
	s_and_saveexec_b64 s[0:1], s[2:3]
	s_cbranch_execnz .LBB102_64
.LBB102_51:
	s_or_b64 exec, exec, s[0:1]
	s_and_saveexec_b64 s[0:1], s[4:5]
	s_cbranch_execnz .LBB102_65
.LBB102_52:
	s_or_b64 exec, exec, s[0:1]
	s_and_saveexec_b64 s[0:1], s[6:7]
	s_cbranch_execnz .LBB102_66
.LBB102_53:
	s_or_b64 exec, exec, s[0:1]
	s_and_saveexec_b64 s[0:1], s[8:9]
	s_cbranch_execnz .LBB102_67
.LBB102_54:
	s_or_b64 exec, exec, s[0:1]
	s_and_saveexec_b64 s[0:1], s[10:11]
	s_cbranch_execnz .LBB102_68
.LBB102_55:
	s_or_b64 exec, exec, s[0:1]
	s_and_saveexec_b64 s[0:1], s[12:13]
	s_cbranch_execnz .LBB102_69
.LBB102_56:
	s_or_b64 exec, exec, s[0:1]
	s_and_saveexec_b64 s[0:1], s[14:15]
	s_cbranch_execnz .LBB102_70
.LBB102_57:
	s_endpgm
.LBB102_58:
	ds_read_b32 v27, v20
	s_or_b64 exec, exec, s[20:21]
	v_cmp_gt_u32_e64 s[20:21], 64, v0
	s_and_saveexec_b64 s[24:25], s[20:21]
	s_cbranch_execz .LBB102_22
.LBB102_59:
	s_waitcnt lgkmcnt(0)
	ds_bpermute_b32 v28, v10, v27
	s_waitcnt lgkmcnt(0)
	v_cmp_lt_f32_e64 s[22:23], v27, v28
	v_cndmask_b32_e64 v27, v27, v28, s[22:23]
	ds_bpermute_b32 v28, v11, v27
	s_waitcnt lgkmcnt(0)
	v_cmp_lt_f32_e64 s[22:23], v27, v28
	v_cndmask_b32_e64 v27, v27, v28, s[22:23]
	;; [unrolled: 4-line block ×6, first 2 shown]
	s_or_b64 exec, exec, s[24:25]
	v_cmp_eq_u32_e64 s[22:23], 0, v0
	s_and_saveexec_b64 s[24:25], s[22:23]
	s_cbranch_execnz .LBB102_23
	s_branch .LBB102_24
.LBB102_60:
	ds_read_b32 v18, v20
	s_or_b64 exec, exec, s[16:17]
	s_and_saveexec_b64 s[16:17], s[20:21]
	s_cbranch_execz .LBB102_46
.LBB102_61:
	s_waitcnt lgkmcnt(0)
	ds_bpermute_b32 v10, v10, v18
	s_waitcnt lgkmcnt(0)
	v_add_f32_e32 v10, v18, v10
	ds_bpermute_b32 v11, v11, v10
	s_waitcnt lgkmcnt(0)
	v_add_f32_e32 v10, v10, v11
	ds_bpermute_b32 v11, v12, v10
	s_waitcnt lgkmcnt(0)
	v_add_f32_e32 v10, v10, v11
	ds_bpermute_b32 v11, v13, v10
	s_waitcnt lgkmcnt(0)
	v_add_f32_e32 v10, v10, v11
	ds_bpermute_b32 v11, v14, v10
	s_waitcnt lgkmcnt(0)
	v_add_f32_e32 v10, v10, v11
	ds_bpermute_b32 v11, v15, v10
	s_waitcnt lgkmcnt(0)
	v_add_f32_e32 v18, v10, v11
	s_or_b64 exec, exec, s[16:17]
	s_and_saveexec_b64 s[16:17], s[22:23]
	s_cbranch_execnz .LBB102_47
	s_branch .LBB102_48
.LBB102_62:
	v_sub_f32_e32 v0, v0, v10
	v_cvt_f16_f32_e32 v0, v0
	global_store_short v1, v0, s[20:21]
	s_or_b64 exec, exec, s[16:17]
	s_and_saveexec_b64 s[16:17], s[0:1]
	s_cbranch_execz .LBB102_50
.LBB102_63:
	v_sub_f32_e32 v0, v21, v10
	v_cvt_f16_f32_e32 v0, v0
	global_store_short v4, v0, s[20:21]
	s_or_b64 exec, exec, s[16:17]
	s_and_saveexec_b64 s[0:1], s[2:3]
	s_cbranch_execz .LBB102_51
.LBB102_64:
	v_sub_f32_e32 v0, v25, v10
	v_cvt_f16_f32_e32 v0, v0
	global_store_short v5, v0, s[20:21]
	s_or_b64 exec, exec, s[0:1]
	s_and_saveexec_b64 s[0:1], s[4:5]
	s_cbranch_execz .LBB102_52
.LBB102_65:
	v_sub_f32_e32 v0, v24, v10
	v_cvt_f16_f32_e32 v0, v0
	global_store_short v6, v0, s[20:21]
	s_or_b64 exec, exec, s[0:1]
	s_and_saveexec_b64 s[0:1], s[6:7]
	s_cbranch_execz .LBB102_53
.LBB102_66:
	v_sub_f32_e32 v0, v23, v10
	v_cvt_f16_f32_e32 v0, v0
	global_store_short v7, v0, s[20:21]
	s_or_b64 exec, exec, s[0:1]
	s_and_saveexec_b64 s[0:1], s[8:9]
	s_cbranch_execz .LBB102_54
.LBB102_67:
	v_sub_f32_e32 v0, v22, v10
	v_cvt_f16_f32_e32 v0, v0
	global_store_short v8, v0, s[20:21]
	s_or_b64 exec, exec, s[0:1]
	s_and_saveexec_b64 s[0:1], s[10:11]
	s_cbranch_execz .LBB102_55
.LBB102_68:
	v_sub_f32_e32 v0, v19, v10
	v_cvt_f16_f32_e32 v0, v0
	global_store_short v9, v0, s[20:21]
	s_or_b64 exec, exec, s[0:1]
	s_and_saveexec_b64 s[0:1], s[12:13]
	s_cbranch_execz .LBB102_56
.LBB102_69:
	v_sub_f32_e32 v0, v17, v10
	v_cvt_f16_f32_e32 v0, v0
	global_store_short v3, v0, s[20:21]
	s_or_b64 exec, exec, s[0:1]
	s_and_saveexec_b64 s[0:1], s[14:15]
	s_cbranch_execz .LBB102_57
.LBB102_70:
	v_sub_f32_e32 v0, v16, v10
	v_cvt_f16_f32_e32 v0, v0
	global_store_short v2, v0, s[20:21]
	s_endpgm
	.section	.rodata,"a",@progbits
	.p2align	6, 0x0
	.amdhsa_kernel _ZN2at6native12_GLOBAL__N_122cunn_SoftMaxForwardRegIN3c104HalfEfS4_NS1_25LogSoftMaxForwardEpilogueElLi9EEEvPT1_PKT_T3_
		.amdhsa_group_segment_fixed_size 0
		.amdhsa_private_segment_fixed_size 0
		.amdhsa_kernarg_size 280
		.amdhsa_user_sgpr_count 6
		.amdhsa_user_sgpr_private_segment_buffer 1
		.amdhsa_user_sgpr_dispatch_ptr 0
		.amdhsa_user_sgpr_queue_ptr 0
		.amdhsa_user_sgpr_kernarg_segment_ptr 1
		.amdhsa_user_sgpr_dispatch_id 0
		.amdhsa_user_sgpr_flat_scratch_init 0
		.amdhsa_user_sgpr_kernarg_preload_length 0
		.amdhsa_user_sgpr_kernarg_preload_offset 0
		.amdhsa_user_sgpr_private_segment_size 0
		.amdhsa_uses_dynamic_stack 0
		.amdhsa_system_sgpr_private_segment_wavefront_offset 0
		.amdhsa_system_sgpr_workgroup_id_x 1
		.amdhsa_system_sgpr_workgroup_id_y 0
		.amdhsa_system_sgpr_workgroup_id_z 0
		.amdhsa_system_sgpr_workgroup_info 0
		.amdhsa_system_vgpr_workitem_id 0
		.amdhsa_next_free_vgpr 31
		.amdhsa_next_free_sgpr 32
		.amdhsa_accum_offset 32
		.amdhsa_reserve_vcc 1
		.amdhsa_reserve_flat_scratch 0
		.amdhsa_float_round_mode_32 0
		.amdhsa_float_round_mode_16_64 0
		.amdhsa_float_denorm_mode_32 3
		.amdhsa_float_denorm_mode_16_64 3
		.amdhsa_dx10_clamp 1
		.amdhsa_ieee_mode 1
		.amdhsa_fp16_overflow 0
		.amdhsa_tg_split 0
		.amdhsa_exception_fp_ieee_invalid_op 0
		.amdhsa_exception_fp_denorm_src 0
		.amdhsa_exception_fp_ieee_div_zero 0
		.amdhsa_exception_fp_ieee_overflow 0
		.amdhsa_exception_fp_ieee_underflow 0
		.amdhsa_exception_fp_ieee_inexact 0
		.amdhsa_exception_int_div_zero 0
	.end_amdhsa_kernel
	.section	.text._ZN2at6native12_GLOBAL__N_122cunn_SoftMaxForwardRegIN3c104HalfEfS4_NS1_25LogSoftMaxForwardEpilogueElLi9EEEvPT1_PKT_T3_,"axG",@progbits,_ZN2at6native12_GLOBAL__N_122cunn_SoftMaxForwardRegIN3c104HalfEfS4_NS1_25LogSoftMaxForwardEpilogueElLi9EEEvPT1_PKT_T3_,comdat
.Lfunc_end102:
	.size	_ZN2at6native12_GLOBAL__N_122cunn_SoftMaxForwardRegIN3c104HalfEfS4_NS1_25LogSoftMaxForwardEpilogueElLi9EEEvPT1_PKT_T3_, .Lfunc_end102-_ZN2at6native12_GLOBAL__N_122cunn_SoftMaxForwardRegIN3c104HalfEfS4_NS1_25LogSoftMaxForwardEpilogueElLi9EEEvPT1_PKT_T3_
                                        ; -- End function
	.section	.AMDGPU.csdata,"",@progbits
; Kernel info:
; codeLenInByte = 3392
; NumSgprs: 36
; NumVgprs: 31
; NumAgprs: 0
; TotalNumVgprs: 31
; ScratchSize: 0
; MemoryBound: 0
; FloatMode: 240
; IeeeMode: 1
; LDSByteSize: 0 bytes/workgroup (compile time only)
; SGPRBlocks: 4
; VGPRBlocks: 3
; NumSGPRsForWavesPerEU: 36
; NumVGPRsForWavesPerEU: 31
; AccumOffset: 32
; Occupancy: 8
; WaveLimiterHint : 0
; COMPUTE_PGM_RSRC2:SCRATCH_EN: 0
; COMPUTE_PGM_RSRC2:USER_SGPR: 6
; COMPUTE_PGM_RSRC2:TRAP_HANDLER: 0
; COMPUTE_PGM_RSRC2:TGID_X_EN: 1
; COMPUTE_PGM_RSRC2:TGID_Y_EN: 0
; COMPUTE_PGM_RSRC2:TGID_Z_EN: 0
; COMPUTE_PGM_RSRC2:TIDIG_COMP_CNT: 0
; COMPUTE_PGM_RSRC3_GFX90A:ACCUM_OFFSET: 7
; COMPUTE_PGM_RSRC3_GFX90A:TG_SPLIT: 0
	.section	.text._ZN2at6native12_GLOBAL__N_123cunn_SoftMaxForwardSmemILi8EN3c104HalfEfS4_NS1_25LogSoftMaxForwardEpilogueElEEvPT2_PKT0_T4_,"axG",@progbits,_ZN2at6native12_GLOBAL__N_123cunn_SoftMaxForwardSmemILi8EN3c104HalfEfS4_NS1_25LogSoftMaxForwardEpilogueElEEvPT2_PKT0_T4_,comdat
	.globl	_ZN2at6native12_GLOBAL__N_123cunn_SoftMaxForwardSmemILi8EN3c104HalfEfS4_NS1_25LogSoftMaxForwardEpilogueElEEvPT2_PKT0_T4_ ; -- Begin function _ZN2at6native12_GLOBAL__N_123cunn_SoftMaxForwardSmemILi8EN3c104HalfEfS4_NS1_25LogSoftMaxForwardEpilogueElEEvPT2_PKT0_T4_
	.p2align	8
	.type	_ZN2at6native12_GLOBAL__N_123cunn_SoftMaxForwardSmemILi8EN3c104HalfEfS4_NS1_25LogSoftMaxForwardEpilogueElEEvPT2_PKT0_T4_,@function
_ZN2at6native12_GLOBAL__N_123cunn_SoftMaxForwardSmemILi8EN3c104HalfEfS4_NS1_25LogSoftMaxForwardEpilogueElEEvPT2_PKT0_T4_: ; @_ZN2at6native12_GLOBAL__N_123cunn_SoftMaxForwardSmemILi8EN3c104HalfEfS4_NS1_25LogSoftMaxForwardEpilogueElEEvPT2_PKT0_T4_
; %bb.0:
	s_load_dwordx4 s[24:27], s[4:5], 0x0
	s_load_dwordx2 s[28:29], s[4:5], 0x10
	v_mov_b32_e32 v1, 0
	v_lshlrev_b32_e32 v2, 3, v0
	v_mov_b32_e32 v3, v1
	s_mov_b32 s10, 0
	s_waitcnt lgkmcnt(0)
	v_cmp_gt_i64_e32 vcc, s[28:29], v[2:3]
	v_mov_b32_e32 v6, 0xff7fffff
	s_mul_i32 s33, s29, s6
	s_mul_hi_u32 s36, s28, s6
	s_mul_i32 s30, s28, s6
	v_lshlrev_b32_e32 v8, 4, v0
	s_and_saveexec_b64 s[2:3], vcc
	s_cbranch_execz .LBB103_4
; %bb.1:
	s_load_dword s6, s[4:5], 0x24
	s_add_i32 s31, s36, s33
	s_lshl_b64 s[0:1], s[30:31], 1
	v_add_u32_e32 v7, 0, v8
	v_mov_b32_e32 v6, 0xff7fffff
	s_waitcnt lgkmcnt(0)
	s_and_b32 s8, s6, 0xffff
	s_add_u32 s0, s26, s0
	s_addc_u32 s1, s27, s1
	v_mov_b32_e32 v2, s1
	v_add_co_u32_e64 v3, s[0:1], s0, v8
	v_addc_co_u32_e64 v4, s[0:1], 0, v2, s[0:1]
	v_add_co_u32_e64 v2, s[0:1], 8, v3
	v_addc_co_u32_e64 v3, s[0:1], 0, v4, s[0:1]
	s_lshl_b32 s9, s8, 4
	s_mov_b64 s[6:7], 0
	v_mov_b32_e32 v9, s10
	v_mov_b32_e32 v10, s10
	v_pk_mov_b32 v[4:5], v[0:1], v[0:1] op_sel:[0,1]
.LBB103_2:                              ; =>This Inner Loop Header: Depth=1
	global_load_dwordx4 v[12:15], v[2:3], off offset:-8
	v_add_co_u32_e64 v4, s[0:1], s8, v4
	v_addc_co_u32_e64 v5, s[0:1], v5, v9, s[0:1]
	v_add_co_u32_e64 v2, s[0:1], s9, v2
	v_addc_co_u32_e64 v3, s[0:1], v3, v10, s[0:1]
	v_lshlrev_b64 v[16:17], 3, v[4:5]
	v_cmp_le_i64_e64 s[0:1], s[28:29], v[16:17]
	s_or_b64 s[6:7], s[0:1], s[6:7]
	s_waitcnt vmcnt(0)
	ds_write_b128 v7, v[12:15]
	v_cvt_f32_f16_e32 v11, v12
	v_cvt_f32_f16_sdwa v12, v12 dst_sel:DWORD dst_unused:UNUSED_PAD src0_sel:WORD_1
	v_cvt_f32_f16_e32 v16, v13
	v_cvt_f32_f16_sdwa v13, v13 dst_sel:DWORD dst_unused:UNUSED_PAD src0_sel:WORD_1
	;; [unrolled: 2-line block ×4, first 2 shown]
	v_max3_f32 v6, v6, v11, v12
	v_max3_f32 v6, v6, v16, v13
	;; [unrolled: 1-line block ×3, first 2 shown]
	v_add_u32_e32 v7, s9, v7
	v_max3_f32 v6, v6, v18, v15
	s_andn2_b64 exec, exec, s[6:7]
	s_cbranch_execnz .LBB103_2
; %bb.3:
	s_or_b64 exec, exec, s[6:7]
.LBB103_4:
	s_or_b64 exec, exec, s[2:3]
	v_mbcnt_lo_u32_b32 v2, -1, 0
	v_mbcnt_hi_u32_b32 v4, -1, v2
	v_and_b32_e32 v5, 63, v4
	v_cmp_gt_u32_e64 s[0:1], 32, v5
	v_cndmask_b32_e64 v2, 0, 1, s[0:1]
	v_lshlrev_b32_e32 v2, 5, v2
	v_add_lshl_u32 v10, v2, v4, 2
	ds_bpermute_b32 v2, v10, v6
	v_cmp_gt_u32_e64 s[0:1], 48, v5
	v_cndmask_b32_e64 v3, 0, 1, s[0:1]
	v_lshlrev_b32_e32 v3, 4, v3
	v_add_lshl_u32 v11, v3, v4, 2
	s_waitcnt lgkmcnt(0)
	v_cmp_lt_f32_e64 s[0:1], v6, v2
	v_cndmask_b32_e64 v2, v6, v2, s[0:1]
	ds_bpermute_b32 v3, v11, v2
	v_lshrrev_b32_e32 v16, 4, v0
	s_waitcnt lgkmcnt(0)
	s_barrier
	v_cmp_lt_f32_e64 s[0:1], v2, v3
	v_cndmask_b32_e64 v2, v2, v3, s[0:1]
	v_cmp_gt_u32_e64 s[0:1], 56, v5
	v_cndmask_b32_e64 v3, 0, 1, s[0:1]
	v_lshlrev_b32_e32 v3, 3, v3
	v_add_lshl_u32 v12, v3, v4, 2
	ds_bpermute_b32 v3, v12, v2
	s_waitcnt lgkmcnt(0)
	v_cmp_lt_f32_e64 s[0:1], v2, v3
	v_cndmask_b32_e64 v2, v2, v3, s[0:1]
	v_cmp_gt_u32_e64 s[0:1], 60, v5
	v_cndmask_b32_e64 v3, 0, 1, s[0:1]
	v_lshlrev_b32_e32 v3, 2, v3
	v_add_lshl_u32 v13, v3, v4, 2
	ds_bpermute_b32 v3, v13, v2
	s_waitcnt lgkmcnt(0)
	v_cmp_lt_f32_e64 s[0:1], v2, v3
	v_cndmask_b32_e64 v2, v2, v3, s[0:1]
	v_cmp_gt_u32_e64 s[0:1], 62, v5
	v_cndmask_b32_e64 v3, 0, 1, s[0:1]
	v_lshlrev_b32_e32 v3, 1, v3
	v_add_lshl_u32 v14, v3, v4, 2
	ds_bpermute_b32 v6, v14, v2
	s_lshl_b32 s0, s28, 1
	s_add_i32 s31, s0, 0
	v_and_b32_e32 v3, 63, v0
	s_waitcnt lgkmcnt(0)
	v_cmp_lt_f32_e64 s[0:1], v2, v6
	v_cndmask_b32_e64 v2, v2, v6, s[0:1]
	v_cmp_ne_u32_e64 s[0:1], 63, v5
	v_addc_co_u32_e64 v4, s[0:1], 0, v4, s[0:1]
	v_lshlrev_b32_e32 v15, 2, v4
	ds_bpermute_b32 v4, v15, v2
	v_cmp_eq_u32_e64 s[0:1], 0, v3
	s_and_saveexec_b64 s[6:7], s[0:1]
	s_cbranch_execz .LBB103_6
; %bb.5:
	s_waitcnt lgkmcnt(0)
	v_cmp_lt_f32_e64 s[2:3], v2, v4
	v_add_u32_e32 v5, s31, v16
	v_cndmask_b32_e64 v2, v2, v4, s[2:3]
	ds_write_b32 v5, v2
.LBB103_6:
	s_or_b64 exec, exec, s[6:7]
	s_waitcnt lgkmcnt(0)
	s_barrier
	s_load_dword s10, s[4:5], 0x24
	v_mov_b32_e32 v2, 0xff7fffff
	v_lshl_add_u32 v17, v3, 2, s31
	s_waitcnt lgkmcnt(0)
	s_bfe_u32 s2, s10, 0xa0006
	v_cmp_gt_u32_e64 s[2:3], s2, v0
	s_and_saveexec_b64 s[4:5], s[2:3]
	s_cbranch_execnz .LBB103_24
; %bb.7:
	s_or_b64 exec, exec, s[4:5]
	v_cmp_gt_u32_e64 s[4:5], 64, v0
	s_and_saveexec_b64 s[8:9], s[4:5]
	s_cbranch_execnz .LBB103_25
.LBB103_8:
	s_or_b64 exec, exec, s[8:9]
	v_cmp_eq_u32_e64 s[6:7], 0, v0
	s_and_saveexec_b64 s[8:9], s[6:7]
	s_cbranch_execz .LBB103_10
.LBB103_9:
	v_mov_b32_e32 v3, s31
	s_waitcnt lgkmcnt(0)
	ds_write_b32 v3, v2
.LBB103_10:
	s_or_b64 exec, exec, s[8:9]
	s_waitcnt lgkmcnt(0)
	v_mov_b32_e32 v2, s31
	s_barrier
	ds_read_b32 v9, v2
	s_and_b32 s37, s10, 0xffff
	v_mov_b32_e32 v18, 0
	s_and_saveexec_b64 s[26:27], vcc
	s_cbranch_execz .LBB103_14
; %bb.11:
	s_mov_b32 s8, 0
	v_lshl_add_u32 v19, v0, 4, 0
	s_lshl_b32 s38, s37, 4
	s_mov_b64 s[34:35], 0
	v_mov_b32_e32 v18, 0
	s_mov_b32 s39, 0x3fb8aa3b
	s_mov_b32 s40, 0xc2ce8ed0
	s_mov_b32 s41, 0x42b17218
	v_mov_b32_e32 v20, 0x7f800000
	v_mov_b32_e32 v21, s8
	v_pk_mov_b32 v[6:7], v[0:1], v[0:1] op_sel:[0,1]
.LBB103_12:                             ; =>This Inner Loop Header: Depth=1
	ds_read_b128 v[2:5], v19
	v_add_co_u32_e64 v6, s[8:9], s37, v6
	v_addc_co_u32_e64 v7, s[8:9], v7, v21, s[8:9]
	v_lshlrev_b64 v[22:23], 3, v[6:7]
	v_cmp_le_i64_e64 s[8:9], s[28:29], v[22:23]
	s_waitcnt lgkmcnt(0)
	v_cvt_f32_f16_e32 v22, v2
	v_cvt_f32_f16_sdwa v2, v2 dst_sel:DWORD dst_unused:UNUSED_PAD src0_sel:WORD_1
	v_cvt_f32_f16_e32 v23, v3
	v_cvt_f32_f16_sdwa v3, v3 dst_sel:DWORD dst_unused:UNUSED_PAD src0_sel:WORD_1
	;; [unrolled: 2-line block ×4, first 2 shown]
	v_sub_f32_e32 v22, v22, v9
	v_sub_f32_e32 v2, v2, v9
	;; [unrolled: 1-line block ×8, first 2 shown]
	v_mul_f32_e32 v26, 0x3fb8aa3b, v22
	v_mul_f32_e32 v27, 0x3fb8aa3b, v2
	v_mul_f32_e32 v28, 0x3fb8aa3b, v23
	v_mul_f32_e32 v29, 0x3fb8aa3b, v3
	v_mul_f32_e32 v30, 0x3fb8aa3b, v24
	v_mul_f32_e32 v31, 0x3fb8aa3b, v4
	v_mul_f32_e32 v32, 0x3fb8aa3b, v25
	v_mul_f32_e32 v33, 0x3fb8aa3b, v5
	v_fma_f32 v34, v22, s39, -v26
	v_rndne_f32_e32 v35, v26
	v_fma_f32 v36, v2, s39, -v27
	v_rndne_f32_e32 v37, v27
	;; [unrolled: 2-line block ×8, first 2 shown]
	v_fmac_f32_e32 v34, 0x32a5705f, v22
	v_sub_f32_e32 v26, v26, v35
	v_fmac_f32_e32 v36, 0x32a5705f, v2
	v_sub_f32_e32 v27, v27, v37
	;; [unrolled: 2-line block ×8, first 2 shown]
	v_add_f32_e32 v26, v26, v34
	v_cvt_i32_f32_e32 v35, v35
	v_add_f32_e32 v27, v27, v36
	v_add_f32_e32 v28, v28, v38
	v_add_f32_e32 v29, v29, v40
	v_add_f32_e32 v30, v30, v42
	v_add_f32_e32 v31, v31, v44
	v_add_f32_e32 v32, v32, v46
	v_add_f32_e32 v33, v33, v48
	v_exp_f32_e32 v26, v26
	v_cvt_i32_f32_e32 v37, v37
	v_cvt_i32_f32_e32 v39, v39
	;; [unrolled: 1-line block ×7, first 2 shown]
	v_exp_f32_e32 v27, v27
	v_exp_f32_e32 v28, v28
	;; [unrolled: 1-line block ×7, first 2 shown]
	v_ldexp_f32 v26, v26, v35
	v_cmp_ngt_f32_e64 s[22:23], s40, v22
	s_or_b64 s[34:35], s[8:9], s[34:35]
	v_ldexp_f32 v27, v27, v37
	v_cmp_ngt_f32_e64 s[8:9], s40, v2
	v_ldexp_f32 v28, v28, v39
	v_cmp_ngt_f32_e64 s[10:11], s40, v23
	;; [unrolled: 2-line block ×7, first 2 shown]
	v_cndmask_b32_e64 v26, 0, v26, s[22:23]
	v_cmp_nlt_f32_e64 s[22:23], s41, v22
	v_cndmask_b32_e64 v27, 0, v27, s[8:9]
	v_cmp_nlt_f32_e64 s[8:9], s41, v2
	;; [unrolled: 2-line block ×8, first 2 shown]
	v_cndmask_b32_e64 v5, v20, v26, s[22:23]
	v_cndmask_b32_e64 v22, v20, v27, s[8:9]
	v_add_f32_e32 v5, v18, v5
	v_cndmask_b32_e64 v2, v20, v2, s[10:11]
	v_add_f32_e32 v5, v5, v22
	;; [unrolled: 2-line block ×7, first 2 shown]
	v_add_u32_e32 v19, s38, v19
	v_add_f32_e32 v18, v2, v25
	s_andn2_b64 exec, exec, s[34:35]
	s_cbranch_execnz .LBB103_12
; %bb.13:
	s_or_b64 exec, exec, s[34:35]
.LBB103_14:
	s_or_b64 exec, exec, s[26:27]
	ds_bpermute_b32 v2, v10, v18
	s_waitcnt lgkmcnt(0)
	s_barrier
	v_add_f32_e32 v2, v18, v2
	ds_bpermute_b32 v3, v11, v2
	s_waitcnt lgkmcnt(0)
	v_add_f32_e32 v2, v2, v3
	ds_bpermute_b32 v3, v12, v2
	s_waitcnt lgkmcnt(0)
	;; [unrolled: 3-line block ×4, first 2 shown]
	v_add_f32_e32 v2, v2, v3
	ds_bpermute_b32 v3, v15, v2
	s_and_saveexec_b64 s[8:9], s[0:1]
	s_cbranch_execz .LBB103_16
; %bb.15:
	v_add_u32_e32 v4, s31, v16
	s_waitcnt lgkmcnt(0)
	v_add_f32_e32 v2, v2, v3
	ds_write_b32 v4, v2
.LBB103_16:
	s_or_b64 exec, exec, s[8:9]
	v_mov_b32_e32 v2, 0
	s_waitcnt lgkmcnt(0)
	s_barrier
	s_and_saveexec_b64 s[0:1], s[2:3]
	s_cbranch_execnz .LBB103_26
; %bb.17:
	s_or_b64 exec, exec, s[0:1]
	s_and_saveexec_b64 s[0:1], s[4:5]
	s_cbranch_execnz .LBB103_27
.LBB103_18:
	s_or_b64 exec, exec, s[0:1]
	s_and_saveexec_b64 s[0:1], s[6:7]
	s_cbranch_execz .LBB103_20
.LBB103_19:
	v_mov_b32_e32 v3, s31
	s_waitcnt lgkmcnt(0)
	ds_write_b32 v3, v2
.LBB103_20:
	s_or_b64 exec, exec, s[0:1]
	s_waitcnt lgkmcnt(0)
	s_barrier
	s_and_saveexec_b64 s[0:1], vcc
	s_cbranch_execz .LBB103_23
; %bb.21:
	v_mov_b32_e32 v2, s31
	ds_read_b32 v2, v2
	s_mov_b32 s0, 0x800000
	v_mov_b32_e32 v3, 0x4f800000
	s_mov_b32 s1, 0x7f800000
	s_add_i32 s31, s36, s33
	s_waitcnt lgkmcnt(0)
	v_cmp_gt_f32_e32 vcc, s0, v2
	v_cndmask_b32_e32 v3, 1.0, v3, vcc
	v_mul_f32_e32 v2, v2, v3
	v_log_f32_e32 v2, v2
	s_mov_b32 s0, 0x3f317217
	s_mov_b32 s3, 0
	v_mov_b32_e32 v6, s3
	v_mul_f32_e32 v3, 0x3f317217, v2
	v_fma_f32 v4, v2, s0, -v3
	v_fmac_f32_e32 v4, 0x3377d1cf, v2
	v_add_f32_e32 v3, v3, v4
	v_cmp_lt_f32_e64 s[0:1], |v2|, s1
	v_cndmask_b32_e64 v2, v2, v3, s[0:1]
	s_lshl_b64 s[0:1], s[30:31], 1
	v_mov_b32_e32 v3, 0x41b17218
	s_add_u32 s0, s24, s0
	v_cndmask_b32_e32 v3, 0, v3, vcc
	s_addc_u32 s1, s25, s1
	v_sub_f32_e32 v4, v2, v3
	v_mov_b32_e32 v2, s1
	v_add_co_u32_e32 v3, vcc, s0, v8
	v_addc_co_u32_e32 v5, vcc, 0, v2, vcc
	v_add_co_u32_e32 v2, vcc, 8, v3
	v_addc_co_u32_e32 v3, vcc, 0, v5, vcc
	s_lshl_b32 s2, s37, 4
	v_add_u32_e32 v5, 0, v8
	s_mov_b64 s[0:1], 0
	v_mov_b32_e32 v7, s3
.LBB103_22:                             ; =>This Inner Loop Header: Depth=1
	ds_read_b128 v[10:13], v5
	v_add_co_u32_e32 v0, vcc, s37, v0
	v_addc_co_u32_e32 v1, vcc, v1, v6, vcc
	v_lshlrev_b64 v[14:15], 3, v[0:1]
	v_cmp_le_i64_e32 vcc, s[28:29], v[14:15]
	s_waitcnt lgkmcnt(0)
	v_cvt_f32_f16_sdwa v8, v11 dst_sel:DWORD dst_unused:UNUSED_PAD src0_sel:WORD_1
	v_cvt_f32_f16_sdwa v14, v10 dst_sel:DWORD dst_unused:UNUSED_PAD src0_sel:WORD_1
	v_cvt_f32_f16_e32 v11, v11
	v_cvt_f32_f16_e32 v10, v10
	v_cvt_f32_f16_sdwa v15, v13 dst_sel:DWORD dst_unused:UNUSED_PAD src0_sel:WORD_1
	v_cvt_f32_f16_sdwa v16, v12 dst_sel:DWORD dst_unused:UNUSED_PAD src0_sel:WORD_1
	v_cvt_f32_f16_e32 v13, v13
	v_cvt_f32_f16_e32 v12, v12
	v_sub_f32_e32 v10, v10, v9
	v_sub_f32_e32 v14, v14, v9
	;; [unrolled: 1-line block ×16, first 2 shown]
	v_cvt_f16_f32_e32 v10, v10
	v_cvt_f16_f32_e32 v11, v11
	;; [unrolled: 1-line block ×8, first 2 shown]
	v_pack_b32_f16 v13, v13, v15
	v_pack_b32_f16 v12, v12, v16
	;; [unrolled: 1-line block ×4, first 2 shown]
	s_or_b64 s[0:1], vcc, s[0:1]
	global_store_dwordx4 v[2:3], v[10:13], off offset:-8
	v_add_co_u32_e32 v2, vcc, s2, v2
	v_add_u32_e32 v5, s2, v5
	v_addc_co_u32_e32 v3, vcc, v3, v7, vcc
	s_andn2_b64 exec, exec, s[0:1]
	s_cbranch_execnz .LBB103_22
.LBB103_23:
	s_endpgm
.LBB103_24:
	ds_read_b32 v2, v17
	s_or_b64 exec, exec, s[4:5]
	v_cmp_gt_u32_e64 s[4:5], 64, v0
	s_and_saveexec_b64 s[8:9], s[4:5]
	s_cbranch_execz .LBB103_8
.LBB103_25:
	s_waitcnt lgkmcnt(0)
	ds_bpermute_b32 v3, v10, v2
	s_waitcnt lgkmcnt(0)
	v_cmp_lt_f32_e64 s[6:7], v2, v3
	v_cndmask_b32_e64 v2, v2, v3, s[6:7]
	ds_bpermute_b32 v3, v11, v2
	s_waitcnt lgkmcnt(0)
	v_cmp_lt_f32_e64 s[6:7], v2, v3
	v_cndmask_b32_e64 v2, v2, v3, s[6:7]
	;; [unrolled: 4-line block ×6, first 2 shown]
	s_or_b64 exec, exec, s[8:9]
	v_cmp_eq_u32_e64 s[6:7], 0, v0
	s_and_saveexec_b64 s[8:9], s[6:7]
	s_cbranch_execnz .LBB103_9
	s_branch .LBB103_10
.LBB103_26:
	ds_read_b32 v2, v17
	s_or_b64 exec, exec, s[0:1]
	s_and_saveexec_b64 s[0:1], s[4:5]
	s_cbranch_execz .LBB103_18
.LBB103_27:
	s_waitcnt lgkmcnt(0)
	ds_bpermute_b32 v3, v10, v2
	s_waitcnt lgkmcnt(0)
	v_add_f32_e32 v2, v2, v3
	ds_bpermute_b32 v3, v11, v2
	s_waitcnt lgkmcnt(0)
	v_add_f32_e32 v2, v2, v3
	;; [unrolled: 3-line block ×6, first 2 shown]
	s_or_b64 exec, exec, s[0:1]
	s_and_saveexec_b64 s[0:1], s[6:7]
	s_cbranch_execnz .LBB103_19
	s_branch .LBB103_20
	.section	.rodata,"a",@progbits
	.p2align	6, 0x0
	.amdhsa_kernel _ZN2at6native12_GLOBAL__N_123cunn_SoftMaxForwardSmemILi8EN3c104HalfEfS4_NS1_25LogSoftMaxForwardEpilogueElEEvPT2_PKT0_T4_
		.amdhsa_group_segment_fixed_size 0
		.amdhsa_private_segment_fixed_size 0
		.amdhsa_kernarg_size 280
		.amdhsa_user_sgpr_count 6
		.amdhsa_user_sgpr_private_segment_buffer 1
		.amdhsa_user_sgpr_dispatch_ptr 0
		.amdhsa_user_sgpr_queue_ptr 0
		.amdhsa_user_sgpr_kernarg_segment_ptr 1
		.amdhsa_user_sgpr_dispatch_id 0
		.amdhsa_user_sgpr_flat_scratch_init 0
		.amdhsa_user_sgpr_kernarg_preload_length 0
		.amdhsa_user_sgpr_kernarg_preload_offset 0
		.amdhsa_user_sgpr_private_segment_size 0
		.amdhsa_uses_dynamic_stack 0
		.amdhsa_system_sgpr_private_segment_wavefront_offset 0
		.amdhsa_system_sgpr_workgroup_id_x 1
		.amdhsa_system_sgpr_workgroup_id_y 0
		.amdhsa_system_sgpr_workgroup_id_z 0
		.amdhsa_system_sgpr_workgroup_info 0
		.amdhsa_system_vgpr_workitem_id 0
		.amdhsa_next_free_vgpr 50
		.amdhsa_next_free_sgpr 42
		.amdhsa_accum_offset 52
		.amdhsa_reserve_vcc 1
		.amdhsa_reserve_flat_scratch 0
		.amdhsa_float_round_mode_32 0
		.amdhsa_float_round_mode_16_64 0
		.amdhsa_float_denorm_mode_32 3
		.amdhsa_float_denorm_mode_16_64 3
		.amdhsa_dx10_clamp 1
		.amdhsa_ieee_mode 1
		.amdhsa_fp16_overflow 0
		.amdhsa_tg_split 0
		.amdhsa_exception_fp_ieee_invalid_op 0
		.amdhsa_exception_fp_denorm_src 0
		.amdhsa_exception_fp_ieee_div_zero 0
		.amdhsa_exception_fp_ieee_overflow 0
		.amdhsa_exception_fp_ieee_underflow 0
		.amdhsa_exception_fp_ieee_inexact 0
		.amdhsa_exception_int_div_zero 0
	.end_amdhsa_kernel
	.section	.text._ZN2at6native12_GLOBAL__N_123cunn_SoftMaxForwardSmemILi8EN3c104HalfEfS4_NS1_25LogSoftMaxForwardEpilogueElEEvPT2_PKT0_T4_,"axG",@progbits,_ZN2at6native12_GLOBAL__N_123cunn_SoftMaxForwardSmemILi8EN3c104HalfEfS4_NS1_25LogSoftMaxForwardEpilogueElEEvPT2_PKT0_T4_,comdat
.Lfunc_end103:
	.size	_ZN2at6native12_GLOBAL__N_123cunn_SoftMaxForwardSmemILi8EN3c104HalfEfS4_NS1_25LogSoftMaxForwardEpilogueElEEvPT2_PKT0_T4_, .Lfunc_end103-_ZN2at6native12_GLOBAL__N_123cunn_SoftMaxForwardSmemILi8EN3c104HalfEfS4_NS1_25LogSoftMaxForwardEpilogueElEEvPT2_PKT0_T4_
                                        ; -- End function
	.section	.AMDGPU.csdata,"",@progbits
; Kernel info:
; codeLenInByte = 2824
; NumSgprs: 46
; NumVgprs: 50
; NumAgprs: 0
; TotalNumVgprs: 50
; ScratchSize: 0
; MemoryBound: 0
; FloatMode: 240
; IeeeMode: 1
; LDSByteSize: 0 bytes/workgroup (compile time only)
; SGPRBlocks: 5
; VGPRBlocks: 6
; NumSGPRsForWavesPerEU: 46
; NumVGPRsForWavesPerEU: 50
; AccumOffset: 52
; Occupancy: 8
; WaveLimiterHint : 0
; COMPUTE_PGM_RSRC2:SCRATCH_EN: 0
; COMPUTE_PGM_RSRC2:USER_SGPR: 6
; COMPUTE_PGM_RSRC2:TRAP_HANDLER: 0
; COMPUTE_PGM_RSRC2:TGID_X_EN: 1
; COMPUTE_PGM_RSRC2:TGID_Y_EN: 0
; COMPUTE_PGM_RSRC2:TGID_Z_EN: 0
; COMPUTE_PGM_RSRC2:TIDIG_COMP_CNT: 0
; COMPUTE_PGM_RSRC3_GFX90A:ACCUM_OFFSET: 12
; COMPUTE_PGM_RSRC3_GFX90A:TG_SPLIT: 0
	.section	.text._ZN2at6native12_GLOBAL__N_119cunn_SoftMaxForwardILi8EN3c104HalfEfS4_NS1_25LogSoftMaxForwardEpilogueEEEvPT2_PKT0_i,"axG",@progbits,_ZN2at6native12_GLOBAL__N_119cunn_SoftMaxForwardILi8EN3c104HalfEfS4_NS1_25LogSoftMaxForwardEpilogueEEEvPT2_PKT0_i,comdat
	.globl	_ZN2at6native12_GLOBAL__N_119cunn_SoftMaxForwardILi8EN3c104HalfEfS4_NS1_25LogSoftMaxForwardEpilogueEEEvPT2_PKT0_i ; -- Begin function _ZN2at6native12_GLOBAL__N_119cunn_SoftMaxForwardILi8EN3c104HalfEfS4_NS1_25LogSoftMaxForwardEpilogueEEEvPT2_PKT0_i
	.p2align	8
	.type	_ZN2at6native12_GLOBAL__N_119cunn_SoftMaxForwardILi8EN3c104HalfEfS4_NS1_25LogSoftMaxForwardEpilogueEEEvPT2_PKT0_i,@function
_ZN2at6native12_GLOBAL__N_119cunn_SoftMaxForwardILi8EN3c104HalfEfS4_NS1_25LogSoftMaxForwardEpilogueEEEvPT2_PKT0_i: ; @_ZN2at6native12_GLOBAL__N_119cunn_SoftMaxForwardILi8EN3c104HalfEfS4_NS1_25LogSoftMaxForwardEpilogueEEEvPT2_PKT0_i
; %bb.0:
	s_load_dword s33, s[4:5], 0x10
	s_load_dwordx4 s[24:27], s[4:5], 0x0
	s_mov_b32 s29, 0
	s_waitcnt lgkmcnt(0)
	s_ashr_i32 s0, s33, 31
	s_mul_hi_u32 s1, s33, s6
	s_mul_i32 s0, s0, s6
	s_add_i32 s1, s1, s0
	s_mul_i32 s0, s33, s6
	s_lshl_b64 s[30:31], s[0:1], 1
	s_add_u32 s26, s26, s30
	s_addc_u32 s27, s27, s31
	s_bfe_u32 s28, s26, 0x30001
	s_cmp_lg_u32 s28, 0
	s_cselect_b64 s[12:13], -1, 0
	s_and_b64 vcc, exec, s[12:13]
	s_cbranch_vccz .LBB104_25
; %bb.1:
	s_lshl_b64 s[0:1], s[28:29], 1
	s_sub_u32 s8, s26, s0
	s_subb_u32 s9, s27, s1
	s_add_i32 s7, s28, s33
	v_cmp_le_u32_e32 vcc, s28, v0
	v_cmp_gt_i32_e64 s[0:1], s7, v0
	s_and_b64 s[2:3], vcc, s[0:1]
	v_mov_b32_e32 v4, 0xff7fffff
	s_and_saveexec_b64 s[0:1], s[2:3]
	s_cbranch_execz .LBB104_3
; %bb.2:
	v_lshlrev_b32_e32 v1, 1, v0
	global_load_ushort v1, v1, s[8:9]
	s_waitcnt vmcnt(0)
	v_cvt_f32_f16_e32 v1, v1
	v_max_f32_e32 v4, 0xff7fffff, v1
.LBB104_3:
	s_or_b64 exec, exec, s[0:1]
	s_load_dword s0, s[4:5], 0x24
	s_add_u32 s2, s4, 24
	s_addc_u32 s3, s5, 0
	s_waitcnt lgkmcnt(0)
	s_and_b32 s0, s0, 0xffff
	v_mov_b32_e32 v1, s0
	s_lshl_b32 s0, s0, 1
	v_sub_u32_e64 v1, s7, v1 clamp
	s_add_u32 s0, s8, s0
	v_readfirstlane_b32 s7, v1
	s_addc_u32 s1, s9, 0
	s_branch .LBB104_5
.LBB104_4:
	s_add_u32 s2, s4, 24
	s_addc_u32 s3, s5, 0
	v_mov_b32_e32 v4, 0xff7fffff
	s_mov_b32 s7, s33
	s_mov_b64 s[0:1], s[26:27]
.LBB104_5:
	s_load_dword s8, s[2:3], 0x0
	v_mov_b32_e32 v1, 0
	s_waitcnt lgkmcnt(0)
	s_cmp_lt_u32 s6, s8
	s_cselect_b32 s8, 12, 18
	s_add_u32 s2, s2, s8
	s_addc_u32 s3, s3, 0
	global_load_ushort v5, v1, s[2:3]
	s_waitcnt vmcnt(0)
	v_readfirstlane_b32 s2, v5
	s_lshl_b32 s2, s2, 3
	v_cvt_f32_u32_e32 v1, s2
	s_sub_i32 s3, 0, s2
	v_rcp_iflag_f32_e32 v1, v1
	v_mul_f32_e32 v1, 0x4f7ffffe, v1
	v_cvt_u32_f32_e32 v1, v1
	v_readfirstlane_b32 s8, v1
	s_mul_i32 s3, s3, s8
	s_mul_hi_u32 s3, s8, s3
	s_add_i32 s8, s8, s3
	s_mul_hi_u32 s3, s7, s8
	s_mul_i32 s3, s3, s2
	s_sub_i32 s3, s7, s3
	s_sub_i32 s8, s3, s2
	s_cmp_ge_u32 s3, s2
	s_cselect_b32 s3, s8, s3
	s_sub_i32 s8, s3, s2
	s_cmp_ge_u32 s3, s2
	s_cselect_b32 s2, s8, s3
	s_sub_i32 s10, s7, s2
	v_lshlrev_b32_e32 v1, 3, v0
	v_cmp_gt_i32_e32 vcc, s10, v1
	s_and_saveexec_b64 s[2:3], vcc
	s_cbranch_execz .LBB104_9
; %bb.6:
	s_mov_b64 s[8:9], 0
	v_mov_b32_e32 v6, s1
	v_mov_b32_e32 v2, v0
.LBB104_7:                              ; =>This Inner Loop Header: Depth=1
	v_ashrrev_i32_e32 v3, 31, v2
	v_lshlrev_b64 v[8:9], 4, v[2:3]
	v_add_co_u32_e32 v8, vcc, s0, v8
	v_addc_co_u32_e32 v9, vcc, v6, v9, vcc
	global_load_dwordx4 v[8:11], v[8:9], off
	v_add_u32_e32 v2, v2, v5
	v_lshlrev_b32_e32 v3, 3, v2
	v_cmp_le_i32_e32 vcc, s10, v3
	s_or_b64 s[8:9], vcc, s[8:9]
	s_waitcnt vmcnt(0)
	v_cvt_f32_f16_e32 v3, v8
	v_cvt_f32_f16_sdwa v7, v8 dst_sel:DWORD dst_unused:UNUSED_PAD src0_sel:WORD_1
	v_cvt_f32_f16_e32 v8, v9
	v_cvt_f32_f16_sdwa v9, v9 dst_sel:DWORD dst_unused:UNUSED_PAD src0_sel:WORD_1
	;; [unrolled: 2-line block ×4, first 2 shown]
	v_max3_f32 v3, v4, v3, v7
	v_max3_f32 v3, v3, v8, v9
	;; [unrolled: 1-line block ×4, first 2 shown]
	s_andn2_b64 exec, exec, s[8:9]
	s_cbranch_execnz .LBB104_7
; %bb.8:
	s_or_b64 exec, exec, s[8:9]
.LBB104_9:
	s_or_b64 exec, exec, s[2:3]
	v_add_u32_e32 v2, s10, v0
	v_cmp_gt_i32_e32 vcc, s7, v2
	s_and_saveexec_b64 s[2:3], vcc
	s_cbranch_execz .LBB104_13
; %bb.10:
	s_mov_b64 s[8:9], 0
	v_mov_b32_e32 v6, s1
.LBB104_11:                             ; =>This Inner Loop Header: Depth=1
	v_ashrrev_i32_e32 v3, 31, v2
	v_lshlrev_b64 v[8:9], 1, v[2:3]
	v_add_co_u32_e32 v8, vcc, s0, v8
	v_addc_co_u32_e32 v9, vcc, v6, v9, vcc
	global_load_ushort v3, v[8:9], off
	v_add_u32_e32 v2, v2, v5
	v_max_f32_e32 v4, v4, v4
	v_cmp_le_i32_e32 vcc, s7, v2
	s_or_b64 s[8:9], vcc, s[8:9]
	s_waitcnt vmcnt(0)
	v_cvt_f32_f16_e32 v3, v3
	v_max_f32_e32 v4, v4, v3
	s_andn2_b64 exec, exec, s[8:9]
	s_cbranch_execnz .LBB104_11
; %bb.12:
	s_or_b64 exec, exec, s[8:9]
.LBB104_13:
	s_or_b64 exec, exec, s[2:3]
	v_mbcnt_lo_u32_b32 v2, -1, 0
	v_mbcnt_hi_u32_b32 v5, -1, v2
	v_and_b32_e32 v6, 63, v5
	v_cmp_gt_u32_e32 vcc, 32, v6
	v_cndmask_b32_e64 v2, 0, 1, vcc
	v_lshlrev_b32_e32 v2, 5, v2
	v_add_lshl_u32 v8, v2, v5, 2
	ds_bpermute_b32 v2, v8, v4
	v_cmp_gt_u32_e32 vcc, 48, v6
	v_cndmask_b32_e64 v3, 0, 1, vcc
	v_lshlrev_b32_e32 v3, 4, v3
	v_add_lshl_u32 v9, v3, v5, 2
	s_waitcnt lgkmcnt(0)
	v_cmp_lt_f32_e32 vcc, v4, v2
	v_cndmask_b32_e32 v2, v4, v2, vcc
	ds_bpermute_b32 v3, v9, v2
	v_lshrrev_b32_e32 v14, 4, v0
	s_waitcnt lgkmcnt(0)
	s_barrier
	v_cmp_lt_f32_e32 vcc, v2, v3
	v_cndmask_b32_e32 v2, v2, v3, vcc
	v_cmp_gt_u32_e32 vcc, 56, v6
	v_cndmask_b32_e64 v3, 0, 1, vcc
	v_lshlrev_b32_e32 v3, 3, v3
	v_add_lshl_u32 v10, v3, v5, 2
	ds_bpermute_b32 v3, v10, v2
	s_waitcnt lgkmcnt(0)
	v_cmp_lt_f32_e32 vcc, v2, v3
	v_cndmask_b32_e32 v2, v2, v3, vcc
	v_cmp_gt_u32_e32 vcc, 60, v6
	v_cndmask_b32_e64 v3, 0, 1, vcc
	v_lshlrev_b32_e32 v3, 2, v3
	v_add_lshl_u32 v11, v3, v5, 2
	ds_bpermute_b32 v3, v11, v2
	s_waitcnt lgkmcnt(0)
	v_cmp_lt_f32_e32 vcc, v2, v3
	v_cndmask_b32_e32 v2, v2, v3, vcc
	v_cmp_gt_u32_e32 vcc, 62, v6
	v_cndmask_b32_e64 v3, 0, 1, vcc
	v_lshlrev_b32_e32 v3, 1, v3
	v_add_lshl_u32 v12, v3, v5, 2
	ds_bpermute_b32 v4, v12, v2
	v_and_b32_e32 v3, 63, v0
	v_cmp_eq_u32_e64 s[2:3], 0, v3
	s_waitcnt lgkmcnt(0)
	v_cmp_lt_f32_e32 vcc, v2, v4
	v_cndmask_b32_e32 v2, v2, v4, vcc
	v_cmp_ne_u32_e32 vcc, 63, v6
	v_addc_co_u32_e32 v4, vcc, 0, v5, vcc
	v_lshlrev_b32_e32 v13, 2, v4
	ds_bpermute_b32 v4, v13, v2
	s_and_saveexec_b64 s[0:1], s[2:3]
	s_cbranch_execz .LBB104_15
; %bb.14:
	s_waitcnt lgkmcnt(0)
	v_cmp_lt_f32_e32 vcc, v2, v4
	v_add_u32_e32 v5, 0, v14
	v_cndmask_b32_e32 v2, v2, v4, vcc
	ds_write_b32 v5, v2
.LBB104_15:
	s_or_b64 exec, exec, s[0:1]
	s_waitcnt lgkmcnt(0)
	s_barrier
	s_load_dword s7, s[4:5], 0x24
	s_add_u32 s14, s4, 24
	s_addc_u32 s15, s5, 0
	v_mov_b32_e32 v2, 0xff7fffff
	v_lshl_add_u32 v15, v3, 2, 0
	s_waitcnt lgkmcnt(0)
	s_bfe_u32 s0, s7, 0xa0006
	v_cmp_gt_u32_e64 s[4:5], s0, v0
	s_and_saveexec_b64 s[0:1], s[4:5]
	s_cbranch_execnz .LBB104_23
; %bb.16:
	s_or_b64 exec, exec, s[0:1]
	v_cmp_gt_u32_e64 s[10:11], 64, v0
	s_and_saveexec_b64 s[0:1], s[10:11]
	s_cbranch_execnz .LBB104_24
.LBB104_17:
	s_or_b64 exec, exec, s[0:1]
	v_cmp_eq_u32_e64 s[8:9], 0, v0
	s_and_saveexec_b64 s[0:1], s[8:9]
	s_cbranch_execz .LBB104_19
.LBB104_18:
	v_mov_b32_e32 v3, 0
	s_waitcnt lgkmcnt(0)
	ds_write_b32 v3, v2
.LBB104_19:
	s_or_b64 exec, exec, s[0:1]
	v_mov_b32_e32 v16, 0
	s_waitcnt lgkmcnt(0)
	s_barrier
	ds_read_b32 v6, v16
	v_cndmask_b32_e64 v2, 0, 1, s[12:13]
	s_and_b32 s40, s7, 0xffff
	v_cmp_ne_u32_e64 s[0:1], 1, v2
	s_andn2_b64 vcc, exec, s[12:13]
	s_mov_b32 s29, 0
	s_cbranch_vccnz .LBB104_26
; %bb.20:
	s_lshl_b64 s[12:13], s[28:29], 1
	s_sub_u32 s16, s26, s12
	s_subb_u32 s17, s27, s13
	s_add_i32 s7, s28, s33
	v_cmp_le_u32_e32 vcc, s28, v0
	v_cmp_gt_i32_e64 s[12:13], s7, v0
	s_and_b64 s[18:19], vcc, s[12:13]
	v_mov_b32_e32 v16, 0
	s_and_saveexec_b64 s[12:13], s[18:19]
	s_cbranch_execz .LBB104_22
; %bb.21:
	v_lshlrev_b32_e32 v2, 1, v0
	global_load_ushort v2, v2, s[16:17]
	s_mov_b32 s18, 0x3fb8aa3b
	s_mov_b32 s19, 0x42b17218
	s_waitcnt vmcnt(0)
	v_cvt_f32_f16_e32 v2, v2
	s_waitcnt lgkmcnt(0)
	v_sub_f32_e32 v2, v2, v6
	v_mul_f32_e32 v3, 0x3fb8aa3b, v2
	v_fma_f32 v4, v2, s18, -v3
	v_rndne_f32_e32 v5, v3
	v_fmac_f32_e32 v4, 0x32a5705f, v2
	v_sub_f32_e32 v3, v3, v5
	v_add_f32_e32 v3, v3, v4
	v_cvt_i32_f32_e32 v5, v5
	v_exp_f32_e32 v3, v3
	s_mov_b32 s18, 0xc2ce8ed0
	v_cmp_ngt_f32_e32 vcc, s18, v2
	v_mov_b32_e32 v4, 0x7f800000
	v_ldexp_f32 v3, v3, v5
	v_cndmask_b32_e32 v3, 0, v3, vcc
	v_cmp_nlt_f32_e32 vcc, s19, v2
	v_cndmask_b32_e32 v16, v4, v3, vcc
.LBB104_22:
	s_or_b64 exec, exec, s[12:13]
	v_mov_b32_e32 v2, s40
	v_sub_u32_e64 v2, s7, v2 clamp
	s_lshl_b32 s7, s40, 1
	s_add_u32 s34, s16, s7
	v_readfirstlane_b32 s29, v2
	s_addc_u32 s35, s17, 0
	s_branch .LBB104_27
.LBB104_23:
	ds_read_b32 v2, v15
	s_or_b64 exec, exec, s[0:1]
	v_cmp_gt_u32_e64 s[10:11], 64, v0
	s_and_saveexec_b64 s[0:1], s[10:11]
	s_cbranch_execz .LBB104_17
.LBB104_24:
	s_waitcnt lgkmcnt(0)
	ds_bpermute_b32 v3, v8, v2
	s_waitcnt lgkmcnt(0)
	v_cmp_lt_f32_e32 vcc, v2, v3
	v_cndmask_b32_e32 v2, v2, v3, vcc
	ds_bpermute_b32 v3, v9, v2
	s_waitcnt lgkmcnt(0)
	v_cmp_lt_f32_e32 vcc, v2, v3
	v_cndmask_b32_e32 v2, v2, v3, vcc
	;; [unrolled: 4-line block ×6, first 2 shown]
	s_or_b64 exec, exec, s[0:1]
	v_cmp_eq_u32_e64 s[8:9], 0, v0
	s_and_saveexec_b64 s[0:1], s[8:9]
	s_cbranch_execnz .LBB104_18
	s_branch .LBB104_19
.LBB104_25:
                                        ; implicit-def: $sgpr0_sgpr1
                                        ; implicit-def: $sgpr7
                                        ; implicit-def: $vgpr4
                                        ; implicit-def: $sgpr2_sgpr3
	s_cbranch_execnz .LBB104_4
	s_branch .LBB104_5
.LBB104_26:
	s_mov_b64 s[34:35], s[26:27]
	s_mov_b32 s29, s33
.LBB104_27:
	s_load_dword s7, s[14:15], 0x0
	v_mov_b32_e32 v2, 0
	s_waitcnt lgkmcnt(0)
	s_cmp_lt_u32 s6, s7
	s_cselect_b32 s6, 12, 18
	s_add_u32 s6, s14, s6
	s_addc_u32 s7, s15, 0
	global_load_ushort v7, v2, s[6:7]
	s_waitcnt vmcnt(0)
	v_readfirstlane_b32 s6, v7
	s_lshl_b32 s41, s6, 3
	v_cvt_f32_u32_e32 v2, s41
	s_sub_i32 s6, 0, s41
	v_rcp_iflag_f32_e32 v2, v2
	v_mul_f32_e32 v2, 0x4f7ffffe, v2
	v_cvt_u32_f32_e32 v2, v2
	v_readfirstlane_b32 s42, v2
	s_mul_i32 s6, s6, s42
	s_mul_hi_u32 s6, s42, s6
	s_add_i32 s42, s42, s6
	s_mul_hi_u32 s6, s29, s42
	s_mul_i32 s6, s6, s41
	s_sub_i32 s6, s29, s6
	s_sub_i32 s7, s6, s41
	s_cmp_ge_u32 s6, s41
	s_cselect_b32 s6, s7, s6
	s_sub_i32 s7, s6, s41
	s_cmp_ge_u32 s6, s41
	s_cselect_b32 s6, s7, s6
	s_sub_i32 s43, s29, s6
	v_cmp_gt_i32_e32 vcc, s43, v1
	s_and_saveexec_b64 s[36:37], vcc
	s_cbranch_execz .LBB104_31
; %bb.28:
	s_mov_b64 s[38:39], 0
	v_mov_b32_e32 v17, s35
	s_mov_b32 s44, 0x3fb8aa3b
	s_mov_b32 s45, 0xc2ce8ed0
	;; [unrolled: 1-line block ×3, first 2 shown]
	v_mov_b32_e32 v18, 0x7f800000
	v_mov_b32_e32 v2, v0
.LBB104_29:                             ; =>This Inner Loop Header: Depth=1
	v_ashrrev_i32_e32 v3, 31, v2
	v_lshlrev_b64 v[4:5], 4, v[2:3]
	v_add_co_u32_e32 v4, vcc, s34, v4
	v_addc_co_u32_e32 v5, vcc, v17, v5, vcc
	global_load_dwordx4 v[20:23], v[4:5], off
	v_add_u32_e32 v2, v2, v7
	v_lshlrev_b32_e32 v3, 3, v2
	v_cmp_le_i32_e32 vcc, s43, v3
	s_or_b64 s[38:39], vcc, s[38:39]
	s_waitcnt vmcnt(0)
	v_cvt_f32_f16_e32 v3, v20
	v_cvt_f32_f16_sdwa v4, v20 dst_sel:DWORD dst_unused:UNUSED_PAD src0_sel:WORD_1
	v_cvt_f32_f16_e32 v5, v21
	v_cvt_f32_f16_sdwa v19, v21 dst_sel:DWORD dst_unused:UNUSED_PAD src0_sel:WORD_1
	;; [unrolled: 2-line block ×4, first 2 shown]
	v_sub_f32_e32 v3, v3, v6
	v_sub_f32_e32 v4, v4, v6
	v_mul_f32_e32 v24, 0x3fb8aa3b, v3
	v_sub_f32_e32 v5, v5, v6
	v_sub_f32_e32 v19, v19, v6
	;; [unrolled: 1-line block ×6, first 2 shown]
	v_mul_f32_e32 v25, 0x3fb8aa3b, v4
	v_fma_f32 v32, v3, s44, -v24
	v_rndne_f32_e32 v33, v24
	v_mul_f32_e32 v26, 0x3fb8aa3b, v5
	v_mul_f32_e32 v27, 0x3fb8aa3b, v19
	;; [unrolled: 1-line block ×6, first 2 shown]
	v_fma_f32 v34, v4, s44, -v25
	v_rndne_f32_e32 v35, v25
	v_fmac_f32_e32 v32, 0x32a5705f, v3
	v_sub_f32_e32 v24, v24, v33
	v_fma_f32 v36, v5, s44, -v26
	v_rndne_f32_e32 v37, v26
	v_fma_f32 v38, v19, s44, -v27
	v_rndne_f32_e32 v39, v27
	v_fma_f32 v40, v20, s44, -v28
	v_rndne_f32_e32 v41, v28
	v_fma_f32 v42, v21, s44, -v29
	v_rndne_f32_e32 v43, v29
	v_fma_f32 v44, v22, s44, -v30
	v_rndne_f32_e32 v45, v30
	v_fma_f32 v46, v23, s44, -v31
	v_rndne_f32_e32 v47, v31
	v_fmac_f32_e32 v34, 0x32a5705f, v4
	v_sub_f32_e32 v25, v25, v35
	v_add_f32_e32 v24, v24, v32
	v_cvt_i32_f32_e32 v33, v33
	v_fmac_f32_e32 v36, 0x32a5705f, v5
	v_sub_f32_e32 v26, v26, v37
	v_fmac_f32_e32 v38, 0x32a5705f, v19
	v_sub_f32_e32 v27, v27, v39
	v_fmac_f32_e32 v40, 0x32a5705f, v20
	v_sub_f32_e32 v28, v28, v41
	v_fmac_f32_e32 v42, 0x32a5705f, v21
	v_sub_f32_e32 v29, v29, v43
	v_fmac_f32_e32 v44, 0x32a5705f, v22
	v_sub_f32_e32 v30, v30, v45
	v_fmac_f32_e32 v46, 0x32a5705f, v23
	v_sub_f32_e32 v31, v31, v47
	v_add_f32_e32 v25, v25, v34
	v_exp_f32_e32 v24, v24
	v_cvt_i32_f32_e32 v35, v35
	v_add_f32_e32 v26, v26, v36
	v_add_f32_e32 v27, v27, v38
	;; [unrolled: 1-line block ×6, first 2 shown]
	v_exp_f32_e32 v25, v25
	v_cvt_i32_f32_e32 v37, v37
	v_cvt_i32_f32_e32 v39, v39
	;; [unrolled: 1-line block ×6, first 2 shown]
	v_exp_f32_e32 v26, v26
	v_exp_f32_e32 v27, v27
	v_exp_f32_e32 v28, v28
	v_exp_f32_e32 v29, v29
	v_exp_f32_e32 v30, v30
	v_exp_f32_e32 v31, v31
	v_ldexp_f32 v24, v24, v33
	v_cmp_ngt_f32_e64 s[22:23], s45, v3
	v_ldexp_f32 v25, v25, v35
	v_cmp_ngt_f32_e32 vcc, s45, v4
	v_cndmask_b32_e64 v24, 0, v24, s[22:23]
	v_cmp_nlt_f32_e64 s[22:23], s46, v3
	v_ldexp_f32 v26, v26, v37
	v_cmp_ngt_f32_e64 s[6:7], s45, v5
	v_ldexp_f32 v27, v27, v39
	v_cmp_ngt_f32_e64 s[12:13], s45, v19
	;; [unrolled: 2-line block ×6, first 2 shown]
	v_cndmask_b32_e32 v25, 0, v25, vcc
	v_cmp_nlt_f32_e32 vcc, s46, v4
	v_cndmask_b32_e64 v3, v18, v24, s[22:23]
	v_cndmask_b32_e64 v4, 0, v26, s[6:7]
	v_cmp_nlt_f32_e64 s[6:7], s46, v5
	v_cndmask_b32_e64 v5, 0, v27, s[12:13]
	v_cmp_nlt_f32_e64 s[12:13], s46, v19
	;; [unrolled: 2-line block ×6, first 2 shown]
	v_cndmask_b32_e32 v23, v18, v25, vcc
	v_add_f32_e32 v3, v16, v3
	v_cndmask_b32_e64 v4, v18, v4, s[6:7]
	v_add_f32_e32 v3, v3, v23
	v_cndmask_b32_e64 v5, v18, v5, s[12:13]
	;; [unrolled: 2-line block ×6, first 2 shown]
	v_add_f32_e32 v3, v3, v21
	v_add_f32_e32 v16, v3, v22
	s_andn2_b64 exec, exec, s[38:39]
	s_cbranch_execnz .LBB104_29
; %bb.30:
	s_or_b64 exec, exec, s[38:39]
.LBB104_31:
	s_or_b64 exec, exec, s[36:37]
	v_add_u32_e32 v2, s43, v0
	v_cmp_gt_i32_e32 vcc, s29, v2
	s_and_saveexec_b64 s[12:13], vcc
	s_cbranch_execz .LBB104_35
; %bb.32:
	s_mov_b64 s[14:15], 0
	v_mov_b32_e32 v4, s35
	s_mov_b32 s16, 0x3fb8aa3b
	s_mov_b32 s17, 0xc2ce8ed0
	;; [unrolled: 1-line block ×3, first 2 shown]
	v_mov_b32_e32 v5, 0x7f800000
.LBB104_33:                             ; =>This Inner Loop Header: Depth=1
	v_ashrrev_i32_e32 v3, 31, v2
	v_lshlrev_b64 v[18:19], 1, v[2:3]
	v_add_co_u32_e32 v18, vcc, s34, v18
	v_addc_co_u32_e32 v19, vcc, v4, v19, vcc
	global_load_ushort v3, v[18:19], off
	v_add_u32_e32 v2, v2, v7
	v_cmp_le_i32_e32 vcc, s29, v2
	s_or_b64 s[14:15], vcc, s[14:15]
	s_waitcnt vmcnt(0)
	v_cvt_f32_f16_e32 v3, v3
	v_sub_f32_e32 v3, v3, v6
	v_mul_f32_e32 v17, 0x3fb8aa3b, v3
	v_fma_f32 v18, v3, s16, -v17
	v_rndne_f32_e32 v19, v17
	v_fmac_f32_e32 v18, 0x32a5705f, v3
	v_sub_f32_e32 v17, v17, v19
	v_add_f32_e32 v17, v17, v18
	v_cvt_i32_f32_e32 v19, v19
	v_exp_f32_e32 v17, v17
	v_cmp_ngt_f32_e64 s[6:7], s17, v3
	v_ldexp_f32 v17, v17, v19
	v_cndmask_b32_e64 v17, 0, v17, s[6:7]
	v_cmp_nlt_f32_e64 s[6:7], s18, v3
	v_cndmask_b32_e64 v3, v5, v17, s[6:7]
	v_add_f32_e32 v16, v16, v3
	s_andn2_b64 exec, exec, s[14:15]
	s_cbranch_execnz .LBB104_33
; %bb.34:
	s_or_b64 exec, exec, s[14:15]
.LBB104_35:
	s_or_b64 exec, exec, s[12:13]
	ds_bpermute_b32 v2, v8, v16
	s_waitcnt lgkmcnt(0)
	s_barrier
	v_add_f32_e32 v2, v16, v2
	ds_bpermute_b32 v3, v9, v2
	s_waitcnt lgkmcnt(0)
	v_add_f32_e32 v2, v2, v3
	ds_bpermute_b32 v3, v10, v2
	s_waitcnt lgkmcnt(0)
	;; [unrolled: 3-line block ×4, first 2 shown]
	v_add_f32_e32 v2, v2, v3
	ds_bpermute_b32 v3, v13, v2
	s_and_saveexec_b64 s[6:7], s[2:3]
	s_cbranch_execz .LBB104_37
; %bb.36:
	v_add_u32_e32 v4, 0, v14
	s_waitcnt lgkmcnt(0)
	v_add_f32_e32 v2, v2, v3
	ds_write_b32 v4, v2
.LBB104_37:
	s_or_b64 exec, exec, s[6:7]
	v_mov_b32_e32 v2, 0
	s_waitcnt lgkmcnt(0)
	s_barrier
	s_and_saveexec_b64 s[2:3], s[4:5]
	s_cbranch_execnz .LBB104_58
; %bb.38:
	s_or_b64 exec, exec, s[2:3]
	s_and_saveexec_b64 s[2:3], s[10:11]
	s_cbranch_execnz .LBB104_59
.LBB104_39:
	s_or_b64 exec, exec, s[2:3]
	s_and_saveexec_b64 s[2:3], s[8:9]
	s_cbranch_execz .LBB104_41
.LBB104_40:
	v_mov_b32_e32 v3, 0
	s_waitcnt lgkmcnt(0)
	ds_write_b32 v3, v2
.LBB104_41:
	s_or_b64 exec, exec, s[2:3]
	s_waitcnt lgkmcnt(0)
	v_mov_b32_e32 v2, 0
	s_barrier
	ds_read_b32 v2, v2
	s_mov_b32 s2, 0x800000
	v_mov_b32_e32 v3, 0x4f800000
	s_add_u32 s6, s24, s30
	s_addc_u32 s7, s25, s31
	s_waitcnt lgkmcnt(0)
	v_cmp_gt_f32_e32 vcc, s2, v2
	v_cndmask_b32_e32 v3, 1.0, v3, vcc
	v_mul_f32_e32 v2, v2, v3
	v_log_f32_e32 v2, v2
	s_mov_b32 s2, 0x3f317217
	s_bfe_u32 s4, s6, 0x30001
	s_cmp_lg_u32 s28, s4
	v_mul_f32_e32 v3, 0x3f317217, v2
	v_fma_f32 v4, v2, s2, -v3
	v_fmac_f32_e32 v4, 0x3377d1cf, v2
	s_mov_b32 s2, 0x7f800000
	v_add_f32_e32 v3, v3, v4
	v_cmp_lt_f32_e64 s[2:3], |v2|, s2
	v_cndmask_b32_e64 v2, v2, v3, s[2:3]
	v_mov_b32_e32 v3, 0x41b17218
	v_cndmask_b32_e32 v3, 0, v3, vcc
	v_sub_f32_e32 v4, v2, v3
	s_mov_b64 s[2:3], -1
	s_cbranch_scc0 .LBB104_46
; %bb.42:
	v_cmp_gt_i32_e32 vcc, s33, v0
	s_and_saveexec_b64 s[2:3], vcc
	s_cbranch_execz .LBB104_45
; %bb.43:
	s_mov_b64 s[4:5], 0
	v_mov_b32_e32 v5, s27
	v_mov_b32_e32 v8, s7
	;; [unrolled: 1-line block ×3, first 2 shown]
.LBB104_44:                             ; =>This Inner Loop Header: Depth=1
	v_ashrrev_i32_e32 v3, 31, v2
	v_lshlrev_b64 v[10:11], 1, v[2:3]
	v_add_co_u32_e32 v12, vcc, s26, v10
	v_addc_co_u32_e32 v13, vcc, v5, v11, vcc
	global_load_ushort v3, v[12:13], off
	v_add_co_u32_e32 v10, vcc, s6, v10
	v_addc_co_u32_e32 v11, vcc, v8, v11, vcc
	v_add_u32_e32 v2, s40, v2
	v_cmp_le_i32_e32 vcc, s33, v2
	s_or_b64 s[4:5], vcc, s[4:5]
	s_waitcnt vmcnt(0)
	v_cvt_f32_f16_e32 v3, v3
	v_sub_f32_e32 v3, v3, v6
	v_sub_f32_e32 v3, v3, v4
	v_cvt_f16_f32_e32 v3, v3
	global_store_short v[10:11], v3, off
	s_andn2_b64 exec, exec, s[4:5]
	s_cbranch_execnz .LBB104_44
.LBB104_45:
	s_or_b64 exec, exec, s[2:3]
	s_mov_b64 s[2:3], 0
.LBB104_46:
	s_andn2_b64 vcc, exec, s[2:3]
	s_cbranch_vccnz .LBB104_57
; %bb.47:
	s_and_b64 vcc, exec, s[0:1]
	s_cbranch_vccnz .LBB104_51
; %bb.48:
	s_mov_b32 s29, 0
	s_lshl_b64 s[0:1], s[28:29], 1
	s_sub_u32 s2, s26, s0
	s_subb_u32 s3, s27, s1
	s_sub_u32 s4, s6, s0
	s_subb_u32 s5, s7, s1
	s_add_i32 s6, s28, s33
	v_cmp_le_u32_e32 vcc, s28, v0
	v_cmp_gt_i32_e64 s[0:1], s6, v0
	s_and_b64 s[8:9], vcc, s[0:1]
	s_and_saveexec_b64 s[0:1], s[8:9]
	s_cbranch_execz .LBB104_50
; %bb.49:
	v_lshlrev_b32_e32 v2, 1, v0
	global_load_ushort v3, v2, s[2:3]
	s_waitcnt vmcnt(0)
	v_cvt_f32_f16_e32 v3, v3
	v_sub_f32_e32 v3, v3, v6
	v_sub_f32_e32 v3, v3, v4
	v_cvt_f16_f32_e32 v3, v3
	global_store_short v2, v3, s[4:5]
.LBB104_50:
	s_or_b64 exec, exec, s[0:1]
	s_lshl_b32 s0, s40, 1
	s_add_u32 s26, s2, s0
	v_mov_b32_e32 v2, s40
	s_addc_u32 s27, s3, 0
	v_sub_u32_e64 v2, s6, v2 clamp
	s_add_u32 s6, s4, s0
	v_readfirstlane_b32 s33, v2
	s_addc_u32 s7, s5, 0
.LBB104_51:
	s_mul_hi_u32 s0, s33, s42
	s_mul_i32 s0, s0, s41
	s_sub_i32 s0, s33, s0
	s_sub_i32 s1, s0, s41
	s_cmp_ge_u32 s0, s41
	s_cselect_b32 s0, s1, s0
	s_sub_i32 s1, s0, s41
	s_cmp_ge_u32 s0, s41
	s_cselect_b32 s0, s1, s0
	s_sub_i32 s4, s33, s0
	v_cmp_gt_i32_e32 vcc, s4, v1
	s_and_saveexec_b64 s[0:1], vcc
	s_cbranch_execz .LBB104_54
; %bb.52:
	s_mov_b64 s[2:3], 0
	v_mov_b32_e32 v1, s27
	v_mov_b32_e32 v5, s7
	;; [unrolled: 1-line block ×3, first 2 shown]
.LBB104_53:                             ; =>This Inner Loop Header: Depth=1
	v_ashrrev_i32_e32 v3, 31, v2
	v_lshlrev_b64 v[12:13], 4, v[2:3]
	v_add_co_u32_e32 v8, vcc, s26, v12
	v_addc_co_u32_e32 v9, vcc, v1, v13, vcc
	global_load_dwordx4 v[8:11], v[8:9], off
	v_add_u32_e32 v2, v2, v7
	v_add_co_u32_e32 v12, vcc, s6, v12
	v_addc_co_u32_e32 v13, vcc, v5, v13, vcc
	v_lshlrev_b32_e32 v3, 3, v2
	v_cmp_le_i32_e32 vcc, s4, v3
	s_or_b64 s[2:3], vcc, s[2:3]
	s_waitcnt vmcnt(0)
	v_cvt_f32_f16_sdwa v3, v9 dst_sel:DWORD dst_unused:UNUSED_PAD src0_sel:WORD_1
	v_cvt_f32_f16_e32 v9, v9
	v_cvt_f32_f16_sdwa v14, v8 dst_sel:DWORD dst_unused:UNUSED_PAD src0_sel:WORD_1
	v_cvt_f32_f16_e32 v8, v8
	;; [unrolled: 2-line block ×4, first 2 shown]
	v_sub_f32_e32 v8, v8, v6
	v_sub_f32_e32 v14, v14, v6
	;; [unrolled: 1-line block ×16, first 2 shown]
	v_cvt_f16_f32_e32 v8, v8
	v_cvt_f16_f32_e32 v9, v9
	;; [unrolled: 1-line block ×8, first 2 shown]
	v_pack_b32_f16 v11, v11, v15
	v_pack_b32_f16 v10, v10, v16
	;; [unrolled: 1-line block ×4, first 2 shown]
	global_store_dwordx4 v[12:13], v[8:11], off
	s_andn2_b64 exec, exec, s[2:3]
	s_cbranch_execnz .LBB104_53
.LBB104_54:
	s_or_b64 exec, exec, s[0:1]
	v_add_u32_e32 v0, s4, v0
	v_cmp_gt_i32_e32 vcc, s33, v0
	s_and_saveexec_b64 s[0:1], vcc
	s_cbranch_execz .LBB104_57
; %bb.55:
	s_mov_b64 s[0:1], 0
	v_mov_b32_e32 v2, s27
	v_mov_b32_e32 v3, s7
.LBB104_56:                             ; =>This Inner Loop Header: Depth=1
	v_ashrrev_i32_e32 v1, 31, v0
	v_lshlrev_b64 v[8:9], 1, v[0:1]
	v_add_co_u32_e32 v10, vcc, s26, v8
	v_addc_co_u32_e32 v11, vcc, v2, v9, vcc
	global_load_ushort v1, v[10:11], off
	v_add_co_u32_e32 v8, vcc, s6, v8
	v_addc_co_u32_e32 v9, vcc, v3, v9, vcc
	v_add_u32_e32 v0, v0, v7
	v_cmp_le_i32_e32 vcc, s33, v0
	s_or_b64 s[0:1], vcc, s[0:1]
	s_waitcnt vmcnt(0)
	v_cvt_f32_f16_e32 v1, v1
	v_sub_f32_e32 v1, v1, v6
	v_sub_f32_e32 v1, v1, v4
	v_cvt_f16_f32_e32 v1, v1
	global_store_short v[8:9], v1, off
	s_andn2_b64 exec, exec, s[0:1]
	s_cbranch_execnz .LBB104_56
.LBB104_57:
	s_endpgm
.LBB104_58:
	ds_read_b32 v2, v15
	s_or_b64 exec, exec, s[2:3]
	s_and_saveexec_b64 s[2:3], s[10:11]
	s_cbranch_execz .LBB104_39
.LBB104_59:
	s_waitcnt lgkmcnt(0)
	ds_bpermute_b32 v3, v8, v2
	s_waitcnt lgkmcnt(0)
	v_add_f32_e32 v2, v2, v3
	ds_bpermute_b32 v3, v9, v2
	s_waitcnt lgkmcnt(0)
	v_add_f32_e32 v2, v2, v3
	;; [unrolled: 3-line block ×6, first 2 shown]
	s_or_b64 exec, exec, s[2:3]
	s_and_saveexec_b64 s[2:3], s[8:9]
	s_cbranch_execnz .LBB104_40
	s_branch .LBB104_41
	.section	.rodata,"a",@progbits
	.p2align	6, 0x0
	.amdhsa_kernel _ZN2at6native12_GLOBAL__N_119cunn_SoftMaxForwardILi8EN3c104HalfEfS4_NS1_25LogSoftMaxForwardEpilogueEEEvPT2_PKT0_i
		.amdhsa_group_segment_fixed_size 0
		.amdhsa_private_segment_fixed_size 0
		.amdhsa_kernarg_size 280
		.amdhsa_user_sgpr_count 6
		.amdhsa_user_sgpr_private_segment_buffer 1
		.amdhsa_user_sgpr_dispatch_ptr 0
		.amdhsa_user_sgpr_queue_ptr 0
		.amdhsa_user_sgpr_kernarg_segment_ptr 1
		.amdhsa_user_sgpr_dispatch_id 0
		.amdhsa_user_sgpr_flat_scratch_init 0
		.amdhsa_user_sgpr_kernarg_preload_length 0
		.amdhsa_user_sgpr_kernarg_preload_offset 0
		.amdhsa_user_sgpr_private_segment_size 0
		.amdhsa_uses_dynamic_stack 0
		.amdhsa_system_sgpr_private_segment_wavefront_offset 0
		.amdhsa_system_sgpr_workgroup_id_x 1
		.amdhsa_system_sgpr_workgroup_id_y 0
		.amdhsa_system_sgpr_workgroup_id_z 0
		.amdhsa_system_sgpr_workgroup_info 0
		.amdhsa_system_vgpr_workitem_id 0
		.amdhsa_next_free_vgpr 48
		.amdhsa_next_free_sgpr 47
		.amdhsa_accum_offset 48
		.amdhsa_reserve_vcc 1
		.amdhsa_reserve_flat_scratch 0
		.amdhsa_float_round_mode_32 0
		.amdhsa_float_round_mode_16_64 0
		.amdhsa_float_denorm_mode_32 3
		.amdhsa_float_denorm_mode_16_64 3
		.amdhsa_dx10_clamp 1
		.amdhsa_ieee_mode 1
		.amdhsa_fp16_overflow 0
		.amdhsa_tg_split 0
		.amdhsa_exception_fp_ieee_invalid_op 0
		.amdhsa_exception_fp_denorm_src 0
		.amdhsa_exception_fp_ieee_div_zero 0
		.amdhsa_exception_fp_ieee_overflow 0
		.amdhsa_exception_fp_ieee_underflow 0
		.amdhsa_exception_fp_ieee_inexact 0
		.amdhsa_exception_int_div_zero 0
	.end_amdhsa_kernel
	.section	.text._ZN2at6native12_GLOBAL__N_119cunn_SoftMaxForwardILi8EN3c104HalfEfS4_NS1_25LogSoftMaxForwardEpilogueEEEvPT2_PKT0_i,"axG",@progbits,_ZN2at6native12_GLOBAL__N_119cunn_SoftMaxForwardILi8EN3c104HalfEfS4_NS1_25LogSoftMaxForwardEpilogueEEEvPT2_PKT0_i,comdat
.Lfunc_end104:
	.size	_ZN2at6native12_GLOBAL__N_119cunn_SoftMaxForwardILi8EN3c104HalfEfS4_NS1_25LogSoftMaxForwardEpilogueEEEvPT2_PKT0_i, .Lfunc_end104-_ZN2at6native12_GLOBAL__N_119cunn_SoftMaxForwardILi8EN3c104HalfEfS4_NS1_25LogSoftMaxForwardEpilogueEEEvPT2_PKT0_i
                                        ; -- End function
	.section	.AMDGPU.csdata,"",@progbits
; Kernel info:
; codeLenInByte = 3964
; NumSgprs: 51
; NumVgprs: 48
; NumAgprs: 0
; TotalNumVgprs: 48
; ScratchSize: 0
; MemoryBound: 0
; FloatMode: 240
; IeeeMode: 1
; LDSByteSize: 0 bytes/workgroup (compile time only)
; SGPRBlocks: 6
; VGPRBlocks: 5
; NumSGPRsForWavesPerEU: 51
; NumVGPRsForWavesPerEU: 48
; AccumOffset: 48
; Occupancy: 8
; WaveLimiterHint : 0
; COMPUTE_PGM_RSRC2:SCRATCH_EN: 0
; COMPUTE_PGM_RSRC2:USER_SGPR: 6
; COMPUTE_PGM_RSRC2:TRAP_HANDLER: 0
; COMPUTE_PGM_RSRC2:TGID_X_EN: 1
; COMPUTE_PGM_RSRC2:TGID_Y_EN: 0
; COMPUTE_PGM_RSRC2:TGID_Z_EN: 0
; COMPUTE_PGM_RSRC2:TIDIG_COMP_CNT: 0
; COMPUTE_PGM_RSRC3_GFX90A:ACCUM_OFFSET: 11
; COMPUTE_PGM_RSRC3_GFX90A:TG_SPLIT: 0
	.section	.text._ZN12_GLOBAL__N_120softmax_warp_forwardIN3c104HalfEffLi0ELb1ELb0ELi64EEEvPT0_PKT_iiiPKbib,"axG",@progbits,_ZN12_GLOBAL__N_120softmax_warp_forwardIN3c104HalfEffLi0ELb1ELb0ELi64EEEvPT0_PKT_iiiPKbib,comdat
	.globl	_ZN12_GLOBAL__N_120softmax_warp_forwardIN3c104HalfEffLi0ELb1ELb0ELi64EEEvPT0_PKT_iiiPKbib ; -- Begin function _ZN12_GLOBAL__N_120softmax_warp_forwardIN3c104HalfEffLi0ELb1ELb0ELi64EEEvPT0_PKT_iiiPKbib
	.p2align	8
	.type	_ZN12_GLOBAL__N_120softmax_warp_forwardIN3c104HalfEffLi0ELb1ELb0ELi64EEEvPT0_PKT_iiiPKbib,@function
_ZN12_GLOBAL__N_120softmax_warp_forwardIN3c104HalfEffLi0ELb1ELb0ELi64EEEvPT0_PKT_iiiPKbib: ; @_ZN12_GLOBAL__N_120softmax_warp_forwardIN3c104HalfEffLi0ELb1ELb0ELi64EEEvPT0_PKT_iiiPKbib
; %bb.0:
	s_load_dword s0, s[4:5], 0x3c
	s_load_dwordx8 s[8:15], s[4:5], 0x0
	v_bfe_u32 v1, v0, 10, 10
	v_and_b32_e32 v0, 0x3ff, v0
	s_waitcnt lgkmcnt(0)
	s_lshr_b32 s0, s0, 16
	s_mul_i32 s6, s6, s0
	v_add_lshl_u32 v1, s6, v1, 1
	v_mad_u64_u32 v[2:3], s[0:1], v1, s13, v[0:1]
	v_ashrrev_i32_e32 v3, 31, v2
	v_lshlrev_b64 v[4:5], 1, v[2:3]
	v_sub_u32_e32 v6, s12, v1
	v_mov_b32_e32 v1, s11
	v_add_co_u32_e32 v4, vcc, s10, v4
	v_addc_co_u32_e32 v5, vcc, v1, v5, vcc
	v_cmp_gt_i32_e32 vcc, s14, v0
	v_cmp_lt_i32_e64 s[0:1], 0, v6
	s_and_b64 s[4:5], vcc, s[0:1]
	v_mov_b32_e32 v1, 0xff800000
	v_mov_b32_e32 v0, 0xff800000
	s_and_saveexec_b64 s[2:3], s[4:5]
	s_cbranch_execz .LBB105_2
; %bb.1:
	global_load_ushort v0, v[4:5], off
	s_waitcnt vmcnt(0)
	v_cvt_f32_f16_e32 v0, v0
.LBB105_2:
	s_or_b64 exec, exec, s[2:3]
	v_cmp_lt_i32_e64 s[2:3], 1, v6
	s_and_b64 s[2:3], vcc, s[2:3]
	s_and_saveexec_b64 s[4:5], s[2:3]
	s_cbranch_execz .LBB105_4
; %bb.3:
	s_mov_b32 s15, 0
	s_lshl_b64 s[2:3], s[14:15], 1
	v_mov_b32_e32 v1, s3
	v_add_co_u32_e64 v4, s[2:3], s2, v4
	v_addc_co_u32_e64 v5, s[2:3], v5, v1, s[2:3]
	global_load_ushort v1, v[4:5], off
	s_waitcnt vmcnt(0)
	v_cvt_f32_f16_e32 v1, v1
.LBB105_4:
	s_or_b64 exec, exec, s[4:5]
	s_and_saveexec_b64 s[2:3], s[0:1]
	s_cbranch_execz .LBB105_10
; %bb.5:
	v_pk_add_f32 v[8:9], v[0:1], v[0:1] neg_lo:[0,1] neg_hi:[0,1]
	s_mov_b32 s3, 0x3fb8aa3b
	v_mul_f32_e32 v5, 0x3fb8aa3b, v9
	v_fma_f32 v7, v9, s3, -v5
	v_rndne_f32_e32 v10, v5
	v_fmac_f32_e32 v7, 0x32a5705f, v9
	v_sub_f32_e32 v5, v5, v10
	v_add_f32_e32 v5, v5, v7
	v_exp_f32_e32 v5, v5
	v_cvt_i32_f32_e32 v7, v10
	v_lshlrev_b64 v[2:3], 2, v[2:3]
	v_mov_b32_e32 v4, s9
	v_add_co_u32_e64 v2, s[0:1], s8, v2
	v_addc_co_u32_e64 v3, s[0:1], v4, v3, s[0:1]
	v_ldexp_f32 v4, v5, v7
	v_mul_f32_e32 v5, 0x3fb8aa3b, v8
	v_fma_f32 v7, v8, s3, -v5
	v_rndne_f32_e32 v10, v5
	v_fmac_f32_e32 v7, 0x32a5705f, v8
	v_sub_f32_e32 v5, v5, v10
	v_add_f32_e32 v5, v5, v7
	v_exp_f32_e32 v5, v5
	v_cvt_i32_f32_e32 v7, v10
	s_mov_b32 s4, 0xc2ce8ed0
	v_cmp_ngt_f32_e64 s[0:1], s4, v9
	s_mov_b32 s5, 0x42b17218
	v_cndmask_b32_e64 v4, 0, v4, s[0:1]
	v_mov_b32_e32 v10, 0x7f800000
	v_cmp_nlt_f32_e64 s[0:1], s5, v9
	v_cndmask_b32_e64 v4, v10, v4, s[0:1]
	v_ldexp_f32 v5, v5, v7
	v_cmp_ngt_f32_e64 s[0:1], s4, v8
	v_cndmask_b32_e64 v5, 0, v5, s[0:1]
	v_cmp_nlt_f32_e64 s[0:1], s5, v8
	s_mov_b32 s2, 0x7f800000
	v_cndmask_b32_e64 v5, v10, v5, s[0:1]
	s_and_saveexec_b64 s[4:5], vcc
	s_cbranch_execz .LBB105_7
; %bb.6:
	s_mov_b32 s0, 0x800000
	v_mov_b32_e32 v7, 0x4f800000
	v_cmp_gt_f32_e64 s[0:1], s0, v5
	v_cndmask_b32_e64 v7, 1.0, v7, s[0:1]
	v_mul_f32_e32 v5, v5, v7
	v_log_f32_e32 v5, v5
	s_mov_b32 s3, 0x3f317217
	v_sub_f32_e32 v0, v0, v0
	v_mul_f32_e32 v7, 0x3f317217, v5
	v_fma_f32 v8, v5, s3, -v7
	v_fmac_f32_e32 v8, 0x3377d1cf, v5
	v_add_f32_e32 v7, v7, v8
	v_cmp_lt_f32_e64 s[2:3], |v5|, s2
	v_cndmask_b32_e64 v5, v5, v7, s[2:3]
	v_mov_b32_e32 v7, 0x41b17218
	v_cndmask_b32_e64 v7, 0, v7, s[0:1]
	v_sub_f32_e32 v5, v5, v7
	v_sub_f32_e32 v0, v0, v5
	global_store_dword v[2:3], v0, off
.LBB105_7:
	s_or_b64 exec, exec, s[4:5]
	v_cmp_ne_u32_e64 s[0:1], 1, v6
	s_and_b64 exec, exec, s[0:1]
	s_cbranch_execz .LBB105_10
; %bb.8:
	s_and_b64 exec, exec, vcc
	s_cbranch_execz .LBB105_10
; %bb.9:
	s_mov_b32 s0, 0x800000
	v_mov_b32_e32 v0, 0x4f800000
	v_cmp_gt_f32_e32 vcc, s0, v4
	v_cndmask_b32_e32 v0, 1.0, v0, vcc
	v_mul_f32_e32 v0, v4, v0
	v_log_f32_e32 v0, v0
	s_mov_b32 s0, 0x3f317217
	s_mov_b32 s15, 0
	v_sub_f32_e32 v1, v1, v1
	v_mul_f32_e32 v4, 0x3f317217, v0
	v_fma_f32 v5, v0, s0, -v4
	v_fmac_f32_e32 v5, 0x3377d1cf, v0
	s_mov_b32 s0, 0x7f800000
	v_add_f32_e32 v4, v4, v5
	v_cmp_lt_f32_e64 s[0:1], |v0|, s0
	v_cndmask_b32_e64 v0, v0, v4, s[0:1]
	v_mov_b32_e32 v4, 0x41b17218
	v_cndmask_b32_e32 v4, 0, v4, vcc
	v_sub_f32_e32 v0, v0, v4
	s_lshl_b64 s[0:1], s[14:15], 2
	v_sub_f32_e32 v4, v1, v0
	v_mov_b32_e32 v1, s1
	v_add_co_u32_e32 v0, vcc, s0, v2
	v_addc_co_u32_e32 v1, vcc, v3, v1, vcc
	global_store_dword v[0:1], v4, off
.LBB105_10:
	s_endpgm
	.section	.rodata,"a",@progbits
	.p2align	6, 0x0
	.amdhsa_kernel _ZN12_GLOBAL__N_120softmax_warp_forwardIN3c104HalfEffLi0ELb1ELb0ELi64EEEvPT0_PKT_iiiPKbib
		.amdhsa_group_segment_fixed_size 0
		.amdhsa_private_segment_fixed_size 0
		.amdhsa_kernarg_size 304
		.amdhsa_user_sgpr_count 6
		.amdhsa_user_sgpr_private_segment_buffer 1
		.amdhsa_user_sgpr_dispatch_ptr 0
		.amdhsa_user_sgpr_queue_ptr 0
		.amdhsa_user_sgpr_kernarg_segment_ptr 1
		.amdhsa_user_sgpr_dispatch_id 0
		.amdhsa_user_sgpr_flat_scratch_init 0
		.amdhsa_user_sgpr_kernarg_preload_length 0
		.amdhsa_user_sgpr_kernarg_preload_offset 0
		.amdhsa_user_sgpr_private_segment_size 0
		.amdhsa_uses_dynamic_stack 0
		.amdhsa_system_sgpr_private_segment_wavefront_offset 0
		.amdhsa_system_sgpr_workgroup_id_x 1
		.amdhsa_system_sgpr_workgroup_id_y 0
		.amdhsa_system_sgpr_workgroup_id_z 0
		.amdhsa_system_sgpr_workgroup_info 0
		.amdhsa_system_vgpr_workitem_id 1
		.amdhsa_next_free_vgpr 11
		.amdhsa_next_free_sgpr 16
		.amdhsa_accum_offset 12
		.amdhsa_reserve_vcc 1
		.amdhsa_reserve_flat_scratch 0
		.amdhsa_float_round_mode_32 0
		.amdhsa_float_round_mode_16_64 0
		.amdhsa_float_denorm_mode_32 3
		.amdhsa_float_denorm_mode_16_64 3
		.amdhsa_dx10_clamp 1
		.amdhsa_ieee_mode 1
		.amdhsa_fp16_overflow 0
		.amdhsa_tg_split 0
		.amdhsa_exception_fp_ieee_invalid_op 0
		.amdhsa_exception_fp_denorm_src 0
		.amdhsa_exception_fp_ieee_div_zero 0
		.amdhsa_exception_fp_ieee_overflow 0
		.amdhsa_exception_fp_ieee_underflow 0
		.amdhsa_exception_fp_ieee_inexact 0
		.amdhsa_exception_int_div_zero 0
	.end_amdhsa_kernel
	.section	.text._ZN12_GLOBAL__N_120softmax_warp_forwardIN3c104HalfEffLi0ELb1ELb0ELi64EEEvPT0_PKT_iiiPKbib,"axG",@progbits,_ZN12_GLOBAL__N_120softmax_warp_forwardIN3c104HalfEffLi0ELb1ELb0ELi64EEEvPT0_PKT_iiiPKbib,comdat
.Lfunc_end105:
	.size	_ZN12_GLOBAL__N_120softmax_warp_forwardIN3c104HalfEffLi0ELb1ELb0ELi64EEEvPT0_PKT_iiiPKbib, .Lfunc_end105-_ZN12_GLOBAL__N_120softmax_warp_forwardIN3c104HalfEffLi0ELb1ELb0ELi64EEEvPT0_PKT_iiiPKbib
                                        ; -- End function
	.section	.AMDGPU.csdata,"",@progbits
; Kernel info:
; codeLenInByte = 780
; NumSgprs: 20
; NumVgprs: 11
; NumAgprs: 0
; TotalNumVgprs: 11
; ScratchSize: 0
; MemoryBound: 0
; FloatMode: 240
; IeeeMode: 1
; LDSByteSize: 0 bytes/workgroup (compile time only)
; SGPRBlocks: 2
; VGPRBlocks: 1
; NumSGPRsForWavesPerEU: 20
; NumVGPRsForWavesPerEU: 11
; AccumOffset: 12
; Occupancy: 8
; WaveLimiterHint : 0
; COMPUTE_PGM_RSRC2:SCRATCH_EN: 0
; COMPUTE_PGM_RSRC2:USER_SGPR: 6
; COMPUTE_PGM_RSRC2:TRAP_HANDLER: 0
; COMPUTE_PGM_RSRC2:TGID_X_EN: 1
; COMPUTE_PGM_RSRC2:TGID_Y_EN: 0
; COMPUTE_PGM_RSRC2:TGID_Z_EN: 0
; COMPUTE_PGM_RSRC2:TIDIG_COMP_CNT: 1
; COMPUTE_PGM_RSRC3_GFX90A:ACCUM_OFFSET: 2
; COMPUTE_PGM_RSRC3_GFX90A:TG_SPLIT: 0
	.section	.text._ZN12_GLOBAL__N_120softmax_warp_forwardIN3c104HalfEffLi0ELb1ELb0ELi32EEEvPT0_PKT_iiiPKbib,"axG",@progbits,_ZN12_GLOBAL__N_120softmax_warp_forwardIN3c104HalfEffLi0ELb1ELb0ELi32EEEvPT0_PKT_iiiPKbib,comdat
	.globl	_ZN12_GLOBAL__N_120softmax_warp_forwardIN3c104HalfEffLi0ELb1ELb0ELi32EEEvPT0_PKT_iiiPKbib ; -- Begin function _ZN12_GLOBAL__N_120softmax_warp_forwardIN3c104HalfEffLi0ELb1ELb0ELi32EEEvPT0_PKT_iiiPKbib
	.p2align	8
	.type	_ZN12_GLOBAL__N_120softmax_warp_forwardIN3c104HalfEffLi0ELb1ELb0ELi32EEEvPT0_PKT_iiiPKbib,@function
_ZN12_GLOBAL__N_120softmax_warp_forwardIN3c104HalfEffLi0ELb1ELb0ELi32EEEvPT0_PKT_iiiPKbib: ; @_ZN12_GLOBAL__N_120softmax_warp_forwardIN3c104HalfEffLi0ELb1ELb0ELi32EEEvPT0_PKT_iiiPKbib
; %bb.0:
	s_load_dword s0, s[4:5], 0x3c
	s_load_dwordx8 s[8:15], s[4:5], 0x0
	v_bfe_u32 v1, v0, 10, 10
	v_and_b32_e32 v0, 0x3ff, v0
	s_waitcnt lgkmcnt(0)
	s_lshr_b32 s0, s0, 16
	s_mul_i32 s6, s6, s0
	v_add_lshl_u32 v1, s6, v1, 1
	v_mad_u64_u32 v[2:3], s[0:1], v1, s13, v[0:1]
	v_ashrrev_i32_e32 v3, 31, v2
	v_lshlrev_b64 v[4:5], 1, v[2:3]
	v_sub_u32_e32 v6, s12, v1
	v_mov_b32_e32 v1, s11
	v_add_co_u32_e32 v4, vcc, s10, v4
	v_addc_co_u32_e32 v5, vcc, v1, v5, vcc
	v_cmp_gt_i32_e32 vcc, s14, v0
	v_cmp_lt_i32_e64 s[0:1], 0, v6
	s_and_b64 s[4:5], vcc, s[0:1]
	v_mov_b32_e32 v1, 0xff800000
	v_mov_b32_e32 v0, 0xff800000
	s_and_saveexec_b64 s[2:3], s[4:5]
	s_cbranch_execz .LBB106_2
; %bb.1:
	global_load_ushort v0, v[4:5], off
	s_waitcnt vmcnt(0)
	v_cvt_f32_f16_e32 v0, v0
.LBB106_2:
	s_or_b64 exec, exec, s[2:3]
	v_cmp_lt_i32_e64 s[2:3], 1, v6
	s_and_b64 s[2:3], vcc, s[2:3]
	s_and_saveexec_b64 s[4:5], s[2:3]
	s_cbranch_execz .LBB106_4
; %bb.3:
	s_mov_b32 s15, 0
	s_lshl_b64 s[2:3], s[14:15], 1
	v_mov_b32_e32 v1, s3
	v_add_co_u32_e64 v4, s[2:3], s2, v4
	v_addc_co_u32_e64 v5, s[2:3], v5, v1, s[2:3]
	global_load_ushort v1, v[4:5], off
	s_waitcnt vmcnt(0)
	v_cvt_f32_f16_e32 v1, v1
.LBB106_4:
	s_or_b64 exec, exec, s[4:5]
	s_and_saveexec_b64 s[2:3], s[0:1]
	s_cbranch_execz .LBB106_10
; %bb.5:
	v_pk_add_f32 v[8:9], v[0:1], v[0:1] neg_lo:[0,1] neg_hi:[0,1]
	s_mov_b32 s3, 0x3fb8aa3b
	v_mul_f32_e32 v5, 0x3fb8aa3b, v9
	v_fma_f32 v7, v9, s3, -v5
	v_rndne_f32_e32 v10, v5
	v_fmac_f32_e32 v7, 0x32a5705f, v9
	v_sub_f32_e32 v5, v5, v10
	v_add_f32_e32 v5, v5, v7
	v_exp_f32_e32 v5, v5
	v_cvt_i32_f32_e32 v7, v10
	v_lshlrev_b64 v[2:3], 2, v[2:3]
	v_mov_b32_e32 v4, s9
	v_add_co_u32_e64 v2, s[0:1], s8, v2
	v_addc_co_u32_e64 v3, s[0:1], v4, v3, s[0:1]
	v_ldexp_f32 v4, v5, v7
	v_mul_f32_e32 v5, 0x3fb8aa3b, v8
	v_fma_f32 v7, v8, s3, -v5
	v_rndne_f32_e32 v10, v5
	v_fmac_f32_e32 v7, 0x32a5705f, v8
	v_sub_f32_e32 v5, v5, v10
	v_add_f32_e32 v5, v5, v7
	v_exp_f32_e32 v5, v5
	v_cvt_i32_f32_e32 v7, v10
	s_mov_b32 s4, 0xc2ce8ed0
	v_cmp_ngt_f32_e64 s[0:1], s4, v9
	s_mov_b32 s5, 0x42b17218
	v_cndmask_b32_e64 v4, 0, v4, s[0:1]
	v_mov_b32_e32 v10, 0x7f800000
	v_cmp_nlt_f32_e64 s[0:1], s5, v9
	v_cndmask_b32_e64 v4, v10, v4, s[0:1]
	v_ldexp_f32 v5, v5, v7
	v_cmp_ngt_f32_e64 s[0:1], s4, v8
	v_cndmask_b32_e64 v5, 0, v5, s[0:1]
	v_cmp_nlt_f32_e64 s[0:1], s5, v8
	s_mov_b32 s2, 0x7f800000
	v_cndmask_b32_e64 v5, v10, v5, s[0:1]
	s_and_saveexec_b64 s[4:5], vcc
	s_cbranch_execz .LBB106_7
; %bb.6:
	s_mov_b32 s0, 0x800000
	v_mov_b32_e32 v7, 0x4f800000
	v_cmp_gt_f32_e64 s[0:1], s0, v5
	v_cndmask_b32_e64 v7, 1.0, v7, s[0:1]
	v_mul_f32_e32 v5, v5, v7
	v_log_f32_e32 v5, v5
	s_mov_b32 s3, 0x3f317217
	v_sub_f32_e32 v0, v0, v0
	v_mul_f32_e32 v7, 0x3f317217, v5
	v_fma_f32 v8, v5, s3, -v7
	v_fmac_f32_e32 v8, 0x3377d1cf, v5
	v_add_f32_e32 v7, v7, v8
	v_cmp_lt_f32_e64 s[2:3], |v5|, s2
	v_cndmask_b32_e64 v5, v5, v7, s[2:3]
	v_mov_b32_e32 v7, 0x41b17218
	v_cndmask_b32_e64 v7, 0, v7, s[0:1]
	v_sub_f32_e32 v5, v5, v7
	v_sub_f32_e32 v0, v0, v5
	global_store_dword v[2:3], v0, off
.LBB106_7:
	s_or_b64 exec, exec, s[4:5]
	v_cmp_ne_u32_e64 s[0:1], 1, v6
	s_and_b64 exec, exec, s[0:1]
	s_cbranch_execz .LBB106_10
; %bb.8:
	s_and_b64 exec, exec, vcc
	s_cbranch_execz .LBB106_10
; %bb.9:
	s_mov_b32 s0, 0x800000
	v_mov_b32_e32 v0, 0x4f800000
	v_cmp_gt_f32_e32 vcc, s0, v4
	v_cndmask_b32_e32 v0, 1.0, v0, vcc
	v_mul_f32_e32 v0, v4, v0
	v_log_f32_e32 v0, v0
	s_mov_b32 s0, 0x3f317217
	s_mov_b32 s15, 0
	v_sub_f32_e32 v1, v1, v1
	v_mul_f32_e32 v4, 0x3f317217, v0
	v_fma_f32 v5, v0, s0, -v4
	v_fmac_f32_e32 v5, 0x3377d1cf, v0
	s_mov_b32 s0, 0x7f800000
	v_add_f32_e32 v4, v4, v5
	v_cmp_lt_f32_e64 s[0:1], |v0|, s0
	v_cndmask_b32_e64 v0, v0, v4, s[0:1]
	v_mov_b32_e32 v4, 0x41b17218
	v_cndmask_b32_e32 v4, 0, v4, vcc
	v_sub_f32_e32 v0, v0, v4
	s_lshl_b64 s[0:1], s[14:15], 2
	v_sub_f32_e32 v4, v1, v0
	v_mov_b32_e32 v1, s1
	v_add_co_u32_e32 v0, vcc, s0, v2
	v_addc_co_u32_e32 v1, vcc, v3, v1, vcc
	global_store_dword v[0:1], v4, off
.LBB106_10:
	s_endpgm
	.section	.rodata,"a",@progbits
	.p2align	6, 0x0
	.amdhsa_kernel _ZN12_GLOBAL__N_120softmax_warp_forwardIN3c104HalfEffLi0ELb1ELb0ELi32EEEvPT0_PKT_iiiPKbib
		.amdhsa_group_segment_fixed_size 0
		.amdhsa_private_segment_fixed_size 0
		.amdhsa_kernarg_size 304
		.amdhsa_user_sgpr_count 6
		.amdhsa_user_sgpr_private_segment_buffer 1
		.amdhsa_user_sgpr_dispatch_ptr 0
		.amdhsa_user_sgpr_queue_ptr 0
		.amdhsa_user_sgpr_kernarg_segment_ptr 1
		.amdhsa_user_sgpr_dispatch_id 0
		.amdhsa_user_sgpr_flat_scratch_init 0
		.amdhsa_user_sgpr_kernarg_preload_length 0
		.amdhsa_user_sgpr_kernarg_preload_offset 0
		.amdhsa_user_sgpr_private_segment_size 0
		.amdhsa_uses_dynamic_stack 0
		.amdhsa_system_sgpr_private_segment_wavefront_offset 0
		.amdhsa_system_sgpr_workgroup_id_x 1
		.amdhsa_system_sgpr_workgroup_id_y 0
		.amdhsa_system_sgpr_workgroup_id_z 0
		.amdhsa_system_sgpr_workgroup_info 0
		.amdhsa_system_vgpr_workitem_id 1
		.amdhsa_next_free_vgpr 11
		.amdhsa_next_free_sgpr 16
		.amdhsa_accum_offset 12
		.amdhsa_reserve_vcc 1
		.amdhsa_reserve_flat_scratch 0
		.amdhsa_float_round_mode_32 0
		.amdhsa_float_round_mode_16_64 0
		.amdhsa_float_denorm_mode_32 3
		.amdhsa_float_denorm_mode_16_64 3
		.amdhsa_dx10_clamp 1
		.amdhsa_ieee_mode 1
		.amdhsa_fp16_overflow 0
		.amdhsa_tg_split 0
		.amdhsa_exception_fp_ieee_invalid_op 0
		.amdhsa_exception_fp_denorm_src 0
		.amdhsa_exception_fp_ieee_div_zero 0
		.amdhsa_exception_fp_ieee_overflow 0
		.amdhsa_exception_fp_ieee_underflow 0
		.amdhsa_exception_fp_ieee_inexact 0
		.amdhsa_exception_int_div_zero 0
	.end_amdhsa_kernel
	.section	.text._ZN12_GLOBAL__N_120softmax_warp_forwardIN3c104HalfEffLi0ELb1ELb0ELi32EEEvPT0_PKT_iiiPKbib,"axG",@progbits,_ZN12_GLOBAL__N_120softmax_warp_forwardIN3c104HalfEffLi0ELb1ELb0ELi32EEEvPT0_PKT_iiiPKbib,comdat
.Lfunc_end106:
	.size	_ZN12_GLOBAL__N_120softmax_warp_forwardIN3c104HalfEffLi0ELb1ELb0ELi32EEEvPT0_PKT_iiiPKbib, .Lfunc_end106-_ZN12_GLOBAL__N_120softmax_warp_forwardIN3c104HalfEffLi0ELb1ELb0ELi32EEEvPT0_PKT_iiiPKbib
                                        ; -- End function
	.section	.AMDGPU.csdata,"",@progbits
; Kernel info:
; codeLenInByte = 780
; NumSgprs: 20
; NumVgprs: 11
; NumAgprs: 0
; TotalNumVgprs: 11
; ScratchSize: 0
; MemoryBound: 0
; FloatMode: 240
; IeeeMode: 1
; LDSByteSize: 0 bytes/workgroup (compile time only)
; SGPRBlocks: 2
; VGPRBlocks: 1
; NumSGPRsForWavesPerEU: 20
; NumVGPRsForWavesPerEU: 11
; AccumOffset: 12
; Occupancy: 8
; WaveLimiterHint : 0
; COMPUTE_PGM_RSRC2:SCRATCH_EN: 0
; COMPUTE_PGM_RSRC2:USER_SGPR: 6
; COMPUTE_PGM_RSRC2:TRAP_HANDLER: 0
; COMPUTE_PGM_RSRC2:TGID_X_EN: 1
; COMPUTE_PGM_RSRC2:TGID_Y_EN: 0
; COMPUTE_PGM_RSRC2:TGID_Z_EN: 0
; COMPUTE_PGM_RSRC2:TIDIG_COMP_CNT: 1
; COMPUTE_PGM_RSRC3_GFX90A:ACCUM_OFFSET: 2
; COMPUTE_PGM_RSRC3_GFX90A:TG_SPLIT: 0
	.section	.text._ZN12_GLOBAL__N_120softmax_warp_forwardIN3c104HalfEffLi1ELb1ELb0ELi64EEEvPT0_PKT_iiiPKbib,"axG",@progbits,_ZN12_GLOBAL__N_120softmax_warp_forwardIN3c104HalfEffLi1ELb1ELb0ELi64EEEvPT0_PKT_iiiPKbib,comdat
	.globl	_ZN12_GLOBAL__N_120softmax_warp_forwardIN3c104HalfEffLi1ELb1ELb0ELi64EEEvPT0_PKT_iiiPKbib ; -- Begin function _ZN12_GLOBAL__N_120softmax_warp_forwardIN3c104HalfEffLi1ELb1ELb0ELi64EEEvPT0_PKT_iiiPKbib
	.p2align	8
	.type	_ZN12_GLOBAL__N_120softmax_warp_forwardIN3c104HalfEffLi1ELb1ELb0ELi64EEEvPT0_PKT_iiiPKbib,@function
_ZN12_GLOBAL__N_120softmax_warp_forwardIN3c104HalfEffLi1ELb1ELb0ELi64EEEvPT0_PKT_iiiPKbib: ; @_ZN12_GLOBAL__N_120softmax_warp_forwardIN3c104HalfEffLi1ELb1ELb0ELi64EEEvPT0_PKT_iiiPKbib
; %bb.0:
	s_load_dword s0, s[4:5], 0x3c
	s_load_dwordx8 s[8:15], s[4:5], 0x0
	v_bfe_u32 v1, v0, 10, 10
	v_and_b32_e32 v0, 0x3ff, v0
	s_waitcnt lgkmcnt(0)
	s_lshr_b32 s0, s0, 16
	s_mul_i32 s6, s6, s0
	v_add_lshl_u32 v1, s6, v1, 1
	v_mad_u64_u32 v[4:5], s[0:1], v1, s13, v[0:1]
	v_ashrrev_i32_e32 v5, 31, v4
	v_lshlrev_b64 v[2:3], 1, v[4:5]
	v_sub_u32_e32 v10, s12, v1
	v_mov_b32_e32 v1, s11
	v_add_co_u32_e32 v2, vcc, s10, v2
	v_addc_co_u32_e32 v3, vcc, v1, v3, vcc
	v_cmp_gt_i32_e32 vcc, s14, v0
	v_cmp_lt_i32_e64 s[0:1], 0, v10
	s_and_b64 s[4:5], vcc, s[0:1]
	v_mov_b32_e32 v1, 0xff800000
	v_mov_b32_e32 v0, 0xff800000
	s_and_saveexec_b64 s[2:3], s[4:5]
	s_cbranch_execz .LBB107_2
; %bb.1:
	global_load_ushort v0, v[2:3], off
	s_waitcnt vmcnt(0)
	v_cvt_f32_f16_e32 v0, v0
.LBB107_2:
	s_or_b64 exec, exec, s[2:3]
	v_cmp_lt_i32_e64 s[2:3], 1, v10
	s_and_b64 s[2:3], vcc, s[2:3]
	s_and_saveexec_b64 s[4:5], s[2:3]
	s_cbranch_execz .LBB107_4
; %bb.3:
	s_mov_b32 s15, 0
	s_lshl_b64 s[2:3], s[14:15], 1
	v_mov_b32_e32 v1, s3
	v_add_co_u32_e64 v2, s[2:3], s2, v2
	v_addc_co_u32_e64 v3, s[2:3], v3, v1, s[2:3]
	global_load_ushort v1, v[2:3], off
	s_waitcnt vmcnt(0)
	v_cvt_f32_f16_e32 v1, v1
.LBB107_4:
	s_or_b64 exec, exec, s[4:5]
	v_mbcnt_lo_u32_b32 v2, -1, 0
	v_mbcnt_hi_u32_b32 v2, -1, v2
	v_and_b32_e32 v6, 0x7e, v2
	v_xor_b32_e32 v3, 1, v2
	v_add_u32_e32 v6, 2, v6
	v_cmp_lt_i32_e64 s[2:3], v3, v6
	v_cndmask_b32_e64 v2, v2, v3, s[2:3]
	v_lshlrev_b32_e32 v9, 2, v2
	ds_bpermute_b32 v2, v9, v1
	ds_bpermute_b32 v6, v9, v0
	s_mov_b32 s4, 0x3fb8aa3b
	s_mov_b32 s5, 0xc2ce8ed0
	;; [unrolled: 1-line block ×3, first 2 shown]
	s_waitcnt lgkmcnt(1)
	v_cmp_lt_f32_e64 s[2:3], v1, v2
	v_cndmask_b32_e64 v3, v1, v2, s[2:3]
	s_waitcnt lgkmcnt(0)
	v_cmp_lt_f32_e64 s[2:3], v0, v6
	v_cndmask_b32_e64 v2, v0, v6, s[2:3]
	v_pk_add_f32 v[6:7], v[0:1], v[2:3] neg_lo:[0,1] neg_hi:[0,1]
	v_mul_f32_e32 v8, 0x3fb8aa3b, v7
	v_fma_f32 v11, v7, s4, -v8
	v_rndne_f32_e32 v12, v8
	v_fmac_f32_e32 v11, 0x32a5705f, v7
	v_sub_f32_e32 v8, v8, v12
	v_add_f32_e32 v8, v8, v11
	v_exp_f32_e32 v8, v8
	v_cvt_i32_f32_e32 v11, v12
	v_cmp_ngt_f32_e64 s[2:3], s5, v7
	v_ldexp_f32 v8, v8, v11
	v_mul_f32_e32 v11, 0x3fb8aa3b, v6
	v_fma_f32 v12, v6, s4, -v11
	v_rndne_f32_e32 v13, v11
	v_fmac_f32_e32 v12, 0x32a5705f, v6
	v_sub_f32_e32 v11, v11, v13
	v_add_f32_e32 v11, v11, v12
	v_exp_f32_e32 v11, v11
	v_cvt_i32_f32_e32 v12, v13
	v_cndmask_b32_e64 v8, 0, v8, s[2:3]
	v_mov_b32_e32 v13, 0x7f800000
	v_cmp_nlt_f32_e64 s[2:3], s6, v7
	v_cndmask_b32_e64 v7, v13, v8, s[2:3]
	v_ldexp_f32 v8, v11, v12
	v_cmp_ngt_f32_e64 s[2:3], s5, v6
	v_cndmask_b32_e64 v8, 0, v8, s[2:3]
	v_cmp_nlt_f32_e64 s[2:3], s6, v6
	v_cndmask_b32_e64 v6, v13, v8, s[2:3]
	ds_bpermute_b32 v8, v9, v6
	ds_bpermute_b32 v9, v9, v7
	s_and_saveexec_b64 s[2:3], s[0:1]
	s_cbranch_execz .LBB107_10
; %bb.5:
	v_lshlrev_b64 v[4:5], 2, v[4:5]
	v_mov_b32_e32 v11, s9
	v_add_co_u32_e64 v4, s[0:1], s8, v4
	v_addc_co_u32_e64 v5, s[0:1], v11, v5, s[0:1]
	s_waitcnt lgkmcnt(0)
	v_pk_add_f32 v[6:7], v[6:7], v[8:9]
	s_and_saveexec_b64 s[4:5], vcc
	s_cbranch_execz .LBB107_7
; %bb.6:
	s_mov_b32 s0, 0x800000
	v_mov_b32_e32 v8, 0x4f800000
	v_cmp_gt_f32_e64 s[0:1], s0, v6
	v_cndmask_b32_e64 v8, 1.0, v8, s[0:1]
	v_mul_f32_e32 v6, v6, v8
	v_log_f32_e32 v6, v6
	s_mov_b32 s2, 0x3f317217
	v_sub_f32_e32 v0, v0, v2
	v_mul_f32_e32 v8, 0x3f317217, v6
	v_fma_f32 v9, v6, s2, -v8
	v_fmac_f32_e32 v9, 0x3377d1cf, v6
	s_mov_b32 s2, 0x7f800000
	v_add_f32_e32 v8, v8, v9
	v_cmp_lt_f32_e64 s[2:3], |v6|, s2
	v_cndmask_b32_e64 v6, v6, v8, s[2:3]
	v_mov_b32_e32 v8, 0x41b17218
	v_cndmask_b32_e64 v8, 0, v8, s[0:1]
	v_sub_f32_e32 v6, v6, v8
	v_sub_f32_e32 v0, v0, v6
	global_store_dword v[4:5], v0, off
.LBB107_7:
	s_or_b64 exec, exec, s[4:5]
	v_cmp_ne_u32_e64 s[0:1], 1, v10
	s_and_b64 exec, exec, s[0:1]
	s_cbranch_execz .LBB107_10
; %bb.8:
	s_and_b64 exec, exec, vcc
	s_cbranch_execz .LBB107_10
; %bb.9:
	s_mov_b32 s0, 0x800000
	v_mov_b32_e32 v0, 0x4f800000
	v_cmp_gt_f32_e32 vcc, s0, v7
	v_cndmask_b32_e32 v0, 1.0, v0, vcc
	v_mul_f32_e32 v0, v7, v0
	v_log_f32_e32 v0, v0
	s_mov_b32 s0, 0x3f317217
	s_mov_b32 s15, 0
	v_sub_f32_e32 v1, v1, v3
	v_mul_f32_e32 v2, 0x3f317217, v0
	v_fma_f32 v6, v0, s0, -v2
	v_fmac_f32_e32 v6, 0x3377d1cf, v0
	s_mov_b32 s0, 0x7f800000
	v_add_f32_e32 v2, v2, v6
	v_cmp_lt_f32_e64 s[0:1], |v0|, s0
	v_cndmask_b32_e64 v0, v0, v2, s[0:1]
	v_mov_b32_e32 v2, 0x41b17218
	v_cndmask_b32_e32 v2, 0, v2, vcc
	v_sub_f32_e32 v0, v0, v2
	s_lshl_b64 s[0:1], s[14:15], 2
	v_sub_f32_e32 v2, v1, v0
	v_mov_b32_e32 v1, s1
	v_add_co_u32_e32 v0, vcc, s0, v4
	v_addc_co_u32_e32 v1, vcc, v5, v1, vcc
	global_store_dword v[0:1], v2, off
.LBB107_10:
	s_endpgm
	.section	.rodata,"a",@progbits
	.p2align	6, 0x0
	.amdhsa_kernel _ZN12_GLOBAL__N_120softmax_warp_forwardIN3c104HalfEffLi1ELb1ELb0ELi64EEEvPT0_PKT_iiiPKbib
		.amdhsa_group_segment_fixed_size 0
		.amdhsa_private_segment_fixed_size 0
		.amdhsa_kernarg_size 304
		.amdhsa_user_sgpr_count 6
		.amdhsa_user_sgpr_private_segment_buffer 1
		.amdhsa_user_sgpr_dispatch_ptr 0
		.amdhsa_user_sgpr_queue_ptr 0
		.amdhsa_user_sgpr_kernarg_segment_ptr 1
		.amdhsa_user_sgpr_dispatch_id 0
		.amdhsa_user_sgpr_flat_scratch_init 0
		.amdhsa_user_sgpr_kernarg_preload_length 0
		.amdhsa_user_sgpr_kernarg_preload_offset 0
		.amdhsa_user_sgpr_private_segment_size 0
		.amdhsa_uses_dynamic_stack 0
		.amdhsa_system_sgpr_private_segment_wavefront_offset 0
		.amdhsa_system_sgpr_workgroup_id_x 1
		.amdhsa_system_sgpr_workgroup_id_y 0
		.amdhsa_system_sgpr_workgroup_id_z 0
		.amdhsa_system_sgpr_workgroup_info 0
		.amdhsa_system_vgpr_workitem_id 1
		.amdhsa_next_free_vgpr 14
		.amdhsa_next_free_sgpr 16
		.amdhsa_accum_offset 16
		.amdhsa_reserve_vcc 1
		.amdhsa_reserve_flat_scratch 0
		.amdhsa_float_round_mode_32 0
		.amdhsa_float_round_mode_16_64 0
		.amdhsa_float_denorm_mode_32 3
		.amdhsa_float_denorm_mode_16_64 3
		.amdhsa_dx10_clamp 1
		.amdhsa_ieee_mode 1
		.amdhsa_fp16_overflow 0
		.amdhsa_tg_split 0
		.amdhsa_exception_fp_ieee_invalid_op 0
		.amdhsa_exception_fp_denorm_src 0
		.amdhsa_exception_fp_ieee_div_zero 0
		.amdhsa_exception_fp_ieee_overflow 0
		.amdhsa_exception_fp_ieee_underflow 0
		.amdhsa_exception_fp_ieee_inexact 0
		.amdhsa_exception_int_div_zero 0
	.end_amdhsa_kernel
	.section	.text._ZN12_GLOBAL__N_120softmax_warp_forwardIN3c104HalfEffLi1ELb1ELb0ELi64EEEvPT0_PKT_iiiPKbib,"axG",@progbits,_ZN12_GLOBAL__N_120softmax_warp_forwardIN3c104HalfEffLi1ELb1ELb0ELi64EEEvPT0_PKT_iiiPKbib,comdat
.Lfunc_end107:
	.size	_ZN12_GLOBAL__N_120softmax_warp_forwardIN3c104HalfEffLi1ELb1ELb0ELi64EEEvPT0_PKT_iiiPKbib, .Lfunc_end107-_ZN12_GLOBAL__N_120softmax_warp_forwardIN3c104HalfEffLi1ELb1ELb0ELi64EEEvPT0_PKT_iiiPKbib
                                        ; -- End function
	.section	.AMDGPU.csdata,"",@progbits
; Kernel info:
; codeLenInByte = 916
; NumSgprs: 20
; NumVgprs: 14
; NumAgprs: 0
; TotalNumVgprs: 14
; ScratchSize: 0
; MemoryBound: 0
; FloatMode: 240
; IeeeMode: 1
; LDSByteSize: 0 bytes/workgroup (compile time only)
; SGPRBlocks: 2
; VGPRBlocks: 1
; NumSGPRsForWavesPerEU: 20
; NumVGPRsForWavesPerEU: 14
; AccumOffset: 16
; Occupancy: 8
; WaveLimiterHint : 0
; COMPUTE_PGM_RSRC2:SCRATCH_EN: 0
; COMPUTE_PGM_RSRC2:USER_SGPR: 6
; COMPUTE_PGM_RSRC2:TRAP_HANDLER: 0
; COMPUTE_PGM_RSRC2:TGID_X_EN: 1
; COMPUTE_PGM_RSRC2:TGID_Y_EN: 0
; COMPUTE_PGM_RSRC2:TGID_Z_EN: 0
; COMPUTE_PGM_RSRC2:TIDIG_COMP_CNT: 1
; COMPUTE_PGM_RSRC3_GFX90A:ACCUM_OFFSET: 3
; COMPUTE_PGM_RSRC3_GFX90A:TG_SPLIT: 0
	.section	.text._ZN12_GLOBAL__N_120softmax_warp_forwardIN3c104HalfEffLi1ELb1ELb0ELi32EEEvPT0_PKT_iiiPKbib,"axG",@progbits,_ZN12_GLOBAL__N_120softmax_warp_forwardIN3c104HalfEffLi1ELb1ELb0ELi32EEEvPT0_PKT_iiiPKbib,comdat
	.globl	_ZN12_GLOBAL__N_120softmax_warp_forwardIN3c104HalfEffLi1ELb1ELb0ELi32EEEvPT0_PKT_iiiPKbib ; -- Begin function _ZN12_GLOBAL__N_120softmax_warp_forwardIN3c104HalfEffLi1ELb1ELb0ELi32EEEvPT0_PKT_iiiPKbib
	.p2align	8
	.type	_ZN12_GLOBAL__N_120softmax_warp_forwardIN3c104HalfEffLi1ELb1ELb0ELi32EEEvPT0_PKT_iiiPKbib,@function
_ZN12_GLOBAL__N_120softmax_warp_forwardIN3c104HalfEffLi1ELb1ELb0ELi32EEEvPT0_PKT_iiiPKbib: ; @_ZN12_GLOBAL__N_120softmax_warp_forwardIN3c104HalfEffLi1ELb1ELb0ELi32EEEvPT0_PKT_iiiPKbib
; %bb.0:
	s_load_dword s0, s[4:5], 0x3c
	s_load_dwordx8 s[8:15], s[4:5], 0x0
	v_bfe_u32 v1, v0, 10, 10
	v_and_b32_e32 v0, 0x3ff, v0
	s_waitcnt lgkmcnt(0)
	s_lshr_b32 s0, s0, 16
	s_mul_i32 s6, s6, s0
	v_add_lshl_u32 v1, s6, v1, 1
	v_mad_u64_u32 v[4:5], s[0:1], v1, s13, v[0:1]
	v_ashrrev_i32_e32 v5, 31, v4
	v_lshlrev_b64 v[2:3], 1, v[4:5]
	v_sub_u32_e32 v10, s12, v1
	v_mov_b32_e32 v1, s11
	v_add_co_u32_e32 v2, vcc, s10, v2
	v_addc_co_u32_e32 v3, vcc, v1, v3, vcc
	v_cmp_gt_i32_e32 vcc, s14, v0
	v_cmp_lt_i32_e64 s[0:1], 0, v10
	s_and_b64 s[4:5], vcc, s[0:1]
	v_mov_b32_e32 v1, 0xff800000
	v_mov_b32_e32 v0, 0xff800000
	s_and_saveexec_b64 s[2:3], s[4:5]
	s_cbranch_execz .LBB108_2
; %bb.1:
	global_load_ushort v0, v[2:3], off
	s_waitcnt vmcnt(0)
	v_cvt_f32_f16_e32 v0, v0
.LBB108_2:
	s_or_b64 exec, exec, s[2:3]
	v_cmp_lt_i32_e64 s[2:3], 1, v10
	s_and_b64 s[2:3], vcc, s[2:3]
	s_and_saveexec_b64 s[4:5], s[2:3]
	s_cbranch_execz .LBB108_4
; %bb.3:
	s_mov_b32 s15, 0
	s_lshl_b64 s[2:3], s[14:15], 1
	v_mov_b32_e32 v1, s3
	v_add_co_u32_e64 v2, s[2:3], s2, v2
	v_addc_co_u32_e64 v3, s[2:3], v3, v1, s[2:3]
	global_load_ushort v1, v[2:3], off
	s_waitcnt vmcnt(0)
	v_cvt_f32_f16_e32 v1, v1
.LBB108_4:
	s_or_b64 exec, exec, s[4:5]
	v_mbcnt_lo_u32_b32 v2, -1, 0
	v_mbcnt_hi_u32_b32 v2, -1, v2
	v_and_b32_e32 v6, 0x7e, v2
	v_xor_b32_e32 v3, 1, v2
	v_add_u32_e32 v6, 2, v6
	v_cmp_lt_i32_e64 s[2:3], v3, v6
	v_cndmask_b32_e64 v2, v2, v3, s[2:3]
	v_lshlrev_b32_e32 v9, 2, v2
	ds_bpermute_b32 v2, v9, v1
	ds_bpermute_b32 v6, v9, v0
	s_mov_b32 s4, 0x3fb8aa3b
	s_mov_b32 s5, 0xc2ce8ed0
	;; [unrolled: 1-line block ×3, first 2 shown]
	s_waitcnt lgkmcnt(1)
	v_cmp_lt_f32_e64 s[2:3], v1, v2
	v_cndmask_b32_e64 v3, v1, v2, s[2:3]
	s_waitcnt lgkmcnt(0)
	v_cmp_lt_f32_e64 s[2:3], v0, v6
	v_cndmask_b32_e64 v2, v0, v6, s[2:3]
	v_pk_add_f32 v[6:7], v[0:1], v[2:3] neg_lo:[0,1] neg_hi:[0,1]
	v_mul_f32_e32 v8, 0x3fb8aa3b, v7
	v_fma_f32 v11, v7, s4, -v8
	v_rndne_f32_e32 v12, v8
	v_fmac_f32_e32 v11, 0x32a5705f, v7
	v_sub_f32_e32 v8, v8, v12
	v_add_f32_e32 v8, v8, v11
	v_exp_f32_e32 v8, v8
	v_cvt_i32_f32_e32 v11, v12
	v_cmp_ngt_f32_e64 s[2:3], s5, v7
	v_ldexp_f32 v8, v8, v11
	v_mul_f32_e32 v11, 0x3fb8aa3b, v6
	v_fma_f32 v12, v6, s4, -v11
	v_rndne_f32_e32 v13, v11
	v_fmac_f32_e32 v12, 0x32a5705f, v6
	v_sub_f32_e32 v11, v11, v13
	v_add_f32_e32 v11, v11, v12
	v_exp_f32_e32 v11, v11
	v_cvt_i32_f32_e32 v12, v13
	v_cndmask_b32_e64 v8, 0, v8, s[2:3]
	v_mov_b32_e32 v13, 0x7f800000
	v_cmp_nlt_f32_e64 s[2:3], s6, v7
	v_cndmask_b32_e64 v7, v13, v8, s[2:3]
	v_ldexp_f32 v8, v11, v12
	v_cmp_ngt_f32_e64 s[2:3], s5, v6
	v_cndmask_b32_e64 v8, 0, v8, s[2:3]
	v_cmp_nlt_f32_e64 s[2:3], s6, v6
	v_cndmask_b32_e64 v6, v13, v8, s[2:3]
	ds_bpermute_b32 v8, v9, v6
	ds_bpermute_b32 v9, v9, v7
	s_and_saveexec_b64 s[2:3], s[0:1]
	s_cbranch_execz .LBB108_10
; %bb.5:
	v_lshlrev_b64 v[4:5], 2, v[4:5]
	v_mov_b32_e32 v11, s9
	v_add_co_u32_e64 v4, s[0:1], s8, v4
	v_addc_co_u32_e64 v5, s[0:1], v11, v5, s[0:1]
	s_waitcnt lgkmcnt(0)
	v_pk_add_f32 v[6:7], v[6:7], v[8:9]
	s_and_saveexec_b64 s[4:5], vcc
	s_cbranch_execz .LBB108_7
; %bb.6:
	s_mov_b32 s0, 0x800000
	v_mov_b32_e32 v8, 0x4f800000
	v_cmp_gt_f32_e64 s[0:1], s0, v6
	v_cndmask_b32_e64 v8, 1.0, v8, s[0:1]
	v_mul_f32_e32 v6, v6, v8
	v_log_f32_e32 v6, v6
	s_mov_b32 s2, 0x3f317217
	v_sub_f32_e32 v0, v0, v2
	v_mul_f32_e32 v8, 0x3f317217, v6
	v_fma_f32 v9, v6, s2, -v8
	v_fmac_f32_e32 v9, 0x3377d1cf, v6
	s_mov_b32 s2, 0x7f800000
	v_add_f32_e32 v8, v8, v9
	v_cmp_lt_f32_e64 s[2:3], |v6|, s2
	v_cndmask_b32_e64 v6, v6, v8, s[2:3]
	v_mov_b32_e32 v8, 0x41b17218
	v_cndmask_b32_e64 v8, 0, v8, s[0:1]
	v_sub_f32_e32 v6, v6, v8
	v_sub_f32_e32 v0, v0, v6
	global_store_dword v[4:5], v0, off
.LBB108_7:
	s_or_b64 exec, exec, s[4:5]
	v_cmp_ne_u32_e64 s[0:1], 1, v10
	s_and_b64 exec, exec, s[0:1]
	s_cbranch_execz .LBB108_10
; %bb.8:
	s_and_b64 exec, exec, vcc
	s_cbranch_execz .LBB108_10
; %bb.9:
	s_mov_b32 s0, 0x800000
	v_mov_b32_e32 v0, 0x4f800000
	v_cmp_gt_f32_e32 vcc, s0, v7
	v_cndmask_b32_e32 v0, 1.0, v0, vcc
	v_mul_f32_e32 v0, v7, v0
	v_log_f32_e32 v0, v0
	s_mov_b32 s0, 0x3f317217
	s_mov_b32 s15, 0
	v_sub_f32_e32 v1, v1, v3
	v_mul_f32_e32 v2, 0x3f317217, v0
	v_fma_f32 v6, v0, s0, -v2
	v_fmac_f32_e32 v6, 0x3377d1cf, v0
	s_mov_b32 s0, 0x7f800000
	v_add_f32_e32 v2, v2, v6
	v_cmp_lt_f32_e64 s[0:1], |v0|, s0
	v_cndmask_b32_e64 v0, v0, v2, s[0:1]
	v_mov_b32_e32 v2, 0x41b17218
	v_cndmask_b32_e32 v2, 0, v2, vcc
	v_sub_f32_e32 v0, v0, v2
	s_lshl_b64 s[0:1], s[14:15], 2
	v_sub_f32_e32 v2, v1, v0
	v_mov_b32_e32 v1, s1
	v_add_co_u32_e32 v0, vcc, s0, v4
	v_addc_co_u32_e32 v1, vcc, v5, v1, vcc
	global_store_dword v[0:1], v2, off
.LBB108_10:
	s_endpgm
	.section	.rodata,"a",@progbits
	.p2align	6, 0x0
	.amdhsa_kernel _ZN12_GLOBAL__N_120softmax_warp_forwardIN3c104HalfEffLi1ELb1ELb0ELi32EEEvPT0_PKT_iiiPKbib
		.amdhsa_group_segment_fixed_size 0
		.amdhsa_private_segment_fixed_size 0
		.amdhsa_kernarg_size 304
		.amdhsa_user_sgpr_count 6
		.amdhsa_user_sgpr_private_segment_buffer 1
		.amdhsa_user_sgpr_dispatch_ptr 0
		.amdhsa_user_sgpr_queue_ptr 0
		.amdhsa_user_sgpr_kernarg_segment_ptr 1
		.amdhsa_user_sgpr_dispatch_id 0
		.amdhsa_user_sgpr_flat_scratch_init 0
		.amdhsa_user_sgpr_kernarg_preload_length 0
		.amdhsa_user_sgpr_kernarg_preload_offset 0
		.amdhsa_user_sgpr_private_segment_size 0
		.amdhsa_uses_dynamic_stack 0
		.amdhsa_system_sgpr_private_segment_wavefront_offset 0
		.amdhsa_system_sgpr_workgroup_id_x 1
		.amdhsa_system_sgpr_workgroup_id_y 0
		.amdhsa_system_sgpr_workgroup_id_z 0
		.amdhsa_system_sgpr_workgroup_info 0
		.amdhsa_system_vgpr_workitem_id 1
		.amdhsa_next_free_vgpr 14
		.amdhsa_next_free_sgpr 16
		.amdhsa_accum_offset 16
		.amdhsa_reserve_vcc 1
		.amdhsa_reserve_flat_scratch 0
		.amdhsa_float_round_mode_32 0
		.amdhsa_float_round_mode_16_64 0
		.amdhsa_float_denorm_mode_32 3
		.amdhsa_float_denorm_mode_16_64 3
		.amdhsa_dx10_clamp 1
		.amdhsa_ieee_mode 1
		.amdhsa_fp16_overflow 0
		.amdhsa_tg_split 0
		.amdhsa_exception_fp_ieee_invalid_op 0
		.amdhsa_exception_fp_denorm_src 0
		.amdhsa_exception_fp_ieee_div_zero 0
		.amdhsa_exception_fp_ieee_overflow 0
		.amdhsa_exception_fp_ieee_underflow 0
		.amdhsa_exception_fp_ieee_inexact 0
		.amdhsa_exception_int_div_zero 0
	.end_amdhsa_kernel
	.section	.text._ZN12_GLOBAL__N_120softmax_warp_forwardIN3c104HalfEffLi1ELb1ELb0ELi32EEEvPT0_PKT_iiiPKbib,"axG",@progbits,_ZN12_GLOBAL__N_120softmax_warp_forwardIN3c104HalfEffLi1ELb1ELb0ELi32EEEvPT0_PKT_iiiPKbib,comdat
.Lfunc_end108:
	.size	_ZN12_GLOBAL__N_120softmax_warp_forwardIN3c104HalfEffLi1ELb1ELb0ELi32EEEvPT0_PKT_iiiPKbib, .Lfunc_end108-_ZN12_GLOBAL__N_120softmax_warp_forwardIN3c104HalfEffLi1ELb1ELb0ELi32EEEvPT0_PKT_iiiPKbib
                                        ; -- End function
	.section	.AMDGPU.csdata,"",@progbits
; Kernel info:
; codeLenInByte = 916
; NumSgprs: 20
; NumVgprs: 14
; NumAgprs: 0
; TotalNumVgprs: 14
; ScratchSize: 0
; MemoryBound: 0
; FloatMode: 240
; IeeeMode: 1
; LDSByteSize: 0 bytes/workgroup (compile time only)
; SGPRBlocks: 2
; VGPRBlocks: 1
; NumSGPRsForWavesPerEU: 20
; NumVGPRsForWavesPerEU: 14
; AccumOffset: 16
; Occupancy: 8
; WaveLimiterHint : 0
; COMPUTE_PGM_RSRC2:SCRATCH_EN: 0
; COMPUTE_PGM_RSRC2:USER_SGPR: 6
; COMPUTE_PGM_RSRC2:TRAP_HANDLER: 0
; COMPUTE_PGM_RSRC2:TGID_X_EN: 1
; COMPUTE_PGM_RSRC2:TGID_Y_EN: 0
; COMPUTE_PGM_RSRC2:TGID_Z_EN: 0
; COMPUTE_PGM_RSRC2:TIDIG_COMP_CNT: 1
; COMPUTE_PGM_RSRC3_GFX90A:ACCUM_OFFSET: 3
; COMPUTE_PGM_RSRC3_GFX90A:TG_SPLIT: 0
	.section	.text._ZN12_GLOBAL__N_120softmax_warp_forwardIN3c104HalfEffLi2ELb1ELb0ELi64EEEvPT0_PKT_iiiPKbib,"axG",@progbits,_ZN12_GLOBAL__N_120softmax_warp_forwardIN3c104HalfEffLi2ELb1ELb0ELi64EEEvPT0_PKT_iiiPKbib,comdat
	.globl	_ZN12_GLOBAL__N_120softmax_warp_forwardIN3c104HalfEffLi2ELb1ELb0ELi64EEEvPT0_PKT_iiiPKbib ; -- Begin function _ZN12_GLOBAL__N_120softmax_warp_forwardIN3c104HalfEffLi2ELb1ELb0ELi64EEEvPT0_PKT_iiiPKbib
	.p2align	8
	.type	_ZN12_GLOBAL__N_120softmax_warp_forwardIN3c104HalfEffLi2ELb1ELb0ELi64EEEvPT0_PKT_iiiPKbib,@function
_ZN12_GLOBAL__N_120softmax_warp_forwardIN3c104HalfEffLi2ELb1ELb0ELi64EEEvPT0_PKT_iiiPKbib: ; @_ZN12_GLOBAL__N_120softmax_warp_forwardIN3c104HalfEffLi2ELb1ELb0ELi64EEEvPT0_PKT_iiiPKbib
; %bb.0:
	s_load_dword s0, s[4:5], 0x3c
	s_load_dwordx8 s[8:15], s[4:5], 0x0
	v_bfe_u32 v1, v0, 10, 10
	v_and_b32_e32 v0, 0x3ff, v0
	s_waitcnt lgkmcnt(0)
	s_lshr_b32 s0, s0, 16
	s_mul_i32 s6, s6, s0
	v_add_lshl_u32 v1, s6, v1, 1
	v_mad_u64_u32 v[2:3], s[0:1], v1, s13, v[0:1]
	v_ashrrev_i32_e32 v3, 31, v2
	v_lshlrev_b64 v[4:5], 1, v[2:3]
	v_sub_u32_e32 v10, s12, v1
	v_mov_b32_e32 v1, s11
	v_add_co_u32_e32 v4, vcc, s10, v4
	v_addc_co_u32_e32 v5, vcc, v1, v5, vcc
	v_cmp_gt_i32_e32 vcc, s14, v0
	v_cmp_lt_i32_e64 s[0:1], 0, v10
	s_and_b64 s[4:5], vcc, s[0:1]
	v_mov_b32_e32 v1, 0xff800000
	v_mov_b32_e32 v0, 0xff800000
	s_and_saveexec_b64 s[2:3], s[4:5]
	s_cbranch_execz .LBB109_2
; %bb.1:
	global_load_ushort v0, v[4:5], off
	s_waitcnt vmcnt(0)
	v_cvt_f32_f16_e32 v0, v0
.LBB109_2:
	s_or_b64 exec, exec, s[2:3]
	v_cmp_lt_i32_e64 s[2:3], 1, v10
	s_and_b64 s[2:3], vcc, s[2:3]
	s_and_saveexec_b64 s[4:5], s[2:3]
	s_cbranch_execz .LBB109_4
; %bb.3:
	s_mov_b32 s15, 0
	s_lshl_b64 s[2:3], s[14:15], 1
	v_mov_b32_e32 v1, s3
	v_add_co_u32_e64 v4, s[2:3], s2, v4
	v_addc_co_u32_e64 v5, s[2:3], v5, v1, s[2:3]
	global_load_ushort v1, v[4:5], off
	s_waitcnt vmcnt(0)
	v_cvt_f32_f16_e32 v1, v1
.LBB109_4:
	s_or_b64 exec, exec, s[4:5]
	v_mbcnt_lo_u32_b32 v4, -1, 0
	v_mbcnt_hi_u32_b32 v4, -1, v4
	v_and_b32_e32 v5, 0x7c, v4
	v_add_u32_e32 v5, 4, v5
	v_xor_b32_e32 v6, 2, v4
	v_cmp_lt_i32_e64 s[2:3], v6, v5
	v_cndmask_b32_e64 v6, v4, v6, s[2:3]
	v_lshlrev_b32_e32 v9, 2, v6
	ds_bpermute_b32 v7, v9, v1
	ds_bpermute_b32 v6, v9, v0
	v_xor_b32_e32 v8, 1, v4
	v_cmp_lt_i32_e64 s[2:3], v8, v5
	v_cndmask_b32_e64 v4, v4, v8, s[2:3]
	s_waitcnt lgkmcnt(1)
	v_cmp_lt_f32_e64 s[2:3], v1, v7
	v_lshlrev_b32_e32 v11, 2, v4
	v_cndmask_b32_e64 v4, v1, v7, s[2:3]
	s_waitcnt lgkmcnt(0)
	v_cmp_lt_f32_e64 s[2:3], v0, v6
	ds_bpermute_b32 v5, v11, v4
	v_cndmask_b32_e64 v6, v0, v6, s[2:3]
	ds_bpermute_b32 v7, v11, v6
	s_mov_b32 s4, 0x3fb8aa3b
	s_mov_b32 s5, 0xc2ce8ed0
	s_waitcnt lgkmcnt(1)
	v_cmp_lt_f32_e64 s[2:3], v4, v5
	v_cndmask_b32_e64 v5, v4, v5, s[2:3]
	s_waitcnt lgkmcnt(0)
	v_cmp_lt_f32_e64 s[2:3], v6, v7
	v_cndmask_b32_e64 v4, v6, v7, s[2:3]
	v_pk_add_f32 v[6:7], v[0:1], v[4:5] neg_lo:[0,1] neg_hi:[0,1]
	v_mul_f32_e32 v8, 0x3fb8aa3b, v7
	v_fma_f32 v12, v7, s4, -v8
	v_rndne_f32_e32 v13, v8
	v_fmac_f32_e32 v12, 0x32a5705f, v7
	v_sub_f32_e32 v8, v8, v13
	v_add_f32_e32 v8, v8, v12
	v_exp_f32_e32 v8, v8
	v_cvt_i32_f32_e32 v12, v13
	v_cmp_ngt_f32_e64 s[2:3], s5, v7
	s_mov_b32 s6, 0x42b17218
	v_ldexp_f32 v8, v8, v12
	v_mul_f32_e32 v12, 0x3fb8aa3b, v6
	v_fma_f32 v13, v6, s4, -v12
	v_rndne_f32_e32 v14, v12
	v_fmac_f32_e32 v13, 0x32a5705f, v6
	v_sub_f32_e32 v12, v12, v14
	v_add_f32_e32 v12, v12, v13
	v_exp_f32_e32 v12, v12
	v_cvt_i32_f32_e32 v13, v14
	v_cndmask_b32_e64 v8, 0, v8, s[2:3]
	v_mov_b32_e32 v14, 0x7f800000
	v_cmp_nlt_f32_e64 s[2:3], s6, v7
	v_cndmask_b32_e64 v7, v14, v8, s[2:3]
	v_ldexp_f32 v8, v12, v13
	v_cmp_ngt_f32_e64 s[2:3], s5, v6
	v_cndmask_b32_e64 v8, 0, v8, s[2:3]
	v_cmp_nlt_f32_e64 s[2:3], s6, v6
	v_cndmask_b32_e64 v6, v14, v8, s[2:3]
	ds_bpermute_b32 v8, v9, v6
	ds_bpermute_b32 v9, v9, v7
	s_waitcnt lgkmcnt(0)
	v_pk_add_f32 v[6:7], v[6:7], v[8:9]
	ds_bpermute_b32 v8, v11, v6
	ds_bpermute_b32 v9, v11, v7
	s_and_saveexec_b64 s[2:3], s[0:1]
	s_cbranch_execz .LBB109_10
; %bb.5:
	v_lshlrev_b64 v[2:3], 2, v[2:3]
	v_mov_b32_e32 v11, s9
	v_add_co_u32_e64 v2, s[0:1], s8, v2
	v_addc_co_u32_e64 v3, s[0:1], v11, v3, s[0:1]
	s_waitcnt lgkmcnt(0)
	v_pk_add_f32 v[6:7], v[6:7], v[8:9]
	s_and_saveexec_b64 s[4:5], vcc
	s_cbranch_execz .LBB109_7
; %bb.6:
	s_mov_b32 s0, 0x800000
	v_mov_b32_e32 v8, 0x4f800000
	v_cmp_gt_f32_e64 s[0:1], s0, v6
	v_cndmask_b32_e64 v8, 1.0, v8, s[0:1]
	v_mul_f32_e32 v6, v6, v8
	v_log_f32_e32 v6, v6
	s_mov_b32 s2, 0x3f317217
	v_sub_f32_e32 v0, v0, v4
	v_mul_f32_e32 v8, 0x3f317217, v6
	v_fma_f32 v9, v6, s2, -v8
	v_fmac_f32_e32 v9, 0x3377d1cf, v6
	s_mov_b32 s2, 0x7f800000
	v_add_f32_e32 v8, v8, v9
	v_cmp_lt_f32_e64 s[2:3], |v6|, s2
	v_cndmask_b32_e64 v6, v6, v8, s[2:3]
	v_mov_b32_e32 v8, 0x41b17218
	v_cndmask_b32_e64 v8, 0, v8, s[0:1]
	v_sub_f32_e32 v6, v6, v8
	v_sub_f32_e32 v0, v0, v6
	global_store_dword v[2:3], v0, off
.LBB109_7:
	s_or_b64 exec, exec, s[4:5]
	v_cmp_ne_u32_e64 s[0:1], 1, v10
	s_and_b64 exec, exec, s[0:1]
	s_cbranch_execz .LBB109_10
; %bb.8:
	s_and_b64 exec, exec, vcc
	s_cbranch_execz .LBB109_10
; %bb.9:
	s_mov_b32 s0, 0x800000
	v_mov_b32_e32 v0, 0x4f800000
	v_cmp_gt_f32_e32 vcc, s0, v7
	v_cndmask_b32_e32 v0, 1.0, v0, vcc
	v_mul_f32_e32 v0, v7, v0
	v_log_f32_e32 v0, v0
	s_mov_b32 s0, 0x3f317217
	s_mov_b32 s15, 0
	v_sub_f32_e32 v1, v1, v5
	v_mul_f32_e32 v4, 0x3f317217, v0
	v_fma_f32 v6, v0, s0, -v4
	v_fmac_f32_e32 v6, 0x3377d1cf, v0
	s_mov_b32 s0, 0x7f800000
	v_add_f32_e32 v4, v4, v6
	v_cmp_lt_f32_e64 s[0:1], |v0|, s0
	v_cndmask_b32_e64 v0, v0, v4, s[0:1]
	v_mov_b32_e32 v4, 0x41b17218
	v_cndmask_b32_e32 v4, 0, v4, vcc
	v_sub_f32_e32 v0, v0, v4
	s_lshl_b64 s[0:1], s[14:15], 2
	v_sub_f32_e32 v4, v1, v0
	v_mov_b32_e32 v1, s1
	v_add_co_u32_e32 v0, vcc, s0, v2
	v_addc_co_u32_e32 v1, vcc, v3, v1, vcc
	global_store_dword v[0:1], v4, off
.LBB109_10:
	s_endpgm
	.section	.rodata,"a",@progbits
	.p2align	6, 0x0
	.amdhsa_kernel _ZN12_GLOBAL__N_120softmax_warp_forwardIN3c104HalfEffLi2ELb1ELb0ELi64EEEvPT0_PKT_iiiPKbib
		.amdhsa_group_segment_fixed_size 0
		.amdhsa_private_segment_fixed_size 0
		.amdhsa_kernarg_size 304
		.amdhsa_user_sgpr_count 6
		.amdhsa_user_sgpr_private_segment_buffer 1
		.amdhsa_user_sgpr_dispatch_ptr 0
		.amdhsa_user_sgpr_queue_ptr 0
		.amdhsa_user_sgpr_kernarg_segment_ptr 1
		.amdhsa_user_sgpr_dispatch_id 0
		.amdhsa_user_sgpr_flat_scratch_init 0
		.amdhsa_user_sgpr_kernarg_preload_length 0
		.amdhsa_user_sgpr_kernarg_preload_offset 0
		.amdhsa_user_sgpr_private_segment_size 0
		.amdhsa_uses_dynamic_stack 0
		.amdhsa_system_sgpr_private_segment_wavefront_offset 0
		.amdhsa_system_sgpr_workgroup_id_x 1
		.amdhsa_system_sgpr_workgroup_id_y 0
		.amdhsa_system_sgpr_workgroup_id_z 0
		.amdhsa_system_sgpr_workgroup_info 0
		.amdhsa_system_vgpr_workitem_id 1
		.amdhsa_next_free_vgpr 15
		.amdhsa_next_free_sgpr 16
		.amdhsa_accum_offset 16
		.amdhsa_reserve_vcc 1
		.amdhsa_reserve_flat_scratch 0
		.amdhsa_float_round_mode_32 0
		.amdhsa_float_round_mode_16_64 0
		.amdhsa_float_denorm_mode_32 3
		.amdhsa_float_denorm_mode_16_64 3
		.amdhsa_dx10_clamp 1
		.amdhsa_ieee_mode 1
		.amdhsa_fp16_overflow 0
		.amdhsa_tg_split 0
		.amdhsa_exception_fp_ieee_invalid_op 0
		.amdhsa_exception_fp_denorm_src 0
		.amdhsa_exception_fp_ieee_div_zero 0
		.amdhsa_exception_fp_ieee_overflow 0
		.amdhsa_exception_fp_ieee_underflow 0
		.amdhsa_exception_fp_ieee_inexact 0
		.amdhsa_exception_int_div_zero 0
	.end_amdhsa_kernel
	.section	.text._ZN12_GLOBAL__N_120softmax_warp_forwardIN3c104HalfEffLi2ELb1ELb0ELi64EEEvPT0_PKT_iiiPKbib,"axG",@progbits,_ZN12_GLOBAL__N_120softmax_warp_forwardIN3c104HalfEffLi2ELb1ELb0ELi64EEEvPT0_PKT_iiiPKbib,comdat
.Lfunc_end109:
	.size	_ZN12_GLOBAL__N_120softmax_warp_forwardIN3c104HalfEffLi2ELb1ELb0ELi64EEEvPT0_PKT_iiiPKbib, .Lfunc_end109-_ZN12_GLOBAL__N_120softmax_warp_forwardIN3c104HalfEffLi2ELb1ELb0ELi64EEEvPT0_PKT_iiiPKbib
                                        ; -- End function
	.section	.AMDGPU.csdata,"",@progbits
; Kernel info:
; codeLenInByte = 1024
; NumSgprs: 20
; NumVgprs: 15
; NumAgprs: 0
; TotalNumVgprs: 15
; ScratchSize: 0
; MemoryBound: 0
; FloatMode: 240
; IeeeMode: 1
; LDSByteSize: 0 bytes/workgroup (compile time only)
; SGPRBlocks: 2
; VGPRBlocks: 1
; NumSGPRsForWavesPerEU: 20
; NumVGPRsForWavesPerEU: 15
; AccumOffset: 16
; Occupancy: 8
; WaveLimiterHint : 0
; COMPUTE_PGM_RSRC2:SCRATCH_EN: 0
; COMPUTE_PGM_RSRC2:USER_SGPR: 6
; COMPUTE_PGM_RSRC2:TRAP_HANDLER: 0
; COMPUTE_PGM_RSRC2:TGID_X_EN: 1
; COMPUTE_PGM_RSRC2:TGID_Y_EN: 0
; COMPUTE_PGM_RSRC2:TGID_Z_EN: 0
; COMPUTE_PGM_RSRC2:TIDIG_COMP_CNT: 1
; COMPUTE_PGM_RSRC3_GFX90A:ACCUM_OFFSET: 3
; COMPUTE_PGM_RSRC3_GFX90A:TG_SPLIT: 0
	.section	.text._ZN12_GLOBAL__N_120softmax_warp_forwardIN3c104HalfEffLi2ELb1ELb0ELi32EEEvPT0_PKT_iiiPKbib,"axG",@progbits,_ZN12_GLOBAL__N_120softmax_warp_forwardIN3c104HalfEffLi2ELb1ELb0ELi32EEEvPT0_PKT_iiiPKbib,comdat
	.globl	_ZN12_GLOBAL__N_120softmax_warp_forwardIN3c104HalfEffLi2ELb1ELb0ELi32EEEvPT0_PKT_iiiPKbib ; -- Begin function _ZN12_GLOBAL__N_120softmax_warp_forwardIN3c104HalfEffLi2ELb1ELb0ELi32EEEvPT0_PKT_iiiPKbib
	.p2align	8
	.type	_ZN12_GLOBAL__N_120softmax_warp_forwardIN3c104HalfEffLi2ELb1ELb0ELi32EEEvPT0_PKT_iiiPKbib,@function
_ZN12_GLOBAL__N_120softmax_warp_forwardIN3c104HalfEffLi2ELb1ELb0ELi32EEEvPT0_PKT_iiiPKbib: ; @_ZN12_GLOBAL__N_120softmax_warp_forwardIN3c104HalfEffLi2ELb1ELb0ELi32EEEvPT0_PKT_iiiPKbib
; %bb.0:
	s_load_dword s0, s[4:5], 0x3c
	s_load_dwordx8 s[8:15], s[4:5], 0x0
	v_bfe_u32 v1, v0, 10, 10
	v_and_b32_e32 v0, 0x3ff, v0
	s_waitcnt lgkmcnt(0)
	s_lshr_b32 s0, s0, 16
	s_mul_i32 s6, s6, s0
	v_add_lshl_u32 v1, s6, v1, 1
	v_mad_u64_u32 v[2:3], s[0:1], v1, s13, v[0:1]
	v_ashrrev_i32_e32 v3, 31, v2
	v_lshlrev_b64 v[4:5], 1, v[2:3]
	v_sub_u32_e32 v10, s12, v1
	v_mov_b32_e32 v1, s11
	v_add_co_u32_e32 v4, vcc, s10, v4
	v_addc_co_u32_e32 v5, vcc, v1, v5, vcc
	v_cmp_gt_i32_e32 vcc, s14, v0
	v_cmp_lt_i32_e64 s[0:1], 0, v10
	s_and_b64 s[4:5], vcc, s[0:1]
	v_mov_b32_e32 v1, 0xff800000
	v_mov_b32_e32 v0, 0xff800000
	s_and_saveexec_b64 s[2:3], s[4:5]
	s_cbranch_execz .LBB110_2
; %bb.1:
	global_load_ushort v0, v[4:5], off
	s_waitcnt vmcnt(0)
	v_cvt_f32_f16_e32 v0, v0
.LBB110_2:
	s_or_b64 exec, exec, s[2:3]
	v_cmp_lt_i32_e64 s[2:3], 1, v10
	s_and_b64 s[2:3], vcc, s[2:3]
	s_and_saveexec_b64 s[4:5], s[2:3]
	s_cbranch_execz .LBB110_4
; %bb.3:
	s_mov_b32 s15, 0
	s_lshl_b64 s[2:3], s[14:15], 1
	v_mov_b32_e32 v1, s3
	v_add_co_u32_e64 v4, s[2:3], s2, v4
	v_addc_co_u32_e64 v5, s[2:3], v5, v1, s[2:3]
	global_load_ushort v1, v[4:5], off
	s_waitcnt vmcnt(0)
	v_cvt_f32_f16_e32 v1, v1
.LBB110_4:
	s_or_b64 exec, exec, s[4:5]
	v_mbcnt_lo_u32_b32 v4, -1, 0
	v_mbcnt_hi_u32_b32 v4, -1, v4
	v_and_b32_e32 v5, 0x7c, v4
	v_add_u32_e32 v5, 4, v5
	v_xor_b32_e32 v6, 2, v4
	v_cmp_lt_i32_e64 s[2:3], v6, v5
	v_cndmask_b32_e64 v6, v4, v6, s[2:3]
	v_lshlrev_b32_e32 v9, 2, v6
	ds_bpermute_b32 v7, v9, v1
	ds_bpermute_b32 v6, v9, v0
	v_xor_b32_e32 v8, 1, v4
	v_cmp_lt_i32_e64 s[2:3], v8, v5
	v_cndmask_b32_e64 v4, v4, v8, s[2:3]
	s_waitcnt lgkmcnt(1)
	v_cmp_lt_f32_e64 s[2:3], v1, v7
	v_lshlrev_b32_e32 v11, 2, v4
	v_cndmask_b32_e64 v4, v1, v7, s[2:3]
	s_waitcnt lgkmcnt(0)
	v_cmp_lt_f32_e64 s[2:3], v0, v6
	ds_bpermute_b32 v5, v11, v4
	v_cndmask_b32_e64 v6, v0, v6, s[2:3]
	ds_bpermute_b32 v7, v11, v6
	s_mov_b32 s4, 0x3fb8aa3b
	s_mov_b32 s5, 0xc2ce8ed0
	s_waitcnt lgkmcnt(1)
	v_cmp_lt_f32_e64 s[2:3], v4, v5
	v_cndmask_b32_e64 v5, v4, v5, s[2:3]
	s_waitcnt lgkmcnt(0)
	v_cmp_lt_f32_e64 s[2:3], v6, v7
	v_cndmask_b32_e64 v4, v6, v7, s[2:3]
	v_pk_add_f32 v[6:7], v[0:1], v[4:5] neg_lo:[0,1] neg_hi:[0,1]
	v_mul_f32_e32 v8, 0x3fb8aa3b, v7
	v_fma_f32 v12, v7, s4, -v8
	v_rndne_f32_e32 v13, v8
	v_fmac_f32_e32 v12, 0x32a5705f, v7
	v_sub_f32_e32 v8, v8, v13
	v_add_f32_e32 v8, v8, v12
	v_exp_f32_e32 v8, v8
	v_cvt_i32_f32_e32 v12, v13
	v_cmp_ngt_f32_e64 s[2:3], s5, v7
	s_mov_b32 s6, 0x42b17218
	v_ldexp_f32 v8, v8, v12
	v_mul_f32_e32 v12, 0x3fb8aa3b, v6
	v_fma_f32 v13, v6, s4, -v12
	v_rndne_f32_e32 v14, v12
	v_fmac_f32_e32 v13, 0x32a5705f, v6
	v_sub_f32_e32 v12, v12, v14
	v_add_f32_e32 v12, v12, v13
	v_exp_f32_e32 v12, v12
	v_cvt_i32_f32_e32 v13, v14
	v_cndmask_b32_e64 v8, 0, v8, s[2:3]
	v_mov_b32_e32 v14, 0x7f800000
	v_cmp_nlt_f32_e64 s[2:3], s6, v7
	v_cndmask_b32_e64 v7, v14, v8, s[2:3]
	v_ldexp_f32 v8, v12, v13
	v_cmp_ngt_f32_e64 s[2:3], s5, v6
	v_cndmask_b32_e64 v8, 0, v8, s[2:3]
	v_cmp_nlt_f32_e64 s[2:3], s6, v6
	v_cndmask_b32_e64 v6, v14, v8, s[2:3]
	ds_bpermute_b32 v8, v9, v6
	ds_bpermute_b32 v9, v9, v7
	s_waitcnt lgkmcnt(0)
	v_pk_add_f32 v[6:7], v[6:7], v[8:9]
	ds_bpermute_b32 v8, v11, v6
	ds_bpermute_b32 v9, v11, v7
	s_and_saveexec_b64 s[2:3], s[0:1]
	s_cbranch_execz .LBB110_10
; %bb.5:
	v_lshlrev_b64 v[2:3], 2, v[2:3]
	v_mov_b32_e32 v11, s9
	v_add_co_u32_e64 v2, s[0:1], s8, v2
	v_addc_co_u32_e64 v3, s[0:1], v11, v3, s[0:1]
	s_waitcnt lgkmcnt(0)
	v_pk_add_f32 v[6:7], v[6:7], v[8:9]
	s_and_saveexec_b64 s[4:5], vcc
	s_cbranch_execz .LBB110_7
; %bb.6:
	s_mov_b32 s0, 0x800000
	v_mov_b32_e32 v8, 0x4f800000
	v_cmp_gt_f32_e64 s[0:1], s0, v6
	v_cndmask_b32_e64 v8, 1.0, v8, s[0:1]
	v_mul_f32_e32 v6, v6, v8
	v_log_f32_e32 v6, v6
	s_mov_b32 s2, 0x3f317217
	v_sub_f32_e32 v0, v0, v4
	v_mul_f32_e32 v8, 0x3f317217, v6
	v_fma_f32 v9, v6, s2, -v8
	v_fmac_f32_e32 v9, 0x3377d1cf, v6
	s_mov_b32 s2, 0x7f800000
	v_add_f32_e32 v8, v8, v9
	v_cmp_lt_f32_e64 s[2:3], |v6|, s2
	v_cndmask_b32_e64 v6, v6, v8, s[2:3]
	v_mov_b32_e32 v8, 0x41b17218
	v_cndmask_b32_e64 v8, 0, v8, s[0:1]
	v_sub_f32_e32 v6, v6, v8
	v_sub_f32_e32 v0, v0, v6
	global_store_dword v[2:3], v0, off
.LBB110_7:
	s_or_b64 exec, exec, s[4:5]
	v_cmp_ne_u32_e64 s[0:1], 1, v10
	s_and_b64 exec, exec, s[0:1]
	s_cbranch_execz .LBB110_10
; %bb.8:
	s_and_b64 exec, exec, vcc
	s_cbranch_execz .LBB110_10
; %bb.9:
	s_mov_b32 s0, 0x800000
	v_mov_b32_e32 v0, 0x4f800000
	v_cmp_gt_f32_e32 vcc, s0, v7
	v_cndmask_b32_e32 v0, 1.0, v0, vcc
	v_mul_f32_e32 v0, v7, v0
	v_log_f32_e32 v0, v0
	s_mov_b32 s0, 0x3f317217
	s_mov_b32 s15, 0
	v_sub_f32_e32 v1, v1, v5
	v_mul_f32_e32 v4, 0x3f317217, v0
	v_fma_f32 v6, v0, s0, -v4
	v_fmac_f32_e32 v6, 0x3377d1cf, v0
	s_mov_b32 s0, 0x7f800000
	v_add_f32_e32 v4, v4, v6
	v_cmp_lt_f32_e64 s[0:1], |v0|, s0
	v_cndmask_b32_e64 v0, v0, v4, s[0:1]
	v_mov_b32_e32 v4, 0x41b17218
	v_cndmask_b32_e32 v4, 0, v4, vcc
	v_sub_f32_e32 v0, v0, v4
	s_lshl_b64 s[0:1], s[14:15], 2
	v_sub_f32_e32 v4, v1, v0
	v_mov_b32_e32 v1, s1
	v_add_co_u32_e32 v0, vcc, s0, v2
	v_addc_co_u32_e32 v1, vcc, v3, v1, vcc
	global_store_dword v[0:1], v4, off
.LBB110_10:
	s_endpgm
	.section	.rodata,"a",@progbits
	.p2align	6, 0x0
	.amdhsa_kernel _ZN12_GLOBAL__N_120softmax_warp_forwardIN3c104HalfEffLi2ELb1ELb0ELi32EEEvPT0_PKT_iiiPKbib
		.amdhsa_group_segment_fixed_size 0
		.amdhsa_private_segment_fixed_size 0
		.amdhsa_kernarg_size 304
		.amdhsa_user_sgpr_count 6
		.amdhsa_user_sgpr_private_segment_buffer 1
		.amdhsa_user_sgpr_dispatch_ptr 0
		.amdhsa_user_sgpr_queue_ptr 0
		.amdhsa_user_sgpr_kernarg_segment_ptr 1
		.amdhsa_user_sgpr_dispatch_id 0
		.amdhsa_user_sgpr_flat_scratch_init 0
		.amdhsa_user_sgpr_kernarg_preload_length 0
		.amdhsa_user_sgpr_kernarg_preload_offset 0
		.amdhsa_user_sgpr_private_segment_size 0
		.amdhsa_uses_dynamic_stack 0
		.amdhsa_system_sgpr_private_segment_wavefront_offset 0
		.amdhsa_system_sgpr_workgroup_id_x 1
		.amdhsa_system_sgpr_workgroup_id_y 0
		.amdhsa_system_sgpr_workgroup_id_z 0
		.amdhsa_system_sgpr_workgroup_info 0
		.amdhsa_system_vgpr_workitem_id 1
		.amdhsa_next_free_vgpr 15
		.amdhsa_next_free_sgpr 16
		.amdhsa_accum_offset 16
		.amdhsa_reserve_vcc 1
		.amdhsa_reserve_flat_scratch 0
		.amdhsa_float_round_mode_32 0
		.amdhsa_float_round_mode_16_64 0
		.amdhsa_float_denorm_mode_32 3
		.amdhsa_float_denorm_mode_16_64 3
		.amdhsa_dx10_clamp 1
		.amdhsa_ieee_mode 1
		.amdhsa_fp16_overflow 0
		.amdhsa_tg_split 0
		.amdhsa_exception_fp_ieee_invalid_op 0
		.amdhsa_exception_fp_denorm_src 0
		.amdhsa_exception_fp_ieee_div_zero 0
		.amdhsa_exception_fp_ieee_overflow 0
		.amdhsa_exception_fp_ieee_underflow 0
		.amdhsa_exception_fp_ieee_inexact 0
		.amdhsa_exception_int_div_zero 0
	.end_amdhsa_kernel
	.section	.text._ZN12_GLOBAL__N_120softmax_warp_forwardIN3c104HalfEffLi2ELb1ELb0ELi32EEEvPT0_PKT_iiiPKbib,"axG",@progbits,_ZN12_GLOBAL__N_120softmax_warp_forwardIN3c104HalfEffLi2ELb1ELb0ELi32EEEvPT0_PKT_iiiPKbib,comdat
.Lfunc_end110:
	.size	_ZN12_GLOBAL__N_120softmax_warp_forwardIN3c104HalfEffLi2ELb1ELb0ELi32EEEvPT0_PKT_iiiPKbib, .Lfunc_end110-_ZN12_GLOBAL__N_120softmax_warp_forwardIN3c104HalfEffLi2ELb1ELb0ELi32EEEvPT0_PKT_iiiPKbib
                                        ; -- End function
	.section	.AMDGPU.csdata,"",@progbits
; Kernel info:
; codeLenInByte = 1024
; NumSgprs: 20
; NumVgprs: 15
; NumAgprs: 0
; TotalNumVgprs: 15
; ScratchSize: 0
; MemoryBound: 0
; FloatMode: 240
; IeeeMode: 1
; LDSByteSize: 0 bytes/workgroup (compile time only)
; SGPRBlocks: 2
; VGPRBlocks: 1
; NumSGPRsForWavesPerEU: 20
; NumVGPRsForWavesPerEU: 15
; AccumOffset: 16
; Occupancy: 8
; WaveLimiterHint : 0
; COMPUTE_PGM_RSRC2:SCRATCH_EN: 0
; COMPUTE_PGM_RSRC2:USER_SGPR: 6
; COMPUTE_PGM_RSRC2:TRAP_HANDLER: 0
; COMPUTE_PGM_RSRC2:TGID_X_EN: 1
; COMPUTE_PGM_RSRC2:TGID_Y_EN: 0
; COMPUTE_PGM_RSRC2:TGID_Z_EN: 0
; COMPUTE_PGM_RSRC2:TIDIG_COMP_CNT: 1
; COMPUTE_PGM_RSRC3_GFX90A:ACCUM_OFFSET: 3
; COMPUTE_PGM_RSRC3_GFX90A:TG_SPLIT: 0
	.section	.text._ZN12_GLOBAL__N_120softmax_warp_forwardIN3c104HalfEffLi3ELb1ELb0ELi64EEEvPT0_PKT_iiiPKbib,"axG",@progbits,_ZN12_GLOBAL__N_120softmax_warp_forwardIN3c104HalfEffLi3ELb1ELb0ELi64EEEvPT0_PKT_iiiPKbib,comdat
	.globl	_ZN12_GLOBAL__N_120softmax_warp_forwardIN3c104HalfEffLi3ELb1ELb0ELi64EEEvPT0_PKT_iiiPKbib ; -- Begin function _ZN12_GLOBAL__N_120softmax_warp_forwardIN3c104HalfEffLi3ELb1ELb0ELi64EEEvPT0_PKT_iiiPKbib
	.p2align	8
	.type	_ZN12_GLOBAL__N_120softmax_warp_forwardIN3c104HalfEffLi3ELb1ELb0ELi64EEEvPT0_PKT_iiiPKbib,@function
_ZN12_GLOBAL__N_120softmax_warp_forwardIN3c104HalfEffLi3ELb1ELb0ELi64EEEvPT0_PKT_iiiPKbib: ; @_ZN12_GLOBAL__N_120softmax_warp_forwardIN3c104HalfEffLi3ELb1ELb0ELi64EEEvPT0_PKT_iiiPKbib
; %bb.0:
	s_load_dword s0, s[4:5], 0x3c
	s_load_dwordx8 s[8:15], s[4:5], 0x0
	v_bfe_u32 v1, v0, 10, 10
	v_and_b32_e32 v0, 0x3ff, v0
	s_waitcnt lgkmcnt(0)
	s_lshr_b32 s0, s0, 16
	s_mul_i32 s6, s6, s0
	v_add_lshl_u32 v1, s6, v1, 1
	v_mad_u64_u32 v[2:3], s[0:1], v1, s13, v[0:1]
	v_ashrrev_i32_e32 v3, 31, v2
	v_lshlrev_b64 v[4:5], 1, v[2:3]
	v_sub_u32_e32 v10, s12, v1
	v_mov_b32_e32 v1, s11
	v_add_co_u32_e32 v4, vcc, s10, v4
	v_addc_co_u32_e32 v5, vcc, v1, v5, vcc
	v_cmp_gt_i32_e32 vcc, s14, v0
	v_cmp_lt_i32_e64 s[0:1], 0, v10
	s_and_b64 s[4:5], vcc, s[0:1]
	v_mov_b32_e32 v1, 0xff800000
	v_mov_b32_e32 v0, 0xff800000
	s_and_saveexec_b64 s[2:3], s[4:5]
	s_cbranch_execz .LBB111_2
; %bb.1:
	global_load_ushort v0, v[4:5], off
	s_waitcnt vmcnt(0)
	v_cvt_f32_f16_e32 v0, v0
.LBB111_2:
	s_or_b64 exec, exec, s[2:3]
	v_cmp_lt_i32_e64 s[2:3], 1, v10
	s_and_b64 s[2:3], vcc, s[2:3]
	s_and_saveexec_b64 s[4:5], s[2:3]
	s_cbranch_execz .LBB111_4
; %bb.3:
	s_mov_b32 s15, 0
	s_lshl_b64 s[2:3], s[14:15], 1
	v_mov_b32_e32 v1, s3
	v_add_co_u32_e64 v4, s[2:3], s2, v4
	v_addc_co_u32_e64 v5, s[2:3], v5, v1, s[2:3]
	global_load_ushort v1, v[4:5], off
	s_waitcnt vmcnt(0)
	v_cvt_f32_f16_e32 v1, v1
.LBB111_4:
	s_or_b64 exec, exec, s[4:5]
	v_mbcnt_lo_u32_b32 v4, -1, 0
	v_mbcnt_hi_u32_b32 v4, -1, v4
	v_and_b32_e32 v5, 0x78, v4
	v_add_u32_e32 v5, 8, v5
	v_xor_b32_e32 v6, 4, v4
	v_cmp_lt_i32_e64 s[2:3], v6, v5
	v_cndmask_b32_e64 v6, v4, v6, s[2:3]
	v_lshlrev_b32_e32 v9, 2, v6
	ds_bpermute_b32 v7, v9, v1
	v_xor_b32_e32 v8, 2, v4
	ds_bpermute_b32 v6, v9, v0
	v_cmp_lt_i32_e64 s[2:3], v8, v5
	v_cndmask_b32_e64 v8, v4, v8, s[2:3]
	v_lshlrev_b32_e32 v11, 2, v8
	v_xor_b32_e32 v8, 1, v4
	v_cmp_lt_i32_e64 s[2:3], v8, v5
	v_cndmask_b32_e64 v4, v4, v8, s[2:3]
	s_waitcnt lgkmcnt(1)
	v_cmp_lt_f32_e64 s[2:3], v1, v7
	v_cndmask_b32_e64 v5, v1, v7, s[2:3]
	s_waitcnt lgkmcnt(0)
	v_cmp_lt_f32_e64 s[2:3], v0, v6
	ds_bpermute_b32 v7, v11, v5
	v_cndmask_b32_e64 v6, v0, v6, s[2:3]
	ds_bpermute_b32 v8, v11, v6
	v_lshlrev_b32_e32 v12, 2, v4
	s_mov_b32 s4, 0x3fb8aa3b
	s_waitcnt lgkmcnt(1)
	v_cmp_lt_f32_e64 s[2:3], v5, v7
	v_cndmask_b32_e64 v4, v5, v7, s[2:3]
	s_waitcnt lgkmcnt(0)
	v_cmp_lt_f32_e64 s[2:3], v6, v8
	ds_bpermute_b32 v5, v12, v4
	v_cndmask_b32_e64 v6, v6, v8, s[2:3]
	ds_bpermute_b32 v7, v12, v6
	s_mov_b32 s5, 0xc2ce8ed0
	s_mov_b32 s6, 0x42b17218
	s_waitcnt lgkmcnt(1)
	v_cmp_lt_f32_e64 s[2:3], v4, v5
	v_cndmask_b32_e64 v5, v4, v5, s[2:3]
	s_waitcnt lgkmcnt(0)
	v_cmp_lt_f32_e64 s[2:3], v6, v7
	v_cndmask_b32_e64 v4, v6, v7, s[2:3]
	v_pk_add_f32 v[6:7], v[0:1], v[4:5] neg_lo:[0,1] neg_hi:[0,1]
	v_mul_f32_e32 v8, 0x3fb8aa3b, v7
	v_fma_f32 v13, v7, s4, -v8
	v_rndne_f32_e32 v14, v8
	v_fmac_f32_e32 v13, 0x32a5705f, v7
	v_sub_f32_e32 v8, v8, v14
	v_add_f32_e32 v8, v8, v13
	v_exp_f32_e32 v8, v8
	v_cvt_i32_f32_e32 v13, v14
	v_cmp_ngt_f32_e64 s[2:3], s5, v7
	v_ldexp_f32 v8, v8, v13
	v_mul_f32_e32 v13, 0x3fb8aa3b, v6
	v_fma_f32 v14, v6, s4, -v13
	v_rndne_f32_e32 v15, v13
	v_fmac_f32_e32 v14, 0x32a5705f, v6
	v_sub_f32_e32 v13, v13, v15
	v_add_f32_e32 v13, v13, v14
	v_exp_f32_e32 v13, v13
	v_cvt_i32_f32_e32 v14, v15
	v_cndmask_b32_e64 v8, 0, v8, s[2:3]
	v_mov_b32_e32 v15, 0x7f800000
	v_cmp_nlt_f32_e64 s[2:3], s6, v7
	v_cndmask_b32_e64 v7, v15, v8, s[2:3]
	v_ldexp_f32 v8, v13, v14
	v_cmp_ngt_f32_e64 s[2:3], s5, v6
	v_cndmask_b32_e64 v8, 0, v8, s[2:3]
	v_cmp_nlt_f32_e64 s[2:3], s6, v6
	v_cndmask_b32_e64 v6, v15, v8, s[2:3]
	ds_bpermute_b32 v8, v9, v6
	ds_bpermute_b32 v9, v9, v7
	s_waitcnt lgkmcnt(0)
	v_pk_add_f32 v[6:7], v[6:7], v[8:9]
	ds_bpermute_b32 v8, v11, v6
	ds_bpermute_b32 v9, v11, v7
	s_waitcnt lgkmcnt(0)
	v_pk_add_f32 v[6:7], v[6:7], v[8:9]
	ds_bpermute_b32 v8, v12, v6
	ds_bpermute_b32 v9, v12, v7
	s_and_saveexec_b64 s[2:3], s[0:1]
	s_cbranch_execz .LBB111_10
; %bb.5:
	v_lshlrev_b64 v[2:3], 2, v[2:3]
	v_mov_b32_e32 v11, s9
	v_add_co_u32_e64 v2, s[0:1], s8, v2
	v_addc_co_u32_e64 v3, s[0:1], v11, v3, s[0:1]
	s_waitcnt lgkmcnt(0)
	v_pk_add_f32 v[6:7], v[6:7], v[8:9]
	s_and_saveexec_b64 s[4:5], vcc
	s_cbranch_execz .LBB111_7
; %bb.6:
	s_mov_b32 s0, 0x800000
	v_mov_b32_e32 v8, 0x4f800000
	v_cmp_gt_f32_e64 s[0:1], s0, v6
	v_cndmask_b32_e64 v8, 1.0, v8, s[0:1]
	v_mul_f32_e32 v6, v6, v8
	v_log_f32_e32 v6, v6
	s_mov_b32 s2, 0x3f317217
	v_sub_f32_e32 v0, v0, v4
	v_mul_f32_e32 v8, 0x3f317217, v6
	v_fma_f32 v9, v6, s2, -v8
	v_fmac_f32_e32 v9, 0x3377d1cf, v6
	s_mov_b32 s2, 0x7f800000
	v_add_f32_e32 v8, v8, v9
	v_cmp_lt_f32_e64 s[2:3], |v6|, s2
	v_cndmask_b32_e64 v6, v6, v8, s[2:3]
	v_mov_b32_e32 v8, 0x41b17218
	v_cndmask_b32_e64 v8, 0, v8, s[0:1]
	v_sub_f32_e32 v6, v6, v8
	v_sub_f32_e32 v0, v0, v6
	global_store_dword v[2:3], v0, off
.LBB111_7:
	s_or_b64 exec, exec, s[4:5]
	v_cmp_ne_u32_e64 s[0:1], 1, v10
	s_and_b64 exec, exec, s[0:1]
	s_cbranch_execz .LBB111_10
; %bb.8:
	s_and_b64 exec, exec, vcc
	s_cbranch_execz .LBB111_10
; %bb.9:
	s_mov_b32 s0, 0x800000
	v_mov_b32_e32 v0, 0x4f800000
	v_cmp_gt_f32_e32 vcc, s0, v7
	v_cndmask_b32_e32 v0, 1.0, v0, vcc
	v_mul_f32_e32 v0, v7, v0
	v_log_f32_e32 v0, v0
	s_mov_b32 s0, 0x3f317217
	s_mov_b32 s15, 0
	v_sub_f32_e32 v1, v1, v5
	v_mul_f32_e32 v4, 0x3f317217, v0
	v_fma_f32 v6, v0, s0, -v4
	v_fmac_f32_e32 v6, 0x3377d1cf, v0
	s_mov_b32 s0, 0x7f800000
	v_add_f32_e32 v4, v4, v6
	v_cmp_lt_f32_e64 s[0:1], |v0|, s0
	v_cndmask_b32_e64 v0, v0, v4, s[0:1]
	v_mov_b32_e32 v4, 0x41b17218
	v_cndmask_b32_e32 v4, 0, v4, vcc
	v_sub_f32_e32 v0, v0, v4
	s_lshl_b64 s[0:1], s[14:15], 2
	v_sub_f32_e32 v4, v1, v0
	v_mov_b32_e32 v1, s1
	v_add_co_u32_e32 v0, vcc, s0, v2
	v_addc_co_u32_e32 v1, vcc, v3, v1, vcc
	global_store_dword v[0:1], v4, off
.LBB111_10:
	s_endpgm
	.section	.rodata,"a",@progbits
	.p2align	6, 0x0
	.amdhsa_kernel _ZN12_GLOBAL__N_120softmax_warp_forwardIN3c104HalfEffLi3ELb1ELb0ELi64EEEvPT0_PKT_iiiPKbib
		.amdhsa_group_segment_fixed_size 0
		.amdhsa_private_segment_fixed_size 0
		.amdhsa_kernarg_size 304
		.amdhsa_user_sgpr_count 6
		.amdhsa_user_sgpr_private_segment_buffer 1
		.amdhsa_user_sgpr_dispatch_ptr 0
		.amdhsa_user_sgpr_queue_ptr 0
		.amdhsa_user_sgpr_kernarg_segment_ptr 1
		.amdhsa_user_sgpr_dispatch_id 0
		.amdhsa_user_sgpr_flat_scratch_init 0
		.amdhsa_user_sgpr_kernarg_preload_length 0
		.amdhsa_user_sgpr_kernarg_preload_offset 0
		.amdhsa_user_sgpr_private_segment_size 0
		.amdhsa_uses_dynamic_stack 0
		.amdhsa_system_sgpr_private_segment_wavefront_offset 0
		.amdhsa_system_sgpr_workgroup_id_x 1
		.amdhsa_system_sgpr_workgroup_id_y 0
		.amdhsa_system_sgpr_workgroup_id_z 0
		.amdhsa_system_sgpr_workgroup_info 0
		.amdhsa_system_vgpr_workitem_id 1
		.amdhsa_next_free_vgpr 16
		.amdhsa_next_free_sgpr 16
		.amdhsa_accum_offset 16
		.amdhsa_reserve_vcc 1
		.amdhsa_reserve_flat_scratch 0
		.amdhsa_float_round_mode_32 0
		.amdhsa_float_round_mode_16_64 0
		.amdhsa_float_denorm_mode_32 3
		.amdhsa_float_denorm_mode_16_64 3
		.amdhsa_dx10_clamp 1
		.amdhsa_ieee_mode 1
		.amdhsa_fp16_overflow 0
		.amdhsa_tg_split 0
		.amdhsa_exception_fp_ieee_invalid_op 0
		.amdhsa_exception_fp_denorm_src 0
		.amdhsa_exception_fp_ieee_div_zero 0
		.amdhsa_exception_fp_ieee_overflow 0
		.amdhsa_exception_fp_ieee_underflow 0
		.amdhsa_exception_fp_ieee_inexact 0
		.amdhsa_exception_int_div_zero 0
	.end_amdhsa_kernel
	.section	.text._ZN12_GLOBAL__N_120softmax_warp_forwardIN3c104HalfEffLi3ELb1ELb0ELi64EEEvPT0_PKT_iiiPKbib,"axG",@progbits,_ZN12_GLOBAL__N_120softmax_warp_forwardIN3c104HalfEffLi3ELb1ELb0ELi64EEEvPT0_PKT_iiiPKbib,comdat
.Lfunc_end111:
	.size	_ZN12_GLOBAL__N_120softmax_warp_forwardIN3c104HalfEffLi3ELb1ELb0ELi64EEEvPT0_PKT_iiiPKbib, .Lfunc_end111-_ZN12_GLOBAL__N_120softmax_warp_forwardIN3c104HalfEffLi3ELb1ELb0ELi64EEEvPT0_PKT_iiiPKbib
                                        ; -- End function
	.section	.AMDGPU.csdata,"",@progbits
; Kernel info:
; codeLenInByte = 1132
; NumSgprs: 20
; NumVgprs: 16
; NumAgprs: 0
; TotalNumVgprs: 16
; ScratchSize: 0
; MemoryBound: 0
; FloatMode: 240
; IeeeMode: 1
; LDSByteSize: 0 bytes/workgroup (compile time only)
; SGPRBlocks: 2
; VGPRBlocks: 1
; NumSGPRsForWavesPerEU: 20
; NumVGPRsForWavesPerEU: 16
; AccumOffset: 16
; Occupancy: 8
; WaveLimiterHint : 0
; COMPUTE_PGM_RSRC2:SCRATCH_EN: 0
; COMPUTE_PGM_RSRC2:USER_SGPR: 6
; COMPUTE_PGM_RSRC2:TRAP_HANDLER: 0
; COMPUTE_PGM_RSRC2:TGID_X_EN: 1
; COMPUTE_PGM_RSRC2:TGID_Y_EN: 0
; COMPUTE_PGM_RSRC2:TGID_Z_EN: 0
; COMPUTE_PGM_RSRC2:TIDIG_COMP_CNT: 1
; COMPUTE_PGM_RSRC3_GFX90A:ACCUM_OFFSET: 3
; COMPUTE_PGM_RSRC3_GFX90A:TG_SPLIT: 0
	.section	.text._ZN12_GLOBAL__N_120softmax_warp_forwardIN3c104HalfEffLi3ELb1ELb0ELi32EEEvPT0_PKT_iiiPKbib,"axG",@progbits,_ZN12_GLOBAL__N_120softmax_warp_forwardIN3c104HalfEffLi3ELb1ELb0ELi32EEEvPT0_PKT_iiiPKbib,comdat
	.globl	_ZN12_GLOBAL__N_120softmax_warp_forwardIN3c104HalfEffLi3ELb1ELb0ELi32EEEvPT0_PKT_iiiPKbib ; -- Begin function _ZN12_GLOBAL__N_120softmax_warp_forwardIN3c104HalfEffLi3ELb1ELb0ELi32EEEvPT0_PKT_iiiPKbib
	.p2align	8
	.type	_ZN12_GLOBAL__N_120softmax_warp_forwardIN3c104HalfEffLi3ELb1ELb0ELi32EEEvPT0_PKT_iiiPKbib,@function
_ZN12_GLOBAL__N_120softmax_warp_forwardIN3c104HalfEffLi3ELb1ELb0ELi32EEEvPT0_PKT_iiiPKbib: ; @_ZN12_GLOBAL__N_120softmax_warp_forwardIN3c104HalfEffLi3ELb1ELb0ELi32EEEvPT0_PKT_iiiPKbib
; %bb.0:
	s_load_dword s0, s[4:5], 0x3c
	s_load_dwordx8 s[8:15], s[4:5], 0x0
	v_bfe_u32 v1, v0, 10, 10
	v_and_b32_e32 v0, 0x3ff, v0
	s_waitcnt lgkmcnt(0)
	s_lshr_b32 s0, s0, 16
	s_mul_i32 s6, s6, s0
	v_add_lshl_u32 v1, s6, v1, 1
	v_mad_u64_u32 v[2:3], s[0:1], v1, s13, v[0:1]
	v_ashrrev_i32_e32 v3, 31, v2
	v_lshlrev_b64 v[4:5], 1, v[2:3]
	v_sub_u32_e32 v10, s12, v1
	v_mov_b32_e32 v1, s11
	v_add_co_u32_e32 v4, vcc, s10, v4
	v_addc_co_u32_e32 v5, vcc, v1, v5, vcc
	v_cmp_gt_i32_e32 vcc, s14, v0
	v_cmp_lt_i32_e64 s[0:1], 0, v10
	s_and_b64 s[4:5], vcc, s[0:1]
	v_mov_b32_e32 v1, 0xff800000
	v_mov_b32_e32 v0, 0xff800000
	s_and_saveexec_b64 s[2:3], s[4:5]
	s_cbranch_execz .LBB112_2
; %bb.1:
	global_load_ushort v0, v[4:5], off
	s_waitcnt vmcnt(0)
	v_cvt_f32_f16_e32 v0, v0
.LBB112_2:
	s_or_b64 exec, exec, s[2:3]
	v_cmp_lt_i32_e64 s[2:3], 1, v10
	s_and_b64 s[2:3], vcc, s[2:3]
	s_and_saveexec_b64 s[4:5], s[2:3]
	s_cbranch_execz .LBB112_4
; %bb.3:
	s_mov_b32 s15, 0
	s_lshl_b64 s[2:3], s[14:15], 1
	v_mov_b32_e32 v1, s3
	v_add_co_u32_e64 v4, s[2:3], s2, v4
	v_addc_co_u32_e64 v5, s[2:3], v5, v1, s[2:3]
	global_load_ushort v1, v[4:5], off
	s_waitcnt vmcnt(0)
	v_cvt_f32_f16_e32 v1, v1
.LBB112_4:
	s_or_b64 exec, exec, s[4:5]
	v_mbcnt_lo_u32_b32 v4, -1, 0
	v_mbcnt_hi_u32_b32 v4, -1, v4
	v_and_b32_e32 v5, 0x78, v4
	v_add_u32_e32 v5, 8, v5
	v_xor_b32_e32 v6, 4, v4
	v_cmp_lt_i32_e64 s[2:3], v6, v5
	v_cndmask_b32_e64 v6, v4, v6, s[2:3]
	v_lshlrev_b32_e32 v9, 2, v6
	ds_bpermute_b32 v7, v9, v1
	v_xor_b32_e32 v8, 2, v4
	ds_bpermute_b32 v6, v9, v0
	v_cmp_lt_i32_e64 s[2:3], v8, v5
	v_cndmask_b32_e64 v8, v4, v8, s[2:3]
	v_lshlrev_b32_e32 v11, 2, v8
	v_xor_b32_e32 v8, 1, v4
	v_cmp_lt_i32_e64 s[2:3], v8, v5
	v_cndmask_b32_e64 v4, v4, v8, s[2:3]
	s_waitcnt lgkmcnt(1)
	v_cmp_lt_f32_e64 s[2:3], v1, v7
	v_cndmask_b32_e64 v5, v1, v7, s[2:3]
	s_waitcnt lgkmcnt(0)
	v_cmp_lt_f32_e64 s[2:3], v0, v6
	ds_bpermute_b32 v7, v11, v5
	v_cndmask_b32_e64 v6, v0, v6, s[2:3]
	ds_bpermute_b32 v8, v11, v6
	v_lshlrev_b32_e32 v12, 2, v4
	s_mov_b32 s4, 0x3fb8aa3b
	s_waitcnt lgkmcnt(1)
	v_cmp_lt_f32_e64 s[2:3], v5, v7
	v_cndmask_b32_e64 v4, v5, v7, s[2:3]
	s_waitcnt lgkmcnt(0)
	v_cmp_lt_f32_e64 s[2:3], v6, v8
	ds_bpermute_b32 v5, v12, v4
	v_cndmask_b32_e64 v6, v6, v8, s[2:3]
	ds_bpermute_b32 v7, v12, v6
	s_mov_b32 s5, 0xc2ce8ed0
	s_mov_b32 s6, 0x42b17218
	s_waitcnt lgkmcnt(1)
	v_cmp_lt_f32_e64 s[2:3], v4, v5
	v_cndmask_b32_e64 v5, v4, v5, s[2:3]
	s_waitcnt lgkmcnt(0)
	v_cmp_lt_f32_e64 s[2:3], v6, v7
	v_cndmask_b32_e64 v4, v6, v7, s[2:3]
	v_pk_add_f32 v[6:7], v[0:1], v[4:5] neg_lo:[0,1] neg_hi:[0,1]
	v_mul_f32_e32 v8, 0x3fb8aa3b, v7
	v_fma_f32 v13, v7, s4, -v8
	v_rndne_f32_e32 v14, v8
	v_fmac_f32_e32 v13, 0x32a5705f, v7
	v_sub_f32_e32 v8, v8, v14
	v_add_f32_e32 v8, v8, v13
	v_exp_f32_e32 v8, v8
	v_cvt_i32_f32_e32 v13, v14
	v_cmp_ngt_f32_e64 s[2:3], s5, v7
	v_ldexp_f32 v8, v8, v13
	v_mul_f32_e32 v13, 0x3fb8aa3b, v6
	v_fma_f32 v14, v6, s4, -v13
	v_rndne_f32_e32 v15, v13
	v_fmac_f32_e32 v14, 0x32a5705f, v6
	v_sub_f32_e32 v13, v13, v15
	v_add_f32_e32 v13, v13, v14
	v_exp_f32_e32 v13, v13
	v_cvt_i32_f32_e32 v14, v15
	v_cndmask_b32_e64 v8, 0, v8, s[2:3]
	v_mov_b32_e32 v15, 0x7f800000
	v_cmp_nlt_f32_e64 s[2:3], s6, v7
	v_cndmask_b32_e64 v7, v15, v8, s[2:3]
	v_ldexp_f32 v8, v13, v14
	v_cmp_ngt_f32_e64 s[2:3], s5, v6
	v_cndmask_b32_e64 v8, 0, v8, s[2:3]
	v_cmp_nlt_f32_e64 s[2:3], s6, v6
	v_cndmask_b32_e64 v6, v15, v8, s[2:3]
	ds_bpermute_b32 v8, v9, v6
	ds_bpermute_b32 v9, v9, v7
	s_waitcnt lgkmcnt(0)
	v_pk_add_f32 v[6:7], v[6:7], v[8:9]
	ds_bpermute_b32 v8, v11, v6
	ds_bpermute_b32 v9, v11, v7
	s_waitcnt lgkmcnt(0)
	v_pk_add_f32 v[6:7], v[6:7], v[8:9]
	ds_bpermute_b32 v8, v12, v6
	ds_bpermute_b32 v9, v12, v7
	s_and_saveexec_b64 s[2:3], s[0:1]
	s_cbranch_execz .LBB112_10
; %bb.5:
	v_lshlrev_b64 v[2:3], 2, v[2:3]
	v_mov_b32_e32 v11, s9
	v_add_co_u32_e64 v2, s[0:1], s8, v2
	v_addc_co_u32_e64 v3, s[0:1], v11, v3, s[0:1]
	s_waitcnt lgkmcnt(0)
	v_pk_add_f32 v[6:7], v[6:7], v[8:9]
	s_and_saveexec_b64 s[4:5], vcc
	s_cbranch_execz .LBB112_7
; %bb.6:
	s_mov_b32 s0, 0x800000
	v_mov_b32_e32 v8, 0x4f800000
	v_cmp_gt_f32_e64 s[0:1], s0, v6
	v_cndmask_b32_e64 v8, 1.0, v8, s[0:1]
	v_mul_f32_e32 v6, v6, v8
	v_log_f32_e32 v6, v6
	s_mov_b32 s2, 0x3f317217
	v_sub_f32_e32 v0, v0, v4
	v_mul_f32_e32 v8, 0x3f317217, v6
	v_fma_f32 v9, v6, s2, -v8
	v_fmac_f32_e32 v9, 0x3377d1cf, v6
	s_mov_b32 s2, 0x7f800000
	v_add_f32_e32 v8, v8, v9
	v_cmp_lt_f32_e64 s[2:3], |v6|, s2
	v_cndmask_b32_e64 v6, v6, v8, s[2:3]
	v_mov_b32_e32 v8, 0x41b17218
	v_cndmask_b32_e64 v8, 0, v8, s[0:1]
	v_sub_f32_e32 v6, v6, v8
	v_sub_f32_e32 v0, v0, v6
	global_store_dword v[2:3], v0, off
.LBB112_7:
	s_or_b64 exec, exec, s[4:5]
	v_cmp_ne_u32_e64 s[0:1], 1, v10
	s_and_b64 exec, exec, s[0:1]
	s_cbranch_execz .LBB112_10
; %bb.8:
	s_and_b64 exec, exec, vcc
	s_cbranch_execz .LBB112_10
; %bb.9:
	s_mov_b32 s0, 0x800000
	v_mov_b32_e32 v0, 0x4f800000
	v_cmp_gt_f32_e32 vcc, s0, v7
	v_cndmask_b32_e32 v0, 1.0, v0, vcc
	v_mul_f32_e32 v0, v7, v0
	v_log_f32_e32 v0, v0
	s_mov_b32 s0, 0x3f317217
	s_mov_b32 s15, 0
	v_sub_f32_e32 v1, v1, v5
	v_mul_f32_e32 v4, 0x3f317217, v0
	v_fma_f32 v6, v0, s0, -v4
	v_fmac_f32_e32 v6, 0x3377d1cf, v0
	s_mov_b32 s0, 0x7f800000
	v_add_f32_e32 v4, v4, v6
	v_cmp_lt_f32_e64 s[0:1], |v0|, s0
	v_cndmask_b32_e64 v0, v0, v4, s[0:1]
	v_mov_b32_e32 v4, 0x41b17218
	v_cndmask_b32_e32 v4, 0, v4, vcc
	v_sub_f32_e32 v0, v0, v4
	s_lshl_b64 s[0:1], s[14:15], 2
	v_sub_f32_e32 v4, v1, v0
	v_mov_b32_e32 v1, s1
	v_add_co_u32_e32 v0, vcc, s0, v2
	v_addc_co_u32_e32 v1, vcc, v3, v1, vcc
	global_store_dword v[0:1], v4, off
.LBB112_10:
	s_endpgm
	.section	.rodata,"a",@progbits
	.p2align	6, 0x0
	.amdhsa_kernel _ZN12_GLOBAL__N_120softmax_warp_forwardIN3c104HalfEffLi3ELb1ELb0ELi32EEEvPT0_PKT_iiiPKbib
		.amdhsa_group_segment_fixed_size 0
		.amdhsa_private_segment_fixed_size 0
		.amdhsa_kernarg_size 304
		.amdhsa_user_sgpr_count 6
		.amdhsa_user_sgpr_private_segment_buffer 1
		.amdhsa_user_sgpr_dispatch_ptr 0
		.amdhsa_user_sgpr_queue_ptr 0
		.amdhsa_user_sgpr_kernarg_segment_ptr 1
		.amdhsa_user_sgpr_dispatch_id 0
		.amdhsa_user_sgpr_flat_scratch_init 0
		.amdhsa_user_sgpr_kernarg_preload_length 0
		.amdhsa_user_sgpr_kernarg_preload_offset 0
		.amdhsa_user_sgpr_private_segment_size 0
		.amdhsa_uses_dynamic_stack 0
		.amdhsa_system_sgpr_private_segment_wavefront_offset 0
		.amdhsa_system_sgpr_workgroup_id_x 1
		.amdhsa_system_sgpr_workgroup_id_y 0
		.amdhsa_system_sgpr_workgroup_id_z 0
		.amdhsa_system_sgpr_workgroup_info 0
		.amdhsa_system_vgpr_workitem_id 1
		.amdhsa_next_free_vgpr 16
		.amdhsa_next_free_sgpr 16
		.amdhsa_accum_offset 16
		.amdhsa_reserve_vcc 1
		.amdhsa_reserve_flat_scratch 0
		.amdhsa_float_round_mode_32 0
		.amdhsa_float_round_mode_16_64 0
		.amdhsa_float_denorm_mode_32 3
		.amdhsa_float_denorm_mode_16_64 3
		.amdhsa_dx10_clamp 1
		.amdhsa_ieee_mode 1
		.amdhsa_fp16_overflow 0
		.amdhsa_tg_split 0
		.amdhsa_exception_fp_ieee_invalid_op 0
		.amdhsa_exception_fp_denorm_src 0
		.amdhsa_exception_fp_ieee_div_zero 0
		.amdhsa_exception_fp_ieee_overflow 0
		.amdhsa_exception_fp_ieee_underflow 0
		.amdhsa_exception_fp_ieee_inexact 0
		.amdhsa_exception_int_div_zero 0
	.end_amdhsa_kernel
	.section	.text._ZN12_GLOBAL__N_120softmax_warp_forwardIN3c104HalfEffLi3ELb1ELb0ELi32EEEvPT0_PKT_iiiPKbib,"axG",@progbits,_ZN12_GLOBAL__N_120softmax_warp_forwardIN3c104HalfEffLi3ELb1ELb0ELi32EEEvPT0_PKT_iiiPKbib,comdat
.Lfunc_end112:
	.size	_ZN12_GLOBAL__N_120softmax_warp_forwardIN3c104HalfEffLi3ELb1ELb0ELi32EEEvPT0_PKT_iiiPKbib, .Lfunc_end112-_ZN12_GLOBAL__N_120softmax_warp_forwardIN3c104HalfEffLi3ELb1ELb0ELi32EEEvPT0_PKT_iiiPKbib
                                        ; -- End function
	.section	.AMDGPU.csdata,"",@progbits
; Kernel info:
; codeLenInByte = 1132
; NumSgprs: 20
; NumVgprs: 16
; NumAgprs: 0
; TotalNumVgprs: 16
; ScratchSize: 0
; MemoryBound: 0
; FloatMode: 240
; IeeeMode: 1
; LDSByteSize: 0 bytes/workgroup (compile time only)
; SGPRBlocks: 2
; VGPRBlocks: 1
; NumSGPRsForWavesPerEU: 20
; NumVGPRsForWavesPerEU: 16
; AccumOffset: 16
; Occupancy: 8
; WaveLimiterHint : 0
; COMPUTE_PGM_RSRC2:SCRATCH_EN: 0
; COMPUTE_PGM_RSRC2:USER_SGPR: 6
; COMPUTE_PGM_RSRC2:TRAP_HANDLER: 0
; COMPUTE_PGM_RSRC2:TGID_X_EN: 1
; COMPUTE_PGM_RSRC2:TGID_Y_EN: 0
; COMPUTE_PGM_RSRC2:TGID_Z_EN: 0
; COMPUTE_PGM_RSRC2:TIDIG_COMP_CNT: 1
; COMPUTE_PGM_RSRC3_GFX90A:ACCUM_OFFSET: 3
; COMPUTE_PGM_RSRC3_GFX90A:TG_SPLIT: 0
	.section	.text._ZN12_GLOBAL__N_120softmax_warp_forwardIN3c104HalfEffLi4ELb1ELb0ELi64EEEvPT0_PKT_iiiPKbib,"axG",@progbits,_ZN12_GLOBAL__N_120softmax_warp_forwardIN3c104HalfEffLi4ELb1ELb0ELi64EEEvPT0_PKT_iiiPKbib,comdat
	.globl	_ZN12_GLOBAL__N_120softmax_warp_forwardIN3c104HalfEffLi4ELb1ELb0ELi64EEEvPT0_PKT_iiiPKbib ; -- Begin function _ZN12_GLOBAL__N_120softmax_warp_forwardIN3c104HalfEffLi4ELb1ELb0ELi64EEEvPT0_PKT_iiiPKbib
	.p2align	8
	.type	_ZN12_GLOBAL__N_120softmax_warp_forwardIN3c104HalfEffLi4ELb1ELb0ELi64EEEvPT0_PKT_iiiPKbib,@function
_ZN12_GLOBAL__N_120softmax_warp_forwardIN3c104HalfEffLi4ELb1ELb0ELi64EEEvPT0_PKT_iiiPKbib: ; @_ZN12_GLOBAL__N_120softmax_warp_forwardIN3c104HalfEffLi4ELb1ELb0ELi64EEEvPT0_PKT_iiiPKbib
; %bb.0:
	s_load_dword s0, s[4:5], 0x3c
	s_load_dwordx8 s[8:15], s[4:5], 0x0
	v_bfe_u32 v1, v0, 10, 10
	v_and_b32_e32 v0, 0x3ff, v0
	s_waitcnt lgkmcnt(0)
	s_lshr_b32 s0, s0, 16
	s_mul_i32 s6, s6, s0
	v_add_lshl_u32 v1, s6, v1, 1
	v_mad_u64_u32 v[2:3], s[0:1], v1, s13, v[0:1]
	v_ashrrev_i32_e32 v3, 31, v2
	v_lshlrev_b64 v[4:5], 1, v[2:3]
	v_sub_u32_e32 v10, s12, v1
	v_mov_b32_e32 v1, s11
	v_add_co_u32_e32 v4, vcc, s10, v4
	v_addc_co_u32_e32 v5, vcc, v1, v5, vcc
	v_cmp_gt_i32_e32 vcc, s14, v0
	v_cmp_lt_i32_e64 s[0:1], 0, v10
	s_and_b64 s[4:5], vcc, s[0:1]
	v_mov_b32_e32 v1, 0xff800000
	v_mov_b32_e32 v0, 0xff800000
	s_and_saveexec_b64 s[2:3], s[4:5]
	s_cbranch_execz .LBB113_2
; %bb.1:
	global_load_ushort v0, v[4:5], off
	s_waitcnt vmcnt(0)
	v_cvt_f32_f16_e32 v0, v0
.LBB113_2:
	s_or_b64 exec, exec, s[2:3]
	v_cmp_lt_i32_e64 s[2:3], 1, v10
	s_and_b64 s[2:3], vcc, s[2:3]
	s_and_saveexec_b64 s[4:5], s[2:3]
	s_cbranch_execz .LBB113_4
; %bb.3:
	s_mov_b32 s15, 0
	s_lshl_b64 s[2:3], s[14:15], 1
	v_mov_b32_e32 v1, s3
	v_add_co_u32_e64 v4, s[2:3], s2, v4
	v_addc_co_u32_e64 v5, s[2:3], v5, v1, s[2:3]
	global_load_ushort v1, v[4:5], off
	s_waitcnt vmcnt(0)
	v_cvt_f32_f16_e32 v1, v1
.LBB113_4:
	s_or_b64 exec, exec, s[4:5]
	v_mbcnt_lo_u32_b32 v4, -1, 0
	v_mbcnt_hi_u32_b32 v4, -1, v4
	v_and_b32_e32 v5, 0x70, v4
	v_add_u32_e32 v5, 16, v5
	v_xor_b32_e32 v6, 8, v4
	v_cmp_lt_i32_e64 s[2:3], v6, v5
	v_cndmask_b32_e64 v6, v4, v6, s[2:3]
	v_lshlrev_b32_e32 v9, 2, v6
	ds_bpermute_b32 v6, v9, v1
	ds_bpermute_b32 v7, v9, v0
	v_xor_b32_e32 v8, 4, v4
	v_xor_b32_e32 v13, 2, v4
	;; [unrolled: 1-line block ×3, first 2 shown]
	s_waitcnt lgkmcnt(1)
	v_cmp_lt_f32_e64 s[2:3], v1, v6
	v_cndmask_b32_e64 v6, v1, v6, s[2:3]
	s_waitcnt lgkmcnt(0)
	v_cmp_lt_f32_e64 s[2:3], v0, v7
	v_cndmask_b32_e64 v7, v0, v7, s[2:3]
	v_cmp_lt_i32_e64 s[2:3], v8, v5
	v_cndmask_b32_e64 v8, v4, v8, s[2:3]
	v_lshlrev_b32_e32 v11, 2, v8
	ds_bpermute_b32 v12, v11, v6
	ds_bpermute_b32 v8, v11, v7
	v_cmp_lt_i32_e64 s[2:3], v13, v5
	v_cndmask_b32_e64 v13, v4, v13, s[2:3]
	v_cmp_lt_i32_e64 s[2:3], v14, v5
	v_cndmask_b32_e64 v4, v4, v14, s[2:3]
	s_waitcnt lgkmcnt(1)
	v_cmp_lt_f32_e64 s[2:3], v6, v12
	v_lshlrev_b32_e32 v13, 2, v13
	v_cndmask_b32_e64 v5, v6, v12, s[2:3]
	s_waitcnt lgkmcnt(0)
	v_cmp_lt_f32_e64 s[2:3], v7, v8
	ds_bpermute_b32 v6, v13, v5
	v_cndmask_b32_e64 v7, v7, v8, s[2:3]
	ds_bpermute_b32 v8, v13, v7
	v_lshlrev_b32_e32 v12, 2, v4
	s_mov_b32 s4, 0x3fb8aa3b
	s_waitcnt lgkmcnt(1)
	v_cmp_lt_f32_e64 s[2:3], v5, v6
	v_cndmask_b32_e64 v4, v5, v6, s[2:3]
	s_waitcnt lgkmcnt(0)
	v_cmp_lt_f32_e64 s[2:3], v7, v8
	ds_bpermute_b32 v5, v12, v4
	v_cndmask_b32_e64 v6, v7, v8, s[2:3]
	ds_bpermute_b32 v7, v12, v6
	s_mov_b32 s5, 0xc2ce8ed0
	s_mov_b32 s6, 0x42b17218
	s_waitcnt lgkmcnt(1)
	v_cmp_lt_f32_e64 s[2:3], v4, v5
	v_cndmask_b32_e64 v5, v4, v5, s[2:3]
	s_waitcnt lgkmcnt(0)
	v_cmp_lt_f32_e64 s[2:3], v6, v7
	v_cndmask_b32_e64 v4, v6, v7, s[2:3]
	v_pk_add_f32 v[6:7], v[0:1], v[4:5] neg_lo:[0,1] neg_hi:[0,1]
	v_mul_f32_e32 v8, 0x3fb8aa3b, v7
	v_fma_f32 v14, v7, s4, -v8
	v_rndne_f32_e32 v15, v8
	v_fmac_f32_e32 v14, 0x32a5705f, v7
	v_sub_f32_e32 v8, v8, v15
	v_add_f32_e32 v8, v8, v14
	v_exp_f32_e32 v8, v8
	v_cvt_i32_f32_e32 v14, v15
	v_cmp_ngt_f32_e64 s[2:3], s5, v7
	v_ldexp_f32 v8, v8, v14
	v_mul_f32_e32 v14, 0x3fb8aa3b, v6
	v_fma_f32 v15, v6, s4, -v14
	v_rndne_f32_e32 v16, v14
	v_fmac_f32_e32 v15, 0x32a5705f, v6
	v_sub_f32_e32 v14, v14, v16
	v_add_f32_e32 v14, v14, v15
	v_exp_f32_e32 v14, v14
	v_cvt_i32_f32_e32 v15, v16
	v_cndmask_b32_e64 v8, 0, v8, s[2:3]
	v_mov_b32_e32 v16, 0x7f800000
	v_cmp_nlt_f32_e64 s[2:3], s6, v7
	v_cndmask_b32_e64 v7, v16, v8, s[2:3]
	v_ldexp_f32 v8, v14, v15
	v_cmp_ngt_f32_e64 s[2:3], s5, v6
	v_cndmask_b32_e64 v8, 0, v8, s[2:3]
	v_cmp_nlt_f32_e64 s[2:3], s6, v6
	v_cndmask_b32_e64 v6, v16, v8, s[2:3]
	ds_bpermute_b32 v8, v9, v6
	ds_bpermute_b32 v9, v9, v7
	s_waitcnt lgkmcnt(0)
	v_pk_add_f32 v[6:7], v[6:7], v[8:9]
	ds_bpermute_b32 v8, v11, v6
	ds_bpermute_b32 v9, v11, v7
	s_waitcnt lgkmcnt(0)
	v_pk_add_f32 v[6:7], v[6:7], v[8:9]
	;; [unrolled: 4-line block ×3, first 2 shown]
	ds_bpermute_b32 v8, v12, v6
	ds_bpermute_b32 v9, v12, v7
	s_and_saveexec_b64 s[2:3], s[0:1]
	s_cbranch_execz .LBB113_10
; %bb.5:
	v_lshlrev_b64 v[2:3], 2, v[2:3]
	v_mov_b32_e32 v11, s9
	v_add_co_u32_e64 v2, s[0:1], s8, v2
	v_addc_co_u32_e64 v3, s[0:1], v11, v3, s[0:1]
	s_waitcnt lgkmcnt(0)
	v_pk_add_f32 v[6:7], v[6:7], v[8:9]
	s_and_saveexec_b64 s[4:5], vcc
	s_cbranch_execz .LBB113_7
; %bb.6:
	s_mov_b32 s0, 0x800000
	v_mov_b32_e32 v8, 0x4f800000
	v_cmp_gt_f32_e64 s[0:1], s0, v6
	v_cndmask_b32_e64 v8, 1.0, v8, s[0:1]
	v_mul_f32_e32 v6, v6, v8
	v_log_f32_e32 v6, v6
	s_mov_b32 s2, 0x3f317217
	v_sub_f32_e32 v0, v0, v4
	v_mul_f32_e32 v8, 0x3f317217, v6
	v_fma_f32 v9, v6, s2, -v8
	v_fmac_f32_e32 v9, 0x3377d1cf, v6
	s_mov_b32 s2, 0x7f800000
	v_add_f32_e32 v8, v8, v9
	v_cmp_lt_f32_e64 s[2:3], |v6|, s2
	v_cndmask_b32_e64 v6, v6, v8, s[2:3]
	v_mov_b32_e32 v8, 0x41b17218
	v_cndmask_b32_e64 v8, 0, v8, s[0:1]
	v_sub_f32_e32 v6, v6, v8
	v_sub_f32_e32 v0, v0, v6
	global_store_dword v[2:3], v0, off
.LBB113_7:
	s_or_b64 exec, exec, s[4:5]
	v_cmp_ne_u32_e64 s[0:1], 1, v10
	s_and_b64 exec, exec, s[0:1]
	s_cbranch_execz .LBB113_10
; %bb.8:
	s_and_b64 exec, exec, vcc
	s_cbranch_execz .LBB113_10
; %bb.9:
	s_mov_b32 s0, 0x800000
	v_mov_b32_e32 v0, 0x4f800000
	v_cmp_gt_f32_e32 vcc, s0, v7
	v_cndmask_b32_e32 v0, 1.0, v0, vcc
	v_mul_f32_e32 v0, v7, v0
	v_log_f32_e32 v0, v0
	s_mov_b32 s0, 0x3f317217
	s_mov_b32 s15, 0
	v_sub_f32_e32 v1, v1, v5
	v_mul_f32_e32 v4, 0x3f317217, v0
	v_fma_f32 v6, v0, s0, -v4
	v_fmac_f32_e32 v6, 0x3377d1cf, v0
	s_mov_b32 s0, 0x7f800000
	v_add_f32_e32 v4, v4, v6
	v_cmp_lt_f32_e64 s[0:1], |v0|, s0
	v_cndmask_b32_e64 v0, v0, v4, s[0:1]
	v_mov_b32_e32 v4, 0x41b17218
	v_cndmask_b32_e32 v4, 0, v4, vcc
	v_sub_f32_e32 v0, v0, v4
	s_lshl_b64 s[0:1], s[14:15], 2
	v_sub_f32_e32 v4, v1, v0
	v_mov_b32_e32 v1, s1
	v_add_co_u32_e32 v0, vcc, s0, v2
	v_addc_co_u32_e32 v1, vcc, v3, v1, vcc
	global_store_dword v[0:1], v4, off
.LBB113_10:
	s_endpgm
	.section	.rodata,"a",@progbits
	.p2align	6, 0x0
	.amdhsa_kernel _ZN12_GLOBAL__N_120softmax_warp_forwardIN3c104HalfEffLi4ELb1ELb0ELi64EEEvPT0_PKT_iiiPKbib
		.amdhsa_group_segment_fixed_size 0
		.amdhsa_private_segment_fixed_size 0
		.amdhsa_kernarg_size 304
		.amdhsa_user_sgpr_count 6
		.amdhsa_user_sgpr_private_segment_buffer 1
		.amdhsa_user_sgpr_dispatch_ptr 0
		.amdhsa_user_sgpr_queue_ptr 0
		.amdhsa_user_sgpr_kernarg_segment_ptr 1
		.amdhsa_user_sgpr_dispatch_id 0
		.amdhsa_user_sgpr_flat_scratch_init 0
		.amdhsa_user_sgpr_kernarg_preload_length 0
		.amdhsa_user_sgpr_kernarg_preload_offset 0
		.amdhsa_user_sgpr_private_segment_size 0
		.amdhsa_uses_dynamic_stack 0
		.amdhsa_system_sgpr_private_segment_wavefront_offset 0
		.amdhsa_system_sgpr_workgroup_id_x 1
		.amdhsa_system_sgpr_workgroup_id_y 0
		.amdhsa_system_sgpr_workgroup_id_z 0
		.amdhsa_system_sgpr_workgroup_info 0
		.amdhsa_system_vgpr_workitem_id 1
		.amdhsa_next_free_vgpr 17
		.amdhsa_next_free_sgpr 16
		.amdhsa_accum_offset 20
		.amdhsa_reserve_vcc 1
		.amdhsa_reserve_flat_scratch 0
		.amdhsa_float_round_mode_32 0
		.amdhsa_float_round_mode_16_64 0
		.amdhsa_float_denorm_mode_32 3
		.amdhsa_float_denorm_mode_16_64 3
		.amdhsa_dx10_clamp 1
		.amdhsa_ieee_mode 1
		.amdhsa_fp16_overflow 0
		.amdhsa_tg_split 0
		.amdhsa_exception_fp_ieee_invalid_op 0
		.amdhsa_exception_fp_denorm_src 0
		.amdhsa_exception_fp_ieee_div_zero 0
		.amdhsa_exception_fp_ieee_overflow 0
		.amdhsa_exception_fp_ieee_underflow 0
		.amdhsa_exception_fp_ieee_inexact 0
		.amdhsa_exception_int_div_zero 0
	.end_amdhsa_kernel
	.section	.text._ZN12_GLOBAL__N_120softmax_warp_forwardIN3c104HalfEffLi4ELb1ELb0ELi64EEEvPT0_PKT_iiiPKbib,"axG",@progbits,_ZN12_GLOBAL__N_120softmax_warp_forwardIN3c104HalfEffLi4ELb1ELb0ELi64EEEvPT0_PKT_iiiPKbib,comdat
.Lfunc_end113:
	.size	_ZN12_GLOBAL__N_120softmax_warp_forwardIN3c104HalfEffLi4ELb1ELb0ELi64EEEvPT0_PKT_iiiPKbib, .Lfunc_end113-_ZN12_GLOBAL__N_120softmax_warp_forwardIN3c104HalfEffLi4ELb1ELb0ELi64EEEvPT0_PKT_iiiPKbib
                                        ; -- End function
	.section	.AMDGPU.csdata,"",@progbits
; Kernel info:
; codeLenInByte = 1240
; NumSgprs: 20
; NumVgprs: 17
; NumAgprs: 0
; TotalNumVgprs: 17
; ScratchSize: 0
; MemoryBound: 0
; FloatMode: 240
; IeeeMode: 1
; LDSByteSize: 0 bytes/workgroup (compile time only)
; SGPRBlocks: 2
; VGPRBlocks: 2
; NumSGPRsForWavesPerEU: 20
; NumVGPRsForWavesPerEU: 17
; AccumOffset: 20
; Occupancy: 8
; WaveLimiterHint : 0
; COMPUTE_PGM_RSRC2:SCRATCH_EN: 0
; COMPUTE_PGM_RSRC2:USER_SGPR: 6
; COMPUTE_PGM_RSRC2:TRAP_HANDLER: 0
; COMPUTE_PGM_RSRC2:TGID_X_EN: 1
; COMPUTE_PGM_RSRC2:TGID_Y_EN: 0
; COMPUTE_PGM_RSRC2:TGID_Z_EN: 0
; COMPUTE_PGM_RSRC2:TIDIG_COMP_CNT: 1
; COMPUTE_PGM_RSRC3_GFX90A:ACCUM_OFFSET: 4
; COMPUTE_PGM_RSRC3_GFX90A:TG_SPLIT: 0
	.section	.text._ZN12_GLOBAL__N_120softmax_warp_forwardIN3c104HalfEffLi4ELb1ELb0ELi32EEEvPT0_PKT_iiiPKbib,"axG",@progbits,_ZN12_GLOBAL__N_120softmax_warp_forwardIN3c104HalfEffLi4ELb1ELb0ELi32EEEvPT0_PKT_iiiPKbib,comdat
	.globl	_ZN12_GLOBAL__N_120softmax_warp_forwardIN3c104HalfEffLi4ELb1ELb0ELi32EEEvPT0_PKT_iiiPKbib ; -- Begin function _ZN12_GLOBAL__N_120softmax_warp_forwardIN3c104HalfEffLi4ELb1ELb0ELi32EEEvPT0_PKT_iiiPKbib
	.p2align	8
	.type	_ZN12_GLOBAL__N_120softmax_warp_forwardIN3c104HalfEffLi4ELb1ELb0ELi32EEEvPT0_PKT_iiiPKbib,@function
_ZN12_GLOBAL__N_120softmax_warp_forwardIN3c104HalfEffLi4ELb1ELb0ELi32EEEvPT0_PKT_iiiPKbib: ; @_ZN12_GLOBAL__N_120softmax_warp_forwardIN3c104HalfEffLi4ELb1ELb0ELi32EEEvPT0_PKT_iiiPKbib
; %bb.0:
	s_load_dword s0, s[4:5], 0x3c
	s_load_dwordx8 s[8:15], s[4:5], 0x0
	v_bfe_u32 v1, v0, 10, 10
	v_and_b32_e32 v0, 0x3ff, v0
	s_waitcnt lgkmcnt(0)
	s_lshr_b32 s0, s0, 16
	s_mul_i32 s6, s6, s0
	v_add_lshl_u32 v1, s6, v1, 1
	v_mad_u64_u32 v[2:3], s[0:1], v1, s13, v[0:1]
	v_ashrrev_i32_e32 v3, 31, v2
	v_lshlrev_b64 v[4:5], 1, v[2:3]
	v_sub_u32_e32 v10, s12, v1
	v_mov_b32_e32 v1, s11
	v_add_co_u32_e32 v4, vcc, s10, v4
	v_addc_co_u32_e32 v5, vcc, v1, v5, vcc
	v_cmp_gt_i32_e32 vcc, s14, v0
	v_cmp_lt_i32_e64 s[0:1], 0, v10
	s_and_b64 s[4:5], vcc, s[0:1]
	v_mov_b32_e32 v1, 0xff800000
	v_mov_b32_e32 v0, 0xff800000
	s_and_saveexec_b64 s[2:3], s[4:5]
	s_cbranch_execz .LBB114_2
; %bb.1:
	global_load_ushort v0, v[4:5], off
	s_waitcnt vmcnt(0)
	v_cvt_f32_f16_e32 v0, v0
.LBB114_2:
	s_or_b64 exec, exec, s[2:3]
	v_cmp_lt_i32_e64 s[2:3], 1, v10
	s_and_b64 s[2:3], vcc, s[2:3]
	s_and_saveexec_b64 s[4:5], s[2:3]
	s_cbranch_execz .LBB114_4
; %bb.3:
	s_mov_b32 s15, 0
	s_lshl_b64 s[2:3], s[14:15], 1
	v_mov_b32_e32 v1, s3
	v_add_co_u32_e64 v4, s[2:3], s2, v4
	v_addc_co_u32_e64 v5, s[2:3], v5, v1, s[2:3]
	global_load_ushort v1, v[4:5], off
	s_waitcnt vmcnt(0)
	v_cvt_f32_f16_e32 v1, v1
.LBB114_4:
	s_or_b64 exec, exec, s[4:5]
	v_mbcnt_lo_u32_b32 v4, -1, 0
	v_mbcnt_hi_u32_b32 v4, -1, v4
	v_and_b32_e32 v5, 0x70, v4
	v_add_u32_e32 v5, 16, v5
	v_xor_b32_e32 v6, 8, v4
	v_cmp_lt_i32_e64 s[2:3], v6, v5
	v_cndmask_b32_e64 v6, v4, v6, s[2:3]
	v_lshlrev_b32_e32 v9, 2, v6
	ds_bpermute_b32 v6, v9, v1
	ds_bpermute_b32 v7, v9, v0
	v_xor_b32_e32 v8, 4, v4
	v_xor_b32_e32 v13, 2, v4
	;; [unrolled: 1-line block ×3, first 2 shown]
	s_waitcnt lgkmcnt(1)
	v_cmp_lt_f32_e64 s[2:3], v1, v6
	v_cndmask_b32_e64 v6, v1, v6, s[2:3]
	s_waitcnt lgkmcnt(0)
	v_cmp_lt_f32_e64 s[2:3], v0, v7
	v_cndmask_b32_e64 v7, v0, v7, s[2:3]
	v_cmp_lt_i32_e64 s[2:3], v8, v5
	v_cndmask_b32_e64 v8, v4, v8, s[2:3]
	v_lshlrev_b32_e32 v11, 2, v8
	ds_bpermute_b32 v12, v11, v6
	ds_bpermute_b32 v8, v11, v7
	v_cmp_lt_i32_e64 s[2:3], v13, v5
	v_cndmask_b32_e64 v13, v4, v13, s[2:3]
	v_cmp_lt_i32_e64 s[2:3], v14, v5
	v_cndmask_b32_e64 v4, v4, v14, s[2:3]
	s_waitcnt lgkmcnt(1)
	v_cmp_lt_f32_e64 s[2:3], v6, v12
	v_lshlrev_b32_e32 v13, 2, v13
	v_cndmask_b32_e64 v5, v6, v12, s[2:3]
	s_waitcnt lgkmcnt(0)
	v_cmp_lt_f32_e64 s[2:3], v7, v8
	ds_bpermute_b32 v6, v13, v5
	v_cndmask_b32_e64 v7, v7, v8, s[2:3]
	ds_bpermute_b32 v8, v13, v7
	v_lshlrev_b32_e32 v12, 2, v4
	s_mov_b32 s4, 0x3fb8aa3b
	s_waitcnt lgkmcnt(1)
	v_cmp_lt_f32_e64 s[2:3], v5, v6
	v_cndmask_b32_e64 v4, v5, v6, s[2:3]
	s_waitcnt lgkmcnt(0)
	v_cmp_lt_f32_e64 s[2:3], v7, v8
	ds_bpermute_b32 v5, v12, v4
	v_cndmask_b32_e64 v6, v7, v8, s[2:3]
	ds_bpermute_b32 v7, v12, v6
	s_mov_b32 s5, 0xc2ce8ed0
	s_mov_b32 s6, 0x42b17218
	s_waitcnt lgkmcnt(1)
	v_cmp_lt_f32_e64 s[2:3], v4, v5
	v_cndmask_b32_e64 v5, v4, v5, s[2:3]
	s_waitcnt lgkmcnt(0)
	v_cmp_lt_f32_e64 s[2:3], v6, v7
	v_cndmask_b32_e64 v4, v6, v7, s[2:3]
	v_pk_add_f32 v[6:7], v[0:1], v[4:5] neg_lo:[0,1] neg_hi:[0,1]
	v_mul_f32_e32 v8, 0x3fb8aa3b, v7
	v_fma_f32 v14, v7, s4, -v8
	v_rndne_f32_e32 v15, v8
	v_fmac_f32_e32 v14, 0x32a5705f, v7
	v_sub_f32_e32 v8, v8, v15
	v_add_f32_e32 v8, v8, v14
	v_exp_f32_e32 v8, v8
	v_cvt_i32_f32_e32 v14, v15
	v_cmp_ngt_f32_e64 s[2:3], s5, v7
	v_ldexp_f32 v8, v8, v14
	v_mul_f32_e32 v14, 0x3fb8aa3b, v6
	v_fma_f32 v15, v6, s4, -v14
	v_rndne_f32_e32 v16, v14
	v_fmac_f32_e32 v15, 0x32a5705f, v6
	v_sub_f32_e32 v14, v14, v16
	v_add_f32_e32 v14, v14, v15
	v_exp_f32_e32 v14, v14
	v_cvt_i32_f32_e32 v15, v16
	v_cndmask_b32_e64 v8, 0, v8, s[2:3]
	v_mov_b32_e32 v16, 0x7f800000
	v_cmp_nlt_f32_e64 s[2:3], s6, v7
	v_cndmask_b32_e64 v7, v16, v8, s[2:3]
	v_ldexp_f32 v8, v14, v15
	v_cmp_ngt_f32_e64 s[2:3], s5, v6
	v_cndmask_b32_e64 v8, 0, v8, s[2:3]
	v_cmp_nlt_f32_e64 s[2:3], s6, v6
	v_cndmask_b32_e64 v6, v16, v8, s[2:3]
	ds_bpermute_b32 v8, v9, v6
	ds_bpermute_b32 v9, v9, v7
	s_waitcnt lgkmcnt(0)
	v_pk_add_f32 v[6:7], v[6:7], v[8:9]
	ds_bpermute_b32 v8, v11, v6
	ds_bpermute_b32 v9, v11, v7
	s_waitcnt lgkmcnt(0)
	v_pk_add_f32 v[6:7], v[6:7], v[8:9]
	;; [unrolled: 4-line block ×3, first 2 shown]
	ds_bpermute_b32 v8, v12, v6
	ds_bpermute_b32 v9, v12, v7
	s_and_saveexec_b64 s[2:3], s[0:1]
	s_cbranch_execz .LBB114_10
; %bb.5:
	v_lshlrev_b64 v[2:3], 2, v[2:3]
	v_mov_b32_e32 v11, s9
	v_add_co_u32_e64 v2, s[0:1], s8, v2
	v_addc_co_u32_e64 v3, s[0:1], v11, v3, s[0:1]
	s_waitcnt lgkmcnt(0)
	v_pk_add_f32 v[6:7], v[6:7], v[8:9]
	s_and_saveexec_b64 s[4:5], vcc
	s_cbranch_execz .LBB114_7
; %bb.6:
	s_mov_b32 s0, 0x800000
	v_mov_b32_e32 v8, 0x4f800000
	v_cmp_gt_f32_e64 s[0:1], s0, v6
	v_cndmask_b32_e64 v8, 1.0, v8, s[0:1]
	v_mul_f32_e32 v6, v6, v8
	v_log_f32_e32 v6, v6
	s_mov_b32 s2, 0x3f317217
	v_sub_f32_e32 v0, v0, v4
	v_mul_f32_e32 v8, 0x3f317217, v6
	v_fma_f32 v9, v6, s2, -v8
	v_fmac_f32_e32 v9, 0x3377d1cf, v6
	s_mov_b32 s2, 0x7f800000
	v_add_f32_e32 v8, v8, v9
	v_cmp_lt_f32_e64 s[2:3], |v6|, s2
	v_cndmask_b32_e64 v6, v6, v8, s[2:3]
	v_mov_b32_e32 v8, 0x41b17218
	v_cndmask_b32_e64 v8, 0, v8, s[0:1]
	v_sub_f32_e32 v6, v6, v8
	v_sub_f32_e32 v0, v0, v6
	global_store_dword v[2:3], v0, off
.LBB114_7:
	s_or_b64 exec, exec, s[4:5]
	v_cmp_ne_u32_e64 s[0:1], 1, v10
	s_and_b64 exec, exec, s[0:1]
	s_cbranch_execz .LBB114_10
; %bb.8:
	s_and_b64 exec, exec, vcc
	s_cbranch_execz .LBB114_10
; %bb.9:
	s_mov_b32 s0, 0x800000
	v_mov_b32_e32 v0, 0x4f800000
	v_cmp_gt_f32_e32 vcc, s0, v7
	v_cndmask_b32_e32 v0, 1.0, v0, vcc
	v_mul_f32_e32 v0, v7, v0
	v_log_f32_e32 v0, v0
	s_mov_b32 s0, 0x3f317217
	s_mov_b32 s15, 0
	v_sub_f32_e32 v1, v1, v5
	v_mul_f32_e32 v4, 0x3f317217, v0
	v_fma_f32 v6, v0, s0, -v4
	v_fmac_f32_e32 v6, 0x3377d1cf, v0
	s_mov_b32 s0, 0x7f800000
	v_add_f32_e32 v4, v4, v6
	v_cmp_lt_f32_e64 s[0:1], |v0|, s0
	v_cndmask_b32_e64 v0, v0, v4, s[0:1]
	v_mov_b32_e32 v4, 0x41b17218
	v_cndmask_b32_e32 v4, 0, v4, vcc
	v_sub_f32_e32 v0, v0, v4
	s_lshl_b64 s[0:1], s[14:15], 2
	v_sub_f32_e32 v4, v1, v0
	v_mov_b32_e32 v1, s1
	v_add_co_u32_e32 v0, vcc, s0, v2
	v_addc_co_u32_e32 v1, vcc, v3, v1, vcc
	global_store_dword v[0:1], v4, off
.LBB114_10:
	s_endpgm
	.section	.rodata,"a",@progbits
	.p2align	6, 0x0
	.amdhsa_kernel _ZN12_GLOBAL__N_120softmax_warp_forwardIN3c104HalfEffLi4ELb1ELb0ELi32EEEvPT0_PKT_iiiPKbib
		.amdhsa_group_segment_fixed_size 0
		.amdhsa_private_segment_fixed_size 0
		.amdhsa_kernarg_size 304
		.amdhsa_user_sgpr_count 6
		.amdhsa_user_sgpr_private_segment_buffer 1
		.amdhsa_user_sgpr_dispatch_ptr 0
		.amdhsa_user_sgpr_queue_ptr 0
		.amdhsa_user_sgpr_kernarg_segment_ptr 1
		.amdhsa_user_sgpr_dispatch_id 0
		.amdhsa_user_sgpr_flat_scratch_init 0
		.amdhsa_user_sgpr_kernarg_preload_length 0
		.amdhsa_user_sgpr_kernarg_preload_offset 0
		.amdhsa_user_sgpr_private_segment_size 0
		.amdhsa_uses_dynamic_stack 0
		.amdhsa_system_sgpr_private_segment_wavefront_offset 0
		.amdhsa_system_sgpr_workgroup_id_x 1
		.amdhsa_system_sgpr_workgroup_id_y 0
		.amdhsa_system_sgpr_workgroup_id_z 0
		.amdhsa_system_sgpr_workgroup_info 0
		.amdhsa_system_vgpr_workitem_id 1
		.amdhsa_next_free_vgpr 17
		.amdhsa_next_free_sgpr 16
		.amdhsa_accum_offset 20
		.amdhsa_reserve_vcc 1
		.amdhsa_reserve_flat_scratch 0
		.amdhsa_float_round_mode_32 0
		.amdhsa_float_round_mode_16_64 0
		.amdhsa_float_denorm_mode_32 3
		.amdhsa_float_denorm_mode_16_64 3
		.amdhsa_dx10_clamp 1
		.amdhsa_ieee_mode 1
		.amdhsa_fp16_overflow 0
		.amdhsa_tg_split 0
		.amdhsa_exception_fp_ieee_invalid_op 0
		.amdhsa_exception_fp_denorm_src 0
		.amdhsa_exception_fp_ieee_div_zero 0
		.amdhsa_exception_fp_ieee_overflow 0
		.amdhsa_exception_fp_ieee_underflow 0
		.amdhsa_exception_fp_ieee_inexact 0
		.amdhsa_exception_int_div_zero 0
	.end_amdhsa_kernel
	.section	.text._ZN12_GLOBAL__N_120softmax_warp_forwardIN3c104HalfEffLi4ELb1ELb0ELi32EEEvPT0_PKT_iiiPKbib,"axG",@progbits,_ZN12_GLOBAL__N_120softmax_warp_forwardIN3c104HalfEffLi4ELb1ELb0ELi32EEEvPT0_PKT_iiiPKbib,comdat
.Lfunc_end114:
	.size	_ZN12_GLOBAL__N_120softmax_warp_forwardIN3c104HalfEffLi4ELb1ELb0ELi32EEEvPT0_PKT_iiiPKbib, .Lfunc_end114-_ZN12_GLOBAL__N_120softmax_warp_forwardIN3c104HalfEffLi4ELb1ELb0ELi32EEEvPT0_PKT_iiiPKbib
                                        ; -- End function
	.section	.AMDGPU.csdata,"",@progbits
; Kernel info:
; codeLenInByte = 1240
; NumSgprs: 20
; NumVgprs: 17
; NumAgprs: 0
; TotalNumVgprs: 17
; ScratchSize: 0
; MemoryBound: 0
; FloatMode: 240
; IeeeMode: 1
; LDSByteSize: 0 bytes/workgroup (compile time only)
; SGPRBlocks: 2
; VGPRBlocks: 2
; NumSGPRsForWavesPerEU: 20
; NumVGPRsForWavesPerEU: 17
; AccumOffset: 20
; Occupancy: 8
; WaveLimiterHint : 0
; COMPUTE_PGM_RSRC2:SCRATCH_EN: 0
; COMPUTE_PGM_RSRC2:USER_SGPR: 6
; COMPUTE_PGM_RSRC2:TRAP_HANDLER: 0
; COMPUTE_PGM_RSRC2:TGID_X_EN: 1
; COMPUTE_PGM_RSRC2:TGID_Y_EN: 0
; COMPUTE_PGM_RSRC2:TGID_Z_EN: 0
; COMPUTE_PGM_RSRC2:TIDIG_COMP_CNT: 1
; COMPUTE_PGM_RSRC3_GFX90A:ACCUM_OFFSET: 4
; COMPUTE_PGM_RSRC3_GFX90A:TG_SPLIT: 0
	.section	.text._ZN12_GLOBAL__N_120softmax_warp_forwardIN3c104HalfEffLi5ELb1ELb0ELi64EEEvPT0_PKT_iiiPKbib,"axG",@progbits,_ZN12_GLOBAL__N_120softmax_warp_forwardIN3c104HalfEffLi5ELb1ELb0ELi64EEEvPT0_PKT_iiiPKbib,comdat
	.globl	_ZN12_GLOBAL__N_120softmax_warp_forwardIN3c104HalfEffLi5ELb1ELb0ELi64EEEvPT0_PKT_iiiPKbib ; -- Begin function _ZN12_GLOBAL__N_120softmax_warp_forwardIN3c104HalfEffLi5ELb1ELb0ELi64EEEvPT0_PKT_iiiPKbib
	.p2align	8
	.type	_ZN12_GLOBAL__N_120softmax_warp_forwardIN3c104HalfEffLi5ELb1ELb0ELi64EEEvPT0_PKT_iiiPKbib,@function
_ZN12_GLOBAL__N_120softmax_warp_forwardIN3c104HalfEffLi5ELb1ELb0ELi64EEEvPT0_PKT_iiiPKbib: ; @_ZN12_GLOBAL__N_120softmax_warp_forwardIN3c104HalfEffLi5ELb1ELb0ELi64EEEvPT0_PKT_iiiPKbib
; %bb.0:
	s_load_dword s0, s[4:5], 0x3c
	s_load_dwordx8 s[8:15], s[4:5], 0x0
	v_bfe_u32 v1, v0, 10, 10
	v_and_b32_e32 v0, 0x3ff, v0
	s_waitcnt lgkmcnt(0)
	s_lshr_b32 s0, s0, 16
	s_mul_i32 s6, s6, s0
	v_add_lshl_u32 v1, s6, v1, 1
	v_mad_u64_u32 v[2:3], s[0:1], v1, s13, v[0:1]
	v_ashrrev_i32_e32 v3, 31, v2
	v_lshlrev_b64 v[4:5], 1, v[2:3]
	v_sub_u32_e32 v10, s12, v1
	v_mov_b32_e32 v1, s11
	v_add_co_u32_e32 v4, vcc, s10, v4
	v_addc_co_u32_e32 v5, vcc, v1, v5, vcc
	v_cmp_gt_i32_e32 vcc, s14, v0
	v_cmp_lt_i32_e64 s[0:1], 0, v10
	s_and_b64 s[4:5], vcc, s[0:1]
	v_mov_b32_e32 v1, 0xff800000
	v_mov_b32_e32 v0, 0xff800000
	s_and_saveexec_b64 s[2:3], s[4:5]
	s_cbranch_execz .LBB115_2
; %bb.1:
	global_load_ushort v0, v[4:5], off
	s_waitcnt vmcnt(0)
	v_cvt_f32_f16_e32 v0, v0
.LBB115_2:
	s_or_b64 exec, exec, s[2:3]
	v_cmp_lt_i32_e64 s[2:3], 1, v10
	s_and_b64 s[2:3], vcc, s[2:3]
	s_and_saveexec_b64 s[4:5], s[2:3]
	s_cbranch_execz .LBB115_4
; %bb.3:
	s_mov_b32 s15, 0
	s_lshl_b64 s[2:3], s[14:15], 1
	v_mov_b32_e32 v1, s3
	v_add_co_u32_e64 v4, s[2:3], s2, v4
	v_addc_co_u32_e64 v5, s[2:3], v5, v1, s[2:3]
	global_load_ushort v1, v[4:5], off
	s_waitcnt vmcnt(0)
	v_cvt_f32_f16_e32 v1, v1
.LBB115_4:
	s_or_b64 exec, exec, s[4:5]
	v_mbcnt_lo_u32_b32 v4, -1, 0
	v_mbcnt_hi_u32_b32 v4, -1, v4
	v_and_b32_e32 v5, 0x60, v4
	v_add_u32_e32 v5, 32, v5
	v_xor_b32_e32 v6, 16, v4
	v_cmp_lt_i32_e64 s[2:3], v6, v5
	v_cndmask_b32_e64 v6, v4, v6, s[2:3]
	v_lshlrev_b32_e32 v9, 2, v6
	ds_bpermute_b32 v7, v9, v1
	ds_bpermute_b32 v6, v9, v0
	v_xor_b32_e32 v8, 8, v4
	v_cmp_lt_i32_e64 s[2:3], v8, v5
	v_cndmask_b32_e64 v8, v4, v8, s[2:3]
	s_waitcnt lgkmcnt(1)
	v_cmp_lt_f32_e64 s[2:3], v1, v7
	v_lshlrev_b32_e32 v11, 2, v8
	v_cndmask_b32_e64 v7, v1, v7, s[2:3]
	s_waitcnt lgkmcnt(0)
	v_cmp_lt_f32_e64 s[2:3], v0, v6
	ds_bpermute_b32 v8, v11, v7
	v_cndmask_b32_e64 v6, v0, v6, s[2:3]
	ds_bpermute_b32 v12, v11, v6
	v_xor_b32_e32 v14, 2, v4
	v_xor_b32_e32 v15, 1, v4
	s_waitcnt lgkmcnt(1)
	v_cmp_lt_f32_e64 s[2:3], v7, v8
	v_cndmask_b32_e64 v7, v7, v8, s[2:3]
	s_waitcnt lgkmcnt(0)
	v_cmp_lt_f32_e64 s[2:3], v6, v12
	v_xor_b32_e32 v8, 4, v4
	v_cndmask_b32_e64 v6, v6, v12, s[2:3]
	v_cmp_lt_i32_e64 s[2:3], v8, v5
	v_cndmask_b32_e64 v8, v4, v8, s[2:3]
	v_lshlrev_b32_e32 v12, 2, v8
	ds_bpermute_b32 v13, v12, v7
	ds_bpermute_b32 v8, v12, v6
	v_cmp_lt_i32_e64 s[2:3], v14, v5
	v_cndmask_b32_e64 v14, v4, v14, s[2:3]
	v_cmp_lt_i32_e64 s[2:3], v15, v5
	v_cndmask_b32_e64 v4, v4, v15, s[2:3]
	s_waitcnt lgkmcnt(1)
	v_cmp_lt_f32_e64 s[2:3], v7, v13
	v_lshlrev_b32_e32 v14, 2, v14
	v_cndmask_b32_e64 v5, v7, v13, s[2:3]
	s_waitcnt lgkmcnt(0)
	v_cmp_lt_f32_e64 s[2:3], v6, v8
	ds_bpermute_b32 v7, v14, v5
	v_cndmask_b32_e64 v6, v6, v8, s[2:3]
	ds_bpermute_b32 v8, v14, v6
	v_lshlrev_b32_e32 v13, 2, v4
	s_mov_b32 s4, 0x3fb8aa3b
	s_waitcnt lgkmcnt(1)
	v_cmp_lt_f32_e64 s[2:3], v5, v7
	v_cndmask_b32_e64 v4, v5, v7, s[2:3]
	s_waitcnt lgkmcnt(0)
	v_cmp_lt_f32_e64 s[2:3], v6, v8
	ds_bpermute_b32 v5, v13, v4
	v_cndmask_b32_e64 v6, v6, v8, s[2:3]
	ds_bpermute_b32 v7, v13, v6
	s_mov_b32 s5, 0xc2ce8ed0
	s_mov_b32 s6, 0x42b17218
	s_waitcnt lgkmcnt(1)
	v_cmp_lt_f32_e64 s[2:3], v4, v5
	v_cndmask_b32_e64 v5, v4, v5, s[2:3]
	s_waitcnt lgkmcnt(0)
	v_cmp_lt_f32_e64 s[2:3], v6, v7
	v_cndmask_b32_e64 v4, v6, v7, s[2:3]
	v_pk_add_f32 v[6:7], v[0:1], v[4:5] neg_lo:[0,1] neg_hi:[0,1]
	v_mul_f32_e32 v8, 0x3fb8aa3b, v7
	v_fma_f32 v15, v7, s4, -v8
	v_rndne_f32_e32 v16, v8
	v_fmac_f32_e32 v15, 0x32a5705f, v7
	v_sub_f32_e32 v8, v8, v16
	v_add_f32_e32 v8, v8, v15
	v_exp_f32_e32 v8, v8
	v_cvt_i32_f32_e32 v15, v16
	v_cmp_ngt_f32_e64 s[2:3], s5, v7
	v_ldexp_f32 v8, v8, v15
	v_mul_f32_e32 v15, 0x3fb8aa3b, v6
	v_fma_f32 v16, v6, s4, -v15
	v_rndne_f32_e32 v17, v15
	v_fmac_f32_e32 v16, 0x32a5705f, v6
	v_sub_f32_e32 v15, v15, v17
	v_add_f32_e32 v15, v15, v16
	v_exp_f32_e32 v15, v15
	v_cvt_i32_f32_e32 v16, v17
	v_cndmask_b32_e64 v8, 0, v8, s[2:3]
	v_mov_b32_e32 v17, 0x7f800000
	v_cmp_nlt_f32_e64 s[2:3], s6, v7
	v_cndmask_b32_e64 v7, v17, v8, s[2:3]
	v_ldexp_f32 v8, v15, v16
	v_cmp_ngt_f32_e64 s[2:3], s5, v6
	v_cndmask_b32_e64 v8, 0, v8, s[2:3]
	v_cmp_nlt_f32_e64 s[2:3], s6, v6
	v_cndmask_b32_e64 v6, v17, v8, s[2:3]
	ds_bpermute_b32 v8, v9, v6
	ds_bpermute_b32 v9, v9, v7
	s_waitcnt lgkmcnt(0)
	v_pk_add_f32 v[6:7], v[6:7], v[8:9]
	ds_bpermute_b32 v8, v11, v6
	ds_bpermute_b32 v9, v11, v7
	s_waitcnt lgkmcnt(0)
	v_pk_add_f32 v[6:7], v[6:7], v[8:9]
	;; [unrolled: 4-line block ×4, first 2 shown]
	ds_bpermute_b32 v8, v13, v6
	ds_bpermute_b32 v9, v13, v7
	s_and_saveexec_b64 s[2:3], s[0:1]
	s_cbranch_execz .LBB115_10
; %bb.5:
	v_lshlrev_b64 v[2:3], 2, v[2:3]
	v_mov_b32_e32 v11, s9
	v_add_co_u32_e64 v2, s[0:1], s8, v2
	v_addc_co_u32_e64 v3, s[0:1], v11, v3, s[0:1]
	s_waitcnt lgkmcnt(0)
	v_pk_add_f32 v[6:7], v[6:7], v[8:9]
	s_and_saveexec_b64 s[4:5], vcc
	s_cbranch_execz .LBB115_7
; %bb.6:
	s_mov_b32 s0, 0x800000
	v_mov_b32_e32 v8, 0x4f800000
	v_cmp_gt_f32_e64 s[0:1], s0, v6
	v_cndmask_b32_e64 v8, 1.0, v8, s[0:1]
	v_mul_f32_e32 v6, v6, v8
	v_log_f32_e32 v6, v6
	s_mov_b32 s2, 0x3f317217
	v_sub_f32_e32 v0, v0, v4
	v_mul_f32_e32 v8, 0x3f317217, v6
	v_fma_f32 v9, v6, s2, -v8
	v_fmac_f32_e32 v9, 0x3377d1cf, v6
	s_mov_b32 s2, 0x7f800000
	v_add_f32_e32 v8, v8, v9
	v_cmp_lt_f32_e64 s[2:3], |v6|, s2
	v_cndmask_b32_e64 v6, v6, v8, s[2:3]
	v_mov_b32_e32 v8, 0x41b17218
	v_cndmask_b32_e64 v8, 0, v8, s[0:1]
	v_sub_f32_e32 v6, v6, v8
	v_sub_f32_e32 v0, v0, v6
	global_store_dword v[2:3], v0, off
.LBB115_7:
	s_or_b64 exec, exec, s[4:5]
	v_cmp_ne_u32_e64 s[0:1], 1, v10
	s_and_b64 exec, exec, s[0:1]
	s_cbranch_execz .LBB115_10
; %bb.8:
	s_and_b64 exec, exec, vcc
	s_cbranch_execz .LBB115_10
; %bb.9:
	s_mov_b32 s0, 0x800000
	v_mov_b32_e32 v0, 0x4f800000
	v_cmp_gt_f32_e32 vcc, s0, v7
	v_cndmask_b32_e32 v0, 1.0, v0, vcc
	v_mul_f32_e32 v0, v7, v0
	v_log_f32_e32 v0, v0
	s_mov_b32 s0, 0x3f317217
	s_mov_b32 s15, 0
	v_sub_f32_e32 v1, v1, v5
	v_mul_f32_e32 v4, 0x3f317217, v0
	v_fma_f32 v6, v0, s0, -v4
	v_fmac_f32_e32 v6, 0x3377d1cf, v0
	s_mov_b32 s0, 0x7f800000
	v_add_f32_e32 v4, v4, v6
	v_cmp_lt_f32_e64 s[0:1], |v0|, s0
	v_cndmask_b32_e64 v0, v0, v4, s[0:1]
	v_mov_b32_e32 v4, 0x41b17218
	v_cndmask_b32_e32 v4, 0, v4, vcc
	v_sub_f32_e32 v0, v0, v4
	s_lshl_b64 s[0:1], s[14:15], 2
	v_sub_f32_e32 v4, v1, v0
	v_mov_b32_e32 v1, s1
	v_add_co_u32_e32 v0, vcc, s0, v2
	v_addc_co_u32_e32 v1, vcc, v3, v1, vcc
	global_store_dword v[0:1], v4, off
.LBB115_10:
	s_endpgm
	.section	.rodata,"a",@progbits
	.p2align	6, 0x0
	.amdhsa_kernel _ZN12_GLOBAL__N_120softmax_warp_forwardIN3c104HalfEffLi5ELb1ELb0ELi64EEEvPT0_PKT_iiiPKbib
		.amdhsa_group_segment_fixed_size 0
		.amdhsa_private_segment_fixed_size 0
		.amdhsa_kernarg_size 304
		.amdhsa_user_sgpr_count 6
		.amdhsa_user_sgpr_private_segment_buffer 1
		.amdhsa_user_sgpr_dispatch_ptr 0
		.amdhsa_user_sgpr_queue_ptr 0
		.amdhsa_user_sgpr_kernarg_segment_ptr 1
		.amdhsa_user_sgpr_dispatch_id 0
		.amdhsa_user_sgpr_flat_scratch_init 0
		.amdhsa_user_sgpr_kernarg_preload_length 0
		.amdhsa_user_sgpr_kernarg_preload_offset 0
		.amdhsa_user_sgpr_private_segment_size 0
		.amdhsa_uses_dynamic_stack 0
		.amdhsa_system_sgpr_private_segment_wavefront_offset 0
		.amdhsa_system_sgpr_workgroup_id_x 1
		.amdhsa_system_sgpr_workgroup_id_y 0
		.amdhsa_system_sgpr_workgroup_id_z 0
		.amdhsa_system_sgpr_workgroup_info 0
		.amdhsa_system_vgpr_workitem_id 1
		.amdhsa_next_free_vgpr 18
		.amdhsa_next_free_sgpr 16
		.amdhsa_accum_offset 20
		.amdhsa_reserve_vcc 1
		.amdhsa_reserve_flat_scratch 0
		.amdhsa_float_round_mode_32 0
		.amdhsa_float_round_mode_16_64 0
		.amdhsa_float_denorm_mode_32 3
		.amdhsa_float_denorm_mode_16_64 3
		.amdhsa_dx10_clamp 1
		.amdhsa_ieee_mode 1
		.amdhsa_fp16_overflow 0
		.amdhsa_tg_split 0
		.amdhsa_exception_fp_ieee_invalid_op 0
		.amdhsa_exception_fp_denorm_src 0
		.amdhsa_exception_fp_ieee_div_zero 0
		.amdhsa_exception_fp_ieee_overflow 0
		.amdhsa_exception_fp_ieee_underflow 0
		.amdhsa_exception_fp_ieee_inexact 0
		.amdhsa_exception_int_div_zero 0
	.end_amdhsa_kernel
	.section	.text._ZN12_GLOBAL__N_120softmax_warp_forwardIN3c104HalfEffLi5ELb1ELb0ELi64EEEvPT0_PKT_iiiPKbib,"axG",@progbits,_ZN12_GLOBAL__N_120softmax_warp_forwardIN3c104HalfEffLi5ELb1ELb0ELi64EEEvPT0_PKT_iiiPKbib,comdat
.Lfunc_end115:
	.size	_ZN12_GLOBAL__N_120softmax_warp_forwardIN3c104HalfEffLi5ELb1ELb0ELi64EEEvPT0_PKT_iiiPKbib, .Lfunc_end115-_ZN12_GLOBAL__N_120softmax_warp_forwardIN3c104HalfEffLi5ELb1ELb0ELi64EEEvPT0_PKT_iiiPKbib
                                        ; -- End function
	.section	.AMDGPU.csdata,"",@progbits
; Kernel info:
; codeLenInByte = 1348
; NumSgprs: 20
; NumVgprs: 18
; NumAgprs: 0
; TotalNumVgprs: 18
; ScratchSize: 0
; MemoryBound: 0
; FloatMode: 240
; IeeeMode: 1
; LDSByteSize: 0 bytes/workgroup (compile time only)
; SGPRBlocks: 2
; VGPRBlocks: 2
; NumSGPRsForWavesPerEU: 20
; NumVGPRsForWavesPerEU: 18
; AccumOffset: 20
; Occupancy: 8
; WaveLimiterHint : 0
; COMPUTE_PGM_RSRC2:SCRATCH_EN: 0
; COMPUTE_PGM_RSRC2:USER_SGPR: 6
; COMPUTE_PGM_RSRC2:TRAP_HANDLER: 0
; COMPUTE_PGM_RSRC2:TGID_X_EN: 1
; COMPUTE_PGM_RSRC2:TGID_Y_EN: 0
; COMPUTE_PGM_RSRC2:TGID_Z_EN: 0
; COMPUTE_PGM_RSRC2:TIDIG_COMP_CNT: 1
; COMPUTE_PGM_RSRC3_GFX90A:ACCUM_OFFSET: 4
; COMPUTE_PGM_RSRC3_GFX90A:TG_SPLIT: 0
	.section	.text._ZN12_GLOBAL__N_120softmax_warp_forwardIN3c104HalfEffLi5ELb1ELb0ELi32EEEvPT0_PKT_iiiPKbib,"axG",@progbits,_ZN12_GLOBAL__N_120softmax_warp_forwardIN3c104HalfEffLi5ELb1ELb0ELi32EEEvPT0_PKT_iiiPKbib,comdat
	.globl	_ZN12_GLOBAL__N_120softmax_warp_forwardIN3c104HalfEffLi5ELb1ELb0ELi32EEEvPT0_PKT_iiiPKbib ; -- Begin function _ZN12_GLOBAL__N_120softmax_warp_forwardIN3c104HalfEffLi5ELb1ELb0ELi32EEEvPT0_PKT_iiiPKbib
	.p2align	8
	.type	_ZN12_GLOBAL__N_120softmax_warp_forwardIN3c104HalfEffLi5ELb1ELb0ELi32EEEvPT0_PKT_iiiPKbib,@function
_ZN12_GLOBAL__N_120softmax_warp_forwardIN3c104HalfEffLi5ELb1ELb0ELi32EEEvPT0_PKT_iiiPKbib: ; @_ZN12_GLOBAL__N_120softmax_warp_forwardIN3c104HalfEffLi5ELb1ELb0ELi32EEEvPT0_PKT_iiiPKbib
; %bb.0:
	s_load_dword s0, s[4:5], 0x3c
	s_load_dwordx8 s[8:15], s[4:5], 0x0
	v_bfe_u32 v1, v0, 10, 10
	v_and_b32_e32 v0, 0x3ff, v0
	s_waitcnt lgkmcnt(0)
	s_lshr_b32 s0, s0, 16
	s_mul_i32 s6, s6, s0
	v_add_lshl_u32 v1, s6, v1, 1
	v_mad_u64_u32 v[2:3], s[0:1], v1, s13, v[0:1]
	v_ashrrev_i32_e32 v3, 31, v2
	v_lshlrev_b64 v[4:5], 1, v[2:3]
	v_sub_u32_e32 v10, s12, v1
	v_mov_b32_e32 v1, s11
	v_add_co_u32_e32 v4, vcc, s10, v4
	v_addc_co_u32_e32 v5, vcc, v1, v5, vcc
	v_cmp_gt_i32_e32 vcc, s14, v0
	v_cmp_lt_i32_e64 s[0:1], 0, v10
	s_and_b64 s[4:5], vcc, s[0:1]
	v_mov_b32_e32 v1, 0xff800000
	v_mov_b32_e32 v0, 0xff800000
	s_and_saveexec_b64 s[2:3], s[4:5]
	s_cbranch_execz .LBB116_2
; %bb.1:
	global_load_ushort v0, v[4:5], off
	s_waitcnt vmcnt(0)
	v_cvt_f32_f16_e32 v0, v0
.LBB116_2:
	s_or_b64 exec, exec, s[2:3]
	v_cmp_lt_i32_e64 s[2:3], 1, v10
	s_and_b64 s[2:3], vcc, s[2:3]
	s_and_saveexec_b64 s[4:5], s[2:3]
	s_cbranch_execz .LBB116_4
; %bb.3:
	s_mov_b32 s15, 0
	s_lshl_b64 s[2:3], s[14:15], 1
	v_mov_b32_e32 v1, s3
	v_add_co_u32_e64 v4, s[2:3], s2, v4
	v_addc_co_u32_e64 v5, s[2:3], v5, v1, s[2:3]
	global_load_ushort v1, v[4:5], off
	s_waitcnt vmcnt(0)
	v_cvt_f32_f16_e32 v1, v1
.LBB116_4:
	s_or_b64 exec, exec, s[4:5]
	v_mbcnt_lo_u32_b32 v4, -1, 0
	v_mbcnt_hi_u32_b32 v4, -1, v4
	v_and_b32_e32 v5, 0x60, v4
	v_add_u32_e32 v5, 32, v5
	v_xor_b32_e32 v6, 16, v4
	v_cmp_lt_i32_e64 s[2:3], v6, v5
	v_cndmask_b32_e64 v6, v4, v6, s[2:3]
	v_lshlrev_b32_e32 v9, 2, v6
	ds_bpermute_b32 v7, v9, v1
	ds_bpermute_b32 v6, v9, v0
	v_xor_b32_e32 v8, 8, v4
	v_cmp_lt_i32_e64 s[2:3], v8, v5
	v_cndmask_b32_e64 v8, v4, v8, s[2:3]
	s_waitcnt lgkmcnt(1)
	v_cmp_lt_f32_e64 s[2:3], v1, v7
	v_lshlrev_b32_e32 v11, 2, v8
	v_cndmask_b32_e64 v7, v1, v7, s[2:3]
	s_waitcnt lgkmcnt(0)
	v_cmp_lt_f32_e64 s[2:3], v0, v6
	ds_bpermute_b32 v8, v11, v7
	v_cndmask_b32_e64 v6, v0, v6, s[2:3]
	ds_bpermute_b32 v12, v11, v6
	v_xor_b32_e32 v14, 2, v4
	v_xor_b32_e32 v15, 1, v4
	s_waitcnt lgkmcnt(1)
	v_cmp_lt_f32_e64 s[2:3], v7, v8
	v_cndmask_b32_e64 v7, v7, v8, s[2:3]
	s_waitcnt lgkmcnt(0)
	v_cmp_lt_f32_e64 s[2:3], v6, v12
	v_xor_b32_e32 v8, 4, v4
	v_cndmask_b32_e64 v6, v6, v12, s[2:3]
	v_cmp_lt_i32_e64 s[2:3], v8, v5
	v_cndmask_b32_e64 v8, v4, v8, s[2:3]
	v_lshlrev_b32_e32 v12, 2, v8
	ds_bpermute_b32 v13, v12, v7
	ds_bpermute_b32 v8, v12, v6
	v_cmp_lt_i32_e64 s[2:3], v14, v5
	v_cndmask_b32_e64 v14, v4, v14, s[2:3]
	v_cmp_lt_i32_e64 s[2:3], v15, v5
	v_cndmask_b32_e64 v4, v4, v15, s[2:3]
	s_waitcnt lgkmcnt(1)
	v_cmp_lt_f32_e64 s[2:3], v7, v13
	v_lshlrev_b32_e32 v14, 2, v14
	v_cndmask_b32_e64 v5, v7, v13, s[2:3]
	s_waitcnt lgkmcnt(0)
	v_cmp_lt_f32_e64 s[2:3], v6, v8
	ds_bpermute_b32 v7, v14, v5
	v_cndmask_b32_e64 v6, v6, v8, s[2:3]
	ds_bpermute_b32 v8, v14, v6
	v_lshlrev_b32_e32 v13, 2, v4
	s_mov_b32 s4, 0x3fb8aa3b
	s_waitcnt lgkmcnt(1)
	v_cmp_lt_f32_e64 s[2:3], v5, v7
	v_cndmask_b32_e64 v4, v5, v7, s[2:3]
	s_waitcnt lgkmcnt(0)
	v_cmp_lt_f32_e64 s[2:3], v6, v8
	ds_bpermute_b32 v5, v13, v4
	v_cndmask_b32_e64 v6, v6, v8, s[2:3]
	ds_bpermute_b32 v7, v13, v6
	s_mov_b32 s5, 0xc2ce8ed0
	s_mov_b32 s6, 0x42b17218
	s_waitcnt lgkmcnt(1)
	v_cmp_lt_f32_e64 s[2:3], v4, v5
	v_cndmask_b32_e64 v5, v4, v5, s[2:3]
	s_waitcnt lgkmcnt(0)
	v_cmp_lt_f32_e64 s[2:3], v6, v7
	v_cndmask_b32_e64 v4, v6, v7, s[2:3]
	v_pk_add_f32 v[6:7], v[0:1], v[4:5] neg_lo:[0,1] neg_hi:[0,1]
	v_mul_f32_e32 v8, 0x3fb8aa3b, v7
	v_fma_f32 v15, v7, s4, -v8
	v_rndne_f32_e32 v16, v8
	v_fmac_f32_e32 v15, 0x32a5705f, v7
	v_sub_f32_e32 v8, v8, v16
	v_add_f32_e32 v8, v8, v15
	v_exp_f32_e32 v8, v8
	v_cvt_i32_f32_e32 v15, v16
	v_cmp_ngt_f32_e64 s[2:3], s5, v7
	v_ldexp_f32 v8, v8, v15
	v_mul_f32_e32 v15, 0x3fb8aa3b, v6
	v_fma_f32 v16, v6, s4, -v15
	v_rndne_f32_e32 v17, v15
	v_fmac_f32_e32 v16, 0x32a5705f, v6
	v_sub_f32_e32 v15, v15, v17
	v_add_f32_e32 v15, v15, v16
	v_exp_f32_e32 v15, v15
	v_cvt_i32_f32_e32 v16, v17
	v_cndmask_b32_e64 v8, 0, v8, s[2:3]
	v_mov_b32_e32 v17, 0x7f800000
	v_cmp_nlt_f32_e64 s[2:3], s6, v7
	v_cndmask_b32_e64 v7, v17, v8, s[2:3]
	v_ldexp_f32 v8, v15, v16
	v_cmp_ngt_f32_e64 s[2:3], s5, v6
	v_cndmask_b32_e64 v8, 0, v8, s[2:3]
	v_cmp_nlt_f32_e64 s[2:3], s6, v6
	v_cndmask_b32_e64 v6, v17, v8, s[2:3]
	ds_bpermute_b32 v8, v9, v6
	ds_bpermute_b32 v9, v9, v7
	s_waitcnt lgkmcnt(0)
	v_pk_add_f32 v[6:7], v[6:7], v[8:9]
	ds_bpermute_b32 v8, v11, v6
	ds_bpermute_b32 v9, v11, v7
	s_waitcnt lgkmcnt(0)
	v_pk_add_f32 v[6:7], v[6:7], v[8:9]
	;; [unrolled: 4-line block ×4, first 2 shown]
	ds_bpermute_b32 v8, v13, v6
	ds_bpermute_b32 v9, v13, v7
	s_and_saveexec_b64 s[2:3], s[0:1]
	s_cbranch_execz .LBB116_10
; %bb.5:
	v_lshlrev_b64 v[2:3], 2, v[2:3]
	v_mov_b32_e32 v11, s9
	v_add_co_u32_e64 v2, s[0:1], s8, v2
	v_addc_co_u32_e64 v3, s[0:1], v11, v3, s[0:1]
	s_waitcnt lgkmcnt(0)
	v_pk_add_f32 v[6:7], v[6:7], v[8:9]
	s_and_saveexec_b64 s[4:5], vcc
	s_cbranch_execz .LBB116_7
; %bb.6:
	s_mov_b32 s0, 0x800000
	v_mov_b32_e32 v8, 0x4f800000
	v_cmp_gt_f32_e64 s[0:1], s0, v6
	v_cndmask_b32_e64 v8, 1.0, v8, s[0:1]
	v_mul_f32_e32 v6, v6, v8
	v_log_f32_e32 v6, v6
	s_mov_b32 s2, 0x3f317217
	v_sub_f32_e32 v0, v0, v4
	v_mul_f32_e32 v8, 0x3f317217, v6
	v_fma_f32 v9, v6, s2, -v8
	v_fmac_f32_e32 v9, 0x3377d1cf, v6
	s_mov_b32 s2, 0x7f800000
	v_add_f32_e32 v8, v8, v9
	v_cmp_lt_f32_e64 s[2:3], |v6|, s2
	v_cndmask_b32_e64 v6, v6, v8, s[2:3]
	v_mov_b32_e32 v8, 0x41b17218
	v_cndmask_b32_e64 v8, 0, v8, s[0:1]
	v_sub_f32_e32 v6, v6, v8
	v_sub_f32_e32 v0, v0, v6
	global_store_dword v[2:3], v0, off
.LBB116_7:
	s_or_b64 exec, exec, s[4:5]
	v_cmp_ne_u32_e64 s[0:1], 1, v10
	s_and_b64 exec, exec, s[0:1]
	s_cbranch_execz .LBB116_10
; %bb.8:
	s_and_b64 exec, exec, vcc
	s_cbranch_execz .LBB116_10
; %bb.9:
	s_mov_b32 s0, 0x800000
	v_mov_b32_e32 v0, 0x4f800000
	v_cmp_gt_f32_e32 vcc, s0, v7
	v_cndmask_b32_e32 v0, 1.0, v0, vcc
	v_mul_f32_e32 v0, v7, v0
	v_log_f32_e32 v0, v0
	s_mov_b32 s0, 0x3f317217
	s_mov_b32 s15, 0
	v_sub_f32_e32 v1, v1, v5
	v_mul_f32_e32 v4, 0x3f317217, v0
	v_fma_f32 v6, v0, s0, -v4
	v_fmac_f32_e32 v6, 0x3377d1cf, v0
	s_mov_b32 s0, 0x7f800000
	v_add_f32_e32 v4, v4, v6
	v_cmp_lt_f32_e64 s[0:1], |v0|, s0
	v_cndmask_b32_e64 v0, v0, v4, s[0:1]
	v_mov_b32_e32 v4, 0x41b17218
	v_cndmask_b32_e32 v4, 0, v4, vcc
	v_sub_f32_e32 v0, v0, v4
	s_lshl_b64 s[0:1], s[14:15], 2
	v_sub_f32_e32 v4, v1, v0
	v_mov_b32_e32 v1, s1
	v_add_co_u32_e32 v0, vcc, s0, v2
	v_addc_co_u32_e32 v1, vcc, v3, v1, vcc
	global_store_dword v[0:1], v4, off
.LBB116_10:
	s_endpgm
	.section	.rodata,"a",@progbits
	.p2align	6, 0x0
	.amdhsa_kernel _ZN12_GLOBAL__N_120softmax_warp_forwardIN3c104HalfEffLi5ELb1ELb0ELi32EEEvPT0_PKT_iiiPKbib
		.amdhsa_group_segment_fixed_size 0
		.amdhsa_private_segment_fixed_size 0
		.amdhsa_kernarg_size 304
		.amdhsa_user_sgpr_count 6
		.amdhsa_user_sgpr_private_segment_buffer 1
		.amdhsa_user_sgpr_dispatch_ptr 0
		.amdhsa_user_sgpr_queue_ptr 0
		.amdhsa_user_sgpr_kernarg_segment_ptr 1
		.amdhsa_user_sgpr_dispatch_id 0
		.amdhsa_user_sgpr_flat_scratch_init 0
		.amdhsa_user_sgpr_kernarg_preload_length 0
		.amdhsa_user_sgpr_kernarg_preload_offset 0
		.amdhsa_user_sgpr_private_segment_size 0
		.amdhsa_uses_dynamic_stack 0
		.amdhsa_system_sgpr_private_segment_wavefront_offset 0
		.amdhsa_system_sgpr_workgroup_id_x 1
		.amdhsa_system_sgpr_workgroup_id_y 0
		.amdhsa_system_sgpr_workgroup_id_z 0
		.amdhsa_system_sgpr_workgroup_info 0
		.amdhsa_system_vgpr_workitem_id 1
		.amdhsa_next_free_vgpr 18
		.amdhsa_next_free_sgpr 16
		.amdhsa_accum_offset 20
		.amdhsa_reserve_vcc 1
		.amdhsa_reserve_flat_scratch 0
		.amdhsa_float_round_mode_32 0
		.amdhsa_float_round_mode_16_64 0
		.amdhsa_float_denorm_mode_32 3
		.amdhsa_float_denorm_mode_16_64 3
		.amdhsa_dx10_clamp 1
		.amdhsa_ieee_mode 1
		.amdhsa_fp16_overflow 0
		.amdhsa_tg_split 0
		.amdhsa_exception_fp_ieee_invalid_op 0
		.amdhsa_exception_fp_denorm_src 0
		.amdhsa_exception_fp_ieee_div_zero 0
		.amdhsa_exception_fp_ieee_overflow 0
		.amdhsa_exception_fp_ieee_underflow 0
		.amdhsa_exception_fp_ieee_inexact 0
		.amdhsa_exception_int_div_zero 0
	.end_amdhsa_kernel
	.section	.text._ZN12_GLOBAL__N_120softmax_warp_forwardIN3c104HalfEffLi5ELb1ELb0ELi32EEEvPT0_PKT_iiiPKbib,"axG",@progbits,_ZN12_GLOBAL__N_120softmax_warp_forwardIN3c104HalfEffLi5ELb1ELb0ELi32EEEvPT0_PKT_iiiPKbib,comdat
.Lfunc_end116:
	.size	_ZN12_GLOBAL__N_120softmax_warp_forwardIN3c104HalfEffLi5ELb1ELb0ELi32EEEvPT0_PKT_iiiPKbib, .Lfunc_end116-_ZN12_GLOBAL__N_120softmax_warp_forwardIN3c104HalfEffLi5ELb1ELb0ELi32EEEvPT0_PKT_iiiPKbib
                                        ; -- End function
	.section	.AMDGPU.csdata,"",@progbits
; Kernel info:
; codeLenInByte = 1348
; NumSgprs: 20
; NumVgprs: 18
; NumAgprs: 0
; TotalNumVgprs: 18
; ScratchSize: 0
; MemoryBound: 0
; FloatMode: 240
; IeeeMode: 1
; LDSByteSize: 0 bytes/workgroup (compile time only)
; SGPRBlocks: 2
; VGPRBlocks: 2
; NumSGPRsForWavesPerEU: 20
; NumVGPRsForWavesPerEU: 18
; AccumOffset: 20
; Occupancy: 8
; WaveLimiterHint : 0
; COMPUTE_PGM_RSRC2:SCRATCH_EN: 0
; COMPUTE_PGM_RSRC2:USER_SGPR: 6
; COMPUTE_PGM_RSRC2:TRAP_HANDLER: 0
; COMPUTE_PGM_RSRC2:TGID_X_EN: 1
; COMPUTE_PGM_RSRC2:TGID_Y_EN: 0
; COMPUTE_PGM_RSRC2:TGID_Z_EN: 0
; COMPUTE_PGM_RSRC2:TIDIG_COMP_CNT: 1
; COMPUTE_PGM_RSRC3_GFX90A:ACCUM_OFFSET: 4
; COMPUTE_PGM_RSRC3_GFX90A:TG_SPLIT: 0
	.section	.text._ZN12_GLOBAL__N_120softmax_warp_forwardIN3c104HalfEffLi6ELb1ELb0ELi64EEEvPT0_PKT_iiiPKbib,"axG",@progbits,_ZN12_GLOBAL__N_120softmax_warp_forwardIN3c104HalfEffLi6ELb1ELb0ELi64EEEvPT0_PKT_iiiPKbib,comdat
	.globl	_ZN12_GLOBAL__N_120softmax_warp_forwardIN3c104HalfEffLi6ELb1ELb0ELi64EEEvPT0_PKT_iiiPKbib ; -- Begin function _ZN12_GLOBAL__N_120softmax_warp_forwardIN3c104HalfEffLi6ELb1ELb0ELi64EEEvPT0_PKT_iiiPKbib
	.p2align	8
	.type	_ZN12_GLOBAL__N_120softmax_warp_forwardIN3c104HalfEffLi6ELb1ELb0ELi64EEEvPT0_PKT_iiiPKbib,@function
_ZN12_GLOBAL__N_120softmax_warp_forwardIN3c104HalfEffLi6ELb1ELb0ELi64EEEvPT0_PKT_iiiPKbib: ; @_ZN12_GLOBAL__N_120softmax_warp_forwardIN3c104HalfEffLi6ELb1ELb0ELi64EEEvPT0_PKT_iiiPKbib
; %bb.0:
	s_load_dword s0, s[4:5], 0x3c
	s_load_dwordx8 s[8:15], s[4:5], 0x0
	v_bfe_u32 v1, v0, 10, 10
	v_and_b32_e32 v0, 0x3ff, v0
	s_waitcnt lgkmcnt(0)
	s_lshr_b32 s0, s0, 16
	s_mul_i32 s6, s6, s0
	v_add_lshl_u32 v1, s6, v1, 1
	v_mad_u64_u32 v[2:3], s[0:1], v1, s13, v[0:1]
	v_ashrrev_i32_e32 v3, 31, v2
	v_lshlrev_b64 v[4:5], 1, v[2:3]
	v_sub_u32_e32 v10, s12, v1
	v_mov_b32_e32 v1, s11
	v_add_co_u32_e32 v4, vcc, s10, v4
	v_addc_co_u32_e32 v5, vcc, v1, v5, vcc
	v_cmp_gt_i32_e32 vcc, s14, v0
	v_cmp_lt_i32_e64 s[0:1], 0, v10
	s_and_b64 s[4:5], vcc, s[0:1]
	v_mov_b32_e32 v1, 0xff800000
	v_mov_b32_e32 v0, 0xff800000
	s_and_saveexec_b64 s[2:3], s[4:5]
	s_cbranch_execz .LBB117_2
; %bb.1:
	global_load_ushort v0, v[4:5], off
	s_waitcnt vmcnt(0)
	v_cvt_f32_f16_e32 v0, v0
.LBB117_2:
	s_or_b64 exec, exec, s[2:3]
	v_cmp_lt_i32_e64 s[2:3], 1, v10
	s_and_b64 s[2:3], vcc, s[2:3]
	s_and_saveexec_b64 s[4:5], s[2:3]
	s_cbranch_execz .LBB117_4
; %bb.3:
	s_mov_b32 s15, 0
	s_lshl_b64 s[2:3], s[14:15], 1
	v_mov_b32_e32 v1, s3
	v_add_co_u32_e64 v4, s[2:3], s2, v4
	v_addc_co_u32_e64 v5, s[2:3], v5, v1, s[2:3]
	global_load_ushort v1, v[4:5], off
	s_waitcnt vmcnt(0)
	v_cvt_f32_f16_e32 v1, v1
.LBB117_4:
	s_or_b64 exec, exec, s[4:5]
	v_mbcnt_lo_u32_b32 v4, -1, 0
	v_mbcnt_hi_u32_b32 v4, -1, v4
	v_and_b32_e32 v5, 64, v4
	v_add_u32_e32 v5, 64, v5
	v_xor_b32_e32 v6, 32, v4
	v_cmp_lt_i32_e64 s[2:3], v6, v5
	v_cndmask_b32_e64 v6, v4, v6, s[2:3]
	v_lshlrev_b32_e32 v9, 2, v6
	ds_bpermute_b32 v7, v9, v1
	v_xor_b32_e32 v8, 16, v4
	ds_bpermute_b32 v6, v9, v0
	v_cmp_lt_i32_e64 s[2:3], v8, v5
	v_cndmask_b32_e64 v8, v4, v8, s[2:3]
	v_lshlrev_b32_e32 v11, 2, v8
	v_xor_b32_e32 v8, 8, v4
	v_cmp_lt_i32_e64 s[2:3], v8, v5
	v_cndmask_b32_e64 v8, v4, v8, s[2:3]
	s_waitcnt lgkmcnt(1)
	v_cmp_lt_f32_e64 s[2:3], v1, v7
	v_cndmask_b32_e64 v7, v1, v7, s[2:3]
	s_waitcnt lgkmcnt(0)
	v_cmp_lt_f32_e64 s[2:3], v0, v6
	ds_bpermute_b32 v13, v11, v7
	v_cndmask_b32_e64 v6, v0, v6, s[2:3]
	ds_bpermute_b32 v14, v11, v6
	v_lshlrev_b32_e32 v12, 2, v8
	v_xor_b32_e32 v8, 4, v4
	v_cmp_lt_i32_e64 s[2:3], v8, v5
	v_cndmask_b32_e64 v8, v4, v8, s[2:3]
	s_waitcnt lgkmcnt(1)
	v_cmp_lt_f32_e64 s[2:3], v7, v13
	v_cndmask_b32_e64 v7, v7, v13, s[2:3]
	s_waitcnt lgkmcnt(0)
	v_cmp_lt_f32_e64 s[2:3], v6, v14
	ds_bpermute_b32 v13, v12, v7
	v_cndmask_b32_e64 v6, v6, v14, s[2:3]
	ds_bpermute_b32 v14, v12, v6
	v_lshlrev_b32_e32 v15, 2, v8
	v_xor_b32_e32 v16, 1, v4
	s_waitcnt lgkmcnt(1)
	v_cmp_lt_f32_e64 s[2:3], v7, v13
	v_cndmask_b32_e64 v7, v7, v13, s[2:3]
	s_waitcnt lgkmcnt(0)
	v_cmp_lt_f32_e64 s[2:3], v6, v14
	ds_bpermute_b32 v8, v15, v7
	v_cndmask_b32_e64 v6, v6, v14, s[2:3]
	ds_bpermute_b32 v13, v15, v6
	s_mov_b32 s4, 0x3fb8aa3b
	s_mov_b32 s5, 0xc2ce8ed0
	s_waitcnt lgkmcnt(1)
	v_cmp_lt_f32_e64 s[2:3], v7, v8
	v_cndmask_b32_e64 v7, v7, v8, s[2:3]
	s_waitcnt lgkmcnt(0)
	v_cmp_lt_f32_e64 s[2:3], v6, v13
	v_xor_b32_e32 v8, 2, v4
	v_cndmask_b32_e64 v6, v6, v13, s[2:3]
	v_cmp_lt_i32_e64 s[2:3], v8, v5
	v_cndmask_b32_e64 v8, v4, v8, s[2:3]
	v_lshlrev_b32_e32 v13, 2, v8
	ds_bpermute_b32 v14, v13, v7
	ds_bpermute_b32 v8, v13, v6
	v_cmp_lt_i32_e64 s[2:3], v16, v5
	v_cndmask_b32_e64 v4, v4, v16, s[2:3]
	v_lshlrev_b32_e32 v16, 2, v4
	s_waitcnt lgkmcnt(1)
	v_cmp_lt_f32_e64 s[2:3], v7, v14
	v_cndmask_b32_e64 v4, v7, v14, s[2:3]
	s_waitcnt lgkmcnt(0)
	v_cmp_lt_f32_e64 s[2:3], v6, v8
	ds_bpermute_b32 v5, v16, v4
	v_cndmask_b32_e64 v6, v6, v8, s[2:3]
	ds_bpermute_b32 v7, v16, v6
	s_mov_b32 s6, 0x42b17218
	s_waitcnt lgkmcnt(1)
	v_cmp_lt_f32_e64 s[2:3], v4, v5
	v_cndmask_b32_e64 v5, v4, v5, s[2:3]
	s_waitcnt lgkmcnt(0)
	v_cmp_lt_f32_e64 s[2:3], v6, v7
	v_cndmask_b32_e64 v4, v6, v7, s[2:3]
	v_pk_add_f32 v[6:7], v[0:1], v[4:5] neg_lo:[0,1] neg_hi:[0,1]
	v_mul_f32_e32 v8, 0x3fb8aa3b, v7
	v_fma_f32 v14, v7, s4, -v8
	v_rndne_f32_e32 v17, v8
	v_fmac_f32_e32 v14, 0x32a5705f, v7
	v_sub_f32_e32 v8, v8, v17
	v_add_f32_e32 v8, v8, v14
	v_exp_f32_e32 v8, v8
	v_cvt_i32_f32_e32 v14, v17
	v_cmp_ngt_f32_e64 s[2:3], s5, v7
	v_ldexp_f32 v8, v8, v14
	v_mul_f32_e32 v14, 0x3fb8aa3b, v6
	v_fma_f32 v17, v6, s4, -v14
	v_rndne_f32_e32 v18, v14
	v_fmac_f32_e32 v17, 0x32a5705f, v6
	v_sub_f32_e32 v14, v14, v18
	v_add_f32_e32 v14, v14, v17
	v_exp_f32_e32 v14, v14
	v_cvt_i32_f32_e32 v17, v18
	v_cndmask_b32_e64 v8, 0, v8, s[2:3]
	v_mov_b32_e32 v18, 0x7f800000
	v_cmp_nlt_f32_e64 s[2:3], s6, v7
	v_cndmask_b32_e64 v7, v18, v8, s[2:3]
	v_ldexp_f32 v8, v14, v17
	v_cmp_ngt_f32_e64 s[2:3], s5, v6
	v_cndmask_b32_e64 v8, 0, v8, s[2:3]
	v_cmp_nlt_f32_e64 s[2:3], s6, v6
	v_cndmask_b32_e64 v6, v18, v8, s[2:3]
	ds_bpermute_b32 v8, v9, v6
	ds_bpermute_b32 v9, v9, v7
	s_waitcnt lgkmcnt(0)
	v_pk_add_f32 v[6:7], v[6:7], v[8:9]
	ds_bpermute_b32 v8, v11, v6
	ds_bpermute_b32 v9, v11, v7
	s_waitcnt lgkmcnt(0)
	v_pk_add_f32 v[6:7], v[6:7], v[8:9]
	;; [unrolled: 4-line block ×5, first 2 shown]
	ds_bpermute_b32 v8, v16, v6
	ds_bpermute_b32 v9, v16, v7
	s_and_saveexec_b64 s[2:3], s[0:1]
	s_cbranch_execz .LBB117_10
; %bb.5:
	v_lshlrev_b64 v[2:3], 2, v[2:3]
	v_mov_b32_e32 v11, s9
	v_add_co_u32_e64 v2, s[0:1], s8, v2
	v_addc_co_u32_e64 v3, s[0:1], v11, v3, s[0:1]
	s_waitcnt lgkmcnt(0)
	v_pk_add_f32 v[6:7], v[6:7], v[8:9]
	s_and_saveexec_b64 s[4:5], vcc
	s_cbranch_execz .LBB117_7
; %bb.6:
	s_mov_b32 s0, 0x800000
	v_mov_b32_e32 v8, 0x4f800000
	v_cmp_gt_f32_e64 s[0:1], s0, v6
	v_cndmask_b32_e64 v8, 1.0, v8, s[0:1]
	v_mul_f32_e32 v6, v6, v8
	v_log_f32_e32 v6, v6
	s_mov_b32 s2, 0x3f317217
	v_sub_f32_e32 v0, v0, v4
	v_mul_f32_e32 v8, 0x3f317217, v6
	v_fma_f32 v9, v6, s2, -v8
	v_fmac_f32_e32 v9, 0x3377d1cf, v6
	s_mov_b32 s2, 0x7f800000
	v_add_f32_e32 v8, v8, v9
	v_cmp_lt_f32_e64 s[2:3], |v6|, s2
	v_cndmask_b32_e64 v6, v6, v8, s[2:3]
	v_mov_b32_e32 v8, 0x41b17218
	v_cndmask_b32_e64 v8, 0, v8, s[0:1]
	v_sub_f32_e32 v6, v6, v8
	v_sub_f32_e32 v0, v0, v6
	global_store_dword v[2:3], v0, off
.LBB117_7:
	s_or_b64 exec, exec, s[4:5]
	v_cmp_ne_u32_e64 s[0:1], 1, v10
	s_and_b64 exec, exec, s[0:1]
	s_cbranch_execz .LBB117_10
; %bb.8:
	s_and_b64 exec, exec, vcc
	s_cbranch_execz .LBB117_10
; %bb.9:
	s_mov_b32 s0, 0x800000
	v_mov_b32_e32 v0, 0x4f800000
	v_cmp_gt_f32_e32 vcc, s0, v7
	v_cndmask_b32_e32 v0, 1.0, v0, vcc
	v_mul_f32_e32 v0, v7, v0
	v_log_f32_e32 v0, v0
	s_mov_b32 s0, 0x3f317217
	s_mov_b32 s15, 0
	v_sub_f32_e32 v1, v1, v5
	v_mul_f32_e32 v4, 0x3f317217, v0
	v_fma_f32 v6, v0, s0, -v4
	v_fmac_f32_e32 v6, 0x3377d1cf, v0
	s_mov_b32 s0, 0x7f800000
	v_add_f32_e32 v4, v4, v6
	v_cmp_lt_f32_e64 s[0:1], |v0|, s0
	v_cndmask_b32_e64 v0, v0, v4, s[0:1]
	v_mov_b32_e32 v4, 0x41b17218
	v_cndmask_b32_e32 v4, 0, v4, vcc
	v_sub_f32_e32 v0, v0, v4
	s_lshl_b64 s[0:1], s[14:15], 2
	v_sub_f32_e32 v4, v1, v0
	v_mov_b32_e32 v1, s1
	v_add_co_u32_e32 v0, vcc, s0, v2
	v_addc_co_u32_e32 v1, vcc, v3, v1, vcc
	global_store_dword v[0:1], v4, off
.LBB117_10:
	s_endpgm
	.section	.rodata,"a",@progbits
	.p2align	6, 0x0
	.amdhsa_kernel _ZN12_GLOBAL__N_120softmax_warp_forwardIN3c104HalfEffLi6ELb1ELb0ELi64EEEvPT0_PKT_iiiPKbib
		.amdhsa_group_segment_fixed_size 0
		.amdhsa_private_segment_fixed_size 0
		.amdhsa_kernarg_size 304
		.amdhsa_user_sgpr_count 6
		.amdhsa_user_sgpr_private_segment_buffer 1
		.amdhsa_user_sgpr_dispatch_ptr 0
		.amdhsa_user_sgpr_queue_ptr 0
		.amdhsa_user_sgpr_kernarg_segment_ptr 1
		.amdhsa_user_sgpr_dispatch_id 0
		.amdhsa_user_sgpr_flat_scratch_init 0
		.amdhsa_user_sgpr_kernarg_preload_length 0
		.amdhsa_user_sgpr_kernarg_preload_offset 0
		.amdhsa_user_sgpr_private_segment_size 0
		.amdhsa_uses_dynamic_stack 0
		.amdhsa_system_sgpr_private_segment_wavefront_offset 0
		.amdhsa_system_sgpr_workgroup_id_x 1
		.amdhsa_system_sgpr_workgroup_id_y 0
		.amdhsa_system_sgpr_workgroup_id_z 0
		.amdhsa_system_sgpr_workgroup_info 0
		.amdhsa_system_vgpr_workitem_id 1
		.amdhsa_next_free_vgpr 19
		.amdhsa_next_free_sgpr 16
		.amdhsa_accum_offset 20
		.amdhsa_reserve_vcc 1
		.amdhsa_reserve_flat_scratch 0
		.amdhsa_float_round_mode_32 0
		.amdhsa_float_round_mode_16_64 0
		.amdhsa_float_denorm_mode_32 3
		.amdhsa_float_denorm_mode_16_64 3
		.amdhsa_dx10_clamp 1
		.amdhsa_ieee_mode 1
		.amdhsa_fp16_overflow 0
		.amdhsa_tg_split 0
		.amdhsa_exception_fp_ieee_invalid_op 0
		.amdhsa_exception_fp_denorm_src 0
		.amdhsa_exception_fp_ieee_div_zero 0
		.amdhsa_exception_fp_ieee_overflow 0
		.amdhsa_exception_fp_ieee_underflow 0
		.amdhsa_exception_fp_ieee_inexact 0
		.amdhsa_exception_int_div_zero 0
	.end_amdhsa_kernel
	.section	.text._ZN12_GLOBAL__N_120softmax_warp_forwardIN3c104HalfEffLi6ELb1ELb0ELi64EEEvPT0_PKT_iiiPKbib,"axG",@progbits,_ZN12_GLOBAL__N_120softmax_warp_forwardIN3c104HalfEffLi6ELb1ELb0ELi64EEEvPT0_PKT_iiiPKbib,comdat
.Lfunc_end117:
	.size	_ZN12_GLOBAL__N_120softmax_warp_forwardIN3c104HalfEffLi6ELb1ELb0ELi64EEEvPT0_PKT_iiiPKbib, .Lfunc_end117-_ZN12_GLOBAL__N_120softmax_warp_forwardIN3c104HalfEffLi6ELb1ELb0ELi64EEEvPT0_PKT_iiiPKbib
                                        ; -- End function
	.section	.AMDGPU.csdata,"",@progbits
; Kernel info:
; codeLenInByte = 1452
; NumSgprs: 20
; NumVgprs: 19
; NumAgprs: 0
; TotalNumVgprs: 19
; ScratchSize: 0
; MemoryBound: 0
; FloatMode: 240
; IeeeMode: 1
; LDSByteSize: 0 bytes/workgroup (compile time only)
; SGPRBlocks: 2
; VGPRBlocks: 2
; NumSGPRsForWavesPerEU: 20
; NumVGPRsForWavesPerEU: 19
; AccumOffset: 20
; Occupancy: 8
; WaveLimiterHint : 0
; COMPUTE_PGM_RSRC2:SCRATCH_EN: 0
; COMPUTE_PGM_RSRC2:USER_SGPR: 6
; COMPUTE_PGM_RSRC2:TRAP_HANDLER: 0
; COMPUTE_PGM_RSRC2:TGID_X_EN: 1
; COMPUTE_PGM_RSRC2:TGID_Y_EN: 0
; COMPUTE_PGM_RSRC2:TGID_Z_EN: 0
; COMPUTE_PGM_RSRC2:TIDIG_COMP_CNT: 1
; COMPUTE_PGM_RSRC3_GFX90A:ACCUM_OFFSET: 4
; COMPUTE_PGM_RSRC3_GFX90A:TG_SPLIT: 0
	.section	.text._ZN12_GLOBAL__N_120softmax_warp_forwardIN3c104HalfEffLi6ELb1ELb0ELi32EEEvPT0_PKT_iiiPKbib,"axG",@progbits,_ZN12_GLOBAL__N_120softmax_warp_forwardIN3c104HalfEffLi6ELb1ELb0ELi32EEEvPT0_PKT_iiiPKbib,comdat
	.globl	_ZN12_GLOBAL__N_120softmax_warp_forwardIN3c104HalfEffLi6ELb1ELb0ELi32EEEvPT0_PKT_iiiPKbib ; -- Begin function _ZN12_GLOBAL__N_120softmax_warp_forwardIN3c104HalfEffLi6ELb1ELb0ELi32EEEvPT0_PKT_iiiPKbib
	.p2align	8
	.type	_ZN12_GLOBAL__N_120softmax_warp_forwardIN3c104HalfEffLi6ELb1ELb0ELi32EEEvPT0_PKT_iiiPKbib,@function
_ZN12_GLOBAL__N_120softmax_warp_forwardIN3c104HalfEffLi6ELb1ELb0ELi32EEEvPT0_PKT_iiiPKbib: ; @_ZN12_GLOBAL__N_120softmax_warp_forwardIN3c104HalfEffLi6ELb1ELb0ELi32EEEvPT0_PKT_iiiPKbib
; %bb.0:
	s_load_dword s0, s[4:5], 0x3c
	s_load_dwordx8 s[8:15], s[4:5], 0x0
	v_bfe_u32 v1, v0, 10, 10
	v_and_b32_e32 v8, 0x3ff, v0
	s_waitcnt lgkmcnt(0)
	s_lshr_b32 s0, s0, 16
	s_mul_i32 s6, s6, s0
	v_add_lshl_u32 v1, s6, v1, 1
	v_mad_u64_u32 v[4:5], s[0:1], v1, s13, v[8:9]
	v_ashrrev_i32_e32 v5, 31, v4
	v_sub_u32_e32 v12, s12, v1
	v_lshlrev_b64 v[0:1], 1, v[4:5]
	v_mov_b32_e32 v2, s11
	v_add_co_u32_e32 v6, vcc, s10, v0
	v_cmp_lt_i32_e64 s[2:3], 0, v12
	v_cmp_gt_i32_e64 s[0:1], s14, v8
	v_addc_co_u32_e32 v7, vcc, v2, v1, vcc
	s_and_b64 s[6:7], s[2:3], s[0:1]
	v_mov_b32_e32 v0, 0xff800000
	v_mov_b32_e32 v2, 0xff800000
	s_and_saveexec_b64 s[4:5], s[6:7]
	s_cbranch_execz .LBB118_2
; %bb.1:
	global_load_ushort v1, v[6:7], off
	s_waitcnt vmcnt(0)
	v_cvt_f32_f16_e32 v2, v1
.LBB118_2:
	s_or_b64 exec, exec, s[4:5]
	v_add_u32_e32 v1, 32, v8
	v_cmp_gt_i32_e32 vcc, s14, v1
	s_and_b64 s[6:7], s[2:3], vcc
	s_and_saveexec_b64 s[4:5], s[6:7]
	s_cbranch_execz .LBB118_4
; %bb.3:
	global_load_ushort v0, v[6:7], off offset:64
	s_waitcnt vmcnt(0)
	v_cvt_f32_f16_e32 v0, v0
.LBB118_4:
	s_or_b64 exec, exec, s[4:5]
	v_cmp_lt_i32_e64 s[4:5], 1, v12
	s_and_b64 s[6:7], s[4:5], s[0:1]
	v_mov_b32_e32 v1, 0xff800000
	v_mov_b32_e32 v3, 0xff800000
	s_and_saveexec_b64 s[10:11], s[6:7]
	s_cbranch_execz .LBB118_6
; %bb.5:
	s_mov_b32 s15, 0
	s_lshl_b64 s[6:7], s[14:15], 1
	v_mov_b32_e32 v3, s7
	v_add_co_u32_e64 v8, s[6:7], s6, v6
	v_addc_co_u32_e64 v9, s[6:7], v7, v3, s[6:7]
	global_load_ushort v3, v[8:9], off
	s_waitcnt vmcnt(0)
	v_cvt_f32_f16_e32 v3, v3
.LBB118_6:
	s_or_b64 exec, exec, s[10:11]
	s_and_b64 s[4:5], s[4:5], vcc
	s_and_saveexec_b64 s[6:7], s[4:5]
	s_cbranch_execz .LBB118_8
; %bb.7:
	s_mov_b32 s15, 0
	s_lshl_b64 s[4:5], s[14:15], 1
	v_mov_b32_e32 v1, s5
	v_add_co_u32_e64 v6, s[4:5], s4, v6
	v_addc_co_u32_e64 v7, s[4:5], v7, v1, s[4:5]
	global_load_ushort v1, v[6:7], off offset:64
	s_waitcnt vmcnt(0)
	v_cvt_f32_f16_e32 v1, v1
.LBB118_8:
	s_or_b64 exec, exec, s[6:7]
	v_mbcnt_lo_u32_b32 v6, -1, 0
	v_mbcnt_hi_u32_b32 v6, -1, v6
	v_and_b32_e32 v7, 0x60, v6
	v_add_u32_e32 v7, 32, v7
	v_xor_b32_e32 v8, 16, v6
	v_cmp_lt_i32_e64 s[4:5], v8, v7
	v_cndmask_b32_e64 v8, v6, v8, s[4:5]
	v_lshlrev_b32_e32 v13, 2, v8
	v_xor_b32_e32 v8, 8, v6
	v_cmp_lt_i32_e64 s[4:5], v8, v7
	v_cndmask_b32_e64 v8, v6, v8, s[4:5]
	v_cmp_gt_f32_e64 s[4:5], v3, v1
	v_cndmask_b32_e64 v9, v1, v3, s[4:5]
	v_cmp_gt_f32_e64 s[4:5], v2, v0
	ds_bpermute_b32 v10, v13, v9
	v_cndmask_b32_e64 v11, v0, v2, s[4:5]
	ds_bpermute_b32 v15, v13, v11
	v_lshlrev_b32_e32 v14, 2, v8
	v_xor_b32_e32 v8, 4, v6
	v_cmp_lt_i32_e64 s[4:5], v8, v7
	v_cndmask_b32_e64 v8, v6, v8, s[4:5]
	s_waitcnt lgkmcnt(1)
	v_cmp_lt_f32_e64 s[4:5], v9, v10
	v_cndmask_b32_e64 v9, v9, v10, s[4:5]
	s_waitcnt lgkmcnt(0)
	v_cmp_lt_f32_e64 s[4:5], v11, v15
	ds_bpermute_b32 v10, v14, v9
	v_cndmask_b32_e64 v11, v11, v15, s[4:5]
	ds_bpermute_b32 v15, v14, v11
	v_lshlrev_b32_e32 v16, 2, v8
	v_xor_b32_e32 v17, 1, v6
	s_waitcnt lgkmcnt(1)
	v_cmp_lt_f32_e64 s[4:5], v9, v10
	v_cndmask_b32_e64 v8, v9, v10, s[4:5]
	s_waitcnt lgkmcnt(0)
	v_cmp_lt_f32_e64 s[4:5], v11, v15
	ds_bpermute_b32 v9, v16, v8
	v_cndmask_b32_e64 v10, v11, v15, s[4:5]
	ds_bpermute_b32 v11, v16, v10
	s_mov_b32 s6, 0x3fb8aa3b
	s_mov_b32 s7, 0xc2ce8ed0
	s_waitcnt lgkmcnt(1)
	v_cmp_lt_f32_e64 s[4:5], v8, v9
	v_cndmask_b32_e64 v8, v8, v9, s[4:5]
	s_waitcnt lgkmcnt(0)
	v_cmp_lt_f32_e64 s[4:5], v10, v11
	v_cndmask_b32_e64 v9, v10, v11, s[4:5]
	v_xor_b32_e32 v10, 2, v6
	v_cmp_lt_i32_e64 s[4:5], v10, v7
	v_cndmask_b32_e64 v10, v6, v10, s[4:5]
	v_lshlrev_b32_e32 v15, 2, v10
	ds_bpermute_b32 v11, v15, v8
	ds_bpermute_b32 v10, v15, v9
	v_cmp_lt_i32_e64 s[4:5], v17, v7
	v_cndmask_b32_e64 v6, v6, v17, s[4:5]
	v_lshlrev_b32_e32 v17, 2, v6
	s_waitcnt lgkmcnt(1)
	v_cmp_lt_f32_e64 s[4:5], v8, v11
	v_cndmask_b32_e64 v6, v8, v11, s[4:5]
	s_waitcnt lgkmcnt(0)
	v_cmp_lt_f32_e64 s[4:5], v9, v10
	ds_bpermute_b32 v7, v17, v6
	v_cndmask_b32_e64 v8, v9, v10, s[4:5]
	ds_bpermute_b32 v9, v17, v8
	s_mov_b32 s10, 0x42b17218
	s_waitcnt lgkmcnt(1)
	v_cmp_lt_f32_e64 s[4:5], v6, v7
	v_cndmask_b32_e64 v7, v6, v7, s[4:5]
	s_waitcnt lgkmcnt(0)
	v_cmp_lt_f32_e64 s[4:5], v8, v9
	v_cndmask_b32_e64 v6, v8, v9, s[4:5]
	v_pk_add_f32 v[8:9], v[2:3], v[6:7] neg_lo:[0,1] neg_hi:[0,1]
	v_mul_f32_e32 v10, 0x3fb8aa3b, v9
	v_fma_f32 v11, v9, s6, -v10
	v_rndne_f32_e32 v18, v10
	v_fmac_f32_e32 v11, 0x32a5705f, v9
	v_sub_f32_e32 v10, v10, v18
	v_add_f32_e32 v10, v10, v11
	v_exp_f32_e32 v10, v10
	v_cvt_i32_f32_e32 v11, v18
	v_cmp_ngt_f32_e64 s[4:5], s7, v9
	v_ldexp_f32 v10, v10, v11
	v_mul_f32_e32 v11, 0x3fb8aa3b, v8
	v_fma_f32 v18, v8, s6, -v11
	v_rndne_f32_e32 v19, v11
	v_fmac_f32_e32 v18, 0x32a5705f, v8
	v_sub_f32_e32 v11, v11, v19
	v_add_f32_e32 v11, v11, v18
	v_exp_f32_e32 v11, v11
	v_cvt_i32_f32_e32 v18, v19
	v_cndmask_b32_e64 v10, 0, v10, s[4:5]
	v_mov_b32_e32 v19, 0x7f800000
	v_cmp_nlt_f32_e64 s[4:5], s10, v9
	v_cndmask_b32_e64 v9, v19, v10, s[4:5]
	v_ldexp_f32 v18, v11, v18
	v_pk_add_f32 v[10:11], v[0:1], v[6:7] neg_lo:[0,1] neg_hi:[0,1]
	v_mul_f32_e32 v20, 0x3fb8aa3b, v11
	v_fma_f32 v21, v11, s6, -v20
	v_rndne_f32_e32 v22, v20
	v_fmac_f32_e32 v21, 0x32a5705f, v11
	v_sub_f32_e32 v20, v20, v22
	v_add_f32_e32 v20, v20, v21
	v_exp_f32_e32 v20, v20
	v_cvt_i32_f32_e32 v21, v22
	v_cmp_ngt_f32_e64 s[4:5], s7, v8
	v_cndmask_b32_e64 v18, 0, v18, s[4:5]
	v_cmp_nlt_f32_e64 s[4:5], s10, v8
	v_cndmask_b32_e64 v8, v19, v18, s[4:5]
	v_ldexp_f32 v18, v20, v21
	v_mul_f32_e32 v20, 0x3fb8aa3b, v10
	v_fma_f32 v21, v10, s6, -v20
	v_rndne_f32_e32 v22, v20
	v_fmac_f32_e32 v21, 0x32a5705f, v10
	v_sub_f32_e32 v20, v20, v22
	v_add_f32_e32 v20, v20, v21
	v_exp_f32_e32 v20, v20
	v_cvt_i32_f32_e32 v21, v22
	v_cmp_ngt_f32_e64 s[4:5], s7, v11
	v_cndmask_b32_e64 v18, 0, v18, s[4:5]
	v_cmp_nlt_f32_e64 s[4:5], s10, v11
	v_cndmask_b32_e64 v11, v19, v18, s[4:5]
	v_ldexp_f32 v18, v20, v21
	v_cmp_ngt_f32_e64 s[4:5], s7, v10
	v_cndmask_b32_e64 v18, 0, v18, s[4:5]
	v_cmp_nlt_f32_e64 s[4:5], s10, v10
	v_cndmask_b32_e64 v10, v19, v18, s[4:5]
	v_pk_add_f32 v[8:9], v[8:9], v[10:11]
	ds_bpermute_b32 v10, v13, v8
	ds_bpermute_b32 v11, v13, v9
	s_waitcnt lgkmcnt(0)
	v_pk_add_f32 v[8:9], v[8:9], v[10:11]
	ds_bpermute_b32 v10, v14, v8
	ds_bpermute_b32 v11, v14, v9
	s_waitcnt lgkmcnt(0)
	;; [unrolled: 4-line block ×4, first 2 shown]
	v_pk_add_f32 v[8:9], v[8:9], v[10:11]
	ds_bpermute_b32 v10, v17, v8
	ds_bpermute_b32 v11, v17, v9
	s_and_saveexec_b64 s[4:5], s[2:3]
	s_cbranch_execz .LBB118_16
; %bb.9:
	v_lshlrev_b64 v[4:5], 2, v[4:5]
	v_mov_b32_e32 v13, s9
	v_add_co_u32_e64 v4, s[2:3], s8, v4
	v_addc_co_u32_e64 v5, s[2:3], v13, v5, s[2:3]
	s_waitcnt lgkmcnt(0)
	v_pk_add_f32 v[8:9], v[8:9], v[10:11]
	s_and_saveexec_b64 s[6:7], s[0:1]
	s_cbranch_execz .LBB118_12
; %bb.10:
	s_mov_b32 s2, 0x800000
	v_mov_b32_e32 v10, 0x4f800000
	v_cmp_gt_f32_e64 s[2:3], s2, v8
	v_cndmask_b32_e64 v10, 1.0, v10, s[2:3]
	v_mul_f32_e32 v8, v8, v10
	v_log_f32_e32 v8, v8
	s_mov_b32 s4, 0x3f317217
	v_sub_f32_e32 v2, v2, v6
	v_mul_f32_e32 v10, 0x3f317217, v8
	v_fma_f32 v11, v8, s4, -v10
	v_fmac_f32_e32 v11, 0x3377d1cf, v8
	s_mov_b32 s4, 0x7f800000
	v_add_f32_e32 v10, v10, v11
	v_cmp_lt_f32_e64 s[4:5], |v8|, s4
	v_cndmask_b32_e64 v8, v8, v10, s[4:5]
	v_mov_b32_e32 v10, 0x41b17218
	v_cndmask_b32_e64 v10, 0, v10, s[2:3]
	v_sub_f32_e32 v8, v8, v10
	v_sub_f32_e32 v2, v2, v8
	global_store_dword v[4:5], v2, off
	s_and_b64 exec, exec, vcc
	s_cbranch_execz .LBB118_12
; %bb.11:
	v_sub_f32_e32 v0, v0, v6
	v_sub_f32_e32 v0, v0, v8
	global_store_dword v[4:5], v0, off offset:128
.LBB118_12:
	s_or_b64 exec, exec, s[6:7]
	v_cmp_ne_u32_e64 s[2:3], 1, v12
	s_and_b64 exec, exec, s[2:3]
	s_cbranch_execz .LBB118_16
; %bb.13:
	s_and_b64 exec, exec, s[0:1]
	s_cbranch_execz .LBB118_16
; %bb.14:
	s_mov_b32 s0, 0x800000
	v_mov_b32_e32 v0, 0x4f800000
	v_cmp_gt_f32_e64 s[0:1], s0, v9
	v_cndmask_b32_e64 v0, 1.0, v0, s[0:1]
	v_mul_f32_e32 v0, v9, v0
	v_log_f32_e32 v0, v0
	s_mov_b32 s2, 0x3f317217
	s_mov_b32 s15, 0
	v_mul_f32_e32 v2, 0x3f317217, v0
	v_fma_f32 v6, v0, s2, -v2
	v_fmac_f32_e32 v6, 0x3377d1cf, v0
	s_mov_b32 s2, 0x7f800000
	v_add_f32_e32 v2, v2, v6
	v_cmp_lt_f32_e64 s[2:3], |v0|, s2
	v_cndmask_b32_e64 v0, v0, v2, s[2:3]
	v_mov_b32_e32 v2, 0x41b17218
	v_cndmask_b32_e64 v2, 0, v2, s[0:1]
	v_sub_f32_e32 v0, v0, v2
	v_sub_f32_e32 v2, v3, v7
	s_lshl_b64 s[0:1], s[14:15], 2
	v_sub_f32_e32 v6, v2, v0
	v_mov_b32_e32 v3, s1
	v_add_co_u32_e64 v2, s[0:1], s0, v4
	v_addc_co_u32_e64 v3, s[0:1], v5, v3, s[0:1]
	global_store_dword v[2:3], v6, off
	s_and_b64 exec, exec, vcc
	s_cbranch_execz .LBB118_16
; %bb.15:
	s_ashr_i32 s15, s14, 31
	v_sub_f32_e32 v1, v1, v7
	s_lshl_b64 s[0:1], s[14:15], 2
	v_sub_f32_e32 v2, v1, v0
	v_mov_b32_e32 v1, s1
	v_add_co_u32_e32 v0, vcc, s0, v4
	v_addc_co_u32_e32 v1, vcc, v5, v1, vcc
	global_store_dword v[0:1], v2, off offset:128
.LBB118_16:
	s_endpgm
	.section	.rodata,"a",@progbits
	.p2align	6, 0x0
	.amdhsa_kernel _ZN12_GLOBAL__N_120softmax_warp_forwardIN3c104HalfEffLi6ELb1ELb0ELi32EEEvPT0_PKT_iiiPKbib
		.amdhsa_group_segment_fixed_size 0
		.amdhsa_private_segment_fixed_size 0
		.amdhsa_kernarg_size 304
		.amdhsa_user_sgpr_count 6
		.amdhsa_user_sgpr_private_segment_buffer 1
		.amdhsa_user_sgpr_dispatch_ptr 0
		.amdhsa_user_sgpr_queue_ptr 0
		.amdhsa_user_sgpr_kernarg_segment_ptr 1
		.amdhsa_user_sgpr_dispatch_id 0
		.amdhsa_user_sgpr_flat_scratch_init 0
		.amdhsa_user_sgpr_kernarg_preload_length 0
		.amdhsa_user_sgpr_kernarg_preload_offset 0
		.amdhsa_user_sgpr_private_segment_size 0
		.amdhsa_uses_dynamic_stack 0
		.amdhsa_system_sgpr_private_segment_wavefront_offset 0
		.amdhsa_system_sgpr_workgroup_id_x 1
		.amdhsa_system_sgpr_workgroup_id_y 0
		.amdhsa_system_sgpr_workgroup_id_z 0
		.amdhsa_system_sgpr_workgroup_info 0
		.amdhsa_system_vgpr_workitem_id 1
		.amdhsa_next_free_vgpr 23
		.amdhsa_next_free_sgpr 16
		.amdhsa_accum_offset 24
		.amdhsa_reserve_vcc 1
		.amdhsa_reserve_flat_scratch 0
		.amdhsa_float_round_mode_32 0
		.amdhsa_float_round_mode_16_64 0
		.amdhsa_float_denorm_mode_32 3
		.amdhsa_float_denorm_mode_16_64 3
		.amdhsa_dx10_clamp 1
		.amdhsa_ieee_mode 1
		.amdhsa_fp16_overflow 0
		.amdhsa_tg_split 0
		.amdhsa_exception_fp_ieee_invalid_op 0
		.amdhsa_exception_fp_denorm_src 0
		.amdhsa_exception_fp_ieee_div_zero 0
		.amdhsa_exception_fp_ieee_overflow 0
		.amdhsa_exception_fp_ieee_underflow 0
		.amdhsa_exception_fp_ieee_inexact 0
		.amdhsa_exception_int_div_zero 0
	.end_amdhsa_kernel
	.section	.text._ZN12_GLOBAL__N_120softmax_warp_forwardIN3c104HalfEffLi6ELb1ELb0ELi32EEEvPT0_PKT_iiiPKbib,"axG",@progbits,_ZN12_GLOBAL__N_120softmax_warp_forwardIN3c104HalfEffLi6ELb1ELb0ELi32EEEvPT0_PKT_iiiPKbib,comdat
.Lfunc_end118:
	.size	_ZN12_GLOBAL__N_120softmax_warp_forwardIN3c104HalfEffLi6ELb1ELb0ELi32EEEvPT0_PKT_iiiPKbib, .Lfunc_end118-_ZN12_GLOBAL__N_120softmax_warp_forwardIN3c104HalfEffLi6ELb1ELb0ELi32EEEvPT0_PKT_iiiPKbib
                                        ; -- End function
	.section	.AMDGPU.csdata,"",@progbits
; Kernel info:
; codeLenInByte = 1772
; NumSgprs: 20
; NumVgprs: 23
; NumAgprs: 0
; TotalNumVgprs: 23
; ScratchSize: 0
; MemoryBound: 0
; FloatMode: 240
; IeeeMode: 1
; LDSByteSize: 0 bytes/workgroup (compile time only)
; SGPRBlocks: 2
; VGPRBlocks: 2
; NumSGPRsForWavesPerEU: 20
; NumVGPRsForWavesPerEU: 23
; AccumOffset: 24
; Occupancy: 8
; WaveLimiterHint : 0
; COMPUTE_PGM_RSRC2:SCRATCH_EN: 0
; COMPUTE_PGM_RSRC2:USER_SGPR: 6
; COMPUTE_PGM_RSRC2:TRAP_HANDLER: 0
; COMPUTE_PGM_RSRC2:TGID_X_EN: 1
; COMPUTE_PGM_RSRC2:TGID_Y_EN: 0
; COMPUTE_PGM_RSRC2:TGID_Z_EN: 0
; COMPUTE_PGM_RSRC2:TIDIG_COMP_CNT: 1
; COMPUTE_PGM_RSRC3_GFX90A:ACCUM_OFFSET: 5
; COMPUTE_PGM_RSRC3_GFX90A:TG_SPLIT: 0
	.section	.text._ZN12_GLOBAL__N_120softmax_warp_forwardIN3c104HalfEffLi7ELb1ELb0ELi64EEEvPT0_PKT_iiiPKbib,"axG",@progbits,_ZN12_GLOBAL__N_120softmax_warp_forwardIN3c104HalfEffLi7ELb1ELb0ELi64EEEvPT0_PKT_iiiPKbib,comdat
	.globl	_ZN12_GLOBAL__N_120softmax_warp_forwardIN3c104HalfEffLi7ELb1ELb0ELi64EEEvPT0_PKT_iiiPKbib ; -- Begin function _ZN12_GLOBAL__N_120softmax_warp_forwardIN3c104HalfEffLi7ELb1ELb0ELi64EEEvPT0_PKT_iiiPKbib
	.p2align	8
	.type	_ZN12_GLOBAL__N_120softmax_warp_forwardIN3c104HalfEffLi7ELb1ELb0ELi64EEEvPT0_PKT_iiiPKbib,@function
_ZN12_GLOBAL__N_120softmax_warp_forwardIN3c104HalfEffLi7ELb1ELb0ELi64EEEvPT0_PKT_iiiPKbib: ; @_ZN12_GLOBAL__N_120softmax_warp_forwardIN3c104HalfEffLi7ELb1ELb0ELi64EEEvPT0_PKT_iiiPKbib
; %bb.0:
	s_load_dword s0, s[4:5], 0x3c
	s_load_dwordx8 s[8:15], s[4:5], 0x0
	v_bfe_u32 v1, v0, 10, 10
	v_and_b32_e32 v8, 0x3ff, v0
	s_waitcnt lgkmcnt(0)
	s_lshr_b32 s0, s0, 16
	s_mul_i32 s6, s6, s0
	v_add_lshl_u32 v1, s6, v1, 1
	v_mad_u64_u32 v[4:5], s[0:1], v1, s13, v[8:9]
	v_ashrrev_i32_e32 v5, 31, v4
	v_sub_u32_e32 v12, s12, v1
	v_lshlrev_b64 v[0:1], 1, v[4:5]
	v_mov_b32_e32 v2, s11
	v_add_co_u32_e32 v6, vcc, s10, v0
	v_cmp_lt_i32_e64 s[2:3], 0, v12
	v_cmp_gt_i32_e64 s[0:1], s14, v8
	v_addc_co_u32_e32 v7, vcc, v2, v1, vcc
	s_and_b64 s[6:7], s[2:3], s[0:1]
	v_mov_b32_e32 v0, 0xff800000
	v_mov_b32_e32 v2, 0xff800000
	s_and_saveexec_b64 s[4:5], s[6:7]
	s_cbranch_execz .LBB119_2
; %bb.1:
	global_load_ushort v1, v[6:7], off
	s_waitcnt vmcnt(0)
	v_cvt_f32_f16_e32 v2, v1
.LBB119_2:
	s_or_b64 exec, exec, s[4:5]
	v_add_u32_e32 v1, 64, v8
	v_cmp_gt_i32_e32 vcc, s14, v1
	s_and_b64 s[6:7], s[2:3], vcc
	s_and_saveexec_b64 s[4:5], s[6:7]
	s_cbranch_execz .LBB119_4
; %bb.3:
	global_load_ushort v0, v[6:7], off offset:128
	s_waitcnt vmcnt(0)
	v_cvt_f32_f16_e32 v0, v0
.LBB119_4:
	s_or_b64 exec, exec, s[4:5]
	v_cmp_lt_i32_e64 s[4:5], 1, v12
	s_and_b64 s[6:7], s[4:5], s[0:1]
	v_mov_b32_e32 v1, 0xff800000
	v_mov_b32_e32 v3, 0xff800000
	s_and_saveexec_b64 s[10:11], s[6:7]
	s_cbranch_execz .LBB119_6
; %bb.5:
	s_mov_b32 s15, 0
	s_lshl_b64 s[6:7], s[14:15], 1
	v_mov_b32_e32 v3, s7
	v_add_co_u32_e64 v8, s[6:7], s6, v6
	v_addc_co_u32_e64 v9, s[6:7], v7, v3, s[6:7]
	global_load_ushort v3, v[8:9], off
	s_waitcnt vmcnt(0)
	v_cvt_f32_f16_e32 v3, v3
.LBB119_6:
	s_or_b64 exec, exec, s[10:11]
	s_and_b64 s[4:5], s[4:5], vcc
	s_and_saveexec_b64 s[6:7], s[4:5]
	s_cbranch_execz .LBB119_8
; %bb.7:
	s_mov_b32 s15, 0
	s_lshl_b64 s[4:5], s[14:15], 1
	v_mov_b32_e32 v1, s5
	v_add_co_u32_e64 v6, s[4:5], s4, v6
	v_addc_co_u32_e64 v7, s[4:5], v7, v1, s[4:5]
	global_load_ushort v1, v[6:7], off offset:128
	s_waitcnt vmcnt(0)
	v_cvt_f32_f16_e32 v1, v1
.LBB119_8:
	s_or_b64 exec, exec, s[6:7]
	v_mbcnt_lo_u32_b32 v6, -1, 0
	v_mbcnt_hi_u32_b32 v6, -1, v6
	v_and_b32_e32 v7, 64, v6
	v_add_u32_e32 v7, 64, v7
	v_xor_b32_e32 v8, 32, v6
	v_cmp_lt_i32_e64 s[4:5], v8, v7
	v_cndmask_b32_e64 v8, v6, v8, s[4:5]
	v_lshlrev_b32_e32 v13, 2, v8
	v_xor_b32_e32 v8, 16, v6
	v_cmp_lt_i32_e64 s[4:5], v8, v7
	v_cndmask_b32_e64 v8, v6, v8, s[4:5]
	v_lshlrev_b32_e32 v14, 2, v8
	v_xor_b32_e32 v8, 8, v6
	v_cmp_lt_i32_e64 s[4:5], v8, v7
	v_cndmask_b32_e64 v8, v6, v8, s[4:5]
	v_cmp_gt_f32_e64 s[4:5], v3, v1
	v_lshlrev_b32_e32 v15, 2, v8
	v_cndmask_b32_e64 v8, v1, v3, s[4:5]
	v_cmp_gt_f32_e64 s[4:5], v2, v0
	ds_bpermute_b32 v9, v13, v8
	v_cndmask_b32_e64 v10, v0, v2, s[4:5]
	ds_bpermute_b32 v11, v13, v10
	v_xor_b32_e32 v16, 4, v6
	v_xor_b32_e32 v18, 1, v6
	s_waitcnt lgkmcnt(1)
	v_cmp_lt_f32_e64 s[4:5], v8, v9
	v_cndmask_b32_e64 v8, v8, v9, s[4:5]
	s_waitcnt lgkmcnt(0)
	v_cmp_lt_f32_e64 s[4:5], v10, v11
	ds_bpermute_b32 v9, v14, v8
	v_cndmask_b32_e64 v10, v10, v11, s[4:5]
	ds_bpermute_b32 v11, v14, v10
	v_cmp_lt_i32_e64 s[4:5], v16, v7
	v_cndmask_b32_e64 v16, v6, v16, s[4:5]
	s_waitcnt lgkmcnt(1)
	v_cmp_lt_f32_e64 s[4:5], v8, v9
	v_cndmask_b32_e64 v8, v8, v9, s[4:5]
	s_waitcnt lgkmcnt(0)
	v_cmp_lt_f32_e64 s[4:5], v10, v11
	ds_bpermute_b32 v9, v15, v8
	v_cndmask_b32_e64 v10, v10, v11, s[4:5]
	ds_bpermute_b32 v11, v15, v10
	v_lshlrev_b32_e32 v16, 2, v16
	s_mov_b32 s6, 0x3fb8aa3b
	s_waitcnt lgkmcnt(1)
	v_cmp_lt_f32_e64 s[4:5], v8, v9
	v_cndmask_b32_e64 v8, v8, v9, s[4:5]
	s_waitcnt lgkmcnt(0)
	v_cmp_lt_f32_e64 s[4:5], v10, v11
	ds_bpermute_b32 v9, v16, v8
	v_cndmask_b32_e64 v10, v10, v11, s[4:5]
	ds_bpermute_b32 v11, v16, v10
	s_mov_b32 s7, 0xc2ce8ed0
	s_mov_b32 s10, 0x42b17218
	s_waitcnt lgkmcnt(1)
	v_cmp_lt_f32_e64 s[4:5], v8, v9
	v_cndmask_b32_e64 v8, v8, v9, s[4:5]
	s_waitcnt lgkmcnt(0)
	v_cmp_lt_f32_e64 s[4:5], v10, v11
	v_cndmask_b32_e64 v9, v10, v11, s[4:5]
	v_xor_b32_e32 v10, 2, v6
	v_cmp_lt_i32_e64 s[4:5], v10, v7
	v_cndmask_b32_e64 v10, v6, v10, s[4:5]
	v_lshlrev_b32_e32 v17, 2, v10
	ds_bpermute_b32 v11, v17, v8
	ds_bpermute_b32 v10, v17, v9
	v_cmp_lt_i32_e64 s[4:5], v18, v7
	v_cndmask_b32_e64 v6, v6, v18, s[4:5]
	v_lshlrev_b32_e32 v18, 2, v6
	s_waitcnt lgkmcnt(1)
	v_cmp_lt_f32_e64 s[4:5], v8, v11
	v_cndmask_b32_e64 v6, v8, v11, s[4:5]
	s_waitcnt lgkmcnt(0)
	v_cmp_lt_f32_e64 s[4:5], v9, v10
	ds_bpermute_b32 v7, v18, v6
	v_cndmask_b32_e64 v8, v9, v10, s[4:5]
	ds_bpermute_b32 v9, v18, v8
	s_waitcnt lgkmcnt(1)
	v_cmp_lt_f32_e64 s[4:5], v6, v7
	v_cndmask_b32_e64 v7, v6, v7, s[4:5]
	s_waitcnt lgkmcnt(0)
	v_cmp_lt_f32_e64 s[4:5], v8, v9
	v_cndmask_b32_e64 v6, v8, v9, s[4:5]
	v_pk_add_f32 v[8:9], v[2:3], v[6:7] neg_lo:[0,1] neg_hi:[0,1]
	v_mul_f32_e32 v10, 0x3fb8aa3b, v9
	v_fma_f32 v11, v9, s6, -v10
	v_rndne_f32_e32 v19, v10
	v_fmac_f32_e32 v11, 0x32a5705f, v9
	v_sub_f32_e32 v10, v10, v19
	v_add_f32_e32 v10, v10, v11
	v_exp_f32_e32 v10, v10
	v_cvt_i32_f32_e32 v11, v19
	v_cmp_ngt_f32_e64 s[4:5], s7, v9
	v_ldexp_f32 v10, v10, v11
	v_mul_f32_e32 v11, 0x3fb8aa3b, v8
	v_fma_f32 v19, v8, s6, -v11
	v_rndne_f32_e32 v20, v11
	v_fmac_f32_e32 v19, 0x32a5705f, v8
	v_sub_f32_e32 v11, v11, v20
	v_add_f32_e32 v11, v11, v19
	v_exp_f32_e32 v11, v11
	v_cvt_i32_f32_e32 v19, v20
	v_cndmask_b32_e64 v10, 0, v10, s[4:5]
	v_mov_b32_e32 v20, 0x7f800000
	v_cmp_nlt_f32_e64 s[4:5], s10, v9
	v_cndmask_b32_e64 v9, v20, v10, s[4:5]
	v_ldexp_f32 v19, v11, v19
	v_pk_add_f32 v[10:11], v[0:1], v[6:7] neg_lo:[0,1] neg_hi:[0,1]
	v_mul_f32_e32 v21, 0x3fb8aa3b, v11
	v_fma_f32 v22, v11, s6, -v21
	v_rndne_f32_e32 v23, v21
	v_fmac_f32_e32 v22, 0x32a5705f, v11
	v_sub_f32_e32 v21, v21, v23
	v_add_f32_e32 v21, v21, v22
	v_exp_f32_e32 v21, v21
	v_cvt_i32_f32_e32 v22, v23
	v_cmp_ngt_f32_e64 s[4:5], s7, v8
	v_cndmask_b32_e64 v19, 0, v19, s[4:5]
	v_cmp_nlt_f32_e64 s[4:5], s10, v8
	v_cndmask_b32_e64 v8, v20, v19, s[4:5]
	v_ldexp_f32 v19, v21, v22
	v_mul_f32_e32 v21, 0x3fb8aa3b, v10
	v_fma_f32 v22, v10, s6, -v21
	v_rndne_f32_e32 v23, v21
	v_fmac_f32_e32 v22, 0x32a5705f, v10
	v_sub_f32_e32 v21, v21, v23
	v_add_f32_e32 v21, v21, v22
	v_exp_f32_e32 v21, v21
	v_cvt_i32_f32_e32 v22, v23
	v_cmp_ngt_f32_e64 s[4:5], s7, v11
	v_cndmask_b32_e64 v19, 0, v19, s[4:5]
	v_cmp_nlt_f32_e64 s[4:5], s10, v11
	v_cndmask_b32_e64 v11, v20, v19, s[4:5]
	v_ldexp_f32 v19, v21, v22
	v_cmp_ngt_f32_e64 s[4:5], s7, v10
	v_cndmask_b32_e64 v19, 0, v19, s[4:5]
	v_cmp_nlt_f32_e64 s[4:5], s10, v10
	v_cndmask_b32_e64 v10, v20, v19, s[4:5]
	v_pk_add_f32 v[8:9], v[8:9], v[10:11]
	ds_bpermute_b32 v10, v13, v8
	ds_bpermute_b32 v11, v13, v9
	s_waitcnt lgkmcnt(0)
	v_pk_add_f32 v[8:9], v[8:9], v[10:11]
	ds_bpermute_b32 v10, v14, v8
	ds_bpermute_b32 v11, v14, v9
	s_waitcnt lgkmcnt(0)
	;; [unrolled: 4-line block ×5, first 2 shown]
	v_pk_add_f32 v[8:9], v[8:9], v[10:11]
	ds_bpermute_b32 v10, v18, v8
	ds_bpermute_b32 v11, v18, v9
	s_and_saveexec_b64 s[4:5], s[2:3]
	s_cbranch_execz .LBB119_16
; %bb.9:
	v_lshlrev_b64 v[4:5], 2, v[4:5]
	v_mov_b32_e32 v13, s9
	v_add_co_u32_e64 v4, s[2:3], s8, v4
	v_addc_co_u32_e64 v5, s[2:3], v13, v5, s[2:3]
	s_waitcnt lgkmcnt(0)
	v_pk_add_f32 v[8:9], v[8:9], v[10:11]
	s_and_saveexec_b64 s[6:7], s[0:1]
	s_cbranch_execz .LBB119_12
; %bb.10:
	s_mov_b32 s2, 0x800000
	v_mov_b32_e32 v10, 0x4f800000
	v_cmp_gt_f32_e64 s[2:3], s2, v8
	v_cndmask_b32_e64 v10, 1.0, v10, s[2:3]
	v_mul_f32_e32 v8, v8, v10
	v_log_f32_e32 v8, v8
	s_mov_b32 s4, 0x3f317217
	v_sub_f32_e32 v2, v2, v6
	v_mul_f32_e32 v10, 0x3f317217, v8
	v_fma_f32 v11, v8, s4, -v10
	v_fmac_f32_e32 v11, 0x3377d1cf, v8
	s_mov_b32 s4, 0x7f800000
	v_add_f32_e32 v10, v10, v11
	v_cmp_lt_f32_e64 s[4:5], |v8|, s4
	v_cndmask_b32_e64 v8, v8, v10, s[4:5]
	v_mov_b32_e32 v10, 0x41b17218
	v_cndmask_b32_e64 v10, 0, v10, s[2:3]
	v_sub_f32_e32 v8, v8, v10
	v_sub_f32_e32 v2, v2, v8
	global_store_dword v[4:5], v2, off
	s_and_b64 exec, exec, vcc
	s_cbranch_execz .LBB119_12
; %bb.11:
	v_sub_f32_e32 v0, v0, v6
	v_sub_f32_e32 v0, v0, v8
	global_store_dword v[4:5], v0, off offset:256
.LBB119_12:
	s_or_b64 exec, exec, s[6:7]
	v_cmp_ne_u32_e64 s[2:3], 1, v12
	s_and_b64 exec, exec, s[2:3]
	s_cbranch_execz .LBB119_16
; %bb.13:
	s_and_b64 exec, exec, s[0:1]
	s_cbranch_execz .LBB119_16
; %bb.14:
	s_mov_b32 s0, 0x800000
	v_mov_b32_e32 v0, 0x4f800000
	v_cmp_gt_f32_e64 s[0:1], s0, v9
	v_cndmask_b32_e64 v0, 1.0, v0, s[0:1]
	v_mul_f32_e32 v0, v9, v0
	v_log_f32_e32 v0, v0
	s_mov_b32 s2, 0x3f317217
	s_mov_b32 s15, 0
	v_mul_f32_e32 v2, 0x3f317217, v0
	v_fma_f32 v6, v0, s2, -v2
	v_fmac_f32_e32 v6, 0x3377d1cf, v0
	s_mov_b32 s2, 0x7f800000
	v_add_f32_e32 v2, v2, v6
	v_cmp_lt_f32_e64 s[2:3], |v0|, s2
	v_cndmask_b32_e64 v0, v0, v2, s[2:3]
	v_mov_b32_e32 v2, 0x41b17218
	v_cndmask_b32_e64 v2, 0, v2, s[0:1]
	v_sub_f32_e32 v0, v0, v2
	v_sub_f32_e32 v2, v3, v7
	s_lshl_b64 s[0:1], s[14:15], 2
	v_sub_f32_e32 v6, v2, v0
	v_mov_b32_e32 v3, s1
	v_add_co_u32_e64 v2, s[0:1], s0, v4
	v_addc_co_u32_e64 v3, s[0:1], v5, v3, s[0:1]
	global_store_dword v[2:3], v6, off
	s_and_b64 exec, exec, vcc
	s_cbranch_execz .LBB119_16
; %bb.15:
	s_ashr_i32 s15, s14, 31
	v_sub_f32_e32 v1, v1, v7
	s_lshl_b64 s[0:1], s[14:15], 2
	v_sub_f32_e32 v2, v1, v0
	v_mov_b32_e32 v1, s1
	v_add_co_u32_e32 v0, vcc, s0, v4
	v_addc_co_u32_e32 v1, vcc, v5, v1, vcc
	global_store_dword v[0:1], v2, off offset:256
.LBB119_16:
	s_endpgm
	.section	.rodata,"a",@progbits
	.p2align	6, 0x0
	.amdhsa_kernel _ZN12_GLOBAL__N_120softmax_warp_forwardIN3c104HalfEffLi7ELb1ELb0ELi64EEEvPT0_PKT_iiiPKbib
		.amdhsa_group_segment_fixed_size 0
		.amdhsa_private_segment_fixed_size 0
		.amdhsa_kernarg_size 304
		.amdhsa_user_sgpr_count 6
		.amdhsa_user_sgpr_private_segment_buffer 1
		.amdhsa_user_sgpr_dispatch_ptr 0
		.amdhsa_user_sgpr_queue_ptr 0
		.amdhsa_user_sgpr_kernarg_segment_ptr 1
		.amdhsa_user_sgpr_dispatch_id 0
		.amdhsa_user_sgpr_flat_scratch_init 0
		.amdhsa_user_sgpr_kernarg_preload_length 0
		.amdhsa_user_sgpr_kernarg_preload_offset 0
		.amdhsa_user_sgpr_private_segment_size 0
		.amdhsa_uses_dynamic_stack 0
		.amdhsa_system_sgpr_private_segment_wavefront_offset 0
		.amdhsa_system_sgpr_workgroup_id_x 1
		.amdhsa_system_sgpr_workgroup_id_y 0
		.amdhsa_system_sgpr_workgroup_id_z 0
		.amdhsa_system_sgpr_workgroup_info 0
		.amdhsa_system_vgpr_workitem_id 1
		.amdhsa_next_free_vgpr 24
		.amdhsa_next_free_sgpr 16
		.amdhsa_accum_offset 24
		.amdhsa_reserve_vcc 1
		.amdhsa_reserve_flat_scratch 0
		.amdhsa_float_round_mode_32 0
		.amdhsa_float_round_mode_16_64 0
		.amdhsa_float_denorm_mode_32 3
		.amdhsa_float_denorm_mode_16_64 3
		.amdhsa_dx10_clamp 1
		.amdhsa_ieee_mode 1
		.amdhsa_fp16_overflow 0
		.amdhsa_tg_split 0
		.amdhsa_exception_fp_ieee_invalid_op 0
		.amdhsa_exception_fp_denorm_src 0
		.amdhsa_exception_fp_ieee_div_zero 0
		.amdhsa_exception_fp_ieee_overflow 0
		.amdhsa_exception_fp_ieee_underflow 0
		.amdhsa_exception_fp_ieee_inexact 0
		.amdhsa_exception_int_div_zero 0
	.end_amdhsa_kernel
	.section	.text._ZN12_GLOBAL__N_120softmax_warp_forwardIN3c104HalfEffLi7ELb1ELb0ELi64EEEvPT0_PKT_iiiPKbib,"axG",@progbits,_ZN12_GLOBAL__N_120softmax_warp_forwardIN3c104HalfEffLi7ELb1ELb0ELi64EEEvPT0_PKT_iiiPKbib,comdat
.Lfunc_end119:
	.size	_ZN12_GLOBAL__N_120softmax_warp_forwardIN3c104HalfEffLi7ELb1ELb0ELi64EEEvPT0_PKT_iiiPKbib, .Lfunc_end119-_ZN12_GLOBAL__N_120softmax_warp_forwardIN3c104HalfEffLi7ELb1ELb0ELi64EEEvPT0_PKT_iiiPKbib
                                        ; -- End function
	.section	.AMDGPU.csdata,"",@progbits
; Kernel info:
; codeLenInByte = 1876
; NumSgprs: 20
; NumVgprs: 24
; NumAgprs: 0
; TotalNumVgprs: 24
; ScratchSize: 0
; MemoryBound: 0
; FloatMode: 240
; IeeeMode: 1
; LDSByteSize: 0 bytes/workgroup (compile time only)
; SGPRBlocks: 2
; VGPRBlocks: 2
; NumSGPRsForWavesPerEU: 20
; NumVGPRsForWavesPerEU: 24
; AccumOffset: 24
; Occupancy: 8
; WaveLimiterHint : 0
; COMPUTE_PGM_RSRC2:SCRATCH_EN: 0
; COMPUTE_PGM_RSRC2:USER_SGPR: 6
; COMPUTE_PGM_RSRC2:TRAP_HANDLER: 0
; COMPUTE_PGM_RSRC2:TGID_X_EN: 1
; COMPUTE_PGM_RSRC2:TGID_Y_EN: 0
; COMPUTE_PGM_RSRC2:TGID_Z_EN: 0
; COMPUTE_PGM_RSRC2:TIDIG_COMP_CNT: 1
; COMPUTE_PGM_RSRC3_GFX90A:ACCUM_OFFSET: 5
; COMPUTE_PGM_RSRC3_GFX90A:TG_SPLIT: 0
	.section	.text._ZN12_GLOBAL__N_120softmax_warp_forwardIN3c104HalfEffLi7ELb1ELb0ELi32EEEvPT0_PKT_iiiPKbib,"axG",@progbits,_ZN12_GLOBAL__N_120softmax_warp_forwardIN3c104HalfEffLi7ELb1ELb0ELi32EEEvPT0_PKT_iiiPKbib,comdat
	.globl	_ZN12_GLOBAL__N_120softmax_warp_forwardIN3c104HalfEffLi7ELb1ELb0ELi32EEEvPT0_PKT_iiiPKbib ; -- Begin function _ZN12_GLOBAL__N_120softmax_warp_forwardIN3c104HalfEffLi7ELb1ELb0ELi32EEEvPT0_PKT_iiiPKbib
	.p2align	8
	.type	_ZN12_GLOBAL__N_120softmax_warp_forwardIN3c104HalfEffLi7ELb1ELb0ELi32EEEvPT0_PKT_iiiPKbib,@function
_ZN12_GLOBAL__N_120softmax_warp_forwardIN3c104HalfEffLi7ELb1ELb0ELi32EEEvPT0_PKT_iiiPKbib: ; @_ZN12_GLOBAL__N_120softmax_warp_forwardIN3c104HalfEffLi7ELb1ELb0ELi32EEEvPT0_PKT_iiiPKbib
; %bb.0:
	s_load_dword s0, s[4:5], 0x3c
	s_load_dwordx8 s[12:19], s[4:5], 0x0
	v_bfe_u32 v1, v0, 10, 10
	v_and_b32_e32 v12, 0x3ff, v0
	v_mov_b32_e32 v4, 0xff800000
	s_waitcnt lgkmcnt(0)
	s_lshr_b32 s0, s0, 16
	s_mul_i32 s6, s6, s0
	v_add_lshl_u32 v1, s6, v1, 1
	v_mad_u64_u32 v[8:9], s[0:1], v1, s17, v[12:13]
	v_ashrrev_i32_e32 v9, 31, v8
	v_sub_u32_e32 v16, s16, v1
	v_lshlrev_b64 v[0:1], 1, v[8:9]
	v_mov_b32_e32 v2, s15
	v_add_co_u32_e32 v10, vcc, s14, v0
	v_cmp_lt_i32_e64 s[6:7], 0, v16
	v_cmp_gt_i32_e64 s[4:5], s18, v12
	v_addc_co_u32_e32 v11, vcc, v2, v1, vcc
	s_and_b64 s[2:3], s[6:7], s[4:5]
	v_mov_b32_e32 v0, 0xff800000
	s_and_saveexec_b64 s[0:1], s[2:3]
	s_cbranch_execz .LBB120_2
; %bb.1:
	global_load_ushort v1, v[10:11], off
	s_waitcnt vmcnt(0)
	v_cvt_f32_f16_e32 v4, v1
.LBB120_2:
	s_or_b64 exec, exec, s[0:1]
	v_add_u32_e32 v1, 32, v12
	v_cmp_gt_i32_e32 vcc, s18, v1
	s_and_b64 s[2:3], s[6:7], vcc
	s_and_saveexec_b64 s[0:1], s[2:3]
	s_cbranch_execz .LBB120_4
; %bb.3:
	global_load_ushort v0, v[10:11], off offset:64
	s_waitcnt vmcnt(0)
	v_cvt_f32_f16_e32 v0, v0
.LBB120_4:
	s_or_b64 exec, exec, s[0:1]
	v_add_u32_e32 v1, 64, v12
	v_cmp_gt_i32_e64 s[0:1], s18, v1
	s_and_b64 s[8:9], s[6:7], s[0:1]
	v_mov_b32_e32 v2, 0xff800000
	v_mov_b32_e32 v6, 0xff800000
	s_and_saveexec_b64 s[2:3], s[8:9]
	s_cbranch_execz .LBB120_6
; %bb.5:
	global_load_ushort v1, v[10:11], off offset:128
	s_waitcnt vmcnt(0)
	v_cvt_f32_f16_e32 v6, v1
.LBB120_6:
	s_or_b64 exec, exec, s[2:3]
	v_add_u32_e32 v1, 0x60, v12
	v_cmp_gt_i32_e64 s[2:3], s18, v1
	s_and_b64 s[10:11], s[6:7], s[2:3]
	s_and_saveexec_b64 s[8:9], s[10:11]
	s_cbranch_execz .LBB120_8
; %bb.7:
	global_load_ushort v1, v[10:11], off offset:192
	s_waitcnt vmcnt(0)
	v_cvt_f32_f16_e32 v2, v1
.LBB120_8:
	s_or_b64 exec, exec, s[8:9]
	v_cmp_lt_i32_e64 s[8:9], 1, v16
	s_and_b64 s[10:11], s[8:9], s[4:5]
	v_mov_b32_e32 v1, 0xff800000
	v_mov_b32_e32 v5, 0xff800000
	s_and_saveexec_b64 s[14:15], s[10:11]
	s_cbranch_execz .LBB120_10
; %bb.9:
	s_mov_b32 s19, 0
	s_lshl_b64 s[10:11], s[18:19], 1
	v_mov_b32_e32 v3, s11
	v_add_co_u32_e64 v12, s[10:11], s10, v10
	v_addc_co_u32_e64 v13, s[10:11], v11, v3, s[10:11]
	global_load_ushort v3, v[12:13], off
	s_waitcnt vmcnt(0)
	v_cvt_f32_f16_e32 v5, v3
.LBB120_10:
	s_or_b64 exec, exec, s[14:15]
	s_and_b64 s[10:11], s[8:9], vcc
	s_and_saveexec_b64 s[14:15], s[10:11]
	s_cbranch_execz .LBB120_12
; %bb.11:
	s_mov_b32 s19, 0
	s_lshl_b64 s[10:11], s[18:19], 1
	v_mov_b32_e32 v1, s11
	v_add_co_u32_e64 v12, s[10:11], s10, v10
	v_addc_co_u32_e64 v13, s[10:11], v11, v1, s[10:11]
	global_load_ushort v1, v[12:13], off offset:64
	s_waitcnt vmcnt(0)
	v_cvt_f32_f16_e32 v1, v1
.LBB120_12:
	s_or_b64 exec, exec, s[14:15]
	s_and_b64 s[10:11], s[8:9], s[0:1]
	v_mov_b32_e32 v3, 0xff800000
	v_mov_b32_e32 v7, 0xff800000
	s_and_saveexec_b64 s[14:15], s[10:11]
	s_cbranch_execz .LBB120_14
; %bb.13:
	s_mov_b32 s19, 0
	s_lshl_b64 s[10:11], s[18:19], 1
	v_mov_b32_e32 v7, s11
	v_add_co_u32_e64 v12, s[10:11], s10, v10
	v_addc_co_u32_e64 v13, s[10:11], v11, v7, s[10:11]
	global_load_ushort v7, v[12:13], off offset:128
	s_waitcnt vmcnt(0)
	v_cvt_f32_f16_e32 v7, v7
.LBB120_14:
	s_or_b64 exec, exec, s[14:15]
	s_and_b64 s[8:9], s[8:9], s[2:3]
	s_and_saveexec_b64 s[10:11], s[8:9]
	s_cbranch_execz .LBB120_16
; %bb.15:
	s_mov_b32 s19, 0
	s_lshl_b64 s[8:9], s[18:19], 1
	v_mov_b32_e32 v3, s9
	v_add_co_u32_e64 v10, s[8:9], s8, v10
	v_addc_co_u32_e64 v11, s[8:9], v11, v3, s[8:9]
	global_load_ushort v3, v[10:11], off offset:192
	s_waitcnt vmcnt(0)
	v_cvt_f32_f16_e32 v3, v3
.LBB120_16:
	s_or_b64 exec, exec, s[10:11]
	v_mbcnt_lo_u32_b32 v12, -1, 0
	v_mbcnt_hi_u32_b32 v12, -1, v12
	v_cmp_gt_f32_e64 s[8:9], v4, v0
	v_and_b32_e32 v13, 0x60, v12
	v_cndmask_b32_e64 v10, v0, v4, s[8:9]
	v_cmp_gt_f32_e64 s[8:9], v5, v1
	v_add_u32_e32 v13, 32, v13
	v_xor_b32_e32 v14, 16, v12
	v_cndmask_b32_e64 v11, v1, v5, s[8:9]
	v_cmp_lt_i32_e64 s[8:9], v14, v13
	v_cndmask_b32_e64 v14, v12, v14, s[8:9]
	v_lshlrev_b32_e32 v17, 2, v14
	v_xor_b32_e32 v14, 8, v12
	v_cmp_lt_i32_e64 s[8:9], v14, v13
	v_cndmask_b32_e64 v14, v12, v14, s[8:9]
	v_lshlrev_b32_e32 v22, 2, v14
	v_xor_b32_e32 v14, 4, v12
	v_cmp_lt_i32_e64 s[8:9], v14, v13
	v_cndmask_b32_e64 v14, v12, v14, s[8:9]
	v_cmp_gt_f32_e64 s[8:9], v11, v7
	v_cndmask_b32_e64 v11, v7, v11, s[8:9]
	v_cmp_gt_f32_e64 s[8:9], v11, v3
	v_cndmask_b32_e64 v11, v3, v11, s[8:9]
	ds_bpermute_b32 v15, v17, v11
	v_cmp_gt_f32_e64 s[8:9], v10, v6
	v_cndmask_b32_e64 v10, v6, v10, s[8:9]
	v_cmp_gt_f32_e64 s[8:9], v10, v2
	v_cndmask_b32_e64 v10, v2, v10, s[8:9]
	ds_bpermute_b32 v18, v17, v10
	s_waitcnt lgkmcnt(1)
	v_cmp_lt_f32_e64 s[8:9], v11, v15
	v_cndmask_b32_e64 v11, v11, v15, s[8:9]
	v_lshlrev_b32_e32 v23, 2, v14
	v_xor_b32_e32 v14, 2, v12
	ds_bpermute_b32 v15, v22, v11
	v_cmp_lt_i32_e64 s[8:9], v14, v13
	v_cndmask_b32_e64 v14, v12, v14, s[8:9]
	s_waitcnt lgkmcnt(1)
	v_cmp_lt_f32_e64 s[8:9], v10, v18
	v_cndmask_b32_e64 v10, v10, v18, s[8:9]
	ds_bpermute_b32 v18, v22, v10
	s_waitcnt lgkmcnt(1)
	v_cmp_lt_f32_e64 s[8:9], v11, v15
	v_cndmask_b32_e64 v11, v11, v15, s[8:9]
	ds_bpermute_b32 v15, v23, v11
	v_lshlrev_b32_e32 v24, 2, v14
	s_waitcnt lgkmcnt(1)
	v_cmp_lt_f32_e64 s[8:9], v10, v18
	v_cndmask_b32_e64 v10, v10, v18, s[8:9]
	ds_bpermute_b32 v14, v23, v10
	s_waitcnt lgkmcnt(1)
	v_cmp_lt_f32_e64 s[8:9], v11, v15
	v_cndmask_b32_e64 v11, v11, v15, s[8:9]
	ds_bpermute_b32 v15, v24, v11
	s_mov_b32 s10, 0x3fb8aa3b
	s_waitcnt lgkmcnt(1)
	v_cmp_lt_f32_e64 s[8:9], v10, v14
	v_cndmask_b32_e64 v10, v10, v14, s[8:9]
	ds_bpermute_b32 v14, v24, v10
	s_waitcnt lgkmcnt(1)
	v_cmp_lt_f32_e64 s[8:9], v11, v15
	v_cndmask_b32_e64 v11, v11, v15, s[8:9]
	v_xor_b32_e32 v15, 1, v12
	v_cmp_lt_i32_e64 s[8:9], v15, v13
	v_cndmask_b32_e64 v12, v12, v15, s[8:9]
	v_lshlrev_b32_e32 v25, 2, v12
	s_waitcnt lgkmcnt(0)
	v_cmp_lt_f32_e64 s[8:9], v10, v14
	ds_bpermute_b32 v12, v25, v11
	v_cndmask_b32_e64 v10, v10, v14, s[8:9]
	ds_bpermute_b32 v13, v25, v10
	s_mov_b32 s11, 0xc2ce8ed0
	s_mov_b32 s14, 0x42b17218
	s_waitcnt lgkmcnt(1)
	v_cmp_lt_f32_e64 s[8:9], v11, v12
	v_cndmask_b32_e64 v11, v11, v12, s[8:9]
	s_waitcnt lgkmcnt(0)
	v_cmp_lt_f32_e64 s[8:9], v10, v13
	v_cndmask_b32_e64 v10, v10, v13, s[8:9]
	v_pk_add_f32 v[12:13], v[4:5], v[10:11] neg_lo:[0,1] neg_hi:[0,1]
	v_mul_f32_e32 v14, 0x3fb8aa3b, v13
	v_fma_f32 v15, v13, s10, -v14
	v_rndne_f32_e32 v18, v14
	v_fmac_f32_e32 v15, 0x32a5705f, v13
	v_sub_f32_e32 v14, v14, v18
	v_add_f32_e32 v14, v14, v15
	v_exp_f32_e32 v14, v14
	v_cvt_i32_f32_e32 v15, v18
	v_cmp_ngt_f32_e64 s[8:9], s11, v13
	v_mov_b32_e32 v26, 0x7f800000
	v_ldexp_f32 v14, v14, v15
	v_mul_f32_e32 v15, 0x3fb8aa3b, v12
	v_fma_f32 v18, v12, s10, -v15
	v_rndne_f32_e32 v19, v15
	v_fmac_f32_e32 v18, 0x32a5705f, v12
	v_sub_f32_e32 v15, v15, v19
	v_add_f32_e32 v15, v15, v18
	v_exp_f32_e32 v15, v15
	v_cvt_i32_f32_e32 v18, v19
	v_cndmask_b32_e64 v14, 0, v14, s[8:9]
	v_cmp_nlt_f32_e64 s[8:9], s14, v13
	v_cndmask_b32_e64 v13, v26, v14, s[8:9]
	v_ldexp_f32 v18, v15, v18
	v_pk_add_f32 v[14:15], v[0:1], v[10:11] neg_lo:[0,1] neg_hi:[0,1]
	v_mul_f32_e32 v19, 0x3fb8aa3b, v15
	v_fma_f32 v20, v15, s10, -v19
	v_rndne_f32_e32 v21, v19
	v_fmac_f32_e32 v20, 0x32a5705f, v15
	v_sub_f32_e32 v19, v19, v21
	v_add_f32_e32 v19, v19, v20
	v_exp_f32_e32 v19, v19
	v_cvt_i32_f32_e32 v20, v21
	v_cmp_ngt_f32_e64 s[8:9], s11, v12
	v_cndmask_b32_e64 v18, 0, v18, s[8:9]
	v_cmp_nlt_f32_e64 s[8:9], s14, v12
	v_cndmask_b32_e64 v12, v26, v18, s[8:9]
	v_ldexp_f32 v18, v19, v20
	v_mul_f32_e32 v19, 0x3fb8aa3b, v14
	v_fma_f32 v20, v14, s10, -v19
	v_rndne_f32_e32 v21, v19
	v_fmac_f32_e32 v20, 0x32a5705f, v14
	v_sub_f32_e32 v19, v19, v21
	v_add_f32_e32 v19, v19, v20
	v_exp_f32_e32 v19, v19
	v_cvt_i32_f32_e32 v20, v21
	v_cmp_ngt_f32_e64 s[8:9], s11, v15
	v_cndmask_b32_e64 v18, 0, v18, s[8:9]
	v_cmp_nlt_f32_e64 s[8:9], s14, v15
	v_cndmask_b32_e64 v15, v26, v18, s[8:9]
	v_ldexp_f32 v18, v19, v20
	v_cmp_ngt_f32_e64 s[8:9], s11, v14
	v_cndmask_b32_e64 v20, 0, v18, s[8:9]
	v_pk_add_f32 v[18:19], v[6:7], v[10:11] neg_lo:[0,1] neg_hi:[0,1]
	v_mul_f32_e32 v21, 0x3fb8aa3b, v19
	v_fma_f32 v27, v19, s10, -v21
	v_rndne_f32_e32 v28, v21
	v_fmac_f32_e32 v27, 0x32a5705f, v19
	v_sub_f32_e32 v21, v21, v28
	v_add_f32_e32 v21, v21, v27
	v_exp_f32_e32 v21, v21
	v_cvt_i32_f32_e32 v27, v28
	v_cmp_nlt_f32_e64 s[8:9], s14, v14
	v_cndmask_b32_e64 v14, v26, v20, s[8:9]
	v_pk_add_f32 v[12:13], v[12:13], v[14:15]
	v_mul_f32_e32 v15, 0x3fb8aa3b, v18
	v_ldexp_f32 v14, v21, v27
	v_fma_f32 v20, v18, s10, -v15
	v_rndne_f32_e32 v21, v15
	v_fmac_f32_e32 v20, 0x32a5705f, v18
	v_sub_f32_e32 v15, v15, v21
	v_add_f32_e32 v15, v15, v20
	v_exp_f32_e32 v20, v15
	v_cvt_i32_f32_e32 v21, v21
	v_cmp_ngt_f32_e64 s[8:9], s11, v19
	v_cndmask_b32_e64 v14, 0, v14, s[8:9]
	v_cmp_nlt_f32_e64 s[8:9], s14, v19
	v_cndmask_b32_e64 v15, v26, v14, s[8:9]
	v_ldexp_f32 v14, v20, v21
	v_pk_add_f32 v[20:21], v[2:3], v[10:11] neg_lo:[0,1] neg_hi:[0,1]
	v_mul_f32_e32 v19, 0x3fb8aa3b, v21
	v_fma_f32 v27, v21, s10, -v19
	v_rndne_f32_e32 v28, v19
	v_fmac_f32_e32 v27, 0x32a5705f, v21
	v_sub_f32_e32 v19, v19, v28
	v_add_f32_e32 v19, v19, v27
	v_cmp_ngt_f32_e64 s[8:9], s11, v18
	v_exp_f32_e32 v19, v19
	v_cvt_i32_f32_e32 v27, v28
	v_cndmask_b32_e64 v14, 0, v14, s[8:9]
	v_cmp_nlt_f32_e64 s[8:9], s14, v18
	v_cndmask_b32_e64 v14, v26, v14, s[8:9]
	v_pk_add_f32 v[12:13], v[12:13], v[14:15]
	v_mul_f32_e32 v15, 0x3fb8aa3b, v20
	v_ldexp_f32 v14, v19, v27
	v_fma_f32 v18, v20, s10, -v15
	v_rndne_f32_e32 v19, v15
	v_fmac_f32_e32 v18, 0x32a5705f, v20
	v_sub_f32_e32 v15, v15, v19
	v_add_f32_e32 v15, v15, v18
	v_exp_f32_e32 v18, v15
	v_cvt_i32_f32_e32 v19, v19
	v_cmp_ngt_f32_e64 s[8:9], s11, v21
	v_cndmask_b32_e64 v14, 0, v14, s[8:9]
	v_cmp_nlt_f32_e64 s[8:9], s14, v21
	v_cndmask_b32_e64 v15, v26, v14, s[8:9]
	v_ldexp_f32 v14, v18, v19
	v_cmp_ngt_f32_e64 s[8:9], s11, v20
	v_cndmask_b32_e64 v14, 0, v14, s[8:9]
	v_cmp_nlt_f32_e64 s[8:9], s14, v20
	v_cndmask_b32_e64 v14, v26, v14, s[8:9]
	v_pk_add_f32 v[12:13], v[12:13], v[14:15]
	ds_bpermute_b32 v14, v17, v12
	ds_bpermute_b32 v15, v17, v13
	s_waitcnt lgkmcnt(0)
	v_pk_add_f32 v[12:13], v[12:13], v[14:15]
	ds_bpermute_b32 v14, v22, v12
	ds_bpermute_b32 v15, v22, v13
	s_waitcnt lgkmcnt(0)
	;; [unrolled: 4-line block ×4, first 2 shown]
	v_pk_add_f32 v[12:13], v[12:13], v[14:15]
	ds_bpermute_b32 v14, v25, v12
	ds_bpermute_b32 v15, v25, v13
	s_and_saveexec_b64 s[8:9], s[6:7]
	s_cbranch_execz .LBB120_28
; %bb.17:
	v_lshlrev_b64 v[8:9], 2, v[8:9]
	v_mov_b32_e32 v17, s13
	v_add_co_u32_e64 v8, s[6:7], s12, v8
	v_addc_co_u32_e64 v9, s[6:7], v17, v9, s[6:7]
	s_waitcnt lgkmcnt(0)
	v_pk_add_f32 v[12:13], v[12:13], v[14:15]
	s_and_saveexec_b64 s[10:11], s[4:5]
	s_cbranch_execz .LBB120_22
; %bb.18:
	s_mov_b32 s6, 0x800000
	v_mov_b32_e32 v14, 0x4f800000
	v_cmp_gt_f32_e64 s[6:7], s6, v12
	v_cndmask_b32_e64 v14, 1.0, v14, s[6:7]
	v_mul_f32_e32 v12, v12, v14
	v_log_f32_e32 v12, v12
	s_mov_b32 s8, 0x3f317217
	v_sub_f32_e32 v4, v4, v10
	v_mul_f32_e32 v14, 0x3f317217, v12
	v_fma_f32 v15, v12, s8, -v14
	v_fmac_f32_e32 v15, 0x3377d1cf, v12
	s_mov_b32 s8, 0x7f800000
	v_add_f32_e32 v14, v14, v15
	v_cmp_lt_f32_e64 s[8:9], |v12|, s8
	v_cndmask_b32_e64 v12, v12, v14, s[8:9]
	v_mov_b32_e32 v14, 0x41b17218
	v_cndmask_b32_e64 v14, 0, v14, s[6:7]
	v_sub_f32_e32 v12, v12, v14
	v_sub_f32_e32 v4, v4, v12
	global_store_dword v[8:9], v4, off
	s_and_b64 exec, exec, vcc
	s_cbranch_execz .LBB120_22
; %bb.19:
	v_sub_f32_e32 v0, v0, v10
	v_sub_f32_e32 v0, v0, v12
	global_store_dword v[8:9], v0, off offset:128
	s_and_b64 exec, exec, s[0:1]
	s_cbranch_execz .LBB120_22
; %bb.20:
	v_sub_f32_e32 v0, v6, v10
	v_sub_f32_e32 v0, v0, v12
	global_store_dword v[8:9], v0, off offset:256
	s_and_b64 exec, exec, s[2:3]
	s_cbranch_execz .LBB120_22
; %bb.21:
	v_sub_f32_e32 v0, v2, v10
	v_sub_f32_e32 v0, v0, v12
	global_store_dword v[8:9], v0, off offset:384
.LBB120_22:
	s_or_b64 exec, exec, s[10:11]
	v_cmp_ne_u32_e64 s[6:7], 1, v16
	s_and_b64 exec, exec, s[6:7]
	s_cbranch_execz .LBB120_28
; %bb.23:
	s_and_b64 exec, exec, s[4:5]
	s_cbranch_execz .LBB120_28
; %bb.24:
	s_mov_b32 s4, 0x800000
	v_mov_b32_e32 v0, 0x4f800000
	v_cmp_gt_f32_e64 s[4:5], s4, v13
	v_cndmask_b32_e64 v0, 1.0, v0, s[4:5]
	v_mul_f32_e32 v0, v13, v0
	v_log_f32_e32 v0, v0
	s_mov_b32 s6, 0x3f317217
	s_ashr_i32 s19, s18, 31
	v_mul_f32_e32 v2, 0x3f317217, v0
	v_fma_f32 v4, v0, s6, -v2
	v_fmac_f32_e32 v4, 0x3377d1cf, v0
	s_mov_b32 s6, 0x7f800000
	v_add_f32_e32 v2, v2, v4
	v_cmp_lt_f32_e64 s[6:7], |v0|, s6
	v_cndmask_b32_e64 v0, v0, v2, s[6:7]
	v_mov_b32_e32 v2, 0x41b17218
	v_cndmask_b32_e64 v2, 0, v2, s[4:5]
	s_lshl_b64 s[4:5], s[18:19], 2
	v_sub_f32_e32 v0, v0, v2
	v_sub_f32_e32 v2, v5, v11
	v_mov_b32_e32 v5, s5
	v_add_co_u32_e64 v4, s[4:5], s4, v8
	v_sub_f32_e32 v2, v2, v0
	v_addc_co_u32_e64 v5, s[4:5], v9, v5, s[4:5]
	global_store_dword v[4:5], v2, off
	s_and_b64 exec, exec, vcc
	s_cbranch_execz .LBB120_28
; %bb.25:
	v_sub_f32_e32 v1, v1, v11
	v_sub_f32_e32 v1, v1, v0
	global_store_dword v[4:5], v1, off offset:128
	s_and_b64 exec, exec, s[0:1]
	s_cbranch_execz .LBB120_28
; %bb.26:
	v_sub_f32_e32 v1, v7, v11
	v_sub_f32_e32 v1, v1, v0
	global_store_dword v[4:5], v1, off offset:256
	s_and_b64 exec, exec, s[2:3]
	s_cbranch_execz .LBB120_28
; %bb.27:
	v_sub_f32_e32 v1, v3, v11
	v_sub_f32_e32 v0, v1, v0
	global_store_dword v[4:5], v0, off offset:384
.LBB120_28:
	s_endpgm
	.section	.rodata,"a",@progbits
	.p2align	6, 0x0
	.amdhsa_kernel _ZN12_GLOBAL__N_120softmax_warp_forwardIN3c104HalfEffLi7ELb1ELb0ELi32EEEvPT0_PKT_iiiPKbib
		.amdhsa_group_segment_fixed_size 0
		.amdhsa_private_segment_fixed_size 0
		.amdhsa_kernarg_size 304
		.amdhsa_user_sgpr_count 6
		.amdhsa_user_sgpr_private_segment_buffer 1
		.amdhsa_user_sgpr_dispatch_ptr 0
		.amdhsa_user_sgpr_queue_ptr 0
		.amdhsa_user_sgpr_kernarg_segment_ptr 1
		.amdhsa_user_sgpr_dispatch_id 0
		.amdhsa_user_sgpr_flat_scratch_init 0
		.amdhsa_user_sgpr_kernarg_preload_length 0
		.amdhsa_user_sgpr_kernarg_preload_offset 0
		.amdhsa_user_sgpr_private_segment_size 0
		.amdhsa_uses_dynamic_stack 0
		.amdhsa_system_sgpr_private_segment_wavefront_offset 0
		.amdhsa_system_sgpr_workgroup_id_x 1
		.amdhsa_system_sgpr_workgroup_id_y 0
		.amdhsa_system_sgpr_workgroup_id_z 0
		.amdhsa_system_sgpr_workgroup_info 0
		.amdhsa_system_vgpr_workitem_id 1
		.amdhsa_next_free_vgpr 29
		.amdhsa_next_free_sgpr 20
		.amdhsa_accum_offset 32
		.amdhsa_reserve_vcc 1
		.amdhsa_reserve_flat_scratch 0
		.amdhsa_float_round_mode_32 0
		.amdhsa_float_round_mode_16_64 0
		.amdhsa_float_denorm_mode_32 3
		.amdhsa_float_denorm_mode_16_64 3
		.amdhsa_dx10_clamp 1
		.amdhsa_ieee_mode 1
		.amdhsa_fp16_overflow 0
		.amdhsa_tg_split 0
		.amdhsa_exception_fp_ieee_invalid_op 0
		.amdhsa_exception_fp_denorm_src 0
		.amdhsa_exception_fp_ieee_div_zero 0
		.amdhsa_exception_fp_ieee_overflow 0
		.amdhsa_exception_fp_ieee_underflow 0
		.amdhsa_exception_fp_ieee_inexact 0
		.amdhsa_exception_int_div_zero 0
	.end_amdhsa_kernel
	.section	.text._ZN12_GLOBAL__N_120softmax_warp_forwardIN3c104HalfEffLi7ELb1ELb0ELi32EEEvPT0_PKT_iiiPKbib,"axG",@progbits,_ZN12_GLOBAL__N_120softmax_warp_forwardIN3c104HalfEffLi7ELb1ELb0ELi32EEEvPT0_PKT_iiiPKbib,comdat
.Lfunc_end120:
	.size	_ZN12_GLOBAL__N_120softmax_warp_forwardIN3c104HalfEffLi7ELb1ELb0ELi32EEEvPT0_PKT_iiiPKbib, .Lfunc_end120-_ZN12_GLOBAL__N_120softmax_warp_forwardIN3c104HalfEffLi7ELb1ELb0ELi32EEEvPT0_PKT_iiiPKbib
                                        ; -- End function
	.section	.AMDGPU.csdata,"",@progbits
; Kernel info:
; codeLenInByte = 2524
; NumSgprs: 24
; NumVgprs: 29
; NumAgprs: 0
; TotalNumVgprs: 29
; ScratchSize: 0
; MemoryBound: 0
; FloatMode: 240
; IeeeMode: 1
; LDSByteSize: 0 bytes/workgroup (compile time only)
; SGPRBlocks: 2
; VGPRBlocks: 3
; NumSGPRsForWavesPerEU: 24
; NumVGPRsForWavesPerEU: 29
; AccumOffset: 32
; Occupancy: 8
; WaveLimiterHint : 0
; COMPUTE_PGM_RSRC2:SCRATCH_EN: 0
; COMPUTE_PGM_RSRC2:USER_SGPR: 6
; COMPUTE_PGM_RSRC2:TRAP_HANDLER: 0
; COMPUTE_PGM_RSRC2:TGID_X_EN: 1
; COMPUTE_PGM_RSRC2:TGID_Y_EN: 0
; COMPUTE_PGM_RSRC2:TGID_Z_EN: 0
; COMPUTE_PGM_RSRC2:TIDIG_COMP_CNT: 1
; COMPUTE_PGM_RSRC3_GFX90A:ACCUM_OFFSET: 7
; COMPUTE_PGM_RSRC3_GFX90A:TG_SPLIT: 0
	.section	.text._ZN12_GLOBAL__N_120softmax_warp_forwardIN3c104HalfEffLi8ELb1ELb0ELi64EEEvPT0_PKT_iiiPKbib,"axG",@progbits,_ZN12_GLOBAL__N_120softmax_warp_forwardIN3c104HalfEffLi8ELb1ELb0ELi64EEEvPT0_PKT_iiiPKbib,comdat
	.globl	_ZN12_GLOBAL__N_120softmax_warp_forwardIN3c104HalfEffLi8ELb1ELb0ELi64EEEvPT0_PKT_iiiPKbib ; -- Begin function _ZN12_GLOBAL__N_120softmax_warp_forwardIN3c104HalfEffLi8ELb1ELb0ELi64EEEvPT0_PKT_iiiPKbib
	.p2align	8
	.type	_ZN12_GLOBAL__N_120softmax_warp_forwardIN3c104HalfEffLi8ELb1ELb0ELi64EEEvPT0_PKT_iiiPKbib,@function
_ZN12_GLOBAL__N_120softmax_warp_forwardIN3c104HalfEffLi8ELb1ELb0ELi64EEEvPT0_PKT_iiiPKbib: ; @_ZN12_GLOBAL__N_120softmax_warp_forwardIN3c104HalfEffLi8ELb1ELb0ELi64EEEvPT0_PKT_iiiPKbib
; %bb.0:
	s_load_dword s0, s[4:5], 0x3c
	s_load_dwordx8 s[8:15], s[4:5], 0x0
	v_bfe_u32 v1, v0, 10, 10
	v_and_b32_e32 v4, 0x3ff, v0
	v_mov_b32_e32 v7, 0xff800000
	s_waitcnt lgkmcnt(0)
	s_lshr_b32 s0, s0, 16
	s_mul_i32 s6, s6, s0
	v_add_u32_e32 v1, s6, v1
	v_sub_u32_e32 v5, s12, v1
	v_mad_u64_u32 v[0:1], s[0:1], v1, s13, v[4:5]
	v_ashrrev_i32_e32 v1, 31, v0
	v_lshlrev_b64 v[2:3], 1, v[0:1]
	v_mov_b32_e32 v6, s11
	v_add_co_u32_e32 v2, vcc, s10, v2
	v_cmp_lt_i32_e64 s[6:7], 0, v5
	v_cmp_gt_i32_e64 s[4:5], s14, v4
	v_addc_co_u32_e32 v3, vcc, v6, v3, vcc
	s_and_b64 s[2:3], s[6:7], s[4:5]
	v_mov_b32_e32 v9, 0xff800000
	s_and_saveexec_b64 s[0:1], s[2:3]
	s_cbranch_execz .LBB121_2
; %bb.1:
	global_load_ushort v6, v[2:3], off
	s_waitcnt vmcnt(0)
	v_cvt_f32_f16_e32 v9, v6
.LBB121_2:
	s_or_b64 exec, exec, s[0:1]
	v_add_u32_e32 v6, 64, v4
	v_cmp_gt_i32_e32 vcc, s14, v6
	s_and_b64 s[2:3], s[6:7], vcc
	s_and_saveexec_b64 s[0:1], s[2:3]
	s_cbranch_execz .LBB121_4
; %bb.3:
	global_load_ushort v6, v[2:3], off offset:128
	s_waitcnt vmcnt(0)
	v_cvt_f32_f16_e32 v7, v6
.LBB121_4:
	s_or_b64 exec, exec, s[0:1]
	v_add_u32_e32 v6, 0x80, v4
	v_cmp_gt_i32_e64 s[0:1], s14, v6
	s_and_b64 s[10:11], s[6:7], s[0:1]
	v_mov_b32_e32 v6, 0xff800000
	v_mov_b32_e32 v8, 0xff800000
	s_and_saveexec_b64 s[2:3], s[10:11]
	s_cbranch_execz .LBB121_6
; %bb.5:
	global_load_ushort v8, v[2:3], off offset:256
	s_waitcnt vmcnt(0)
	v_cvt_f32_f16_e32 v8, v8
.LBB121_6:
	s_or_b64 exec, exec, s[2:3]
	v_add_u32_e32 v4, 0xc0, v4
	v_cmp_gt_i32_e64 s[2:3], s14, v4
	s_and_b64 s[10:11], s[6:7], s[2:3]
	s_and_saveexec_b64 s[6:7], s[10:11]
	s_cbranch_execz .LBB121_8
; %bb.7:
	global_load_ushort v2, v[2:3], off offset:384
	s_waitcnt vmcnt(0)
	v_cvt_f32_f16_e32 v6, v2
.LBB121_8:
	s_or_b64 exec, exec, s[6:7]
	v_cmp_gt_f32_e64 s[6:7], v9, v7
	v_cndmask_b32_e64 v2, v7, v9, s[6:7]
	v_mbcnt_lo_u32_b32 v3, -1, 0
	v_cmp_gt_f32_e64 s[6:7], v2, v8
	v_mbcnt_hi_u32_b32 v3, -1, v3
	v_cndmask_b32_e64 v2, v8, v2, s[6:7]
	v_and_b32_e32 v4, 64, v3
	v_cmp_gt_f32_e64 s[6:7], v2, v6
	v_add_u32_e32 v4, 64, v4
	v_xor_b32_e32 v10, 32, v3
	v_cndmask_b32_e64 v2, v6, v2, s[6:7]
	v_cmp_lt_i32_e64 s[6:7], v10, v4
	v_cndmask_b32_e64 v10, v3, v10, s[6:7]
	v_lshlrev_b32_e32 v10, 2, v10
	ds_bpermute_b32 v11, v10, v2
	s_mov_b32 s10, 0x3fb8aa3b
	s_mov_b32 s11, 0xc2ce8ed0
	s_mov_b32 s12, 0x42b17218
	s_waitcnt lgkmcnt(0)
	v_cmp_lt_f32_e64 s[6:7], v2, v11
	v_cndmask_b32_e64 v2, v2, v11, s[6:7]
	v_xor_b32_e32 v11, 16, v3
	v_cmp_lt_i32_e64 s[6:7], v11, v4
	v_cndmask_b32_e64 v11, v3, v11, s[6:7]
	v_lshlrev_b32_e32 v11, 2, v11
	ds_bpermute_b32 v12, v11, v2
	s_waitcnt lgkmcnt(0)
	v_cmp_lt_f32_e64 s[6:7], v2, v12
	v_cndmask_b32_e64 v2, v2, v12, s[6:7]
	v_xor_b32_e32 v12, 8, v3
	v_cmp_lt_i32_e64 s[6:7], v12, v4
	v_cndmask_b32_e64 v12, v3, v12, s[6:7]
	v_lshlrev_b32_e32 v12, 2, v12
	ds_bpermute_b32 v13, v12, v2
	;; [unrolled: 8-line block ×5, first 2 shown]
	s_waitcnt lgkmcnt(0)
	v_cmp_lt_f32_e64 s[6:7], v2, v3
	v_cndmask_b32_e64 v16, v2, v3, s[6:7]
	v_sub_f32_e32 v2, v9, v16
	v_mul_f32_e32 v3, 0x3fb8aa3b, v2
	v_fma_f32 v4, v2, s10, -v3
	v_rndne_f32_e32 v9, v3
	v_fmac_f32_e32 v4, 0x32a5705f, v2
	v_sub_f32_e32 v3, v3, v9
	v_add_f32_e32 v3, v3, v4
	v_exp_f32_e32 v3, v3
	v_cvt_i32_f32_e32 v4, v9
	v_cmp_ngt_f32_e64 s[6:7], s11, v2
	v_sub_f32_e32 v6, v6, v16
	v_ldexp_f32 v3, v3, v4
	v_cndmask_b32_e64 v4, 0, v3, s[6:7]
	v_sub_f32_e32 v3, v7, v16
	v_mul_f32_e32 v7, 0x3fb8aa3b, v3
	v_fma_f32 v9, v3, s10, -v7
	v_rndne_f32_e32 v17, v7
	v_fmac_f32_e32 v9, 0x32a5705f, v3
	v_sub_f32_e32 v7, v7, v17
	v_add_f32_e32 v7, v7, v9
	v_exp_f32_e32 v7, v7
	v_cvt_i32_f32_e32 v9, v17
	v_mov_b32_e32 v17, 0x7f800000
	v_cmp_nlt_f32_e64 s[6:7], s12, v2
	v_cndmask_b32_e64 v18, v17, v4, s[6:7]
	v_ldexp_f32 v4, v7, v9
	v_cmp_ngt_f32_e64 s[6:7], s11, v3
	v_cndmask_b32_e64 v7, 0, v4, s[6:7]
	v_sub_f32_e32 v4, v8, v16
	v_mul_f32_e32 v8, 0x3fb8aa3b, v4
	v_fma_f32 v9, v4, s10, -v8
	v_rndne_f32_e32 v19, v8
	v_fmac_f32_e32 v9, 0x32a5705f, v4
	v_sub_f32_e32 v8, v8, v19
	v_add_f32_e32 v8, v8, v9
	v_exp_f32_e32 v8, v8
	v_cvt_i32_f32_e32 v9, v19
	v_cmp_nlt_f32_e64 s[6:7], s12, v3
	v_cndmask_b32_e64 v7, v17, v7, s[6:7]
	v_add_f32_e32 v7, v18, v7
	v_ldexp_f32 v8, v8, v9
	v_mul_f32_e32 v9, 0x3fb8aa3b, v6
	v_fma_f32 v16, v6, s10, -v9
	v_rndne_f32_e32 v18, v9
	v_fmac_f32_e32 v16, 0x32a5705f, v6
	v_sub_f32_e32 v9, v9, v18
	v_add_f32_e32 v9, v9, v16
	v_exp_f32_e32 v9, v9
	v_cvt_i32_f32_e32 v16, v18
	v_cmp_ngt_f32_e64 s[6:7], s11, v4
	v_cndmask_b32_e64 v8, 0, v8, s[6:7]
	v_cmp_nlt_f32_e64 s[6:7], s12, v4
	v_cndmask_b32_e64 v8, v17, v8, s[6:7]
	v_add_f32_e32 v7, v7, v8
	v_ldexp_f32 v8, v9, v16
	v_cmp_ngt_f32_e64 s[6:7], s11, v6
	v_cndmask_b32_e64 v8, 0, v8, s[6:7]
	v_cmp_nlt_f32_e64 s[6:7], s12, v6
	v_cndmask_b32_e64 v8, v17, v8, s[6:7]
	v_add_f32_e32 v7, v7, v8
	ds_bpermute_b32 v8, v10, v7
	v_cmp_lt_i32_e64 s[6:7], 0, v5
	s_waitcnt lgkmcnt(0)
	v_add_f32_e32 v7, v7, v8
	ds_bpermute_b32 v8, v11, v7
	s_waitcnt lgkmcnt(0)
	v_add_f32_e32 v7, v7, v8
	ds_bpermute_b32 v8, v12, v7
	;; [unrolled: 3-line block ×5, first 2 shown]
	s_and_saveexec_b64 s[10:11], s[6:7]
	s_cbranch_execz .LBB121_14
; %bb.9:
	s_and_b64 exec, exec, s[4:5]
	s_cbranch_execz .LBB121_14
; %bb.10:
	s_waitcnt lgkmcnt(0)
	v_add_f32_e32 v5, v7, v8
	s_mov_b32 s4, 0x800000
	v_mov_b32_e32 v7, 0x4f800000
	v_cmp_gt_f32_e64 s[4:5], s4, v5
	v_cndmask_b32_e64 v7, 1.0, v7, s[4:5]
	v_mul_f32_e32 v5, v5, v7
	v_log_f32_e32 v5, v5
	s_mov_b32 s6, 0x3f317217
	v_lshlrev_b64 v[0:1], 2, v[0:1]
	v_mul_f32_e32 v7, 0x3f317217, v5
	v_fma_f32 v8, v5, s6, -v7
	v_fmac_f32_e32 v8, 0x3377d1cf, v5
	s_mov_b32 s6, 0x7f800000
	v_add_f32_e32 v7, v7, v8
	v_cmp_lt_f32_e64 s[6:7], |v5|, s6
	v_cndmask_b32_e64 v5, v5, v7, s[6:7]
	v_mov_b32_e32 v7, 0x41b17218
	v_cndmask_b32_e64 v7, 0, v7, s[4:5]
	v_sub_f32_e32 v5, v5, v7
	v_mov_b32_e32 v7, s9
	v_add_co_u32_e64 v0, s[4:5], s8, v0
	v_addc_co_u32_e64 v1, s[4:5], v7, v1, s[4:5]
	v_sub_f32_e32 v2, v2, v5
	global_store_dword v[0:1], v2, off
	s_and_b64 exec, exec, vcc
	s_cbranch_execz .LBB121_14
; %bb.11:
	v_sub_f32_e32 v2, v3, v5
	global_store_dword v[0:1], v2, off offset:256
	s_and_b64 exec, exec, s[0:1]
	s_cbranch_execz .LBB121_14
; %bb.12:
	v_sub_f32_e32 v2, v4, v5
	global_store_dword v[0:1], v2, off offset:512
	s_and_b64 exec, exec, s[2:3]
	s_cbranch_execz .LBB121_14
; %bb.13:
	v_sub_f32_e32 v2, v6, v5
	global_store_dword v[0:1], v2, off offset:768
.LBB121_14:
	s_endpgm
	.section	.rodata,"a",@progbits
	.p2align	6, 0x0
	.amdhsa_kernel _ZN12_GLOBAL__N_120softmax_warp_forwardIN3c104HalfEffLi8ELb1ELb0ELi64EEEvPT0_PKT_iiiPKbib
		.amdhsa_group_segment_fixed_size 0
		.amdhsa_private_segment_fixed_size 0
		.amdhsa_kernarg_size 304
		.amdhsa_user_sgpr_count 6
		.amdhsa_user_sgpr_private_segment_buffer 1
		.amdhsa_user_sgpr_dispatch_ptr 0
		.amdhsa_user_sgpr_queue_ptr 0
		.amdhsa_user_sgpr_kernarg_segment_ptr 1
		.amdhsa_user_sgpr_dispatch_id 0
		.amdhsa_user_sgpr_flat_scratch_init 0
		.amdhsa_user_sgpr_kernarg_preload_length 0
		.amdhsa_user_sgpr_kernarg_preload_offset 0
		.amdhsa_user_sgpr_private_segment_size 0
		.amdhsa_uses_dynamic_stack 0
		.amdhsa_system_sgpr_private_segment_wavefront_offset 0
		.amdhsa_system_sgpr_workgroup_id_x 1
		.amdhsa_system_sgpr_workgroup_id_y 0
		.amdhsa_system_sgpr_workgroup_id_z 0
		.amdhsa_system_sgpr_workgroup_info 0
		.amdhsa_system_vgpr_workitem_id 1
		.amdhsa_next_free_vgpr 20
		.amdhsa_next_free_sgpr 16
		.amdhsa_accum_offset 20
		.amdhsa_reserve_vcc 1
		.amdhsa_reserve_flat_scratch 0
		.amdhsa_float_round_mode_32 0
		.amdhsa_float_round_mode_16_64 0
		.amdhsa_float_denorm_mode_32 3
		.amdhsa_float_denorm_mode_16_64 3
		.amdhsa_dx10_clamp 1
		.amdhsa_ieee_mode 1
		.amdhsa_fp16_overflow 0
		.amdhsa_tg_split 0
		.amdhsa_exception_fp_ieee_invalid_op 0
		.amdhsa_exception_fp_denorm_src 0
		.amdhsa_exception_fp_ieee_div_zero 0
		.amdhsa_exception_fp_ieee_overflow 0
		.amdhsa_exception_fp_ieee_underflow 0
		.amdhsa_exception_fp_ieee_inexact 0
		.amdhsa_exception_int_div_zero 0
	.end_amdhsa_kernel
	.section	.text._ZN12_GLOBAL__N_120softmax_warp_forwardIN3c104HalfEffLi8ELb1ELb0ELi64EEEvPT0_PKT_iiiPKbib,"axG",@progbits,_ZN12_GLOBAL__N_120softmax_warp_forwardIN3c104HalfEffLi8ELb1ELb0ELi64EEEvPT0_PKT_iiiPKbib,comdat
.Lfunc_end121:
	.size	_ZN12_GLOBAL__N_120softmax_warp_forwardIN3c104HalfEffLi8ELb1ELb0ELi64EEEvPT0_PKT_iiiPKbib, .Lfunc_end121-_ZN12_GLOBAL__N_120softmax_warp_forwardIN3c104HalfEffLi8ELb1ELb0ELi64EEEvPT0_PKT_iiiPKbib
                                        ; -- End function
	.section	.AMDGPU.csdata,"",@progbits
; Kernel info:
; codeLenInByte = 1424
; NumSgprs: 20
; NumVgprs: 20
; NumAgprs: 0
; TotalNumVgprs: 20
; ScratchSize: 0
; MemoryBound: 0
; FloatMode: 240
; IeeeMode: 1
; LDSByteSize: 0 bytes/workgroup (compile time only)
; SGPRBlocks: 2
; VGPRBlocks: 2
; NumSGPRsForWavesPerEU: 20
; NumVGPRsForWavesPerEU: 20
; AccumOffset: 20
; Occupancy: 8
; WaveLimiterHint : 0
; COMPUTE_PGM_RSRC2:SCRATCH_EN: 0
; COMPUTE_PGM_RSRC2:USER_SGPR: 6
; COMPUTE_PGM_RSRC2:TRAP_HANDLER: 0
; COMPUTE_PGM_RSRC2:TGID_X_EN: 1
; COMPUTE_PGM_RSRC2:TGID_Y_EN: 0
; COMPUTE_PGM_RSRC2:TGID_Z_EN: 0
; COMPUTE_PGM_RSRC2:TIDIG_COMP_CNT: 1
; COMPUTE_PGM_RSRC3_GFX90A:ACCUM_OFFSET: 4
; COMPUTE_PGM_RSRC3_GFX90A:TG_SPLIT: 0
	.section	.text._ZN12_GLOBAL__N_120softmax_warp_forwardIN3c104HalfEffLi8ELb1ELb0ELi32EEEvPT0_PKT_iiiPKbib,"axG",@progbits,_ZN12_GLOBAL__N_120softmax_warp_forwardIN3c104HalfEffLi8ELb1ELb0ELi32EEEvPT0_PKT_iiiPKbib,comdat
	.globl	_ZN12_GLOBAL__N_120softmax_warp_forwardIN3c104HalfEffLi8ELb1ELb0ELi32EEEvPT0_PKT_iiiPKbib ; -- Begin function _ZN12_GLOBAL__N_120softmax_warp_forwardIN3c104HalfEffLi8ELb1ELb0ELi32EEEvPT0_PKT_iiiPKbib
	.p2align	8
	.type	_ZN12_GLOBAL__N_120softmax_warp_forwardIN3c104HalfEffLi8ELb1ELb0ELi32EEEvPT0_PKT_iiiPKbib,@function
_ZN12_GLOBAL__N_120softmax_warp_forwardIN3c104HalfEffLi8ELb1ELb0ELi32EEEvPT0_PKT_iiiPKbib: ; @_ZN12_GLOBAL__N_120softmax_warp_forwardIN3c104HalfEffLi8ELb1ELb0ELi32EEEvPT0_PKT_iiiPKbib
; %bb.0:
	s_load_dword s0, s[4:5], 0x3c
	s_load_dwordx8 s[16:23], s[4:5], 0x0
	v_bfe_u32 v1, v0, 10, 10
	v_and_b32_e32 v4, 0x3ff, v0
	v_mov_b32_e32 v9, 0xff800000
	s_waitcnt lgkmcnt(0)
	s_lshr_b32 s0, s0, 16
	s_mul_i32 s6, s6, s0
	v_add_u32_e32 v1, s6, v1
	v_sub_u32_e32 v5, s20, v1
	v_mad_u64_u32 v[0:1], s[0:1], v1, s21, v[4:5]
	v_ashrrev_i32_e32 v1, 31, v0
	v_lshlrev_b64 v[2:3], 1, v[0:1]
	v_mov_b32_e32 v6, s19
	v_add_co_u32_e32 v2, vcc, s18, v2
	v_cmp_lt_i32_e64 s[14:15], 0, v5
	v_cmp_gt_i32_e64 s[4:5], s22, v4
	v_addc_co_u32_e32 v3, vcc, v6, v3, vcc
	s_and_b64 s[2:3], s[14:15], s[4:5]
	v_mov_b32_e32 v13, 0xff800000
	s_and_saveexec_b64 s[0:1], s[2:3]
	s_cbranch_execz .LBB122_2
; %bb.1:
	global_load_ushort v6, v[2:3], off
	s_waitcnt vmcnt(0)
	v_cvt_f32_f16_e32 v13, v6
.LBB122_2:
	s_or_b64 exec, exec, s[0:1]
	v_add_u32_e32 v6, 32, v4
	v_cmp_gt_i32_e32 vcc, s22, v6
	s_and_b64 s[2:3], s[14:15], vcc
	s_and_saveexec_b64 s[0:1], s[2:3]
	s_cbranch_execz .LBB122_4
; %bb.3:
	global_load_ushort v6, v[2:3], off offset:64
	s_waitcnt vmcnt(0)
	v_cvt_f32_f16_e32 v9, v6
.LBB122_4:
	s_or_b64 exec, exec, s[0:1]
	v_add_u32_e32 v6, 64, v4
	v_cmp_gt_i32_e64 s[0:1], s22, v6
	s_and_b64 s[6:7], s[14:15], s[0:1]
	v_mov_b32_e32 v8, 0xff800000
	v_mov_b32_e32 v12, 0xff800000
	s_and_saveexec_b64 s[2:3], s[6:7]
	s_cbranch_execz .LBB122_6
; %bb.5:
	global_load_ushort v6, v[2:3], off offset:128
	s_waitcnt vmcnt(0)
	v_cvt_f32_f16_e32 v12, v6
.LBB122_6:
	s_or_b64 exec, exec, s[2:3]
	v_add_u32_e32 v6, 0x60, v4
	v_cmp_gt_i32_e64 s[2:3], s22, v6
	s_and_b64 s[8:9], s[14:15], s[2:3]
	s_and_saveexec_b64 s[6:7], s[8:9]
	s_cbranch_execz .LBB122_8
; %bb.7:
	global_load_ushort v6, v[2:3], off offset:192
	s_waitcnt vmcnt(0)
	v_cvt_f32_f16_e32 v8, v6
.LBB122_8:
	s_or_b64 exec, exec, s[6:7]
	v_add_u32_e32 v6, 0x80, v4
	v_cmp_gt_i32_e64 s[6:7], s22, v6
	s_and_b64 s[10:11], s[14:15], s[6:7]
	v_mov_b32_e32 v7, 0xff800000
	v_mov_b32_e32 v11, 0xff800000
	s_and_saveexec_b64 s[8:9], s[10:11]
	s_cbranch_execz .LBB122_10
; %bb.9:
	global_load_ushort v6, v[2:3], off offset:256
	s_waitcnt vmcnt(0)
	v_cvt_f32_f16_e32 v11, v6
.LBB122_10:
	s_or_b64 exec, exec, s[8:9]
	v_add_u32_e32 v6, 0xa0, v4
	v_cmp_gt_i32_e64 s[8:9], s22, v6
	s_and_b64 s[12:13], s[14:15], s[8:9]
	;; [unrolled: 24-line block ×3, first 2 shown]
	s_and_saveexec_b64 s[14:15], s[18:19]
	s_cbranch_execz .LBB122_16
; %bb.15:
	global_load_ushort v2, v[2:3], off offset:448
	s_waitcnt vmcnt(0)
	v_cvt_f32_f16_e32 v6, v2
.LBB122_16:
	s_or_b64 exec, exec, s[14:15]
	v_cmp_gt_f32_e64 s[14:15], v13, v9
	v_cndmask_b32_e64 v2, v9, v13, s[14:15]
	v_cmp_gt_f32_e64 s[14:15], v2, v12
	v_cndmask_b32_e64 v2, v12, v2, s[14:15]
	;; [unrolled: 2-line block ×5, first 2 shown]
	v_mbcnt_lo_u32_b32 v3, -1, 0
	v_cmp_gt_f32_e64 s[14:15], v2, v10
	v_mbcnt_hi_u32_b32 v3, -1, v3
	v_cndmask_b32_e64 v2, v10, v2, s[14:15]
	v_and_b32_e32 v4, 0x60, v3
	v_cmp_gt_f32_e64 s[14:15], v2, v6
	v_add_u32_e32 v4, 32, v4
	v_xor_b32_e32 v14, 16, v3
	v_cndmask_b32_e64 v2, v6, v2, s[14:15]
	v_cmp_lt_i32_e64 s[14:15], v14, v4
	v_cndmask_b32_e64 v14, v3, v14, s[14:15]
	v_lshlrev_b32_e32 v14, 2, v14
	ds_bpermute_b32 v15, v14, v2
	s_mov_b32 s18, 0x3fb8aa3b
	s_mov_b32 s19, 0xc2ce8ed0
	;; [unrolled: 1-line block ×3, first 2 shown]
	s_waitcnt lgkmcnt(0)
	v_cmp_lt_f32_e64 s[14:15], v2, v15
	v_cndmask_b32_e64 v2, v2, v15, s[14:15]
	v_xor_b32_e32 v15, 8, v3
	v_cmp_lt_i32_e64 s[14:15], v15, v4
	v_cndmask_b32_e64 v15, v3, v15, s[14:15]
	v_lshlrev_b32_e32 v15, 2, v15
	ds_bpermute_b32 v16, v15, v2
	s_waitcnt lgkmcnt(0)
	v_cmp_lt_f32_e64 s[14:15], v2, v16
	v_cndmask_b32_e64 v2, v2, v16, s[14:15]
	v_xor_b32_e32 v16, 4, v3
	v_cmp_lt_i32_e64 s[14:15], v16, v4
	v_cndmask_b32_e64 v16, v3, v16, s[14:15]
	v_lshlrev_b32_e32 v16, 2, v16
	ds_bpermute_b32 v17, v16, v2
	;; [unrolled: 8-line block ×4, first 2 shown]
	s_waitcnt lgkmcnt(0)
	v_cmp_lt_f32_e64 s[14:15], v2, v3
	v_cndmask_b32_e64 v19, v2, v3, s[14:15]
	v_sub_f32_e32 v2, v13, v19
	v_mul_f32_e32 v3, 0x3fb8aa3b, v2
	v_fma_f32 v4, v2, s18, -v3
	v_rndne_f32_e32 v13, v3
	v_fmac_f32_e32 v4, 0x32a5705f, v2
	v_sub_f32_e32 v3, v3, v13
	v_add_f32_e32 v3, v3, v4
	v_exp_f32_e32 v3, v3
	v_cvt_i32_f32_e32 v4, v13
	v_cmp_ngt_f32_e64 s[14:15], s19, v2
	v_sub_f32_e32 v8, v8, v19
	v_sub_f32_e32 v7, v7, v19
	v_ldexp_f32 v3, v3, v4
	v_cndmask_b32_e64 v4, 0, v3, s[14:15]
	v_sub_f32_e32 v3, v9, v19
	v_mul_f32_e32 v9, 0x3fb8aa3b, v3
	v_fma_f32 v13, v3, s18, -v9
	v_rndne_f32_e32 v20, v9
	v_fmac_f32_e32 v13, 0x32a5705f, v3
	v_sub_f32_e32 v9, v9, v20
	v_add_f32_e32 v9, v9, v13
	v_exp_f32_e32 v9, v9
	v_cvt_i32_f32_e32 v13, v20
	v_mov_b32_e32 v20, 0x7f800000
	v_cmp_nlt_f32_e64 s[14:15], s20, v2
	v_cndmask_b32_e64 v21, v20, v4, s[14:15]
	v_ldexp_f32 v4, v9, v13
	v_cmp_ngt_f32_e64 s[14:15], s19, v3
	v_cndmask_b32_e64 v9, 0, v4, s[14:15]
	v_sub_f32_e32 v4, v12, v19
	v_mul_f32_e32 v12, 0x3fb8aa3b, v4
	v_fma_f32 v13, v4, s18, -v12
	v_rndne_f32_e32 v22, v12
	v_fmac_f32_e32 v13, 0x32a5705f, v4
	v_sub_f32_e32 v12, v12, v22
	v_add_f32_e32 v12, v12, v13
	v_exp_f32_e32 v12, v12
	v_cvt_i32_f32_e32 v13, v22
	v_cmp_nlt_f32_e64 s[14:15], s20, v3
	v_cndmask_b32_e64 v9, v20, v9, s[14:15]
	v_add_f32_e32 v9, v21, v9
	v_ldexp_f32 v12, v12, v13
	v_mul_f32_e32 v13, 0x3fb8aa3b, v8
	v_fma_f32 v21, v8, s18, -v13
	v_rndne_f32_e32 v22, v13
	v_fmac_f32_e32 v21, 0x32a5705f, v8
	v_sub_f32_e32 v13, v13, v22
	v_add_f32_e32 v13, v13, v21
	v_exp_f32_e32 v13, v13
	v_cvt_i32_f32_e32 v21, v22
	v_cmp_ngt_f32_e64 s[14:15], s19, v4
	v_cndmask_b32_e64 v12, 0, v12, s[14:15]
	v_cmp_nlt_f32_e64 s[14:15], s20, v4
	v_cndmask_b32_e64 v12, v20, v12, s[14:15]
	v_add_f32_e32 v12, v9, v12
	v_ldexp_f32 v9, v13, v21
	v_cmp_ngt_f32_e64 s[14:15], s19, v8
	v_cndmask_b32_e64 v13, 0, v9, s[14:15]
	v_sub_f32_e32 v9, v11, v19
	v_mul_f32_e32 v11, 0x3fb8aa3b, v9
	v_fma_f32 v21, v9, s18, -v11
	v_rndne_f32_e32 v22, v11
	v_fmac_f32_e32 v21, 0x32a5705f, v9
	v_sub_f32_e32 v11, v11, v22
	v_add_f32_e32 v11, v11, v21
	v_exp_f32_e32 v11, v11
	v_cvt_i32_f32_e32 v21, v22
	v_cmp_nlt_f32_e64 s[14:15], s20, v8
	v_cndmask_b32_e64 v13, v20, v13, s[14:15]
	v_add_f32_e32 v12, v12, v13
	v_mul_f32_e32 v13, 0x3fb8aa3b, v7
	v_ldexp_f32 v11, v11, v21
	v_fma_f32 v21, v7, s18, -v13
	v_rndne_f32_e32 v22, v13
	v_fmac_f32_e32 v21, 0x32a5705f, v7
	v_sub_f32_e32 v13, v13, v22
	v_add_f32_e32 v13, v13, v21
	v_exp_f32_e32 v13, v13
	v_cvt_i32_f32_e32 v21, v22
	v_cmp_ngt_f32_e64 s[14:15], s19, v9
	v_cndmask_b32_e64 v11, 0, v11, s[14:15]
	v_cmp_nlt_f32_e64 s[14:15], s20, v9
	v_cndmask_b32_e64 v11, v20, v11, s[14:15]
	v_sub_f32_e32 v10, v10, v19
	v_add_f32_e32 v11, v12, v11
	v_ldexp_f32 v12, v13, v21
	v_mul_f32_e32 v13, 0x3fb8aa3b, v10
	v_fma_f32 v21, v10, s18, -v13
	v_rndne_f32_e32 v22, v13
	v_fmac_f32_e32 v21, 0x32a5705f, v10
	v_sub_f32_e32 v13, v13, v22
	v_add_f32_e32 v13, v13, v21
	v_exp_f32_e32 v13, v13
	v_cvt_i32_f32_e32 v21, v22
	v_cmp_ngt_f32_e64 s[14:15], s19, v7
	v_cndmask_b32_e64 v12, 0, v12, s[14:15]
	v_cmp_nlt_f32_e64 s[14:15], s20, v7
	v_cndmask_b32_e64 v12, v20, v12, s[14:15]
	v_sub_f32_e32 v6, v6, v19
	v_add_f32_e32 v11, v11, v12
	v_ldexp_f32 v12, v13, v21
	v_mul_f32_e32 v13, 0x3fb8aa3b, v6
	v_fma_f32 v19, v6, s18, -v13
	v_rndne_f32_e32 v21, v13
	v_fmac_f32_e32 v19, 0x32a5705f, v6
	v_sub_f32_e32 v13, v13, v21
	v_add_f32_e32 v13, v13, v19
	v_exp_f32_e32 v13, v13
	v_cvt_i32_f32_e32 v19, v21
	v_cmp_ngt_f32_e64 s[14:15], s19, v10
	v_cndmask_b32_e64 v12, 0, v12, s[14:15]
	v_cmp_nlt_f32_e64 s[14:15], s20, v10
	v_cndmask_b32_e64 v12, v20, v12, s[14:15]
	v_add_f32_e32 v11, v11, v12
	v_ldexp_f32 v12, v13, v19
	v_cmp_ngt_f32_e64 s[14:15], s19, v6
	v_cndmask_b32_e64 v12, 0, v12, s[14:15]
	v_cmp_nlt_f32_e64 s[14:15], s20, v6
	v_cndmask_b32_e64 v12, v20, v12, s[14:15]
	v_add_f32_e32 v11, v11, v12
	ds_bpermute_b32 v12, v14, v11
	v_cmp_lt_i32_e64 s[14:15], 0, v5
	s_waitcnt lgkmcnt(0)
	v_add_f32_e32 v11, v11, v12
	ds_bpermute_b32 v12, v15, v11
	s_waitcnt lgkmcnt(0)
	v_add_f32_e32 v11, v11, v12
	ds_bpermute_b32 v12, v16, v11
	;; [unrolled: 3-line block ×4, first 2 shown]
	s_and_saveexec_b64 s[18:19], s[14:15]
	s_cbranch_execz .LBB122_26
; %bb.17:
	s_and_b64 exec, exec, s[4:5]
	s_cbranch_execz .LBB122_26
; %bb.18:
	s_waitcnt lgkmcnt(0)
	v_add_f32_e32 v5, v11, v12
	s_mov_b32 s4, 0x800000
	v_mov_b32_e32 v11, 0x4f800000
	v_cmp_gt_f32_e64 s[4:5], s4, v5
	v_cndmask_b32_e64 v11, 1.0, v11, s[4:5]
	v_mul_f32_e32 v5, v5, v11
	v_log_f32_e32 v5, v5
	s_mov_b32 s14, 0x3f317217
	v_lshlrev_b64 v[0:1], 2, v[0:1]
	v_mul_f32_e32 v11, 0x3f317217, v5
	v_fma_f32 v12, v5, s14, -v11
	v_fmac_f32_e32 v12, 0x3377d1cf, v5
	s_mov_b32 s14, 0x7f800000
	v_add_f32_e32 v11, v11, v12
	v_cmp_lt_f32_e64 s[14:15], |v5|, s14
	v_cndmask_b32_e64 v5, v5, v11, s[14:15]
	v_mov_b32_e32 v11, 0x41b17218
	v_cndmask_b32_e64 v11, 0, v11, s[4:5]
	v_sub_f32_e32 v5, v5, v11
	v_mov_b32_e32 v11, s17
	v_add_co_u32_e64 v0, s[4:5], s16, v0
	v_addc_co_u32_e64 v1, s[4:5], v11, v1, s[4:5]
	v_sub_f32_e32 v2, v2, v5
	global_store_dword v[0:1], v2, off
	s_and_b64 exec, exec, vcc
	s_cbranch_execz .LBB122_26
; %bb.19:
	v_sub_f32_e32 v2, v3, v5
	global_store_dword v[0:1], v2, off offset:128
	s_and_b64 exec, exec, s[0:1]
	s_cbranch_execz .LBB122_26
; %bb.20:
	v_sub_f32_e32 v2, v4, v5
	global_store_dword v[0:1], v2, off offset:256
	s_and_b64 exec, exec, s[2:3]
	;; [unrolled: 5-line block ×6, first 2 shown]
	s_cbranch_execz .LBB122_26
; %bb.25:
	v_sub_f32_e32 v2, v6, v5
	global_store_dword v[0:1], v2, off offset:896
.LBB122_26:
	s_endpgm
	.section	.rodata,"a",@progbits
	.p2align	6, 0x0
	.amdhsa_kernel _ZN12_GLOBAL__N_120softmax_warp_forwardIN3c104HalfEffLi8ELb1ELb0ELi32EEEvPT0_PKT_iiiPKbib
		.amdhsa_group_segment_fixed_size 0
		.amdhsa_private_segment_fixed_size 0
		.amdhsa_kernarg_size 304
		.amdhsa_user_sgpr_count 6
		.amdhsa_user_sgpr_private_segment_buffer 1
		.amdhsa_user_sgpr_dispatch_ptr 0
		.amdhsa_user_sgpr_queue_ptr 0
		.amdhsa_user_sgpr_kernarg_segment_ptr 1
		.amdhsa_user_sgpr_dispatch_id 0
		.amdhsa_user_sgpr_flat_scratch_init 0
		.amdhsa_user_sgpr_kernarg_preload_length 0
		.amdhsa_user_sgpr_kernarg_preload_offset 0
		.amdhsa_user_sgpr_private_segment_size 0
		.amdhsa_uses_dynamic_stack 0
		.amdhsa_system_sgpr_private_segment_wavefront_offset 0
		.amdhsa_system_sgpr_workgroup_id_x 1
		.amdhsa_system_sgpr_workgroup_id_y 0
		.amdhsa_system_sgpr_workgroup_id_z 0
		.amdhsa_system_sgpr_workgroup_info 0
		.amdhsa_system_vgpr_workitem_id 1
		.amdhsa_next_free_vgpr 23
		.amdhsa_next_free_sgpr 24
		.amdhsa_accum_offset 24
		.amdhsa_reserve_vcc 1
		.amdhsa_reserve_flat_scratch 0
		.amdhsa_float_round_mode_32 0
		.amdhsa_float_round_mode_16_64 0
		.amdhsa_float_denorm_mode_32 3
		.amdhsa_float_denorm_mode_16_64 3
		.amdhsa_dx10_clamp 1
		.amdhsa_ieee_mode 1
		.amdhsa_fp16_overflow 0
		.amdhsa_tg_split 0
		.amdhsa_exception_fp_ieee_invalid_op 0
		.amdhsa_exception_fp_denorm_src 0
		.amdhsa_exception_fp_ieee_div_zero 0
		.amdhsa_exception_fp_ieee_overflow 0
		.amdhsa_exception_fp_ieee_underflow 0
		.amdhsa_exception_fp_ieee_inexact 0
		.amdhsa_exception_int_div_zero 0
	.end_amdhsa_kernel
	.section	.text._ZN12_GLOBAL__N_120softmax_warp_forwardIN3c104HalfEffLi8ELb1ELb0ELi32EEEvPT0_PKT_iiiPKbib,"axG",@progbits,_ZN12_GLOBAL__N_120softmax_warp_forwardIN3c104HalfEffLi8ELb1ELb0ELi32EEEvPT0_PKT_iiiPKbib,comdat
.Lfunc_end122:
	.size	_ZN12_GLOBAL__N_120softmax_warp_forwardIN3c104HalfEffLi8ELb1ELb0ELi32EEEvPT0_PKT_iiiPKbib, .Lfunc_end122-_ZN12_GLOBAL__N_120softmax_warp_forwardIN3c104HalfEffLi8ELb1ELb0ELi32EEEvPT0_PKT_iiiPKbib
                                        ; -- End function
	.section	.AMDGPU.csdata,"",@progbits
; Kernel info:
; codeLenInByte = 2092
; NumSgprs: 28
; NumVgprs: 23
; NumAgprs: 0
; TotalNumVgprs: 23
; ScratchSize: 0
; MemoryBound: 0
; FloatMode: 240
; IeeeMode: 1
; LDSByteSize: 0 bytes/workgroup (compile time only)
; SGPRBlocks: 3
; VGPRBlocks: 2
; NumSGPRsForWavesPerEU: 28
; NumVGPRsForWavesPerEU: 23
; AccumOffset: 24
; Occupancy: 8
; WaveLimiterHint : 0
; COMPUTE_PGM_RSRC2:SCRATCH_EN: 0
; COMPUTE_PGM_RSRC2:USER_SGPR: 6
; COMPUTE_PGM_RSRC2:TRAP_HANDLER: 0
; COMPUTE_PGM_RSRC2:TGID_X_EN: 1
; COMPUTE_PGM_RSRC2:TGID_Y_EN: 0
; COMPUTE_PGM_RSRC2:TGID_Z_EN: 0
; COMPUTE_PGM_RSRC2:TIDIG_COMP_CNT: 1
; COMPUTE_PGM_RSRC3_GFX90A:ACCUM_OFFSET: 5
; COMPUTE_PGM_RSRC3_GFX90A:TG_SPLIT: 0
	.section	.text._ZN12_GLOBAL__N_120softmax_warp_forwardIN3c104HalfEffLi9ELb1ELb0ELi64EEEvPT0_PKT_iiiPKbib,"axG",@progbits,_ZN12_GLOBAL__N_120softmax_warp_forwardIN3c104HalfEffLi9ELb1ELb0ELi64EEEvPT0_PKT_iiiPKbib,comdat
	.globl	_ZN12_GLOBAL__N_120softmax_warp_forwardIN3c104HalfEffLi9ELb1ELb0ELi64EEEvPT0_PKT_iiiPKbib ; -- Begin function _ZN12_GLOBAL__N_120softmax_warp_forwardIN3c104HalfEffLi9ELb1ELb0ELi64EEEvPT0_PKT_iiiPKbib
	.p2align	8
	.type	_ZN12_GLOBAL__N_120softmax_warp_forwardIN3c104HalfEffLi9ELb1ELb0ELi64EEEvPT0_PKT_iiiPKbib,@function
_ZN12_GLOBAL__N_120softmax_warp_forwardIN3c104HalfEffLi9ELb1ELb0ELi64EEEvPT0_PKT_iiiPKbib: ; @_ZN12_GLOBAL__N_120softmax_warp_forwardIN3c104HalfEffLi9ELb1ELb0ELi64EEEvPT0_PKT_iiiPKbib
; %bb.0:
	s_load_dword s0, s[4:5], 0x3c
	s_load_dwordx8 s[16:23], s[4:5], 0x0
	v_bfe_u32 v1, v0, 10, 10
	v_and_b32_e32 v4, 0x3ff, v0
	v_mov_b32_e32 v9, 0xff800000
	s_waitcnt lgkmcnt(0)
	s_lshr_b32 s0, s0, 16
	s_mul_i32 s6, s6, s0
	v_add_u32_e32 v1, s6, v1
	v_sub_u32_e32 v5, s20, v1
	v_mad_u64_u32 v[0:1], s[0:1], v1, s21, v[4:5]
	v_ashrrev_i32_e32 v1, 31, v0
	v_lshlrev_b64 v[2:3], 1, v[0:1]
	v_mov_b32_e32 v6, s19
	v_add_co_u32_e32 v2, vcc, s18, v2
	v_cmp_lt_i32_e64 s[14:15], 0, v5
	v_cmp_gt_i32_e64 s[4:5], s22, v4
	v_addc_co_u32_e32 v3, vcc, v6, v3, vcc
	s_and_b64 s[2:3], s[14:15], s[4:5]
	v_mov_b32_e32 v13, 0xff800000
	s_and_saveexec_b64 s[0:1], s[2:3]
	s_cbranch_execz .LBB123_2
; %bb.1:
	global_load_ushort v6, v[2:3], off
	s_waitcnt vmcnt(0)
	v_cvt_f32_f16_e32 v13, v6
.LBB123_2:
	s_or_b64 exec, exec, s[0:1]
	v_add_u32_e32 v6, 64, v4
	v_cmp_gt_i32_e32 vcc, s22, v6
	s_and_b64 s[2:3], s[14:15], vcc
	s_and_saveexec_b64 s[0:1], s[2:3]
	s_cbranch_execz .LBB123_4
; %bb.3:
	global_load_ushort v6, v[2:3], off offset:128
	s_waitcnt vmcnt(0)
	v_cvt_f32_f16_e32 v9, v6
.LBB123_4:
	s_or_b64 exec, exec, s[0:1]
	v_add_u32_e32 v6, 0x80, v4
	v_cmp_gt_i32_e64 s[0:1], s22, v6
	s_and_b64 s[6:7], s[14:15], s[0:1]
	v_mov_b32_e32 v8, 0xff800000
	v_mov_b32_e32 v12, 0xff800000
	s_and_saveexec_b64 s[2:3], s[6:7]
	s_cbranch_execz .LBB123_6
; %bb.5:
	global_load_ushort v6, v[2:3], off offset:256
	s_waitcnt vmcnt(0)
	v_cvt_f32_f16_e32 v12, v6
.LBB123_6:
	s_or_b64 exec, exec, s[2:3]
	v_add_u32_e32 v6, 0xc0, v4
	v_cmp_gt_i32_e64 s[2:3], s22, v6
	s_and_b64 s[8:9], s[14:15], s[2:3]
	s_and_saveexec_b64 s[6:7], s[8:9]
	s_cbranch_execz .LBB123_8
; %bb.7:
	global_load_ushort v6, v[2:3], off offset:384
	s_waitcnt vmcnt(0)
	v_cvt_f32_f16_e32 v8, v6
.LBB123_8:
	s_or_b64 exec, exec, s[6:7]
	v_add_u32_e32 v6, 0x100, v4
	v_cmp_gt_i32_e64 s[6:7], s22, v6
	s_and_b64 s[10:11], s[14:15], s[6:7]
	v_mov_b32_e32 v7, 0xff800000
	v_mov_b32_e32 v11, 0xff800000
	s_and_saveexec_b64 s[8:9], s[10:11]
	s_cbranch_execz .LBB123_10
; %bb.9:
	global_load_ushort v6, v[2:3], off offset:512
	s_waitcnt vmcnt(0)
	v_cvt_f32_f16_e32 v11, v6
.LBB123_10:
	s_or_b64 exec, exec, s[8:9]
	v_add_u32_e32 v6, 0x140, v4
	v_cmp_gt_i32_e64 s[8:9], s22, v6
	s_and_b64 s[12:13], s[14:15], s[8:9]
	;; [unrolled: 24-line block ×3, first 2 shown]
	s_and_saveexec_b64 s[14:15], s[18:19]
	s_cbranch_execz .LBB123_16
; %bb.15:
	global_load_ushort v2, v[2:3], off offset:896
	s_waitcnt vmcnt(0)
	v_cvt_f32_f16_e32 v6, v2
.LBB123_16:
	s_or_b64 exec, exec, s[14:15]
	v_cmp_gt_f32_e64 s[14:15], v13, v9
	v_cndmask_b32_e64 v2, v9, v13, s[14:15]
	v_cmp_gt_f32_e64 s[14:15], v2, v12
	v_cndmask_b32_e64 v2, v12, v2, s[14:15]
	;; [unrolled: 2-line block ×5, first 2 shown]
	v_mbcnt_lo_u32_b32 v3, -1, 0
	v_cmp_gt_f32_e64 s[14:15], v2, v10
	v_mbcnt_hi_u32_b32 v3, -1, v3
	v_cndmask_b32_e64 v2, v10, v2, s[14:15]
	v_and_b32_e32 v4, 64, v3
	v_cmp_gt_f32_e64 s[14:15], v2, v6
	v_add_u32_e32 v4, 64, v4
	v_xor_b32_e32 v14, 32, v3
	v_cndmask_b32_e64 v2, v6, v2, s[14:15]
	v_cmp_lt_i32_e64 s[14:15], v14, v4
	v_cndmask_b32_e64 v14, v3, v14, s[14:15]
	v_lshlrev_b32_e32 v14, 2, v14
	ds_bpermute_b32 v15, v14, v2
	s_mov_b32 s18, 0x3fb8aa3b
	s_mov_b32 s19, 0xc2ce8ed0
	;; [unrolled: 1-line block ×3, first 2 shown]
	s_waitcnt lgkmcnt(0)
	v_cmp_lt_f32_e64 s[14:15], v2, v15
	v_cndmask_b32_e64 v2, v2, v15, s[14:15]
	v_xor_b32_e32 v15, 16, v3
	v_cmp_lt_i32_e64 s[14:15], v15, v4
	v_cndmask_b32_e64 v15, v3, v15, s[14:15]
	v_lshlrev_b32_e32 v15, 2, v15
	ds_bpermute_b32 v16, v15, v2
	s_waitcnt lgkmcnt(0)
	v_cmp_lt_f32_e64 s[14:15], v2, v16
	v_cndmask_b32_e64 v2, v2, v16, s[14:15]
	v_xor_b32_e32 v16, 8, v3
	v_cmp_lt_i32_e64 s[14:15], v16, v4
	v_cndmask_b32_e64 v16, v3, v16, s[14:15]
	v_lshlrev_b32_e32 v16, 2, v16
	ds_bpermute_b32 v17, v16, v2
	;; [unrolled: 8-line block ×5, first 2 shown]
	s_waitcnt lgkmcnt(0)
	v_cmp_lt_f32_e64 s[14:15], v2, v3
	v_cndmask_b32_e64 v20, v2, v3, s[14:15]
	v_sub_f32_e32 v2, v13, v20
	v_mul_f32_e32 v3, 0x3fb8aa3b, v2
	v_fma_f32 v4, v2, s18, -v3
	v_rndne_f32_e32 v13, v3
	v_fmac_f32_e32 v4, 0x32a5705f, v2
	v_sub_f32_e32 v3, v3, v13
	v_add_f32_e32 v3, v3, v4
	v_exp_f32_e32 v3, v3
	v_cvt_i32_f32_e32 v4, v13
	v_cmp_ngt_f32_e64 s[14:15], s19, v2
	v_sub_f32_e32 v8, v8, v20
	v_sub_f32_e32 v7, v7, v20
	v_ldexp_f32 v3, v3, v4
	v_cndmask_b32_e64 v4, 0, v3, s[14:15]
	v_sub_f32_e32 v3, v9, v20
	v_mul_f32_e32 v9, 0x3fb8aa3b, v3
	v_fma_f32 v13, v3, s18, -v9
	v_rndne_f32_e32 v21, v9
	v_fmac_f32_e32 v13, 0x32a5705f, v3
	v_sub_f32_e32 v9, v9, v21
	v_add_f32_e32 v9, v9, v13
	v_exp_f32_e32 v9, v9
	v_cvt_i32_f32_e32 v13, v21
	v_mov_b32_e32 v21, 0x7f800000
	v_cmp_nlt_f32_e64 s[14:15], s20, v2
	v_cndmask_b32_e64 v22, v21, v4, s[14:15]
	v_ldexp_f32 v4, v9, v13
	v_cmp_ngt_f32_e64 s[14:15], s19, v3
	v_cndmask_b32_e64 v9, 0, v4, s[14:15]
	v_sub_f32_e32 v4, v12, v20
	v_mul_f32_e32 v12, 0x3fb8aa3b, v4
	v_fma_f32 v13, v4, s18, -v12
	v_rndne_f32_e32 v23, v12
	v_fmac_f32_e32 v13, 0x32a5705f, v4
	v_sub_f32_e32 v12, v12, v23
	v_add_f32_e32 v12, v12, v13
	v_exp_f32_e32 v12, v12
	v_cvt_i32_f32_e32 v13, v23
	v_cmp_nlt_f32_e64 s[14:15], s20, v3
	v_cndmask_b32_e64 v9, v21, v9, s[14:15]
	v_add_f32_e32 v9, v22, v9
	v_ldexp_f32 v12, v12, v13
	v_mul_f32_e32 v13, 0x3fb8aa3b, v8
	v_fma_f32 v22, v8, s18, -v13
	v_rndne_f32_e32 v23, v13
	v_fmac_f32_e32 v22, 0x32a5705f, v8
	v_sub_f32_e32 v13, v13, v23
	v_add_f32_e32 v13, v13, v22
	v_exp_f32_e32 v13, v13
	v_cvt_i32_f32_e32 v22, v23
	v_cmp_ngt_f32_e64 s[14:15], s19, v4
	v_cndmask_b32_e64 v12, 0, v12, s[14:15]
	v_cmp_nlt_f32_e64 s[14:15], s20, v4
	v_cndmask_b32_e64 v12, v21, v12, s[14:15]
	v_add_f32_e32 v12, v9, v12
	v_ldexp_f32 v9, v13, v22
	v_cmp_ngt_f32_e64 s[14:15], s19, v8
	v_cndmask_b32_e64 v13, 0, v9, s[14:15]
	v_sub_f32_e32 v9, v11, v20
	v_mul_f32_e32 v11, 0x3fb8aa3b, v9
	v_fma_f32 v22, v9, s18, -v11
	v_rndne_f32_e32 v23, v11
	v_fmac_f32_e32 v22, 0x32a5705f, v9
	v_sub_f32_e32 v11, v11, v23
	v_add_f32_e32 v11, v11, v22
	v_exp_f32_e32 v11, v11
	v_cvt_i32_f32_e32 v22, v23
	v_cmp_nlt_f32_e64 s[14:15], s20, v8
	v_cndmask_b32_e64 v13, v21, v13, s[14:15]
	v_add_f32_e32 v12, v12, v13
	v_mul_f32_e32 v13, 0x3fb8aa3b, v7
	v_ldexp_f32 v11, v11, v22
	v_fma_f32 v22, v7, s18, -v13
	v_rndne_f32_e32 v23, v13
	v_fmac_f32_e32 v22, 0x32a5705f, v7
	v_sub_f32_e32 v13, v13, v23
	v_add_f32_e32 v13, v13, v22
	v_exp_f32_e32 v13, v13
	v_cvt_i32_f32_e32 v22, v23
	v_cmp_ngt_f32_e64 s[14:15], s19, v9
	v_cndmask_b32_e64 v11, 0, v11, s[14:15]
	v_cmp_nlt_f32_e64 s[14:15], s20, v9
	v_cndmask_b32_e64 v11, v21, v11, s[14:15]
	v_sub_f32_e32 v10, v10, v20
	v_add_f32_e32 v11, v12, v11
	v_ldexp_f32 v12, v13, v22
	v_mul_f32_e32 v13, 0x3fb8aa3b, v10
	v_fma_f32 v22, v10, s18, -v13
	v_rndne_f32_e32 v23, v13
	v_fmac_f32_e32 v22, 0x32a5705f, v10
	v_sub_f32_e32 v13, v13, v23
	v_add_f32_e32 v13, v13, v22
	v_exp_f32_e32 v13, v13
	v_cvt_i32_f32_e32 v22, v23
	v_cmp_ngt_f32_e64 s[14:15], s19, v7
	v_cndmask_b32_e64 v12, 0, v12, s[14:15]
	v_cmp_nlt_f32_e64 s[14:15], s20, v7
	v_cndmask_b32_e64 v12, v21, v12, s[14:15]
	v_sub_f32_e32 v6, v6, v20
	v_add_f32_e32 v11, v11, v12
	v_ldexp_f32 v12, v13, v22
	v_mul_f32_e32 v13, 0x3fb8aa3b, v6
	v_fma_f32 v20, v6, s18, -v13
	v_rndne_f32_e32 v22, v13
	v_fmac_f32_e32 v20, 0x32a5705f, v6
	v_sub_f32_e32 v13, v13, v22
	v_add_f32_e32 v13, v13, v20
	v_exp_f32_e32 v13, v13
	v_cvt_i32_f32_e32 v20, v22
	v_cmp_ngt_f32_e64 s[14:15], s19, v10
	v_cndmask_b32_e64 v12, 0, v12, s[14:15]
	v_cmp_nlt_f32_e64 s[14:15], s20, v10
	v_cndmask_b32_e64 v12, v21, v12, s[14:15]
	v_add_f32_e32 v11, v11, v12
	v_ldexp_f32 v12, v13, v20
	v_cmp_ngt_f32_e64 s[14:15], s19, v6
	v_cndmask_b32_e64 v12, 0, v12, s[14:15]
	v_cmp_nlt_f32_e64 s[14:15], s20, v6
	v_cndmask_b32_e64 v12, v21, v12, s[14:15]
	v_add_f32_e32 v11, v11, v12
	ds_bpermute_b32 v12, v14, v11
	v_cmp_lt_i32_e64 s[14:15], 0, v5
	s_waitcnt lgkmcnt(0)
	v_add_f32_e32 v11, v11, v12
	ds_bpermute_b32 v12, v15, v11
	s_waitcnt lgkmcnt(0)
	v_add_f32_e32 v11, v11, v12
	ds_bpermute_b32 v12, v16, v11
	;; [unrolled: 3-line block ×5, first 2 shown]
	s_and_saveexec_b64 s[18:19], s[14:15]
	s_cbranch_execz .LBB123_26
; %bb.17:
	s_and_b64 exec, exec, s[4:5]
	s_cbranch_execz .LBB123_26
; %bb.18:
	s_waitcnt lgkmcnt(0)
	v_add_f32_e32 v5, v11, v12
	s_mov_b32 s4, 0x800000
	v_mov_b32_e32 v11, 0x4f800000
	v_cmp_gt_f32_e64 s[4:5], s4, v5
	v_cndmask_b32_e64 v11, 1.0, v11, s[4:5]
	v_mul_f32_e32 v5, v5, v11
	v_log_f32_e32 v5, v5
	s_mov_b32 s14, 0x3f317217
	v_lshlrev_b64 v[0:1], 2, v[0:1]
	v_mul_f32_e32 v11, 0x3f317217, v5
	v_fma_f32 v12, v5, s14, -v11
	v_fmac_f32_e32 v12, 0x3377d1cf, v5
	s_mov_b32 s14, 0x7f800000
	v_add_f32_e32 v11, v11, v12
	v_cmp_lt_f32_e64 s[14:15], |v5|, s14
	v_cndmask_b32_e64 v5, v5, v11, s[14:15]
	v_mov_b32_e32 v11, 0x41b17218
	v_cndmask_b32_e64 v11, 0, v11, s[4:5]
	v_sub_f32_e32 v5, v5, v11
	v_mov_b32_e32 v11, s17
	v_add_co_u32_e64 v0, s[4:5], s16, v0
	v_addc_co_u32_e64 v1, s[4:5], v11, v1, s[4:5]
	v_sub_f32_e32 v2, v2, v5
	global_store_dword v[0:1], v2, off
	s_and_b64 exec, exec, vcc
	s_cbranch_execz .LBB123_26
; %bb.19:
	v_sub_f32_e32 v2, v3, v5
	global_store_dword v[0:1], v2, off offset:256
	s_and_b64 exec, exec, s[0:1]
	s_cbranch_execz .LBB123_26
; %bb.20:
	v_sub_f32_e32 v2, v4, v5
	global_store_dword v[0:1], v2, off offset:512
	s_and_b64 exec, exec, s[2:3]
	;; [unrolled: 5-line block ×6, first 2 shown]
	s_cbranch_execz .LBB123_26
; %bb.25:
	v_sub_f32_e32 v2, v6, v5
	global_store_dword v[0:1], v2, off offset:1792
.LBB123_26:
	s_endpgm
	.section	.rodata,"a",@progbits
	.p2align	6, 0x0
	.amdhsa_kernel _ZN12_GLOBAL__N_120softmax_warp_forwardIN3c104HalfEffLi9ELb1ELb0ELi64EEEvPT0_PKT_iiiPKbib
		.amdhsa_group_segment_fixed_size 0
		.amdhsa_private_segment_fixed_size 0
		.amdhsa_kernarg_size 304
		.amdhsa_user_sgpr_count 6
		.amdhsa_user_sgpr_private_segment_buffer 1
		.amdhsa_user_sgpr_dispatch_ptr 0
		.amdhsa_user_sgpr_queue_ptr 0
		.amdhsa_user_sgpr_kernarg_segment_ptr 1
		.amdhsa_user_sgpr_dispatch_id 0
		.amdhsa_user_sgpr_flat_scratch_init 0
		.amdhsa_user_sgpr_kernarg_preload_length 0
		.amdhsa_user_sgpr_kernarg_preload_offset 0
		.amdhsa_user_sgpr_private_segment_size 0
		.amdhsa_uses_dynamic_stack 0
		.amdhsa_system_sgpr_private_segment_wavefront_offset 0
		.amdhsa_system_sgpr_workgroup_id_x 1
		.amdhsa_system_sgpr_workgroup_id_y 0
		.amdhsa_system_sgpr_workgroup_id_z 0
		.amdhsa_system_sgpr_workgroup_info 0
		.amdhsa_system_vgpr_workitem_id 1
		.amdhsa_next_free_vgpr 24
		.amdhsa_next_free_sgpr 24
		.amdhsa_accum_offset 24
		.amdhsa_reserve_vcc 1
		.amdhsa_reserve_flat_scratch 0
		.amdhsa_float_round_mode_32 0
		.amdhsa_float_round_mode_16_64 0
		.amdhsa_float_denorm_mode_32 3
		.amdhsa_float_denorm_mode_16_64 3
		.amdhsa_dx10_clamp 1
		.amdhsa_ieee_mode 1
		.amdhsa_fp16_overflow 0
		.amdhsa_tg_split 0
		.amdhsa_exception_fp_ieee_invalid_op 0
		.amdhsa_exception_fp_denorm_src 0
		.amdhsa_exception_fp_ieee_div_zero 0
		.amdhsa_exception_fp_ieee_overflow 0
		.amdhsa_exception_fp_ieee_underflow 0
		.amdhsa_exception_fp_ieee_inexact 0
		.amdhsa_exception_int_div_zero 0
	.end_amdhsa_kernel
	.section	.text._ZN12_GLOBAL__N_120softmax_warp_forwardIN3c104HalfEffLi9ELb1ELb0ELi64EEEvPT0_PKT_iiiPKbib,"axG",@progbits,_ZN12_GLOBAL__N_120softmax_warp_forwardIN3c104HalfEffLi9ELb1ELb0ELi64EEEvPT0_PKT_iiiPKbib,comdat
.Lfunc_end123:
	.size	_ZN12_GLOBAL__N_120softmax_warp_forwardIN3c104HalfEffLi9ELb1ELb0ELi64EEEvPT0_PKT_iiiPKbib, .Lfunc_end123-_ZN12_GLOBAL__N_120softmax_warp_forwardIN3c104HalfEffLi9ELb1ELb0ELi64EEEvPT0_PKT_iiiPKbib
                                        ; -- End function
	.section	.AMDGPU.csdata,"",@progbits
; Kernel info:
; codeLenInByte = 2160
; NumSgprs: 28
; NumVgprs: 24
; NumAgprs: 0
; TotalNumVgprs: 24
; ScratchSize: 0
; MemoryBound: 0
; FloatMode: 240
; IeeeMode: 1
; LDSByteSize: 0 bytes/workgroup (compile time only)
; SGPRBlocks: 3
; VGPRBlocks: 2
; NumSGPRsForWavesPerEU: 28
; NumVGPRsForWavesPerEU: 24
; AccumOffset: 24
; Occupancy: 8
; WaveLimiterHint : 0
; COMPUTE_PGM_RSRC2:SCRATCH_EN: 0
; COMPUTE_PGM_RSRC2:USER_SGPR: 6
; COMPUTE_PGM_RSRC2:TRAP_HANDLER: 0
; COMPUTE_PGM_RSRC2:TGID_X_EN: 1
; COMPUTE_PGM_RSRC2:TGID_Y_EN: 0
; COMPUTE_PGM_RSRC2:TGID_Z_EN: 0
; COMPUTE_PGM_RSRC2:TIDIG_COMP_CNT: 1
; COMPUTE_PGM_RSRC3_GFX90A:ACCUM_OFFSET: 5
; COMPUTE_PGM_RSRC3_GFX90A:TG_SPLIT: 0
	.section	.text._ZN12_GLOBAL__N_120softmax_warp_forwardIN3c104HalfEffLi9ELb1ELb0ELi32EEEvPT0_PKT_iiiPKbib,"axG",@progbits,_ZN12_GLOBAL__N_120softmax_warp_forwardIN3c104HalfEffLi9ELb1ELb0ELi32EEEvPT0_PKT_iiiPKbib,comdat
	.globl	_ZN12_GLOBAL__N_120softmax_warp_forwardIN3c104HalfEffLi9ELb1ELb0ELi32EEEvPT0_PKT_iiiPKbib ; -- Begin function _ZN12_GLOBAL__N_120softmax_warp_forwardIN3c104HalfEffLi9ELb1ELb0ELi32EEEvPT0_PKT_iiiPKbib
	.p2align	8
	.type	_ZN12_GLOBAL__N_120softmax_warp_forwardIN3c104HalfEffLi9ELb1ELb0ELi32EEEvPT0_PKT_iiiPKbib,@function
_ZN12_GLOBAL__N_120softmax_warp_forwardIN3c104HalfEffLi9ELb1ELb0ELi32EEEvPT0_PKT_iiiPKbib: ; @_ZN12_GLOBAL__N_120softmax_warp_forwardIN3c104HalfEffLi9ELb1ELb0ELi32EEEvPT0_PKT_iiiPKbib
; %bb.0:
	s_load_dword s0, s[4:5], 0x3c
	s_load_dwordx8 s[36:43], s[4:5], 0x0
	v_bfe_u32 v1, v0, 10, 10
	v_and_b32_e32 v4, 0x3ff, v0
	v_mov_b32_e32 v16, 0xff800000
	s_waitcnt lgkmcnt(0)
	s_lshr_b32 s0, s0, 16
	s_mul_i32 s6, s6, s0
	v_add_u32_e32 v1, s6, v1
	v_sub_u32_e32 v5, s40, v1
	v_mad_u64_u32 v[0:1], s[0:1], v1, s41, v[4:5]
	v_ashrrev_i32_e32 v1, 31, v0
	v_lshlrev_b64 v[2:3], 1, v[0:1]
	v_mov_b32_e32 v6, s39
	v_add_co_u32_e32 v2, vcc, s38, v2
	v_cmp_lt_i32_e64 s[30:31], 0, v5
	v_cmp_gt_i32_e64 s[4:5], s42, v4
	v_addc_co_u32_e32 v3, vcc, v6, v3, vcc
	s_and_b64 s[2:3], s[30:31], s[4:5]
	v_mov_b32_e32 v22, 0xff800000
	s_and_saveexec_b64 s[0:1], s[2:3]
	s_cbranch_execz .LBB124_2
; %bb.1:
	global_load_ushort v6, v[2:3], off
	s_waitcnt vmcnt(0)
	v_cvt_f32_f16_e32 v22, v6
.LBB124_2:
	s_or_b64 exec, exec, s[0:1]
	v_add_u32_e32 v6, 32, v4
	v_cmp_gt_i32_e32 vcc, s42, v6
	s_and_b64 s[2:3], s[30:31], vcc
	s_and_saveexec_b64 s[0:1], s[2:3]
	s_cbranch_execz .LBB124_4
; %bb.3:
	global_load_ushort v6, v[2:3], off offset:64
	s_waitcnt vmcnt(0)
	v_cvt_f32_f16_e32 v16, v6
.LBB124_4:
	s_or_b64 exec, exec, s[0:1]
	v_add_u32_e32 v6, 64, v4
	v_cmp_gt_i32_e64 s[0:1], s42, v6
	s_and_b64 s[6:7], s[30:31], s[0:1]
	v_mov_b32_e32 v14, 0xff800000
	v_mov_b32_e32 v20, 0xff800000
	s_and_saveexec_b64 s[2:3], s[6:7]
	s_cbranch_execz .LBB124_6
; %bb.5:
	global_load_ushort v6, v[2:3], off offset:128
	s_waitcnt vmcnt(0)
	v_cvt_f32_f16_e32 v20, v6
.LBB124_6:
	s_or_b64 exec, exec, s[2:3]
	v_add_u32_e32 v6, 0x60, v4
	v_cmp_gt_i32_e64 s[2:3], s42, v6
	s_and_b64 s[8:9], s[30:31], s[2:3]
	s_and_saveexec_b64 s[6:7], s[8:9]
	s_cbranch_execz .LBB124_8
; %bb.7:
	global_load_ushort v6, v[2:3], off offset:192
	s_waitcnt vmcnt(0)
	v_cvt_f32_f16_e32 v14, v6
.LBB124_8:
	s_or_b64 exec, exec, s[6:7]
	v_add_u32_e32 v6, 0x80, v4
	v_cmp_gt_i32_e64 s[6:7], s42, v6
	s_and_b64 s[10:11], s[30:31], s[6:7]
	v_mov_b32_e32 v12, 0xff800000
	v_mov_b32_e32 v19, 0xff800000
	s_and_saveexec_b64 s[8:9], s[10:11]
	s_cbranch_execz .LBB124_10
; %bb.9:
	global_load_ushort v6, v[2:3], off offset:256
	s_waitcnt vmcnt(0)
	v_cvt_f32_f16_e32 v19, v6
.LBB124_10:
	s_or_b64 exec, exec, s[8:9]
	v_add_u32_e32 v6, 0xa0, v4
	v_cmp_gt_i32_e64 s[8:9], s42, v6
	s_and_b64 s[12:13], s[30:31], s[8:9]
	;; [unrolled: 24-line block ×7, first 2 shown]
	s_and_saveexec_b64 s[30:31], s[34:35]
	s_cbranch_execz .LBB124_32
; %bb.31:
	global_load_ushort v2, v[2:3], off offset:960
	s_waitcnt vmcnt(0)
	v_cvt_f32_f16_e32 v6, v2
.LBB124_32:
	s_or_b64 exec, exec, s[30:31]
	v_cmp_gt_f32_e64 s[30:31], v22, v16
	v_cndmask_b32_e64 v2, v16, v22, s[30:31]
	v_cmp_gt_f32_e64 s[30:31], v2, v20
	v_cndmask_b32_e64 v2, v20, v2, s[30:31]
	;; [unrolled: 2-line block ×13, first 2 shown]
	v_mbcnt_lo_u32_b32 v3, -1, 0
	v_cmp_gt_f32_e64 s[30:31], v2, v11
	v_mbcnt_hi_u32_b32 v3, -1, v3
	v_cndmask_b32_e64 v2, v11, v2, s[30:31]
	v_and_b32_e32 v4, 0x60, v3
	v_cmp_gt_f32_e64 s[30:31], v2, v6
	v_add_u32_e32 v25, 32, v4
	v_xor_b32_e32 v4, 16, v3
	v_cndmask_b32_e64 v2, v6, v2, s[30:31]
	v_cmp_lt_i32_e64 s[30:31], v4, v25
	v_cndmask_b32_e64 v4, v3, v4, s[30:31]
	v_lshlrev_b32_e32 v4, 2, v4
	ds_bpermute_b32 v21, v4, v2
	s_mov_b32 s34, 0x3fb8aa3b
	s_mov_b32 s33, 0xc2ce8ed0
	;; [unrolled: 1-line block ×3, first 2 shown]
	s_waitcnt lgkmcnt(0)
	v_cmp_lt_f32_e64 s[30:31], v2, v21
	v_cndmask_b32_e64 v2, v2, v21, s[30:31]
	v_xor_b32_e32 v21, 8, v3
	v_cmp_lt_i32_e64 s[30:31], v21, v25
	v_cndmask_b32_e64 v21, v3, v21, s[30:31]
	v_lshlrev_b32_e32 v21, 2, v21
	ds_bpermute_b32 v23, v21, v2
	s_waitcnt lgkmcnt(0)
	v_cmp_lt_f32_e64 s[30:31], v2, v23
	v_cndmask_b32_e64 v2, v2, v23, s[30:31]
	v_xor_b32_e32 v23, 4, v3
	v_cmp_lt_i32_e64 s[30:31], v23, v25
	v_cndmask_b32_e64 v23, v3, v23, s[30:31]
	v_lshlrev_b32_e32 v23, 2, v23
	ds_bpermute_b32 v24, v23, v2
	;; [unrolled: 8-line block ×4, first 2 shown]
	s_waitcnt lgkmcnt(0)
	v_cmp_lt_f32_e64 s[30:31], v2, v3
	v_cndmask_b32_e64 v26, v2, v3, s[30:31]
	v_sub_f32_e32 v2, v22, v26
	v_mul_f32_e32 v3, 0x3fb8aa3b, v2
	v_fma_f32 v22, v2, s34, -v3
	v_rndne_f32_e32 v27, v3
	v_fmac_f32_e32 v22, 0x32a5705f, v2
	v_sub_f32_e32 v3, v3, v27
	v_add_f32_e32 v3, v3, v22
	v_exp_f32_e32 v3, v3
	v_cvt_i32_f32_e32 v22, v27
	v_cmp_ngt_f32_e64 s[30:31], s33, v2
	v_sub_f32_e32 v14, v14, v26
	v_sub_f32_e32 v19, v19, v26
	v_ldexp_f32 v3, v3, v22
	v_cndmask_b32_e64 v27, 0, v3, s[30:31]
	v_sub_f32_e32 v3, v16, v26
	v_mul_f32_e32 v16, 0x3fb8aa3b, v3
	v_fma_f32 v22, v3, s34, -v16
	v_rndne_f32_e32 v28, v16
	v_fmac_f32_e32 v22, 0x32a5705f, v3
	v_sub_f32_e32 v16, v16, v28
	v_add_f32_e32 v16, v16, v22
	v_exp_f32_e32 v16, v16
	v_cvt_i32_f32_e32 v28, v28
	v_mov_b32_e32 v22, 0x7f800000
	v_cmp_nlt_f32_e64 s[30:31], s35, v2
	v_cndmask_b32_e64 v27, v22, v27, s[30:31]
	v_ldexp_f32 v16, v16, v28
	v_cmp_ngt_f32_e64 s[30:31], s33, v3
	v_cndmask_b32_e64 v28, 0, v16, s[30:31]
	v_sub_f32_e32 v16, v20, v26
	v_mul_f32_e32 v20, 0x3fb8aa3b, v16
	v_fma_f32 v29, v16, s34, -v20
	v_rndne_f32_e32 v30, v20
	v_fmac_f32_e32 v29, 0x32a5705f, v16
	v_sub_f32_e32 v20, v20, v30
	v_add_f32_e32 v20, v20, v29
	v_exp_f32_e32 v20, v20
	v_cvt_i32_f32_e32 v29, v30
	v_cmp_nlt_f32_e64 s[30:31], s35, v3
	v_cndmask_b32_e64 v28, v22, v28, s[30:31]
	v_add_f32_e32 v27, v27, v28
	v_mul_f32_e32 v28, 0x3fb8aa3b, v14
	v_ldexp_f32 v20, v20, v29
	v_fma_f32 v29, v14, s34, -v28
	v_rndne_f32_e32 v30, v28
	v_fmac_f32_e32 v29, 0x32a5705f, v14
	v_sub_f32_e32 v28, v28, v30
	v_add_f32_e32 v28, v28, v29
	v_exp_f32_e32 v28, v28
	v_cvt_i32_f32_e32 v29, v30
	v_cmp_ngt_f32_e64 s[30:31], s33, v16
	v_cndmask_b32_e64 v20, 0, v20, s[30:31]
	v_cmp_nlt_f32_e64 s[30:31], s35, v16
	v_cndmask_b32_e64 v20, v22, v20, s[30:31]
	v_add_f32_e32 v20, v27, v20
	v_ldexp_f32 v27, v28, v29
	v_mul_f32_e32 v28, 0x3fb8aa3b, v19
	v_fma_f32 v29, v19, s34, -v28
	v_rndne_f32_e32 v30, v28
	v_fmac_f32_e32 v29, 0x32a5705f, v19
	v_sub_f32_e32 v28, v28, v30
	v_add_f32_e32 v28, v28, v29
	v_exp_f32_e32 v28, v28
	v_cvt_i32_f32_e32 v29, v30
	v_cmp_ngt_f32_e64 s[30:31], s33, v14
	v_cndmask_b32_e64 v27, 0, v27, s[30:31]
	v_cmp_nlt_f32_e64 s[30:31], s35, v14
	v_cndmask_b32_e64 v27, v22, v27, s[30:31]
	v_sub_f32_e32 v12, v12, v26
	v_add_f32_e32 v20, v20, v27
	v_ldexp_f32 v27, v28, v29
	v_mul_f32_e32 v28, 0x3fb8aa3b, v12
	v_fma_f32 v29, v12, s34, -v28
	v_rndne_f32_e32 v30, v28
	v_fmac_f32_e32 v29, 0x32a5705f, v12
	v_sub_f32_e32 v28, v28, v30
	v_add_f32_e32 v28, v28, v29
	v_exp_f32_e32 v28, v28
	v_cvt_i32_f32_e32 v29, v30
	v_cmp_ngt_f32_e64 s[30:31], s33, v19
	v_cndmask_b32_e64 v27, 0, v27, s[30:31]
	v_cmp_nlt_f32_e64 s[30:31], s35, v19
	v_cndmask_b32_e64 v27, v22, v27, s[30:31]
	v_sub_f32_e32 v18, v18, v26
	;; [unrolled: 15-line block ×10, first 2 shown]
	v_add_f32_e32 v20, v20, v27
	v_ldexp_f32 v27, v28, v29
	v_mul_f32_e32 v28, 0x3fb8aa3b, v11
	v_fma_f32 v29, v11, s34, -v28
	v_rndne_f32_e32 v30, v28
	v_fmac_f32_e32 v29, 0x32a5705f, v11
	v_sub_f32_e32 v28, v28, v30
	v_add_f32_e32 v28, v28, v29
	v_exp_f32_e32 v28, v28
	v_cvt_i32_f32_e32 v29, v30
	v_cmp_ngt_f32_e64 s[30:31], s33, v7
	v_cndmask_b32_e64 v27, 0, v27, s[30:31]
	v_cmp_nlt_f32_e64 s[30:31], s35, v7
	v_sub_f32_e32 v6, v6, v26
	v_cndmask_b32_e64 v27, v22, v27, s[30:31]
	v_mul_f32_e32 v26, 0x3fb8aa3b, v6
	v_add_f32_e32 v20, v20, v27
	v_ldexp_f32 v27, v28, v29
	v_fma_f32 v28, v6, s34, -v26
	v_rndne_f32_e32 v29, v26
	v_fmac_f32_e32 v28, 0x32a5705f, v6
	v_sub_f32_e32 v26, v26, v29
	v_add_f32_e32 v26, v26, v28
	v_exp_f32_e32 v26, v26
	v_cvt_i32_f32_e32 v28, v29
	v_cmp_ngt_f32_e64 s[30:31], s33, v11
	v_cndmask_b32_e64 v27, 0, v27, s[30:31]
	v_cmp_nlt_f32_e64 s[30:31], s35, v11
	v_cndmask_b32_e64 v27, v22, v27, s[30:31]
	v_ldexp_f32 v26, v26, v28
	v_cmp_ngt_f32_e64 s[30:31], s33, v6
	v_cndmask_b32_e64 v26, 0, v26, s[30:31]
	v_cmp_nlt_f32_e64 s[30:31], s35, v6
	v_add_f32_e32 v20, v20, v27
	v_cndmask_b32_e64 v22, v22, v26, s[30:31]
	v_add_f32_e32 v20, v20, v22
	ds_bpermute_b32 v4, v4, v20
	v_cmp_lt_i32_e64 s[30:31], 0, v5
	s_waitcnt lgkmcnt(0)
	v_add_f32_e32 v4, v20, v4
	ds_bpermute_b32 v20, v21, v4
	s_waitcnt lgkmcnt(0)
	v_add_f32_e32 v4, v4, v20
	ds_bpermute_b32 v20, v23, v4
	;; [unrolled: 3-line block ×4, first 2 shown]
	s_and_saveexec_b64 s[34:35], s[30:31]
	s_cbranch_execz .LBB124_50
; %bb.33:
	s_and_b64 exec, exec, s[4:5]
	s_cbranch_execz .LBB124_50
; %bb.34:
	s_waitcnt lgkmcnt(0)
	v_add_f32_e32 v4, v4, v20
	s_mov_b32 s4, 0x800000
	v_mov_b32_e32 v5, 0x4f800000
	v_cmp_gt_f32_e64 s[4:5], s4, v4
	v_cndmask_b32_e64 v5, 1.0, v5, s[4:5]
	v_mul_f32_e32 v4, v4, v5
	v_log_f32_e32 v4, v4
	s_mov_b32 s30, 0x3f317217
	v_lshlrev_b64 v[0:1], 2, v[0:1]
	v_mul_f32_e32 v5, 0x3f317217, v4
	v_fma_f32 v20, v4, s30, -v5
	v_fmac_f32_e32 v20, 0x3377d1cf, v4
	s_mov_b32 s30, 0x7f800000
	v_add_f32_e32 v5, v5, v20
	v_cmp_lt_f32_e64 s[30:31], |v4|, s30
	v_cndmask_b32_e64 v4, v4, v5, s[30:31]
	v_mov_b32_e32 v5, 0x41b17218
	v_cndmask_b32_e64 v5, 0, v5, s[4:5]
	v_sub_f32_e32 v4, v4, v5
	v_mov_b32_e32 v5, s37
	v_add_co_u32_e64 v0, s[4:5], s36, v0
	v_addc_co_u32_e64 v1, s[4:5], v5, v1, s[4:5]
	v_sub_f32_e32 v2, v2, v4
	global_store_dword v[0:1], v2, off
	s_and_b64 exec, exec, vcc
	s_cbranch_execz .LBB124_50
; %bb.35:
	v_sub_f32_e32 v2, v3, v4
	global_store_dword v[0:1], v2, off offset:128
	s_and_b64 exec, exec, s[0:1]
	s_cbranch_execz .LBB124_50
; %bb.36:
	v_sub_f32_e32 v2, v16, v4
	global_store_dword v[0:1], v2, off offset:256
	s_and_b64 exec, exec, s[2:3]
	;; [unrolled: 5-line block ×14, first 2 shown]
	s_cbranch_execz .LBB124_50
; %bb.49:
	v_sub_f32_e32 v2, v6, v4
	global_store_dword v[0:1], v2, off offset:1920
.LBB124_50:
	s_endpgm
	.section	.rodata,"a",@progbits
	.p2align	6, 0x0
	.amdhsa_kernel _ZN12_GLOBAL__N_120softmax_warp_forwardIN3c104HalfEffLi9ELb1ELb0ELi32EEEvPT0_PKT_iiiPKbib
		.amdhsa_group_segment_fixed_size 0
		.amdhsa_private_segment_fixed_size 0
		.amdhsa_kernarg_size 304
		.amdhsa_user_sgpr_count 6
		.amdhsa_user_sgpr_private_segment_buffer 1
		.amdhsa_user_sgpr_dispatch_ptr 0
		.amdhsa_user_sgpr_queue_ptr 0
		.amdhsa_user_sgpr_kernarg_segment_ptr 1
		.amdhsa_user_sgpr_dispatch_id 0
		.amdhsa_user_sgpr_flat_scratch_init 0
		.amdhsa_user_sgpr_kernarg_preload_length 0
		.amdhsa_user_sgpr_kernarg_preload_offset 0
		.amdhsa_user_sgpr_private_segment_size 0
		.amdhsa_uses_dynamic_stack 0
		.amdhsa_system_sgpr_private_segment_wavefront_offset 0
		.amdhsa_system_sgpr_workgroup_id_x 1
		.amdhsa_system_sgpr_workgroup_id_y 0
		.amdhsa_system_sgpr_workgroup_id_z 0
		.amdhsa_system_sgpr_workgroup_info 0
		.amdhsa_system_vgpr_workitem_id 1
		.amdhsa_next_free_vgpr 31
		.amdhsa_next_free_sgpr 44
		.amdhsa_accum_offset 32
		.amdhsa_reserve_vcc 1
		.amdhsa_reserve_flat_scratch 0
		.amdhsa_float_round_mode_32 0
		.amdhsa_float_round_mode_16_64 0
		.amdhsa_float_denorm_mode_32 3
		.amdhsa_float_denorm_mode_16_64 3
		.amdhsa_dx10_clamp 1
		.amdhsa_ieee_mode 1
		.amdhsa_fp16_overflow 0
		.amdhsa_tg_split 0
		.amdhsa_exception_fp_ieee_invalid_op 0
		.amdhsa_exception_fp_denorm_src 0
		.amdhsa_exception_fp_ieee_div_zero 0
		.amdhsa_exception_fp_ieee_overflow 0
		.amdhsa_exception_fp_ieee_underflow 0
		.amdhsa_exception_fp_ieee_inexact 0
		.amdhsa_exception_int_div_zero 0
	.end_amdhsa_kernel
	.section	.text._ZN12_GLOBAL__N_120softmax_warp_forwardIN3c104HalfEffLi9ELb1ELb0ELi32EEEvPT0_PKT_iiiPKbib,"axG",@progbits,_ZN12_GLOBAL__N_120softmax_warp_forwardIN3c104HalfEffLi9ELb1ELb0ELi32EEEvPT0_PKT_iiiPKbib,comdat
.Lfunc_end124:
	.size	_ZN12_GLOBAL__N_120softmax_warp_forwardIN3c104HalfEffLi9ELb1ELb0ELi32EEEvPT0_PKT_iiiPKbib, .Lfunc_end124-_ZN12_GLOBAL__N_120softmax_warp_forwardIN3c104HalfEffLi9ELb1ELb0ELi32EEEvPT0_PKT_iiiPKbib
                                        ; -- End function
	.section	.AMDGPU.csdata,"",@progbits
; Kernel info:
; codeLenInByte = 3564
; NumSgprs: 48
; NumVgprs: 31
; NumAgprs: 0
; TotalNumVgprs: 31
; ScratchSize: 0
; MemoryBound: 0
; FloatMode: 240
; IeeeMode: 1
; LDSByteSize: 0 bytes/workgroup (compile time only)
; SGPRBlocks: 5
; VGPRBlocks: 3
; NumSGPRsForWavesPerEU: 48
; NumVGPRsForWavesPerEU: 31
; AccumOffset: 32
; Occupancy: 8
; WaveLimiterHint : 0
; COMPUTE_PGM_RSRC2:SCRATCH_EN: 0
; COMPUTE_PGM_RSRC2:USER_SGPR: 6
; COMPUTE_PGM_RSRC2:TRAP_HANDLER: 0
; COMPUTE_PGM_RSRC2:TGID_X_EN: 1
; COMPUTE_PGM_RSRC2:TGID_Y_EN: 0
; COMPUTE_PGM_RSRC2:TGID_Z_EN: 0
; COMPUTE_PGM_RSRC2:TIDIG_COMP_CNT: 1
; COMPUTE_PGM_RSRC3_GFX90A:ACCUM_OFFSET: 7
; COMPUTE_PGM_RSRC3_GFX90A:TG_SPLIT: 0
	.section	.text._ZN12_GLOBAL__N_120softmax_warp_forwardIN3c104HalfEffLi10ELb1ELb0ELi64EEEvPT0_PKT_iiiPKbib,"axG",@progbits,_ZN12_GLOBAL__N_120softmax_warp_forwardIN3c104HalfEffLi10ELb1ELb0ELi64EEEvPT0_PKT_iiiPKbib,comdat
	.globl	_ZN12_GLOBAL__N_120softmax_warp_forwardIN3c104HalfEffLi10ELb1ELb0ELi64EEEvPT0_PKT_iiiPKbib ; -- Begin function _ZN12_GLOBAL__N_120softmax_warp_forwardIN3c104HalfEffLi10ELb1ELb0ELi64EEEvPT0_PKT_iiiPKbib
	.p2align	8
	.type	_ZN12_GLOBAL__N_120softmax_warp_forwardIN3c104HalfEffLi10ELb1ELb0ELi64EEEvPT0_PKT_iiiPKbib,@function
_ZN12_GLOBAL__N_120softmax_warp_forwardIN3c104HalfEffLi10ELb1ELb0ELi64EEEvPT0_PKT_iiiPKbib: ; @_ZN12_GLOBAL__N_120softmax_warp_forwardIN3c104HalfEffLi10ELb1ELb0ELi64EEEvPT0_PKT_iiiPKbib
; %bb.0:
	s_load_dword s0, s[4:5], 0x3c
	s_load_dwordx8 s[36:43], s[4:5], 0x0
	v_bfe_u32 v1, v0, 10, 10
	v_and_b32_e32 v4, 0x3ff, v0
	v_mov_b32_e32 v16, 0xff800000
	s_waitcnt lgkmcnt(0)
	s_lshr_b32 s0, s0, 16
	s_mul_i32 s6, s6, s0
	v_add_u32_e32 v1, s6, v1
	v_sub_u32_e32 v5, s40, v1
	v_mad_u64_u32 v[0:1], s[0:1], v1, s41, v[4:5]
	v_ashrrev_i32_e32 v1, 31, v0
	v_lshlrev_b64 v[2:3], 1, v[0:1]
	v_mov_b32_e32 v6, s39
	v_add_co_u32_e32 v2, vcc, s38, v2
	v_cmp_lt_i32_e64 s[30:31], 0, v5
	v_cmp_gt_i32_e64 s[4:5], s42, v4
	v_addc_co_u32_e32 v3, vcc, v6, v3, vcc
	s_and_b64 s[2:3], s[30:31], s[4:5]
	v_mov_b32_e32 v22, 0xff800000
	s_and_saveexec_b64 s[0:1], s[2:3]
	s_cbranch_execz .LBB125_2
; %bb.1:
	global_load_ushort v6, v[2:3], off
	s_waitcnt vmcnt(0)
	v_cvt_f32_f16_e32 v22, v6
.LBB125_2:
	s_or_b64 exec, exec, s[0:1]
	v_add_u32_e32 v6, 64, v4
	v_cmp_gt_i32_e32 vcc, s42, v6
	s_and_b64 s[2:3], s[30:31], vcc
	s_and_saveexec_b64 s[0:1], s[2:3]
	s_cbranch_execz .LBB125_4
; %bb.3:
	global_load_ushort v6, v[2:3], off offset:128
	s_waitcnt vmcnt(0)
	v_cvt_f32_f16_e32 v16, v6
.LBB125_4:
	s_or_b64 exec, exec, s[0:1]
	v_add_u32_e32 v6, 0x80, v4
	v_cmp_gt_i32_e64 s[0:1], s42, v6
	s_and_b64 s[6:7], s[30:31], s[0:1]
	v_mov_b32_e32 v14, 0xff800000
	v_mov_b32_e32 v20, 0xff800000
	s_and_saveexec_b64 s[2:3], s[6:7]
	s_cbranch_execz .LBB125_6
; %bb.5:
	global_load_ushort v6, v[2:3], off offset:256
	s_waitcnt vmcnt(0)
	v_cvt_f32_f16_e32 v20, v6
.LBB125_6:
	s_or_b64 exec, exec, s[2:3]
	v_add_u32_e32 v6, 0xc0, v4
	v_cmp_gt_i32_e64 s[2:3], s42, v6
	s_and_b64 s[8:9], s[30:31], s[2:3]
	s_and_saveexec_b64 s[6:7], s[8:9]
	s_cbranch_execz .LBB125_8
; %bb.7:
	global_load_ushort v6, v[2:3], off offset:384
	s_waitcnt vmcnt(0)
	v_cvt_f32_f16_e32 v14, v6
.LBB125_8:
	s_or_b64 exec, exec, s[6:7]
	v_add_u32_e32 v6, 0x100, v4
	v_cmp_gt_i32_e64 s[6:7], s42, v6
	s_and_b64 s[10:11], s[30:31], s[6:7]
	v_mov_b32_e32 v12, 0xff800000
	v_mov_b32_e32 v19, 0xff800000
	s_and_saveexec_b64 s[8:9], s[10:11]
	s_cbranch_execz .LBB125_10
; %bb.9:
	global_load_ushort v6, v[2:3], off offset:512
	s_waitcnt vmcnt(0)
	v_cvt_f32_f16_e32 v19, v6
.LBB125_10:
	s_or_b64 exec, exec, s[8:9]
	v_add_u32_e32 v6, 0x140, v4
	v_cmp_gt_i32_e64 s[8:9], s42, v6
	s_and_b64 s[12:13], s[30:31], s[8:9]
	s_and_saveexec_b64 s[10:11], s[12:13]
	s_cbranch_execz .LBB125_12
; %bb.11:
	global_load_ushort v6, v[2:3], off offset:640
	s_waitcnt vmcnt(0)
	v_cvt_f32_f16_e32 v12, v6
.LBB125_12:
	s_or_b64 exec, exec, s[10:11]
	v_add_u32_e32 v6, 0x180, v4
	v_cmp_gt_i32_e64 s[10:11], s42, v6
	s_and_b64 s[14:15], s[30:31], s[10:11]
	v_mov_b32_e32 v10, 0xff800000
	v_mov_b32_e32 v18, 0xff800000
	s_and_saveexec_b64 s[12:13], s[14:15]
	s_cbranch_execz .LBB125_14
; %bb.13:
	global_load_ushort v6, v[2:3], off offset:768
	s_waitcnt vmcnt(0)
	v_cvt_f32_f16_e32 v18, v6
.LBB125_14:
	s_or_b64 exec, exec, s[12:13]
	v_add_u32_e32 v6, 0x1c0, v4
	v_cmp_gt_i32_e64 s[12:13], s42, v6
	s_and_b64 s[16:17], s[30:31], s[12:13]
	s_and_saveexec_b64 s[14:15], s[16:17]
	s_cbranch_execz .LBB125_16
; %bb.15:
	global_load_ushort v6, v[2:3], off offset:896
	s_waitcnt vmcnt(0)
	v_cvt_f32_f16_e32 v10, v6
.LBB125_16:
	s_or_b64 exec, exec, s[14:15]
	v_add_u32_e32 v6, 0x200, v4
	v_cmp_gt_i32_e64 s[14:15], s42, v6
	s_and_b64 s[18:19], s[30:31], s[14:15]
	v_mov_b32_e32 v9, 0xff800000
	v_mov_b32_e32 v17, 0xff800000
	s_and_saveexec_b64 s[16:17], s[18:19]
	s_cbranch_execz .LBB125_18
; %bb.17:
	global_load_ushort v6, v[2:3], off offset:1024
	s_waitcnt vmcnt(0)
	v_cvt_f32_f16_e32 v17, v6
.LBB125_18:
	s_or_b64 exec, exec, s[16:17]
	v_add_u32_e32 v6, 0x240, v4
	v_cmp_gt_i32_e64 s[16:17], s42, v6
	s_and_b64 s[20:21], s[30:31], s[16:17]
	s_and_saveexec_b64 s[18:19], s[20:21]
	s_cbranch_execz .LBB125_20
; %bb.19:
	global_load_ushort v6, v[2:3], off offset:1152
	s_waitcnt vmcnt(0)
	v_cvt_f32_f16_e32 v9, v6
.LBB125_20:
	s_or_b64 exec, exec, s[18:19]
	v_add_u32_e32 v6, 0x280, v4
	v_cmp_gt_i32_e64 s[18:19], s42, v6
	s_and_b64 s[22:23], s[30:31], s[18:19]
	v_mov_b32_e32 v8, 0xff800000
	v_mov_b32_e32 v15, 0xff800000
	s_and_saveexec_b64 s[20:21], s[22:23]
	s_cbranch_execz .LBB125_22
; %bb.21:
	global_load_ushort v6, v[2:3], off offset:1280
	s_waitcnt vmcnt(0)
	v_cvt_f32_f16_e32 v15, v6
.LBB125_22:
	s_or_b64 exec, exec, s[20:21]
	v_add_u32_e32 v6, 0x2c0, v4
	v_cmp_gt_i32_e64 s[20:21], s42, v6
	s_and_b64 s[24:25], s[30:31], s[20:21]
	s_and_saveexec_b64 s[22:23], s[24:25]
	s_cbranch_execz .LBB125_24
; %bb.23:
	global_load_ushort v6, v[2:3], off offset:1408
	s_waitcnt vmcnt(0)
	v_cvt_f32_f16_e32 v8, v6
.LBB125_24:
	s_or_b64 exec, exec, s[22:23]
	v_add_u32_e32 v6, 0x300, v4
	v_cmp_gt_i32_e64 s[22:23], s42, v6
	s_and_b64 s[26:27], s[30:31], s[22:23]
	v_mov_b32_e32 v7, 0xff800000
	v_mov_b32_e32 v13, 0xff800000
	s_and_saveexec_b64 s[24:25], s[26:27]
	s_cbranch_execz .LBB125_26
; %bb.25:
	global_load_ushort v6, v[2:3], off offset:1536
	s_waitcnt vmcnt(0)
	v_cvt_f32_f16_e32 v13, v6
.LBB125_26:
	s_or_b64 exec, exec, s[24:25]
	v_add_u32_e32 v6, 0x340, v4
	v_cmp_gt_i32_e64 s[24:25], s42, v6
	s_and_b64 s[28:29], s[30:31], s[24:25]
	s_and_saveexec_b64 s[26:27], s[28:29]
	s_cbranch_execz .LBB125_28
; %bb.27:
	global_load_ushort v6, v[2:3], off offset:1664
	s_waitcnt vmcnt(0)
	v_cvt_f32_f16_e32 v7, v6
.LBB125_28:
	s_or_b64 exec, exec, s[26:27]
	v_add_u32_e32 v6, 0x380, v4
	v_cmp_gt_i32_e64 s[26:27], s42, v6
	s_and_b64 s[34:35], s[30:31], s[26:27]
	v_mov_b32_e32 v6, 0xff800000
	v_mov_b32_e32 v11, 0xff800000
	s_and_saveexec_b64 s[28:29], s[34:35]
	s_cbranch_execz .LBB125_30
; %bb.29:
	global_load_ushort v11, v[2:3], off offset:1792
	s_waitcnt vmcnt(0)
	v_cvt_f32_f16_e32 v11, v11
.LBB125_30:
	s_or_b64 exec, exec, s[28:29]
	v_add_u32_e32 v4, 0x3c0, v4
	v_cmp_gt_i32_e64 s[28:29], s42, v4
	s_and_b64 s[34:35], s[30:31], s[28:29]
	s_and_saveexec_b64 s[30:31], s[34:35]
	s_cbranch_execz .LBB125_32
; %bb.31:
	global_load_ushort v2, v[2:3], off offset:1920
	s_waitcnt vmcnt(0)
	v_cvt_f32_f16_e32 v6, v2
.LBB125_32:
	s_or_b64 exec, exec, s[30:31]
	v_cmp_gt_f32_e64 s[30:31], v22, v16
	v_cndmask_b32_e64 v2, v16, v22, s[30:31]
	v_cmp_gt_f32_e64 s[30:31], v2, v20
	v_cndmask_b32_e64 v2, v20, v2, s[30:31]
	;; [unrolled: 2-line block ×13, first 2 shown]
	v_mbcnt_lo_u32_b32 v3, -1, 0
	v_cmp_gt_f32_e64 s[30:31], v2, v11
	v_mbcnt_hi_u32_b32 v3, -1, v3
	v_cndmask_b32_e64 v2, v11, v2, s[30:31]
	v_and_b32_e32 v4, 64, v3
	v_cmp_gt_f32_e64 s[30:31], v2, v6
	v_add_u32_e32 v26, 64, v4
	v_xor_b32_e32 v4, 32, v3
	v_cndmask_b32_e64 v2, v6, v2, s[30:31]
	v_cmp_lt_i32_e64 s[30:31], v4, v26
	v_cndmask_b32_e64 v4, v3, v4, s[30:31]
	v_lshlrev_b32_e32 v4, 2, v4
	ds_bpermute_b32 v21, v4, v2
	s_mov_b32 s34, 0x3fb8aa3b
	s_mov_b32 s33, 0xc2ce8ed0
	;; [unrolled: 1-line block ×3, first 2 shown]
	s_waitcnt lgkmcnt(0)
	v_cmp_lt_f32_e64 s[30:31], v2, v21
	v_cndmask_b32_e64 v2, v2, v21, s[30:31]
	v_xor_b32_e32 v21, 16, v3
	v_cmp_lt_i32_e64 s[30:31], v21, v26
	v_cndmask_b32_e64 v21, v3, v21, s[30:31]
	v_lshlrev_b32_e32 v21, 2, v21
	ds_bpermute_b32 v23, v21, v2
	s_waitcnt lgkmcnt(0)
	v_cmp_lt_f32_e64 s[30:31], v2, v23
	v_cndmask_b32_e64 v2, v2, v23, s[30:31]
	v_xor_b32_e32 v23, 8, v3
	v_cmp_lt_i32_e64 s[30:31], v23, v26
	v_cndmask_b32_e64 v23, v3, v23, s[30:31]
	v_lshlrev_b32_e32 v23, 2, v23
	ds_bpermute_b32 v24, v23, v2
	;; [unrolled: 8-line block ×5, first 2 shown]
	s_waitcnt lgkmcnt(0)
	v_cmp_lt_f32_e64 s[30:31], v2, v3
	v_cndmask_b32_e64 v27, v2, v3, s[30:31]
	v_sub_f32_e32 v2, v22, v27
	v_mul_f32_e32 v3, 0x3fb8aa3b, v2
	v_fma_f32 v22, v2, s34, -v3
	v_rndne_f32_e32 v28, v3
	v_fmac_f32_e32 v22, 0x32a5705f, v2
	v_sub_f32_e32 v3, v3, v28
	v_add_f32_e32 v3, v3, v22
	v_exp_f32_e32 v3, v3
	v_cvt_i32_f32_e32 v22, v28
	v_cmp_ngt_f32_e64 s[30:31], s33, v2
	v_sub_f32_e32 v14, v14, v27
	v_sub_f32_e32 v19, v19, v27
	v_ldexp_f32 v3, v3, v22
	v_cndmask_b32_e64 v28, 0, v3, s[30:31]
	v_sub_f32_e32 v3, v16, v27
	v_mul_f32_e32 v16, 0x3fb8aa3b, v3
	v_fma_f32 v22, v3, s34, -v16
	v_rndne_f32_e32 v29, v16
	v_fmac_f32_e32 v22, 0x32a5705f, v3
	v_sub_f32_e32 v16, v16, v29
	v_add_f32_e32 v16, v16, v22
	v_exp_f32_e32 v16, v16
	v_cvt_i32_f32_e32 v29, v29
	v_mov_b32_e32 v22, 0x7f800000
	v_cmp_nlt_f32_e64 s[30:31], s35, v2
	v_cndmask_b32_e64 v28, v22, v28, s[30:31]
	v_ldexp_f32 v16, v16, v29
	v_cmp_ngt_f32_e64 s[30:31], s33, v3
	v_cndmask_b32_e64 v29, 0, v16, s[30:31]
	v_sub_f32_e32 v16, v20, v27
	v_mul_f32_e32 v20, 0x3fb8aa3b, v16
	v_fma_f32 v30, v16, s34, -v20
	v_rndne_f32_e32 v31, v20
	v_fmac_f32_e32 v30, 0x32a5705f, v16
	v_sub_f32_e32 v20, v20, v31
	v_add_f32_e32 v20, v20, v30
	v_exp_f32_e32 v20, v20
	v_cvt_i32_f32_e32 v30, v31
	v_cmp_nlt_f32_e64 s[30:31], s35, v3
	v_cndmask_b32_e64 v29, v22, v29, s[30:31]
	v_add_f32_e32 v28, v28, v29
	v_mul_f32_e32 v29, 0x3fb8aa3b, v14
	v_ldexp_f32 v20, v20, v30
	v_fma_f32 v30, v14, s34, -v29
	v_rndne_f32_e32 v31, v29
	v_fmac_f32_e32 v30, 0x32a5705f, v14
	v_sub_f32_e32 v29, v29, v31
	v_add_f32_e32 v29, v29, v30
	v_exp_f32_e32 v29, v29
	v_cvt_i32_f32_e32 v30, v31
	v_cmp_ngt_f32_e64 s[30:31], s33, v16
	v_cndmask_b32_e64 v20, 0, v20, s[30:31]
	v_cmp_nlt_f32_e64 s[30:31], s35, v16
	v_cndmask_b32_e64 v20, v22, v20, s[30:31]
	v_add_f32_e32 v20, v28, v20
	v_ldexp_f32 v28, v29, v30
	v_mul_f32_e32 v29, 0x3fb8aa3b, v19
	v_fma_f32 v30, v19, s34, -v29
	v_rndne_f32_e32 v31, v29
	v_fmac_f32_e32 v30, 0x32a5705f, v19
	v_sub_f32_e32 v29, v29, v31
	v_add_f32_e32 v29, v29, v30
	v_exp_f32_e32 v29, v29
	v_cvt_i32_f32_e32 v30, v31
	v_cmp_ngt_f32_e64 s[30:31], s33, v14
	v_cndmask_b32_e64 v28, 0, v28, s[30:31]
	v_cmp_nlt_f32_e64 s[30:31], s35, v14
	v_cndmask_b32_e64 v28, v22, v28, s[30:31]
	v_sub_f32_e32 v12, v12, v27
	v_add_f32_e32 v20, v20, v28
	v_ldexp_f32 v28, v29, v30
	v_mul_f32_e32 v29, 0x3fb8aa3b, v12
	v_fma_f32 v30, v12, s34, -v29
	v_rndne_f32_e32 v31, v29
	v_fmac_f32_e32 v30, 0x32a5705f, v12
	v_sub_f32_e32 v29, v29, v31
	v_add_f32_e32 v29, v29, v30
	v_exp_f32_e32 v29, v29
	v_cvt_i32_f32_e32 v30, v31
	v_cmp_ngt_f32_e64 s[30:31], s33, v19
	v_cndmask_b32_e64 v28, 0, v28, s[30:31]
	v_cmp_nlt_f32_e64 s[30:31], s35, v19
	v_cndmask_b32_e64 v28, v22, v28, s[30:31]
	v_sub_f32_e32 v18, v18, v27
	v_add_f32_e32 v20, v20, v28
	v_ldexp_f32 v28, v29, v30
	v_mul_f32_e32 v29, 0x3fb8aa3b, v18
	v_fma_f32 v30, v18, s34, -v29
	v_rndne_f32_e32 v31, v29
	v_fmac_f32_e32 v30, 0x32a5705f, v18
	v_sub_f32_e32 v29, v29, v31
	v_add_f32_e32 v29, v29, v30
	v_exp_f32_e32 v29, v29
	v_cvt_i32_f32_e32 v30, v31
	v_cmp_ngt_f32_e64 s[30:31], s33, v12
	v_cndmask_b32_e64 v28, 0, v28, s[30:31]
	v_cmp_nlt_f32_e64 s[30:31], s35, v12
	v_cndmask_b32_e64 v28, v22, v28, s[30:31]
	v_sub_f32_e32 v10, v10, v27
	v_add_f32_e32 v20, v20, v28
	v_ldexp_f32 v28, v29, v30
	v_mul_f32_e32 v29, 0x3fb8aa3b, v10
	v_fma_f32 v30, v10, s34, -v29
	v_rndne_f32_e32 v31, v29
	v_fmac_f32_e32 v30, 0x32a5705f, v10
	v_sub_f32_e32 v29, v29, v31
	v_add_f32_e32 v29, v29, v30
	v_exp_f32_e32 v29, v29
	v_cvt_i32_f32_e32 v30, v31
	v_cmp_ngt_f32_e64 s[30:31], s33, v18
	v_cndmask_b32_e64 v28, 0, v28, s[30:31]
	v_cmp_nlt_f32_e64 s[30:31], s35, v18
	v_cndmask_b32_e64 v28, v22, v28, s[30:31]
	v_sub_f32_e32 v17, v17, v27
	v_add_f32_e32 v20, v20, v28
	v_ldexp_f32 v28, v29, v30
	v_mul_f32_e32 v29, 0x3fb8aa3b, v17
	v_fma_f32 v30, v17, s34, -v29
	v_rndne_f32_e32 v31, v29
	v_fmac_f32_e32 v30, 0x32a5705f, v17
	v_sub_f32_e32 v29, v29, v31
	v_add_f32_e32 v29, v29, v30
	v_exp_f32_e32 v29, v29
	v_cvt_i32_f32_e32 v30, v31
	v_cmp_ngt_f32_e64 s[30:31], s33, v10
	v_cndmask_b32_e64 v28, 0, v28, s[30:31]
	v_cmp_nlt_f32_e64 s[30:31], s35, v10
	v_cndmask_b32_e64 v28, v22, v28, s[30:31]
	v_sub_f32_e32 v9, v9, v27
	v_add_f32_e32 v20, v20, v28
	v_ldexp_f32 v28, v29, v30
	v_mul_f32_e32 v29, 0x3fb8aa3b, v9
	v_fma_f32 v30, v9, s34, -v29
	v_rndne_f32_e32 v31, v29
	v_fmac_f32_e32 v30, 0x32a5705f, v9
	v_sub_f32_e32 v29, v29, v31
	v_add_f32_e32 v29, v29, v30
	v_exp_f32_e32 v29, v29
	v_cvt_i32_f32_e32 v30, v31
	v_cmp_ngt_f32_e64 s[30:31], s33, v17
	v_cndmask_b32_e64 v28, 0, v28, s[30:31]
	v_cmp_nlt_f32_e64 s[30:31], s35, v17
	v_cndmask_b32_e64 v28, v22, v28, s[30:31]
	v_sub_f32_e32 v15, v15, v27
	v_add_f32_e32 v20, v20, v28
	v_ldexp_f32 v28, v29, v30
	v_mul_f32_e32 v29, 0x3fb8aa3b, v15
	v_fma_f32 v30, v15, s34, -v29
	v_rndne_f32_e32 v31, v29
	v_fmac_f32_e32 v30, 0x32a5705f, v15
	v_sub_f32_e32 v29, v29, v31
	v_add_f32_e32 v29, v29, v30
	v_exp_f32_e32 v29, v29
	v_cvt_i32_f32_e32 v30, v31
	v_cmp_ngt_f32_e64 s[30:31], s33, v9
	v_cndmask_b32_e64 v28, 0, v28, s[30:31]
	v_cmp_nlt_f32_e64 s[30:31], s35, v9
	v_cndmask_b32_e64 v28, v22, v28, s[30:31]
	v_sub_f32_e32 v8, v8, v27
	v_add_f32_e32 v20, v20, v28
	v_ldexp_f32 v28, v29, v30
	v_mul_f32_e32 v29, 0x3fb8aa3b, v8
	v_fma_f32 v30, v8, s34, -v29
	v_rndne_f32_e32 v31, v29
	v_fmac_f32_e32 v30, 0x32a5705f, v8
	v_sub_f32_e32 v29, v29, v31
	v_add_f32_e32 v29, v29, v30
	v_exp_f32_e32 v29, v29
	v_cvt_i32_f32_e32 v30, v31
	v_cmp_ngt_f32_e64 s[30:31], s33, v15
	v_cndmask_b32_e64 v28, 0, v28, s[30:31]
	v_cmp_nlt_f32_e64 s[30:31], s35, v15
	v_cndmask_b32_e64 v28, v22, v28, s[30:31]
	v_sub_f32_e32 v13, v13, v27
	v_add_f32_e32 v20, v20, v28
	v_ldexp_f32 v28, v29, v30
	v_mul_f32_e32 v29, 0x3fb8aa3b, v13
	v_fma_f32 v30, v13, s34, -v29
	v_rndne_f32_e32 v31, v29
	v_fmac_f32_e32 v30, 0x32a5705f, v13
	v_sub_f32_e32 v29, v29, v31
	v_add_f32_e32 v29, v29, v30
	v_exp_f32_e32 v29, v29
	v_cvt_i32_f32_e32 v30, v31
	v_cmp_ngt_f32_e64 s[30:31], s33, v8
	v_cndmask_b32_e64 v28, 0, v28, s[30:31]
	v_cmp_nlt_f32_e64 s[30:31], s35, v8
	v_cndmask_b32_e64 v28, v22, v28, s[30:31]
	v_sub_f32_e32 v7, v7, v27
	v_add_f32_e32 v20, v20, v28
	v_ldexp_f32 v28, v29, v30
	v_mul_f32_e32 v29, 0x3fb8aa3b, v7
	v_fma_f32 v30, v7, s34, -v29
	v_rndne_f32_e32 v31, v29
	v_fmac_f32_e32 v30, 0x32a5705f, v7
	v_sub_f32_e32 v29, v29, v31
	v_add_f32_e32 v29, v29, v30
	v_exp_f32_e32 v29, v29
	v_cvt_i32_f32_e32 v30, v31
	v_cmp_ngt_f32_e64 s[30:31], s33, v13
	v_cndmask_b32_e64 v28, 0, v28, s[30:31]
	v_cmp_nlt_f32_e64 s[30:31], s35, v13
	v_cndmask_b32_e64 v28, v22, v28, s[30:31]
	v_sub_f32_e32 v11, v11, v27
	v_add_f32_e32 v20, v20, v28
	v_ldexp_f32 v28, v29, v30
	v_mul_f32_e32 v29, 0x3fb8aa3b, v11
	v_fma_f32 v30, v11, s34, -v29
	v_rndne_f32_e32 v31, v29
	v_fmac_f32_e32 v30, 0x32a5705f, v11
	v_sub_f32_e32 v29, v29, v31
	v_add_f32_e32 v29, v29, v30
	v_exp_f32_e32 v29, v29
	v_cvt_i32_f32_e32 v30, v31
	v_cmp_ngt_f32_e64 s[30:31], s33, v7
	v_cndmask_b32_e64 v28, 0, v28, s[30:31]
	v_cmp_nlt_f32_e64 s[30:31], s35, v7
	v_sub_f32_e32 v6, v6, v27
	v_cndmask_b32_e64 v28, v22, v28, s[30:31]
	v_mul_f32_e32 v27, 0x3fb8aa3b, v6
	v_add_f32_e32 v20, v20, v28
	v_ldexp_f32 v28, v29, v30
	v_fma_f32 v29, v6, s34, -v27
	v_rndne_f32_e32 v30, v27
	v_fmac_f32_e32 v29, 0x32a5705f, v6
	v_sub_f32_e32 v27, v27, v30
	v_add_f32_e32 v27, v27, v29
	v_exp_f32_e32 v27, v27
	v_cvt_i32_f32_e32 v29, v30
	v_cmp_ngt_f32_e64 s[30:31], s33, v11
	v_cndmask_b32_e64 v28, 0, v28, s[30:31]
	v_cmp_nlt_f32_e64 s[30:31], s35, v11
	v_cndmask_b32_e64 v28, v22, v28, s[30:31]
	v_ldexp_f32 v27, v27, v29
	v_cmp_ngt_f32_e64 s[30:31], s33, v6
	v_cndmask_b32_e64 v27, 0, v27, s[30:31]
	v_cmp_nlt_f32_e64 s[30:31], s35, v6
	v_add_f32_e32 v20, v20, v28
	v_cndmask_b32_e64 v22, v22, v27, s[30:31]
	v_add_f32_e32 v20, v20, v22
	ds_bpermute_b32 v4, v4, v20
	v_cmp_lt_i32_e64 s[30:31], 0, v5
	s_waitcnt lgkmcnt(0)
	v_add_f32_e32 v4, v20, v4
	ds_bpermute_b32 v20, v21, v4
	s_waitcnt lgkmcnt(0)
	v_add_f32_e32 v4, v4, v20
	ds_bpermute_b32 v20, v23, v4
	s_waitcnt lgkmcnt(0)
	v_add_f32_e32 v4, v4, v20
	ds_bpermute_b32 v20, v24, v4
	s_waitcnt lgkmcnt(0)
	v_add_f32_e32 v4, v4, v20
	ds_bpermute_b32 v20, v25, v4
	s_waitcnt lgkmcnt(0)
	v_add_f32_e32 v4, v4, v20
	ds_bpermute_b32 v20, v26, v4
	s_and_saveexec_b64 s[34:35], s[30:31]
	s_cbranch_execz .LBB125_50
; %bb.33:
	s_and_b64 exec, exec, s[4:5]
	s_cbranch_execz .LBB125_50
; %bb.34:
	s_waitcnt lgkmcnt(0)
	v_add_f32_e32 v4, v4, v20
	s_mov_b32 s4, 0x800000
	v_mov_b32_e32 v5, 0x4f800000
	v_cmp_gt_f32_e64 s[4:5], s4, v4
	v_cndmask_b32_e64 v5, 1.0, v5, s[4:5]
	v_mul_f32_e32 v4, v4, v5
	v_log_f32_e32 v4, v4
	s_mov_b32 s30, 0x3f317217
	v_lshlrev_b64 v[0:1], 2, v[0:1]
	v_mul_f32_e32 v5, 0x3f317217, v4
	v_fma_f32 v20, v4, s30, -v5
	v_fmac_f32_e32 v20, 0x3377d1cf, v4
	s_mov_b32 s30, 0x7f800000
	v_add_f32_e32 v5, v5, v20
	v_cmp_lt_f32_e64 s[30:31], |v4|, s30
	v_cndmask_b32_e64 v4, v4, v5, s[30:31]
	v_mov_b32_e32 v5, 0x41b17218
	v_cndmask_b32_e64 v5, 0, v5, s[4:5]
	v_sub_f32_e32 v4, v4, v5
	v_mov_b32_e32 v5, s37
	v_add_co_u32_e64 v0, s[4:5], s36, v0
	v_addc_co_u32_e64 v1, s[4:5], v5, v1, s[4:5]
	v_sub_f32_e32 v2, v2, v4
	global_store_dword v[0:1], v2, off
	s_and_b64 exec, exec, vcc
	s_cbranch_execz .LBB125_50
; %bb.35:
	v_sub_f32_e32 v2, v3, v4
	global_store_dword v[0:1], v2, off offset:256
	s_and_b64 exec, exec, s[0:1]
	s_cbranch_execz .LBB125_50
; %bb.36:
	v_sub_f32_e32 v2, v16, v4
	global_store_dword v[0:1], v2, off offset:512
	s_and_b64 exec, exec, s[2:3]
	;; [unrolled: 5-line block ×14, first 2 shown]
	s_cbranch_execz .LBB125_50
; %bb.49:
	v_sub_f32_e32 v2, v6, v4
	global_store_dword v[0:1], v2, off offset:3840
.LBB125_50:
	s_endpgm
	.section	.rodata,"a",@progbits
	.p2align	6, 0x0
	.amdhsa_kernel _ZN12_GLOBAL__N_120softmax_warp_forwardIN3c104HalfEffLi10ELb1ELb0ELi64EEEvPT0_PKT_iiiPKbib
		.amdhsa_group_segment_fixed_size 0
		.amdhsa_private_segment_fixed_size 0
		.amdhsa_kernarg_size 304
		.amdhsa_user_sgpr_count 6
		.amdhsa_user_sgpr_private_segment_buffer 1
		.amdhsa_user_sgpr_dispatch_ptr 0
		.amdhsa_user_sgpr_queue_ptr 0
		.amdhsa_user_sgpr_kernarg_segment_ptr 1
		.amdhsa_user_sgpr_dispatch_id 0
		.amdhsa_user_sgpr_flat_scratch_init 0
		.amdhsa_user_sgpr_kernarg_preload_length 0
		.amdhsa_user_sgpr_kernarg_preload_offset 0
		.amdhsa_user_sgpr_private_segment_size 0
		.amdhsa_uses_dynamic_stack 0
		.amdhsa_system_sgpr_private_segment_wavefront_offset 0
		.amdhsa_system_sgpr_workgroup_id_x 1
		.amdhsa_system_sgpr_workgroup_id_y 0
		.amdhsa_system_sgpr_workgroup_id_z 0
		.amdhsa_system_sgpr_workgroup_info 0
		.amdhsa_system_vgpr_workitem_id 1
		.amdhsa_next_free_vgpr 32
		.amdhsa_next_free_sgpr 44
		.amdhsa_accum_offset 32
		.amdhsa_reserve_vcc 1
		.amdhsa_reserve_flat_scratch 0
		.amdhsa_float_round_mode_32 0
		.amdhsa_float_round_mode_16_64 0
		.amdhsa_float_denorm_mode_32 3
		.amdhsa_float_denorm_mode_16_64 3
		.amdhsa_dx10_clamp 1
		.amdhsa_ieee_mode 1
		.amdhsa_fp16_overflow 0
		.amdhsa_tg_split 0
		.amdhsa_exception_fp_ieee_invalid_op 0
		.amdhsa_exception_fp_denorm_src 0
		.amdhsa_exception_fp_ieee_div_zero 0
		.amdhsa_exception_fp_ieee_overflow 0
		.amdhsa_exception_fp_ieee_underflow 0
		.amdhsa_exception_fp_ieee_inexact 0
		.amdhsa_exception_int_div_zero 0
	.end_amdhsa_kernel
	.section	.text._ZN12_GLOBAL__N_120softmax_warp_forwardIN3c104HalfEffLi10ELb1ELb0ELi64EEEvPT0_PKT_iiiPKbib,"axG",@progbits,_ZN12_GLOBAL__N_120softmax_warp_forwardIN3c104HalfEffLi10ELb1ELb0ELi64EEEvPT0_PKT_iiiPKbib,comdat
.Lfunc_end125:
	.size	_ZN12_GLOBAL__N_120softmax_warp_forwardIN3c104HalfEffLi10ELb1ELb0ELi64EEEvPT0_PKT_iiiPKbib, .Lfunc_end125-_ZN12_GLOBAL__N_120softmax_warp_forwardIN3c104HalfEffLi10ELb1ELb0ELi64EEEvPT0_PKT_iiiPKbib
                                        ; -- End function
	.section	.AMDGPU.csdata,"",@progbits
; Kernel info:
; codeLenInByte = 3632
; NumSgprs: 48
; NumVgprs: 32
; NumAgprs: 0
; TotalNumVgprs: 32
; ScratchSize: 0
; MemoryBound: 0
; FloatMode: 240
; IeeeMode: 1
; LDSByteSize: 0 bytes/workgroup (compile time only)
; SGPRBlocks: 5
; VGPRBlocks: 3
; NumSGPRsForWavesPerEU: 48
; NumVGPRsForWavesPerEU: 32
; AccumOffset: 32
; Occupancy: 8
; WaveLimiterHint : 0
; COMPUTE_PGM_RSRC2:SCRATCH_EN: 0
; COMPUTE_PGM_RSRC2:USER_SGPR: 6
; COMPUTE_PGM_RSRC2:TRAP_HANDLER: 0
; COMPUTE_PGM_RSRC2:TGID_X_EN: 1
; COMPUTE_PGM_RSRC2:TGID_Y_EN: 0
; COMPUTE_PGM_RSRC2:TGID_Z_EN: 0
; COMPUTE_PGM_RSRC2:TIDIG_COMP_CNT: 1
; COMPUTE_PGM_RSRC3_GFX90A:ACCUM_OFFSET: 7
; COMPUTE_PGM_RSRC3_GFX90A:TG_SPLIT: 0
	.section	.text._ZN12_GLOBAL__N_120softmax_warp_forwardIN3c104HalfEffLi10ELb1ELb0ELi32EEEvPT0_PKT_iiiPKbib,"axG",@progbits,_ZN12_GLOBAL__N_120softmax_warp_forwardIN3c104HalfEffLi10ELb1ELb0ELi32EEEvPT0_PKT_iiiPKbib,comdat
	.globl	_ZN12_GLOBAL__N_120softmax_warp_forwardIN3c104HalfEffLi10ELb1ELb0ELi32EEEvPT0_PKT_iiiPKbib ; -- Begin function _ZN12_GLOBAL__N_120softmax_warp_forwardIN3c104HalfEffLi10ELb1ELb0ELi32EEEvPT0_PKT_iiiPKbib
	.p2align	8
	.type	_ZN12_GLOBAL__N_120softmax_warp_forwardIN3c104HalfEffLi10ELb1ELb0ELi32EEEvPT0_PKT_iiiPKbib,@function
_ZN12_GLOBAL__N_120softmax_warp_forwardIN3c104HalfEffLi10ELb1ELb0ELi32EEEvPT0_PKT_iiiPKbib: ; @_ZN12_GLOBAL__N_120softmax_warp_forwardIN3c104HalfEffLi10ELb1ELb0ELi32EEEvPT0_PKT_iiiPKbib
; %bb.0:
	s_load_dword s0, s[4:5], 0x3c
	s_load_dwordx8 s[68:75], s[4:5], 0x0
	v_bfe_u32 v1, v0, 10, 10
	v_and_b32_e32 v4, 0x3ff, v0
	v_mov_b32_e32 v32, 0xff800000
	s_waitcnt lgkmcnt(0)
	s_lshr_b32 s0, s0, 16
	s_mul_i32 s6, s6, s0
	v_add_u32_e32 v1, s6, v1
	v_sub_u32_e32 v5, s72, v1
	v_mad_u64_u32 v[0:1], s[0:1], v1, s73, v[4:5]
	v_ashrrev_i32_e32 v1, 31, v0
	v_lshlrev_b64 v[2:3], 1, v[0:1]
	v_mov_b32_e32 v6, s71
	v_add_co_u32_e32 v2, vcc, s70, v2
	v_cmp_lt_i32_e64 s[64:65], 0, v5
	v_cmp_gt_i32_e64 s[4:5], s74, v4
	v_addc_co_u32_e32 v3, vcc, v6, v3, vcc
	s_and_b64 s[2:3], s[64:65], s[4:5]
	v_mov_b32_e32 v40, 0xff800000
	s_and_saveexec_b64 s[0:1], s[2:3]
	s_cbranch_execz .LBB126_2
; %bb.1:
	global_load_ushort v6, v[2:3], off
	s_waitcnt vmcnt(0)
	v_cvt_f32_f16_e32 v40, v6
.LBB126_2:
	s_or_b64 exec, exec, s[0:1]
	v_add_u32_e32 v6, 32, v4
	v_cmp_gt_i32_e32 vcc, s74, v6
	s_and_b64 s[2:3], s[64:65], vcc
	s_and_saveexec_b64 s[0:1], s[2:3]
	s_cbranch_execz .LBB126_4
; %bb.3:
	global_load_ushort v6, v[2:3], off offset:64
	s_waitcnt vmcnt(0)
	v_cvt_f32_f16_e32 v32, v6
.LBB126_4:
	s_or_b64 exec, exec, s[0:1]
	v_add_u32_e32 v6, 64, v4
	v_cmp_gt_i32_e64 s[0:1], s74, v6
	s_and_b64 s[6:7], s[64:65], s[0:1]
	v_mov_b32_e32 v30, 0xff800000
	v_mov_b32_e32 v38, 0xff800000
	s_and_saveexec_b64 s[2:3], s[6:7]
	s_cbranch_execz .LBB126_6
; %bb.5:
	global_load_ushort v6, v[2:3], off offset:128
	s_waitcnt vmcnt(0)
	v_cvt_f32_f16_e32 v38, v6
.LBB126_6:
	s_or_b64 exec, exec, s[2:3]
	v_add_u32_e32 v6, 0x60, v4
	v_cmp_gt_i32_e64 s[2:3], s74, v6
	s_and_b64 s[8:9], s[64:65], s[2:3]
	s_and_saveexec_b64 s[6:7], s[8:9]
	s_cbranch_execz .LBB126_8
; %bb.7:
	global_load_ushort v6, v[2:3], off offset:192
	s_waitcnt vmcnt(0)
	v_cvt_f32_f16_e32 v30, v6
.LBB126_8:
	s_or_b64 exec, exec, s[6:7]
	v_add_u32_e32 v6, 0x80, v4
	v_cmp_gt_i32_e64 s[6:7], s74, v6
	s_and_b64 s[10:11], s[64:65], s[6:7]
	v_mov_b32_e32 v28, 0xff800000
	v_mov_b32_e32 v36, 0xff800000
	s_and_saveexec_b64 s[8:9], s[10:11]
	s_cbranch_execz .LBB126_10
; %bb.9:
	global_load_ushort v6, v[2:3], off offset:256
	s_waitcnt vmcnt(0)
	v_cvt_f32_f16_e32 v36, v6
.LBB126_10:
	s_or_b64 exec, exec, s[8:9]
	v_add_u32_e32 v6, 0xa0, v4
	v_cmp_gt_i32_e64 s[8:9], s74, v6
	s_and_b64 s[12:13], s[64:65], s[8:9]
	;; [unrolled: 24-line block ×15, first 2 shown]
	s_and_saveexec_b64 s[64:65], s[66:67]
	s_cbranch_execz .LBB126_64
; %bb.63:
	global_load_ushort v2, v[2:3], off offset:1984
	s_waitcnt vmcnt(0)
	v_cvt_f32_f16_e32 v6, v2
.LBB126_64:
	s_or_b64 exec, exec, s[64:65]
	v_cmp_gt_f32_e64 s[64:65], v40, v32
	v_cndmask_b32_e64 v2, v32, v40, s[64:65]
	v_cmp_gt_f32_e64 s[64:65], v2, v38
	v_cndmask_b32_e64 v2, v38, v2, s[64:65]
	;; [unrolled: 2-line block ×29, first 2 shown]
	v_mbcnt_lo_u32_b32 v3, -1, 0
	v_cmp_gt_f32_e64 s[64:65], v2, v11
	v_mbcnt_hi_u32_b32 v3, -1, v3
	v_cndmask_b32_e64 v2, v11, v2, s[64:65]
	v_and_b32_e32 v4, 0x60, v3
	v_cmp_gt_f32_e64 s[64:65], v2, v6
	v_add_u32_e32 v41, 32, v4
	v_xor_b32_e32 v4, 16, v3
	v_cndmask_b32_e64 v2, v6, v2, s[64:65]
	v_cmp_lt_i32_e64 s[64:65], v4, v41
	v_cndmask_b32_e64 v4, v3, v4, s[64:65]
	v_lshlrev_b32_e32 v4, 2, v4
	ds_bpermute_b32 v35, v4, v2
	s_mov_b32 s66, 0x3fb8aa3b
	s_mov_b32 s33, 0xc2ce8ed0
	;; [unrolled: 1-line block ×3, first 2 shown]
	s_waitcnt lgkmcnt(0)
	v_cmp_lt_f32_e64 s[64:65], v2, v35
	v_cndmask_b32_e64 v2, v2, v35, s[64:65]
	v_xor_b32_e32 v35, 8, v3
	v_cmp_lt_i32_e64 s[64:65], v35, v41
	v_cndmask_b32_e64 v35, v3, v35, s[64:65]
	v_lshlrev_b32_e32 v35, 2, v35
	ds_bpermute_b32 v37, v35, v2
	s_waitcnt lgkmcnt(0)
	v_cmp_lt_f32_e64 s[64:65], v2, v37
	v_cndmask_b32_e64 v2, v2, v37, s[64:65]
	v_xor_b32_e32 v37, 4, v3
	v_cmp_lt_i32_e64 s[64:65], v37, v41
	v_cndmask_b32_e64 v37, v3, v37, s[64:65]
	v_lshlrev_b32_e32 v37, 2, v37
	ds_bpermute_b32 v39, v37, v2
	;; [unrolled: 8-line block ×4, first 2 shown]
	s_waitcnt lgkmcnt(0)
	v_cmp_lt_f32_e64 s[64:65], v2, v3
	v_cndmask_b32_e64 v42, v2, v3, s[64:65]
	v_sub_f32_e32 v2, v40, v42
	v_mul_f32_e32 v3, 0x3fb8aa3b, v2
	v_fma_f32 v40, v2, s66, -v3
	v_rndne_f32_e32 v43, v3
	v_fmac_f32_e32 v40, 0x32a5705f, v2
	v_sub_f32_e32 v3, v3, v43
	v_add_f32_e32 v3, v3, v40
	v_exp_f32_e32 v3, v3
	v_cvt_i32_f32_e32 v40, v43
	v_cmp_ngt_f32_e64 s[64:65], s33, v2
	v_sub_f32_e32 v30, v30, v42
	v_sub_f32_e32 v36, v36, v42
	v_ldexp_f32 v3, v3, v40
	v_cndmask_b32_e64 v43, 0, v3, s[64:65]
	v_sub_f32_e32 v3, v32, v42
	v_mul_f32_e32 v32, 0x3fb8aa3b, v3
	v_fma_f32 v40, v3, s66, -v32
	v_rndne_f32_e32 v44, v32
	v_fmac_f32_e32 v40, 0x32a5705f, v3
	v_sub_f32_e32 v32, v32, v44
	v_add_f32_e32 v32, v32, v40
	v_exp_f32_e32 v32, v32
	v_cvt_i32_f32_e32 v44, v44
	v_mov_b32_e32 v40, 0x7f800000
	v_cmp_nlt_f32_e64 s[64:65], s67, v2
	v_cndmask_b32_e64 v43, v40, v43, s[64:65]
	v_ldexp_f32 v32, v32, v44
	v_cmp_ngt_f32_e64 s[64:65], s33, v3
	v_cndmask_b32_e64 v44, 0, v32, s[64:65]
	v_sub_f32_e32 v32, v38, v42
	v_mul_f32_e32 v38, 0x3fb8aa3b, v32
	v_fma_f32 v45, v32, s66, -v38
	v_rndne_f32_e32 v46, v38
	v_fmac_f32_e32 v45, 0x32a5705f, v32
	v_sub_f32_e32 v38, v38, v46
	v_add_f32_e32 v38, v38, v45
	v_exp_f32_e32 v38, v38
	v_cvt_i32_f32_e32 v45, v46
	v_cmp_nlt_f32_e64 s[64:65], s67, v3
	v_cndmask_b32_e64 v44, v40, v44, s[64:65]
	v_add_f32_e32 v43, v43, v44
	v_mul_f32_e32 v44, 0x3fb8aa3b, v30
	v_ldexp_f32 v38, v38, v45
	v_fma_f32 v45, v30, s66, -v44
	v_rndne_f32_e32 v46, v44
	v_fmac_f32_e32 v45, 0x32a5705f, v30
	v_sub_f32_e32 v44, v44, v46
	v_add_f32_e32 v44, v44, v45
	v_exp_f32_e32 v44, v44
	v_cvt_i32_f32_e32 v45, v46
	v_cmp_ngt_f32_e64 s[64:65], s33, v32
	v_cndmask_b32_e64 v38, 0, v38, s[64:65]
	v_cmp_nlt_f32_e64 s[64:65], s67, v32
	v_cndmask_b32_e64 v38, v40, v38, s[64:65]
	v_add_f32_e32 v38, v43, v38
	v_ldexp_f32 v43, v44, v45
	v_mul_f32_e32 v44, 0x3fb8aa3b, v36
	v_fma_f32 v45, v36, s66, -v44
	v_rndne_f32_e32 v46, v44
	v_fmac_f32_e32 v45, 0x32a5705f, v36
	v_sub_f32_e32 v44, v44, v46
	v_add_f32_e32 v44, v44, v45
	v_exp_f32_e32 v44, v44
	v_cvt_i32_f32_e32 v45, v46
	v_cmp_ngt_f32_e64 s[64:65], s33, v30
	v_cndmask_b32_e64 v43, 0, v43, s[64:65]
	v_cmp_nlt_f32_e64 s[64:65], s67, v30
	v_cndmask_b32_e64 v43, v40, v43, s[64:65]
	v_sub_f32_e32 v28, v28, v42
	v_add_f32_e32 v38, v38, v43
	v_ldexp_f32 v43, v44, v45
	v_mul_f32_e32 v44, 0x3fb8aa3b, v28
	v_fma_f32 v45, v28, s66, -v44
	v_rndne_f32_e32 v46, v44
	v_fmac_f32_e32 v45, 0x32a5705f, v28
	v_sub_f32_e32 v44, v44, v46
	v_add_f32_e32 v44, v44, v45
	v_exp_f32_e32 v44, v44
	v_cvt_i32_f32_e32 v45, v46
	v_cmp_ngt_f32_e64 s[64:65], s33, v36
	v_cndmask_b32_e64 v43, 0, v43, s[64:65]
	v_cmp_nlt_f32_e64 s[64:65], s67, v36
	v_cndmask_b32_e64 v43, v40, v43, s[64:65]
	v_sub_f32_e32 v34, v34, v42
	;; [unrolled: 15-line block ×26, first 2 shown]
	v_add_f32_e32 v38, v38, v43
	v_ldexp_f32 v43, v44, v45
	v_mul_f32_e32 v44, 0x3fb8aa3b, v11
	v_fma_f32 v45, v11, s66, -v44
	v_rndne_f32_e32 v46, v44
	v_fmac_f32_e32 v45, 0x32a5705f, v11
	v_sub_f32_e32 v44, v44, v46
	v_add_f32_e32 v44, v44, v45
	v_exp_f32_e32 v44, v44
	v_cvt_i32_f32_e32 v45, v46
	v_cmp_ngt_f32_e64 s[64:65], s33, v7
	v_cndmask_b32_e64 v43, 0, v43, s[64:65]
	v_cmp_nlt_f32_e64 s[64:65], s67, v7
	v_sub_f32_e32 v6, v6, v42
	v_cndmask_b32_e64 v43, v40, v43, s[64:65]
	v_mul_f32_e32 v42, 0x3fb8aa3b, v6
	v_add_f32_e32 v38, v38, v43
	v_ldexp_f32 v43, v44, v45
	v_fma_f32 v44, v6, s66, -v42
	v_rndne_f32_e32 v45, v42
	v_fmac_f32_e32 v44, 0x32a5705f, v6
	v_sub_f32_e32 v42, v42, v45
	v_add_f32_e32 v42, v42, v44
	v_exp_f32_e32 v42, v42
	v_cvt_i32_f32_e32 v44, v45
	v_cmp_ngt_f32_e64 s[64:65], s33, v11
	v_cndmask_b32_e64 v43, 0, v43, s[64:65]
	v_cmp_nlt_f32_e64 s[64:65], s67, v11
	v_cndmask_b32_e64 v43, v40, v43, s[64:65]
	v_ldexp_f32 v42, v42, v44
	v_cmp_ngt_f32_e64 s[64:65], s33, v6
	v_cndmask_b32_e64 v42, 0, v42, s[64:65]
	v_cmp_nlt_f32_e64 s[64:65], s67, v6
	v_add_f32_e32 v38, v38, v43
	v_cndmask_b32_e64 v40, v40, v42, s[64:65]
	v_add_f32_e32 v38, v38, v40
	ds_bpermute_b32 v4, v4, v38
	v_cmp_lt_i32_e64 s[64:65], 0, v5
	s_waitcnt lgkmcnt(0)
	v_add_f32_e32 v4, v38, v4
	ds_bpermute_b32 v35, v35, v4
	s_waitcnt lgkmcnt(0)
	v_add_f32_e32 v4, v4, v35
	ds_bpermute_b32 v35, v37, v4
	;; [unrolled: 3-line block ×4, first 2 shown]
	s_and_saveexec_b64 s[66:67], s[64:65]
	s_cbranch_execz .LBB126_98
; %bb.65:
	s_and_b64 exec, exec, s[4:5]
	s_cbranch_execz .LBB126_98
; %bb.66:
	s_waitcnt lgkmcnt(0)
	v_add_f32_e32 v4, v4, v35
	s_mov_b32 s4, 0x800000
	v_mov_b32_e32 v5, 0x4f800000
	v_cmp_gt_f32_e64 s[4:5], s4, v4
	v_cndmask_b32_e64 v5, 1.0, v5, s[4:5]
	v_mul_f32_e32 v4, v4, v5
	v_log_f32_e32 v4, v4
	s_mov_b32 s33, 0x3f317217
	v_lshlrev_b64 v[0:1], 2, v[0:1]
	v_mul_f32_e32 v5, 0x3f317217, v4
	v_fma_f32 v35, v4, s33, -v5
	v_fmac_f32_e32 v35, 0x3377d1cf, v4
	s_mov_b32 s33, 0x7f800000
	v_add_f32_e32 v5, v5, v35
	v_cmp_lt_f32_e64 s[64:65], |v4|, s33
	v_cndmask_b32_e64 v4, v4, v5, s[64:65]
	v_mov_b32_e32 v5, 0x41b17218
	v_cndmask_b32_e64 v5, 0, v5, s[4:5]
	v_sub_f32_e32 v4, v4, v5
	v_mov_b32_e32 v5, s69
	v_add_co_u32_e64 v0, s[4:5], s68, v0
	v_addc_co_u32_e64 v1, s[4:5], v5, v1, s[4:5]
	v_sub_f32_e32 v2, v2, v4
	global_store_dword v[0:1], v2, off
	s_and_b64 exec, exec, vcc
	s_cbranch_execz .LBB126_98
; %bb.67:
	v_sub_f32_e32 v2, v3, v4
	global_store_dword v[0:1], v2, off offset:128
	s_and_b64 exec, exec, s[0:1]
	s_cbranch_execz .LBB126_98
; %bb.68:
	v_sub_f32_e32 v2, v32, v4
	global_store_dword v[0:1], v2, off offset:256
	s_and_b64 exec, exec, s[2:3]
	;; [unrolled: 5-line block ×30, first 2 shown]
	s_cbranch_execz .LBB126_98
; %bb.97:
	v_sub_f32_e32 v2, v6, v4
	global_store_dword v[0:1], v2, off offset:3968
.LBB126_98:
	s_endpgm
	.section	.rodata,"a",@progbits
	.p2align	6, 0x0
	.amdhsa_kernel _ZN12_GLOBAL__N_120softmax_warp_forwardIN3c104HalfEffLi10ELb1ELb0ELi32EEEvPT0_PKT_iiiPKbib
		.amdhsa_group_segment_fixed_size 0
		.amdhsa_private_segment_fixed_size 0
		.amdhsa_kernarg_size 304
		.amdhsa_user_sgpr_count 6
		.amdhsa_user_sgpr_private_segment_buffer 1
		.amdhsa_user_sgpr_dispatch_ptr 0
		.amdhsa_user_sgpr_queue_ptr 0
		.amdhsa_user_sgpr_kernarg_segment_ptr 1
		.amdhsa_user_sgpr_dispatch_id 0
		.amdhsa_user_sgpr_flat_scratch_init 0
		.amdhsa_user_sgpr_kernarg_preload_length 0
		.amdhsa_user_sgpr_kernarg_preload_offset 0
		.amdhsa_user_sgpr_private_segment_size 0
		.amdhsa_uses_dynamic_stack 0
		.amdhsa_system_sgpr_private_segment_wavefront_offset 0
		.amdhsa_system_sgpr_workgroup_id_x 1
		.amdhsa_system_sgpr_workgroup_id_y 0
		.amdhsa_system_sgpr_workgroup_id_z 0
		.amdhsa_system_sgpr_workgroup_info 0
		.amdhsa_system_vgpr_workitem_id 1
		.amdhsa_next_free_vgpr 47
		.amdhsa_next_free_sgpr 76
		.amdhsa_accum_offset 48
		.amdhsa_reserve_vcc 1
		.amdhsa_reserve_flat_scratch 0
		.amdhsa_float_round_mode_32 0
		.amdhsa_float_round_mode_16_64 0
		.amdhsa_float_denorm_mode_32 3
		.amdhsa_float_denorm_mode_16_64 3
		.amdhsa_dx10_clamp 1
		.amdhsa_ieee_mode 1
		.amdhsa_fp16_overflow 0
		.amdhsa_tg_split 0
		.amdhsa_exception_fp_ieee_invalid_op 0
		.amdhsa_exception_fp_denorm_src 0
		.amdhsa_exception_fp_ieee_div_zero 0
		.amdhsa_exception_fp_ieee_overflow 0
		.amdhsa_exception_fp_ieee_underflow 0
		.amdhsa_exception_fp_ieee_inexact 0
		.amdhsa_exception_int_div_zero 0
	.end_amdhsa_kernel
	.section	.text._ZN12_GLOBAL__N_120softmax_warp_forwardIN3c104HalfEffLi10ELb1ELb0ELi32EEEvPT0_PKT_iiiPKbib,"axG",@progbits,_ZN12_GLOBAL__N_120softmax_warp_forwardIN3c104HalfEffLi10ELb1ELb0ELi32EEEvPT0_PKT_iiiPKbib,comdat
.Lfunc_end126:
	.size	_ZN12_GLOBAL__N_120softmax_warp_forwardIN3c104HalfEffLi10ELb1ELb0ELi32EEEvPT0_PKT_iiiPKbib, .Lfunc_end126-_ZN12_GLOBAL__N_120softmax_warp_forwardIN3c104HalfEffLi10ELb1ELb0ELi32EEEvPT0_PKT_iiiPKbib
                                        ; -- End function
	.section	.AMDGPU.csdata,"",@progbits
; Kernel info:
; codeLenInByte = 6508
; NumSgprs: 80
; NumVgprs: 47
; NumAgprs: 0
; TotalNumVgprs: 47
; ScratchSize: 0
; MemoryBound: 0
; FloatMode: 240
; IeeeMode: 1
; LDSByteSize: 0 bytes/workgroup (compile time only)
; SGPRBlocks: 9
; VGPRBlocks: 5
; NumSGPRsForWavesPerEU: 80
; NumVGPRsForWavesPerEU: 47
; AccumOffset: 48
; Occupancy: 8
; WaveLimiterHint : 0
; COMPUTE_PGM_RSRC2:SCRATCH_EN: 0
; COMPUTE_PGM_RSRC2:USER_SGPR: 6
; COMPUTE_PGM_RSRC2:TRAP_HANDLER: 0
; COMPUTE_PGM_RSRC2:TGID_X_EN: 1
; COMPUTE_PGM_RSRC2:TGID_Y_EN: 0
; COMPUTE_PGM_RSRC2:TGID_Z_EN: 0
; COMPUTE_PGM_RSRC2:TIDIG_COMP_CNT: 1
; COMPUTE_PGM_RSRC3_GFX90A:ACCUM_OFFSET: 11
; COMPUTE_PGM_RSRC3_GFX90A:TG_SPLIT: 0
	.section	.text._ZN12_GLOBAL__N_120softmax_warp_forwardIN3c104HalfEffLi11ELb1ELb0ELi64EEEvPT0_PKT_iiiPKbib,"axG",@progbits,_ZN12_GLOBAL__N_120softmax_warp_forwardIN3c104HalfEffLi11ELb1ELb0ELi64EEEvPT0_PKT_iiiPKbib,comdat
	.globl	_ZN12_GLOBAL__N_120softmax_warp_forwardIN3c104HalfEffLi11ELb1ELb0ELi64EEEvPT0_PKT_iiiPKbib ; -- Begin function _ZN12_GLOBAL__N_120softmax_warp_forwardIN3c104HalfEffLi11ELb1ELb0ELi64EEEvPT0_PKT_iiiPKbib
	.p2align	8
	.type	_ZN12_GLOBAL__N_120softmax_warp_forwardIN3c104HalfEffLi11ELb1ELb0ELi64EEEvPT0_PKT_iiiPKbib,@function
_ZN12_GLOBAL__N_120softmax_warp_forwardIN3c104HalfEffLi11ELb1ELb0ELi64EEEvPT0_PKT_iiiPKbib: ; @_ZN12_GLOBAL__N_120softmax_warp_forwardIN3c104HalfEffLi11ELb1ELb0ELi64EEEvPT0_PKT_iiiPKbib
; %bb.0:
	s_load_dword s0, s[4:5], 0x3c
	s_load_dwordx8 s[68:75], s[4:5], 0x0
	v_bfe_u32 v1, v0, 10, 10
	v_and_b32_e32 v4, 0x3ff, v0
	v_mov_b32_e32 v32, 0xff800000
	s_waitcnt lgkmcnt(0)
	s_lshr_b32 s0, s0, 16
	s_mul_i32 s6, s6, s0
	v_add_u32_e32 v1, s6, v1
	v_sub_u32_e32 v5, s72, v1
	v_mad_u64_u32 v[0:1], s[0:1], v1, s73, v[4:5]
	v_ashrrev_i32_e32 v1, 31, v0
	v_lshlrev_b64 v[2:3], 1, v[0:1]
	v_mov_b32_e32 v6, s71
	v_add_co_u32_e32 v2, vcc, s70, v2
	v_cmp_lt_i32_e64 s[64:65], 0, v5
	v_cmp_gt_i32_e64 s[4:5], s74, v4
	v_addc_co_u32_e32 v3, vcc, v6, v3, vcc
	s_and_b64 s[2:3], s[64:65], s[4:5]
	v_mov_b32_e32 v40, 0xff800000
	s_and_saveexec_b64 s[0:1], s[2:3]
	s_cbranch_execz .LBB127_2
; %bb.1:
	global_load_ushort v6, v[2:3], off
	s_waitcnt vmcnt(0)
	v_cvt_f32_f16_e32 v40, v6
.LBB127_2:
	s_or_b64 exec, exec, s[0:1]
	v_add_u32_e32 v6, 64, v4
	v_cmp_gt_i32_e32 vcc, s74, v6
	s_and_b64 s[2:3], s[64:65], vcc
	s_and_saveexec_b64 s[0:1], s[2:3]
	s_cbranch_execz .LBB127_4
; %bb.3:
	global_load_ushort v6, v[2:3], off offset:128
	s_waitcnt vmcnt(0)
	v_cvt_f32_f16_e32 v32, v6
.LBB127_4:
	s_or_b64 exec, exec, s[0:1]
	v_add_u32_e32 v6, 0x80, v4
	v_cmp_gt_i32_e64 s[0:1], s74, v6
	s_and_b64 s[6:7], s[64:65], s[0:1]
	v_mov_b32_e32 v30, 0xff800000
	v_mov_b32_e32 v38, 0xff800000
	s_and_saveexec_b64 s[2:3], s[6:7]
	s_cbranch_execz .LBB127_6
; %bb.5:
	global_load_ushort v6, v[2:3], off offset:256
	s_waitcnt vmcnt(0)
	v_cvt_f32_f16_e32 v38, v6
.LBB127_6:
	s_or_b64 exec, exec, s[2:3]
	v_add_u32_e32 v6, 0xc0, v4
	v_cmp_gt_i32_e64 s[2:3], s74, v6
	s_and_b64 s[8:9], s[64:65], s[2:3]
	s_and_saveexec_b64 s[6:7], s[8:9]
	s_cbranch_execz .LBB127_8
; %bb.7:
	global_load_ushort v6, v[2:3], off offset:384
	s_waitcnt vmcnt(0)
	v_cvt_f32_f16_e32 v30, v6
.LBB127_8:
	s_or_b64 exec, exec, s[6:7]
	v_add_u32_e32 v6, 0x100, v4
	v_cmp_gt_i32_e64 s[6:7], s74, v6
	s_and_b64 s[10:11], s[64:65], s[6:7]
	v_mov_b32_e32 v28, 0xff800000
	v_mov_b32_e32 v36, 0xff800000
	s_and_saveexec_b64 s[8:9], s[10:11]
	s_cbranch_execz .LBB127_10
; %bb.9:
	global_load_ushort v6, v[2:3], off offset:512
	s_waitcnt vmcnt(0)
	v_cvt_f32_f16_e32 v36, v6
.LBB127_10:
	s_or_b64 exec, exec, s[8:9]
	v_add_u32_e32 v6, 0x140, v4
	v_cmp_gt_i32_e64 s[8:9], s74, v6
	s_and_b64 s[12:13], s[64:65], s[8:9]
	;; [unrolled: 24-line block ×7, first 2 shown]
	s_and_saveexec_b64 s[30:31], s[34:35]
	s_cbranch_execz .LBB127_32
; %bb.31:
	global_load_ushort v6, v[2:3], off offset:1920
	s_waitcnt vmcnt(0)
	v_cvt_f32_f16_e32 v18, v6
.LBB127_32:
	s_or_b64 exec, exec, s[30:31]
	v_or_b32_e32 v6, 0x400, v4
	v_cmp_gt_i32_e64 s[30:31], s74, v6
	s_and_b64 s[36:37], s[64:65], s[30:31]
	v_mov_b32_e32 v16, 0xff800000
	v_mov_b32_e32 v25, 0xff800000
	s_and_saveexec_b64 s[34:35], s[36:37]
	s_cbranch_execz .LBB127_34
; %bb.33:
	global_load_ushort v6, v[2:3], off offset:2048
	s_waitcnt vmcnt(0)
	v_cvt_f32_f16_e32 v25, v6
.LBB127_34:
	s_or_b64 exec, exec, s[34:35]
	v_add_u32_e32 v6, 0x440, v4
	v_cmp_gt_i32_e64 s[34:35], s74, v6
	s_and_b64 s[38:39], s[64:65], s[34:35]
	s_and_saveexec_b64 s[36:37], s[38:39]
	s_cbranch_execz .LBB127_36
; %bb.35:
	global_load_ushort v6, v[2:3], off offset:2176
	s_waitcnt vmcnt(0)
	v_cvt_f32_f16_e32 v16, v6
.LBB127_36:
	s_or_b64 exec, exec, s[36:37]
	v_add_u32_e32 v6, 0x480, v4
	v_cmp_gt_i32_e64 s[36:37], s74, v6
	s_and_b64 s[40:41], s[64:65], s[36:37]
	v_mov_b32_e32 v14, 0xff800000
	v_mov_b32_e32 v23, 0xff800000
	s_and_saveexec_b64 s[38:39], s[40:41]
	s_cbranch_execz .LBB127_38
; %bb.37:
	global_load_ushort v6, v[2:3], off offset:2304
	s_waitcnt vmcnt(0)
	v_cvt_f32_f16_e32 v23, v6
.LBB127_38:
	s_or_b64 exec, exec, s[38:39]
	v_add_u32_e32 v6, 0x4c0, v4
	v_cmp_gt_i32_e64 s[38:39], s74, v6
	s_and_b64 s[42:43], s[64:65], s[38:39]
	s_and_saveexec_b64 s[40:41], s[42:43]
	s_cbranch_execz .LBB127_40
; %bb.39:
	global_load_ushort v6, v[2:3], off offset:2432
	s_waitcnt vmcnt(0)
	v_cvt_f32_f16_e32 v14, v6
.LBB127_40:
	s_or_b64 exec, exec, s[40:41]
	v_add_u32_e32 v6, 0x500, v4
	v_cmp_gt_i32_e64 s[40:41], s74, v6
	s_and_b64 s[44:45], s[64:65], s[40:41]
	v_mov_b32_e32 v12, 0xff800000
	v_mov_b32_e32 v21, 0xff800000
	s_and_saveexec_b64 s[42:43], s[44:45]
	s_cbranch_execz .LBB127_42
; %bb.41:
	global_load_ushort v6, v[2:3], off offset:2560
	s_waitcnt vmcnt(0)
	v_cvt_f32_f16_e32 v21, v6
.LBB127_42:
	s_or_b64 exec, exec, s[42:43]
	v_add_u32_e32 v6, 0x540, v4
	v_cmp_gt_i32_e64 s[42:43], s74, v6
	s_and_b64 s[46:47], s[64:65], s[42:43]
	s_and_saveexec_b64 s[44:45], s[46:47]
	s_cbranch_execz .LBB127_44
; %bb.43:
	global_load_ushort v6, v[2:3], off offset:2688
	s_waitcnt vmcnt(0)
	v_cvt_f32_f16_e32 v12, v6
.LBB127_44:
	s_or_b64 exec, exec, s[44:45]
	v_add_u32_e32 v6, 0x580, v4
	v_cmp_gt_i32_e64 s[44:45], s74, v6
	s_and_b64 s[48:49], s[64:65], s[44:45]
	v_mov_b32_e32 v10, 0xff800000
	v_mov_b32_e32 v19, 0xff800000
	s_and_saveexec_b64 s[46:47], s[48:49]
	s_cbranch_execz .LBB127_46
; %bb.45:
	global_load_ushort v6, v[2:3], off offset:2816
	s_waitcnt vmcnt(0)
	v_cvt_f32_f16_e32 v19, v6
.LBB127_46:
	s_or_b64 exec, exec, s[46:47]
	v_add_u32_e32 v6, 0x5c0, v4
	v_cmp_gt_i32_e64 s[46:47], s74, v6
	s_and_b64 s[50:51], s[64:65], s[46:47]
	s_and_saveexec_b64 s[48:49], s[50:51]
	s_cbranch_execz .LBB127_48
; %bb.47:
	global_load_ushort v6, v[2:3], off offset:2944
	s_waitcnt vmcnt(0)
	v_cvt_f32_f16_e32 v10, v6
.LBB127_48:
	s_or_b64 exec, exec, s[48:49]
	v_add_u32_e32 v6, 0x600, v4
	v_cmp_gt_i32_e64 s[48:49], s74, v6
	s_and_b64 s[52:53], s[64:65], s[48:49]
	v_mov_b32_e32 v9, 0xff800000
	v_mov_b32_e32 v17, 0xff800000
	s_and_saveexec_b64 s[50:51], s[52:53]
	s_cbranch_execz .LBB127_50
; %bb.49:
	global_load_ushort v6, v[2:3], off offset:3072
	s_waitcnt vmcnt(0)
	v_cvt_f32_f16_e32 v17, v6
.LBB127_50:
	s_or_b64 exec, exec, s[50:51]
	v_add_u32_e32 v6, 0x640, v4
	v_cmp_gt_i32_e64 s[50:51], s74, v6
	s_and_b64 s[54:55], s[64:65], s[50:51]
	s_and_saveexec_b64 s[52:53], s[54:55]
	s_cbranch_execz .LBB127_52
; %bb.51:
	global_load_ushort v6, v[2:3], off offset:3200
	s_waitcnt vmcnt(0)
	v_cvt_f32_f16_e32 v9, v6
.LBB127_52:
	s_or_b64 exec, exec, s[52:53]
	v_add_u32_e32 v6, 0x680, v4
	v_cmp_gt_i32_e64 s[52:53], s74, v6
	s_and_b64 s[56:57], s[64:65], s[52:53]
	v_mov_b32_e32 v8, 0xff800000
	v_mov_b32_e32 v15, 0xff800000
	s_and_saveexec_b64 s[54:55], s[56:57]
	s_cbranch_execz .LBB127_54
; %bb.53:
	global_load_ushort v6, v[2:3], off offset:3328
	s_waitcnt vmcnt(0)
	v_cvt_f32_f16_e32 v15, v6
.LBB127_54:
	s_or_b64 exec, exec, s[54:55]
	v_add_u32_e32 v6, 0x6c0, v4
	v_cmp_gt_i32_e64 s[54:55], s74, v6
	s_and_b64 s[58:59], s[64:65], s[54:55]
	s_and_saveexec_b64 s[56:57], s[58:59]
	s_cbranch_execz .LBB127_56
; %bb.55:
	global_load_ushort v6, v[2:3], off offset:3456
	s_waitcnt vmcnt(0)
	v_cvt_f32_f16_e32 v8, v6
.LBB127_56:
	s_or_b64 exec, exec, s[56:57]
	v_add_u32_e32 v6, 0x700, v4
	v_cmp_gt_i32_e64 s[56:57], s74, v6
	s_and_b64 s[60:61], s[64:65], s[56:57]
	v_mov_b32_e32 v7, 0xff800000
	v_mov_b32_e32 v13, 0xff800000
	s_and_saveexec_b64 s[58:59], s[60:61]
	s_cbranch_execz .LBB127_58
; %bb.57:
	global_load_ushort v6, v[2:3], off offset:3584
	s_waitcnt vmcnt(0)
	v_cvt_f32_f16_e32 v13, v6
.LBB127_58:
	s_or_b64 exec, exec, s[58:59]
	v_add_u32_e32 v6, 0x740, v4
	v_cmp_gt_i32_e64 s[58:59], s74, v6
	s_and_b64 s[62:63], s[64:65], s[58:59]
	s_and_saveexec_b64 s[60:61], s[62:63]
	s_cbranch_execz .LBB127_60
; %bb.59:
	global_load_ushort v6, v[2:3], off offset:3712
	s_waitcnt vmcnt(0)
	v_cvt_f32_f16_e32 v7, v6
.LBB127_60:
	s_or_b64 exec, exec, s[60:61]
	v_add_u32_e32 v6, 0x780, v4
	v_cmp_gt_i32_e64 s[60:61], s74, v6
	s_and_b64 s[66:67], s[64:65], s[60:61]
	v_mov_b32_e32 v6, 0xff800000
	v_mov_b32_e32 v11, 0xff800000
	s_and_saveexec_b64 s[62:63], s[66:67]
	s_cbranch_execz .LBB127_62
; %bb.61:
	global_load_ushort v11, v[2:3], off offset:3840
	s_waitcnt vmcnt(0)
	v_cvt_f32_f16_e32 v11, v11
.LBB127_62:
	s_or_b64 exec, exec, s[62:63]
	v_add_u32_e32 v4, 0x7c0, v4
	v_cmp_gt_i32_e64 s[62:63], s74, v4
	s_and_b64 s[66:67], s[64:65], s[62:63]
	s_and_saveexec_b64 s[64:65], s[66:67]
	s_cbranch_execz .LBB127_64
; %bb.63:
	global_load_ushort v2, v[2:3], off offset:3968
	s_waitcnt vmcnt(0)
	v_cvt_f32_f16_e32 v6, v2
.LBB127_64:
	s_or_b64 exec, exec, s[64:65]
	v_cmp_gt_f32_e64 s[64:65], v40, v32
	v_cndmask_b32_e64 v2, v32, v40, s[64:65]
	v_cmp_gt_f32_e64 s[64:65], v2, v38
	v_cndmask_b32_e64 v2, v38, v2, s[64:65]
	;; [unrolled: 2-line block ×29, first 2 shown]
	v_mbcnt_lo_u32_b32 v3, -1, 0
	v_cmp_gt_f32_e64 s[64:65], v2, v11
	v_mbcnt_hi_u32_b32 v3, -1, v3
	v_cndmask_b32_e64 v2, v11, v2, s[64:65]
	v_and_b32_e32 v4, 64, v3
	v_cmp_gt_f32_e64 s[64:65], v2, v6
	v_add_u32_e32 v42, 64, v4
	v_xor_b32_e32 v4, 32, v3
	v_cndmask_b32_e64 v2, v6, v2, s[64:65]
	v_cmp_lt_i32_e64 s[64:65], v4, v42
	v_cndmask_b32_e64 v4, v3, v4, s[64:65]
	v_lshlrev_b32_e32 v4, 2, v4
	ds_bpermute_b32 v35, v4, v2
	s_mov_b32 s66, 0x3fb8aa3b
	s_mov_b32 s33, 0xc2ce8ed0
	;; [unrolled: 1-line block ×3, first 2 shown]
	s_waitcnt lgkmcnt(0)
	v_cmp_lt_f32_e64 s[64:65], v2, v35
	v_cndmask_b32_e64 v2, v2, v35, s[64:65]
	v_xor_b32_e32 v35, 16, v3
	v_cmp_lt_i32_e64 s[64:65], v35, v42
	v_cndmask_b32_e64 v35, v3, v35, s[64:65]
	v_lshlrev_b32_e32 v35, 2, v35
	ds_bpermute_b32 v37, v35, v2
	s_waitcnt lgkmcnt(0)
	v_cmp_lt_f32_e64 s[64:65], v2, v37
	v_cndmask_b32_e64 v2, v2, v37, s[64:65]
	v_xor_b32_e32 v37, 8, v3
	v_cmp_lt_i32_e64 s[64:65], v37, v42
	v_cndmask_b32_e64 v37, v3, v37, s[64:65]
	v_lshlrev_b32_e32 v37, 2, v37
	ds_bpermute_b32 v39, v37, v2
	;; [unrolled: 8-line block ×5, first 2 shown]
	s_waitcnt lgkmcnt(0)
	v_cmp_lt_f32_e64 s[64:65], v2, v3
	v_cndmask_b32_e64 v43, v2, v3, s[64:65]
	v_sub_f32_e32 v2, v40, v43
	v_mul_f32_e32 v3, 0x3fb8aa3b, v2
	v_fma_f32 v40, v2, s66, -v3
	v_rndne_f32_e32 v44, v3
	v_fmac_f32_e32 v40, 0x32a5705f, v2
	v_sub_f32_e32 v3, v3, v44
	v_add_f32_e32 v3, v3, v40
	v_exp_f32_e32 v3, v3
	v_cvt_i32_f32_e32 v40, v44
	v_cmp_ngt_f32_e64 s[64:65], s33, v2
	v_sub_f32_e32 v30, v30, v43
	v_sub_f32_e32 v36, v36, v43
	v_ldexp_f32 v3, v3, v40
	v_cndmask_b32_e64 v44, 0, v3, s[64:65]
	v_sub_f32_e32 v3, v32, v43
	v_mul_f32_e32 v32, 0x3fb8aa3b, v3
	v_fma_f32 v40, v3, s66, -v32
	v_rndne_f32_e32 v45, v32
	v_fmac_f32_e32 v40, 0x32a5705f, v3
	v_sub_f32_e32 v32, v32, v45
	v_add_f32_e32 v32, v32, v40
	v_exp_f32_e32 v32, v32
	v_cvt_i32_f32_e32 v45, v45
	v_mov_b32_e32 v40, 0x7f800000
	v_cmp_nlt_f32_e64 s[64:65], s67, v2
	v_cndmask_b32_e64 v44, v40, v44, s[64:65]
	v_ldexp_f32 v32, v32, v45
	v_cmp_ngt_f32_e64 s[64:65], s33, v3
	v_cndmask_b32_e64 v45, 0, v32, s[64:65]
	v_sub_f32_e32 v32, v38, v43
	v_mul_f32_e32 v38, 0x3fb8aa3b, v32
	v_fma_f32 v46, v32, s66, -v38
	v_rndne_f32_e32 v47, v38
	v_fmac_f32_e32 v46, 0x32a5705f, v32
	v_sub_f32_e32 v38, v38, v47
	v_add_f32_e32 v38, v38, v46
	v_exp_f32_e32 v38, v38
	v_cvt_i32_f32_e32 v46, v47
	v_cmp_nlt_f32_e64 s[64:65], s67, v3
	v_cndmask_b32_e64 v45, v40, v45, s[64:65]
	v_add_f32_e32 v44, v44, v45
	v_mul_f32_e32 v45, 0x3fb8aa3b, v30
	v_ldexp_f32 v38, v38, v46
	v_fma_f32 v46, v30, s66, -v45
	v_rndne_f32_e32 v47, v45
	v_fmac_f32_e32 v46, 0x32a5705f, v30
	v_sub_f32_e32 v45, v45, v47
	v_add_f32_e32 v45, v45, v46
	v_exp_f32_e32 v45, v45
	v_cvt_i32_f32_e32 v46, v47
	v_cmp_ngt_f32_e64 s[64:65], s33, v32
	v_cndmask_b32_e64 v38, 0, v38, s[64:65]
	v_cmp_nlt_f32_e64 s[64:65], s67, v32
	v_cndmask_b32_e64 v38, v40, v38, s[64:65]
	v_add_f32_e32 v38, v44, v38
	v_ldexp_f32 v44, v45, v46
	v_mul_f32_e32 v45, 0x3fb8aa3b, v36
	v_fma_f32 v46, v36, s66, -v45
	v_rndne_f32_e32 v47, v45
	v_fmac_f32_e32 v46, 0x32a5705f, v36
	v_sub_f32_e32 v45, v45, v47
	v_add_f32_e32 v45, v45, v46
	v_exp_f32_e32 v45, v45
	v_cvt_i32_f32_e32 v46, v47
	v_cmp_ngt_f32_e64 s[64:65], s33, v30
	v_cndmask_b32_e64 v44, 0, v44, s[64:65]
	v_cmp_nlt_f32_e64 s[64:65], s67, v30
	v_cndmask_b32_e64 v44, v40, v44, s[64:65]
	v_sub_f32_e32 v28, v28, v43
	v_add_f32_e32 v38, v38, v44
	v_ldexp_f32 v44, v45, v46
	v_mul_f32_e32 v45, 0x3fb8aa3b, v28
	v_fma_f32 v46, v28, s66, -v45
	v_rndne_f32_e32 v47, v45
	v_fmac_f32_e32 v46, 0x32a5705f, v28
	v_sub_f32_e32 v45, v45, v47
	v_add_f32_e32 v45, v45, v46
	v_exp_f32_e32 v45, v45
	v_cvt_i32_f32_e32 v46, v47
	v_cmp_ngt_f32_e64 s[64:65], s33, v36
	v_cndmask_b32_e64 v44, 0, v44, s[64:65]
	v_cmp_nlt_f32_e64 s[64:65], s67, v36
	v_cndmask_b32_e64 v44, v40, v44, s[64:65]
	v_sub_f32_e32 v34, v34, v43
	;; [unrolled: 15-line block ×26, first 2 shown]
	v_add_f32_e32 v38, v38, v44
	v_ldexp_f32 v44, v45, v46
	v_mul_f32_e32 v45, 0x3fb8aa3b, v11
	v_fma_f32 v46, v11, s66, -v45
	v_rndne_f32_e32 v47, v45
	v_fmac_f32_e32 v46, 0x32a5705f, v11
	v_sub_f32_e32 v45, v45, v47
	v_add_f32_e32 v45, v45, v46
	v_exp_f32_e32 v45, v45
	v_cvt_i32_f32_e32 v46, v47
	v_cmp_ngt_f32_e64 s[64:65], s33, v7
	v_cndmask_b32_e64 v44, 0, v44, s[64:65]
	v_cmp_nlt_f32_e64 s[64:65], s67, v7
	v_sub_f32_e32 v6, v6, v43
	v_cndmask_b32_e64 v44, v40, v44, s[64:65]
	v_mul_f32_e32 v43, 0x3fb8aa3b, v6
	v_add_f32_e32 v38, v38, v44
	v_ldexp_f32 v44, v45, v46
	v_fma_f32 v45, v6, s66, -v43
	v_rndne_f32_e32 v46, v43
	v_fmac_f32_e32 v45, 0x32a5705f, v6
	v_sub_f32_e32 v43, v43, v46
	v_add_f32_e32 v43, v43, v45
	v_exp_f32_e32 v43, v43
	v_cvt_i32_f32_e32 v45, v46
	v_cmp_ngt_f32_e64 s[64:65], s33, v11
	v_cndmask_b32_e64 v44, 0, v44, s[64:65]
	v_cmp_nlt_f32_e64 s[64:65], s67, v11
	v_cndmask_b32_e64 v44, v40, v44, s[64:65]
	v_ldexp_f32 v43, v43, v45
	v_cmp_ngt_f32_e64 s[64:65], s33, v6
	v_cndmask_b32_e64 v43, 0, v43, s[64:65]
	v_cmp_nlt_f32_e64 s[64:65], s67, v6
	v_add_f32_e32 v38, v38, v44
	v_cndmask_b32_e64 v40, v40, v43, s[64:65]
	v_add_f32_e32 v38, v38, v40
	ds_bpermute_b32 v4, v4, v38
	v_cmp_lt_i32_e64 s[64:65], 0, v5
	s_waitcnt lgkmcnt(0)
	v_add_f32_e32 v4, v38, v4
	ds_bpermute_b32 v35, v35, v4
	s_waitcnt lgkmcnt(0)
	v_add_f32_e32 v4, v4, v35
	ds_bpermute_b32 v35, v37, v4
	;; [unrolled: 3-line block ×5, first 2 shown]
	s_and_saveexec_b64 s[66:67], s[64:65]
	s_cbranch_execz .LBB127_98
; %bb.65:
	s_and_b64 exec, exec, s[4:5]
	s_cbranch_execz .LBB127_98
; %bb.66:
	s_waitcnt lgkmcnt(0)
	v_add_f32_e32 v4, v4, v35
	s_mov_b32 s4, 0x800000
	v_mov_b32_e32 v5, 0x4f800000
	v_cmp_gt_f32_e64 s[4:5], s4, v4
	v_cndmask_b32_e64 v5, 1.0, v5, s[4:5]
	v_mul_f32_e32 v4, v4, v5
	v_log_f32_e32 v4, v4
	s_mov_b32 s33, 0x3f317217
	v_lshlrev_b64 v[0:1], 2, v[0:1]
	v_mul_f32_e32 v5, 0x3f317217, v4
	v_fma_f32 v35, v4, s33, -v5
	v_fmac_f32_e32 v35, 0x3377d1cf, v4
	s_mov_b32 s33, 0x7f800000
	v_add_f32_e32 v5, v5, v35
	v_cmp_lt_f32_e64 s[64:65], |v4|, s33
	v_cndmask_b32_e64 v4, v4, v5, s[64:65]
	v_mov_b32_e32 v5, 0x41b17218
	v_cndmask_b32_e64 v5, 0, v5, s[4:5]
	v_sub_f32_e32 v4, v4, v5
	v_mov_b32_e32 v5, s69
	v_add_co_u32_e64 v0, s[4:5], s68, v0
	v_addc_co_u32_e64 v1, s[4:5], v5, v1, s[4:5]
	v_sub_f32_e32 v2, v2, v4
	global_store_dword v[0:1], v2, off
	s_and_b64 exec, exec, vcc
	s_cbranch_execz .LBB127_98
; %bb.67:
	v_sub_f32_e32 v2, v3, v4
	global_store_dword v[0:1], v2, off offset:256
	s_and_b64 exec, exec, s[0:1]
	s_cbranch_execz .LBB127_98
; %bb.68:
	v_sub_f32_e32 v2, v32, v4
	global_store_dword v[0:1], v2, off offset:512
	s_and_b64 exec, exec, s[2:3]
	;; [unrolled: 5-line block ×15, first 2 shown]
	s_cbranch_execz .LBB127_98
; %bb.82:
	v_add_co_u32_e32 v2, vcc, 0x1000, v0
	v_sub_f32_e32 v5, v25, v4
	v_addc_co_u32_e32 v3, vcc, 0, v1, vcc
	global_store_dword v[2:3], v5, off
	s_and_b64 exec, exec, s[34:35]
	s_cbranch_execz .LBB127_98
; %bb.83:
	v_add_co_u32_e32 v2, vcc, 0x1000, v0
	v_sub_f32_e32 v5, v16, v4
	v_addc_co_u32_e32 v3, vcc, 0, v1, vcc
	global_store_dword v[2:3], v5, off offset:256
	s_and_b64 exec, exec, s[36:37]
	s_cbranch_execz .LBB127_98
; %bb.84:
	v_add_co_u32_e32 v2, vcc, 0x1000, v0
	v_sub_f32_e32 v5, v23, v4
	v_addc_co_u32_e32 v3, vcc, 0, v1, vcc
	global_store_dword v[2:3], v5, off offset:512
	;; [unrolled: 7-line block ×15, first 2 shown]
.LBB127_98:
	s_endpgm
	.section	.rodata,"a",@progbits
	.p2align	6, 0x0
	.amdhsa_kernel _ZN12_GLOBAL__N_120softmax_warp_forwardIN3c104HalfEffLi11ELb1ELb0ELi64EEEvPT0_PKT_iiiPKbib
		.amdhsa_group_segment_fixed_size 0
		.amdhsa_private_segment_fixed_size 0
		.amdhsa_kernarg_size 304
		.amdhsa_user_sgpr_count 6
		.amdhsa_user_sgpr_private_segment_buffer 1
		.amdhsa_user_sgpr_dispatch_ptr 0
		.amdhsa_user_sgpr_queue_ptr 0
		.amdhsa_user_sgpr_kernarg_segment_ptr 1
		.amdhsa_user_sgpr_dispatch_id 0
		.amdhsa_user_sgpr_flat_scratch_init 0
		.amdhsa_user_sgpr_kernarg_preload_length 0
		.amdhsa_user_sgpr_kernarg_preload_offset 0
		.amdhsa_user_sgpr_private_segment_size 0
		.amdhsa_uses_dynamic_stack 0
		.amdhsa_system_sgpr_private_segment_wavefront_offset 0
		.amdhsa_system_sgpr_workgroup_id_x 1
		.amdhsa_system_sgpr_workgroup_id_y 0
		.amdhsa_system_sgpr_workgroup_id_z 0
		.amdhsa_system_sgpr_workgroup_info 0
		.amdhsa_system_vgpr_workitem_id 1
		.amdhsa_next_free_vgpr 48
		.amdhsa_next_free_sgpr 76
		.amdhsa_accum_offset 48
		.amdhsa_reserve_vcc 1
		.amdhsa_reserve_flat_scratch 0
		.amdhsa_float_round_mode_32 0
		.amdhsa_float_round_mode_16_64 0
		.amdhsa_float_denorm_mode_32 3
		.amdhsa_float_denorm_mode_16_64 3
		.amdhsa_dx10_clamp 1
		.amdhsa_ieee_mode 1
		.amdhsa_fp16_overflow 0
		.amdhsa_tg_split 0
		.amdhsa_exception_fp_ieee_invalid_op 0
		.amdhsa_exception_fp_denorm_src 0
		.amdhsa_exception_fp_ieee_div_zero 0
		.amdhsa_exception_fp_ieee_overflow 0
		.amdhsa_exception_fp_ieee_underflow 0
		.amdhsa_exception_fp_ieee_inexact 0
		.amdhsa_exception_int_div_zero 0
	.end_amdhsa_kernel
	.section	.text._ZN12_GLOBAL__N_120softmax_warp_forwardIN3c104HalfEffLi11ELb1ELb0ELi64EEEvPT0_PKT_iiiPKbib,"axG",@progbits,_ZN12_GLOBAL__N_120softmax_warp_forwardIN3c104HalfEffLi11ELb1ELb0ELi64EEEvPT0_PKT_iiiPKbib,comdat
.Lfunc_end127:
	.size	_ZN12_GLOBAL__N_120softmax_warp_forwardIN3c104HalfEffLi11ELb1ELb0ELi64EEEvPT0_PKT_iiiPKbib, .Lfunc_end127-_ZN12_GLOBAL__N_120softmax_warp_forwardIN3c104HalfEffLi11ELb1ELb0ELi64EEEvPT0_PKT_iiiPKbib
                                        ; -- End function
	.section	.AMDGPU.csdata,"",@progbits
; Kernel info:
; codeLenInByte = 6768
; NumSgprs: 80
; NumVgprs: 48
; NumAgprs: 0
; TotalNumVgprs: 48
; ScratchSize: 0
; MemoryBound: 0
; FloatMode: 240
; IeeeMode: 1
; LDSByteSize: 0 bytes/workgroup (compile time only)
; SGPRBlocks: 9
; VGPRBlocks: 5
; NumSGPRsForWavesPerEU: 80
; NumVGPRsForWavesPerEU: 48
; AccumOffset: 48
; Occupancy: 8
; WaveLimiterHint : 0
; COMPUTE_PGM_RSRC2:SCRATCH_EN: 0
; COMPUTE_PGM_RSRC2:USER_SGPR: 6
; COMPUTE_PGM_RSRC2:TRAP_HANDLER: 0
; COMPUTE_PGM_RSRC2:TGID_X_EN: 1
; COMPUTE_PGM_RSRC2:TGID_Y_EN: 0
; COMPUTE_PGM_RSRC2:TGID_Z_EN: 0
; COMPUTE_PGM_RSRC2:TIDIG_COMP_CNT: 1
; COMPUTE_PGM_RSRC3_GFX90A:ACCUM_OFFSET: 11
; COMPUTE_PGM_RSRC3_GFX90A:TG_SPLIT: 0
	.section	.text._ZN12_GLOBAL__N_120softmax_warp_forwardIN3c104HalfEffLi11ELb1ELb0ELi32EEEvPT0_PKT_iiiPKbib,"axG",@progbits,_ZN12_GLOBAL__N_120softmax_warp_forwardIN3c104HalfEffLi11ELb1ELb0ELi32EEEvPT0_PKT_iiiPKbib,comdat
	.globl	_ZN12_GLOBAL__N_120softmax_warp_forwardIN3c104HalfEffLi11ELb1ELb0ELi32EEEvPT0_PKT_iiiPKbib ; -- Begin function _ZN12_GLOBAL__N_120softmax_warp_forwardIN3c104HalfEffLi11ELb1ELb0ELi32EEEvPT0_PKT_iiiPKbib
	.p2align	8
	.type	_ZN12_GLOBAL__N_120softmax_warp_forwardIN3c104HalfEffLi11ELb1ELb0ELi32EEEvPT0_PKT_iiiPKbib,@function
_ZN12_GLOBAL__N_120softmax_warp_forwardIN3c104HalfEffLi11ELb1ELb0ELi32EEEvPT0_PKT_iiiPKbib: ; @_ZN12_GLOBAL__N_120softmax_warp_forwardIN3c104HalfEffLi11ELb1ELb0ELi32EEEvPT0_PKT_iiiPKbib
; %bb.0:
	s_load_dword s0, s[4:5], 0x3c
	s_load_dwordx8 s[40:47], s[4:5], 0x0
	v_bfe_u32 v1, v0, 10, 10
	v_and_b32_e32 v4, 0x3ff, v0
	v_mov_b32_e32 v39, 0xff800000
	s_waitcnt lgkmcnt(0)
	s_lshr_b32 s0, s0, 16
	s_mul_i32 s6, s6, s0
	v_add_u32_e32 v1, s6, v1
	v_sub_u32_e32 v5, s44, v1
	v_mad_u64_u32 v[0:1], s[0:1], v1, s45, v[4:5]
	v_ashrrev_i32_e32 v1, 31, v0
	v_lshlrev_b64 v[2:3], 1, v[0:1]
	v_mov_b32_e32 v6, s43
	v_add_co_u32_e32 v2, vcc, s42, v2
	v_addc_co_u32_e32 v3, vcc, v6, v3, vcc
	v_cmp_lt_i32_e32 vcc, 0, v5
	v_cmp_gt_i32_e64 s[4:5], s46, v4
	s_and_b64 s[2:3], vcc, s[4:5]
	v_mov_b32_e32 v74, 0xff800000
	s_and_saveexec_b64 s[0:1], s[2:3]
	s_cbranch_execz .LBB128_2
; %bb.1:
	global_load_ushort v6, v[2:3], off
	s_waitcnt vmcnt(0)
	v_cvt_f32_f16_e32 v74, v6
.LBB128_2:
	s_or_b64 exec, exec, s[0:1]
	v_add_u32_e32 v6, 32, v4
	v_cmp_gt_i32_e64 s[38:39], s46, v6
	s_and_b64 s[2:3], vcc, s[38:39]
	s_and_saveexec_b64 s[0:1], s[2:3]
	s_cbranch_execz .LBB128_4
; %bb.3:
	global_load_ushort v6, v[2:3], off offset:64
	s_waitcnt vmcnt(0)
	v_cvt_f32_f16_e32 v39, v6
.LBB128_4:
	s_or_b64 exec, exec, s[0:1]
	v_add_u32_e32 v6, 64, v4
	v_cmp_gt_i32_e64 s[0:1], s46, v6
                                        ; implicit-def: $vgpr79 : SGPR spill to VGPR lane
	v_mov_b32_e32 v46, 0xff800000
	v_writelane_b32 v79, s0, 0
	s_and_b64 s[2:3], vcc, s[0:1]
	v_mov_b32_e32 v71, 0xff800000
	v_writelane_b32 v79, s1, 1
	s_and_saveexec_b64 s[0:1], s[2:3]
	s_cbranch_execz .LBB128_6
; %bb.5:
	global_load_ushort v6, v[2:3], off offset:128
	s_waitcnt vmcnt(0)
	v_cvt_f32_f16_e32 v71, v6
.LBB128_6:
	s_or_b64 exec, exec, s[0:1]
	v_add_u32_e32 v6, 0x60, v4
	v_cmp_gt_i32_e64 s[0:1], s46, v6
	v_writelane_b32 v79, s0, 2
	s_and_b64 s[2:3], vcc, s[0:1]
	v_writelane_b32 v79, s1, 3
	s_and_saveexec_b64 s[0:1], s[2:3]
	s_cbranch_execz .LBB128_8
; %bb.7:
	global_load_ushort v6, v[2:3], off offset:192
	s_waitcnt vmcnt(0)
	v_cvt_f32_f16_e32 v46, v6
.LBB128_8:
	s_or_b64 exec, exec, s[0:1]
	v_add_u32_e32 v6, 0x80, v4
	v_cmp_gt_i32_e64 s[0:1], s46, v6
	v_writelane_b32 v79, s0, 4
	s_and_b64 s[2:3], vcc, s[0:1]
	v_mov_b32_e32 v53, 0xff800000
	v_mov_b32_e32 v49, 0xff800000
	v_writelane_b32 v79, s1, 5
	s_and_saveexec_b64 s[0:1], s[2:3]
	s_cbranch_execz .LBB128_10
; %bb.9:
	global_load_ushort v6, v[2:3], off offset:256
	s_waitcnt vmcnt(0)
	v_cvt_f32_f16_e32 v49, v6
.LBB128_10:
	s_or_b64 exec, exec, s[0:1]
	v_add_u32_e32 v6, 0xa0, v4
	v_cmp_gt_i32_e64 s[0:1], s46, v6
	v_writelane_b32 v79, s0, 6
	s_and_b64 s[2:3], vcc, s[0:1]
	v_writelane_b32 v79, s1, 7
	s_and_saveexec_b64 s[0:1], s[2:3]
	s_cbranch_execz .LBB128_12
; %bb.11:
	global_load_ushort v6, v[2:3], off offset:320
	s_waitcnt vmcnt(0)
	v_cvt_f32_f16_e32 v53, v6
.LBB128_12:
	s_or_b64 exec, exec, s[0:1]
	v_add_u32_e32 v6, 0xc0, v4
	v_cmp_gt_i32_e64 s[0:1], s46, v6
	v_writelane_b32 v79, s0, 8
	s_and_b64 s[2:3], vcc, s[0:1]
	v_mov_b32_e32 v62, 0xff800000
	;; [unrolled: 28-line block ×9, first 2 shown]
	v_mov_b32_e32 v64, 0xff800000
	v_writelane_b32 v79, s1, 37
	s_and_saveexec_b64 s[0:1], s[2:3]
	s_cbranch_execz .LBB128_42
; %bb.41:
	global_load_ushort v6, v[2:3], off offset:1280
	s_waitcnt vmcnt(0)
	v_cvt_f32_f16_e32 v64, v6
.LBB128_42:
	s_or_b64 exec, exec, s[0:1]
	v_add_u32_e32 v6, 0x2a0, v4
	v_cmp_gt_i32_e64 s[44:45], s46, v6
	s_and_b64 s[2:3], vcc, s[44:45]
	s_and_saveexec_b64 s[0:1], s[2:3]
	s_cbranch_execz .LBB128_44
; %bb.43:
	global_load_ushort v6, v[2:3], off offset:1344
	s_waitcnt vmcnt(0)
	v_cvt_f32_f16_e32 v54, v6
.LBB128_44:
	s_or_b64 exec, exec, s[0:1]
	v_add_u32_e32 v6, 0x2c0, v4
	v_cmp_gt_i32_e64 s[0:1], s46, v6
	s_and_b64 s[6:7], vcc, s[0:1]
	v_mov_b32_e32 v51, 0xff800000
	v_mov_b32_e32 v60, 0xff800000
	s_and_saveexec_b64 s[2:3], s[6:7]
	s_cbranch_execz .LBB128_46
; %bb.45:
	global_load_ushort v6, v[2:3], off offset:1408
	s_waitcnt vmcnt(0)
	v_cvt_f32_f16_e32 v60, v6
.LBB128_46:
	s_or_b64 exec, exec, s[2:3]
	v_add_u32_e32 v6, 0x2e0, v4
	v_cmp_gt_i32_e64 s[2:3], s46, v6
	v_writelane_b32 v79, s2, 38
	s_and_b64 s[6:7], vcc, s[2:3]
	v_writelane_b32 v79, s3, 39
	s_and_saveexec_b64 s[2:3], s[6:7]
	s_cbranch_execz .LBB128_48
; %bb.47:
	global_load_ushort v6, v[2:3], off offset:1472
	s_waitcnt vmcnt(0)
	v_cvt_f32_f16_e32 v51, v6
.LBB128_48:
	s_or_b64 exec, exec, s[2:3]
	v_add_u32_e32 v6, 0x300, v4
	v_cmp_gt_i32_e64 s[48:49], s46, v6
	s_and_b64 s[6:7], vcc, s[48:49]
	v_mov_b32_e32 v48, 0xff800000
	v_mov_b32_e32 v57, 0xff800000
	s_and_saveexec_b64 s[2:3], s[6:7]
	s_cbranch_execz .LBB128_50
; %bb.49:
	global_load_ushort v6, v[2:3], off offset:1536
	s_waitcnt vmcnt(0)
	v_cvt_f32_f16_e32 v57, v6
.LBB128_50:
	s_or_b64 exec, exec, s[2:3]
	v_add_u32_e32 v6, 0x320, v4
	v_cmp_gt_i32_e64 s[50:51], s46, v6
	s_and_b64 s[6:7], vcc, s[50:51]
	s_and_saveexec_b64 s[2:3], s[6:7]
	s_cbranch_execz .LBB128_52
; %bb.51:
	global_load_ushort v6, v[2:3], off offset:1600
	s_waitcnt vmcnt(0)
	v_cvt_f32_f16_e32 v48, v6
.LBB128_52:
	s_or_b64 exec, exec, s[2:3]
	v_add_u32_e32 v6, 0x340, v4
	v_cmp_gt_i32_e64 s[52:53], s46, v6
	s_and_b64 s[6:7], vcc, s[52:53]
	v_mov_b32_e32 v45, 0xff800000
	v_mov_b32_e32 v52, 0xff800000
	s_and_saveexec_b64 s[2:3], s[6:7]
	s_cbranch_execz .LBB128_54
; %bb.53:
	global_load_ushort v6, v[2:3], off offset:1664
	s_waitcnt vmcnt(0)
	v_cvt_f32_f16_e32 v52, v6
.LBB128_54:
	s_or_b64 exec, exec, s[2:3]
	v_add_u32_e32 v6, 0x360, v4
	v_cmp_gt_i32_e64 s[54:55], s46, v6
	s_and_b64 s[6:7], vcc, s[54:55]
	;; [unrolled: 24-line block ×4, first 2 shown]
	s_and_saveexec_b64 s[2:3], s[6:7]
	s_cbranch_execz .LBB128_64
; %bb.63:
	global_load_ushort v6, v[2:3], off offset:1984
	s_waitcnt vmcnt(0)
	v_cvt_f32_f16_e32 v36, v6
.LBB128_64:
	s_or_b64 exec, exec, s[2:3]
	v_or_b32_e32 v6, 0x400, v4
	v_cmp_gt_i32_e64 s[64:65], s46, v6
	s_and_b64 s[6:7], vcc, s[64:65]
	v_mov_b32_e32 v34, 0xff800000
	v_mov_b32_e32 v43, 0xff800000
	s_and_saveexec_b64 s[2:3], s[6:7]
	s_cbranch_execz .LBB128_66
; %bb.65:
	global_load_ushort v6, v[2:3], off offset:2048
	s_waitcnt vmcnt(0)
	v_cvt_f32_f16_e32 v43, v6
.LBB128_66:
	s_or_b64 exec, exec, s[2:3]
	v_add_u32_e32 v6, 0x420, v4
	v_cmp_gt_i32_e64 s[66:67], s46, v6
	s_and_b64 s[6:7], vcc, s[66:67]
	s_and_saveexec_b64 s[2:3], s[6:7]
	s_cbranch_execz .LBB128_68
; %bb.67:
	global_load_ushort v6, v[2:3], off offset:2112
	s_waitcnt vmcnt(0)
	v_cvt_f32_f16_e32 v34, v6
.LBB128_68:
	s_or_b64 exec, exec, s[2:3]
	v_add_u32_e32 v6, 0x440, v4
	v_cmp_gt_i32_e64 s[68:69], s46, v6
	s_and_b64 s[6:7], vcc, s[68:69]
	v_mov_b32_e32 v32, 0xff800000
	v_mov_b32_e32 v38, 0xff800000
	s_and_saveexec_b64 s[2:3], s[6:7]
	s_cbranch_execz .LBB128_70
; %bb.69:
	global_load_ushort v6, v[2:3], off offset:2176
	s_waitcnt vmcnt(0)
	v_cvt_f32_f16_e32 v38, v6
.LBB128_70:
	s_or_b64 exec, exec, s[2:3]
	v_add_u32_e32 v6, 0x460, v4
	v_cmp_gt_i32_e64 s[70:71], s46, v6
	s_and_b64 s[6:7], vcc, s[70:71]
	s_and_saveexec_b64 s[2:3], s[6:7]
	s_cbranch_execz .LBB128_72
; %bb.71:
	global_load_ushort v6, v[2:3], off offset:2240
	s_waitcnt vmcnt(0)
	v_cvt_f32_f16_e32 v32, v6
.LBB128_72:
	s_or_b64 exec, exec, s[2:3]
	v_add_u32_e32 v6, 0x480, v4
	;; [unrolled: 24-line block ×15, first 2 shown]
	v_cmp_gt_i32_e64 s[34:35], s46, v6
	s_and_b64 s[42:43], vcc, s[34:35]
	v_mov_b32_e32 v6, 0xff800000
	v_mov_b32_e32 v9, 0xff800000
	s_and_saveexec_b64 s[36:37], s[42:43]
	s_cbranch_execz .LBB128_126
; %bb.125:
	global_load_ushort v9, v[2:3], off offset:3968
	s_waitcnt vmcnt(0)
	v_cvt_f32_f16_e32 v9, v9
.LBB128_126:
	s_or_b64 exec, exec, s[36:37]
	v_add_u32_e32 v4, 0x7e0, v4
	v_cmp_gt_i32_e64 s[36:37], s46, v4
	s_and_b64 s[42:43], vcc, s[36:37]
	s_and_saveexec_b64 s[46:47], s[42:43]
	s_cbranch_execz .LBB128_128
; %bb.127:
	global_load_ushort v2, v[2:3], off offset:4032
	s_waitcnt vmcnt(0)
	v_cvt_f32_f16_e32 v6, v2
.LBB128_128:
	s_or_b64 exec, exec, s[46:47]
	v_cmp_gt_f32_e32 vcc, v74, v39
	v_cndmask_b32_e32 v2, v39, v74, vcc
	v_cmp_gt_f32_e32 vcc, v2, v71
	v_cndmask_b32_e32 v2, v71, v2, vcc
	;; [unrolled: 2-line block ×61, first 2 shown]
	v_mbcnt_lo_u32_b32 v3, -1, 0
	v_cmp_gt_f32_e32 vcc, v2, v9
	v_mbcnt_hi_u32_b32 v3, -1, v3
	v_cndmask_b32_e32 v2, v9, v2, vcc
	v_and_b32_e32 v4, 0x60, v3
	v_cmp_gt_f32_e32 vcc, v2, v6
	v_add_u32_e32 v44, 32, v4
	v_xor_b32_e32 v4, 16, v3
	v_cndmask_b32_e32 v2, v6, v2, vcc
	v_cmp_lt_i32_e32 vcc, v4, v44
	v_cndmask_b32_e32 v4, v3, v4, vcc
	v_lshlrev_b32_e32 v4, 2, v4
	ds_bpermute_b32 v37, v4, v2
	s_mov_b32 s33, 0x3fb8aa3b
	s_mov_b32 s46, 0xc2ce8ed0
	s_mov_b32 s47, 0x42b17218
	s_waitcnt lgkmcnt(0)
	v_cmp_lt_f32_e32 vcc, v2, v37
	v_cndmask_b32_e32 v2, v2, v37, vcc
	v_xor_b32_e32 v37, 8, v3
	v_cmp_lt_i32_e32 vcc, v37, v44
	v_cndmask_b32_e32 v37, v3, v37, vcc
	v_lshlrev_b32_e32 v37, 2, v37
	ds_bpermute_b32 v40, v37, v2
	s_waitcnt lgkmcnt(0)
	v_cmp_lt_f32_e32 vcc, v2, v40
	v_cndmask_b32_e32 v2, v2, v40, vcc
	v_xor_b32_e32 v40, 4, v3
	v_cmp_lt_i32_e32 vcc, v40, v44
	v_cndmask_b32_e32 v40, v3, v40, vcc
	v_lshlrev_b32_e32 v40, 2, v40
	ds_bpermute_b32 v42, v40, v2
	;; [unrolled: 8-line block ×4, first 2 shown]
	s_waitcnt lgkmcnt(0)
	v_cmp_lt_f32_e32 vcc, v2, v3
	v_cndmask_b32_e32 v55, v2, v3, vcc
	v_sub_f32_e32 v2, v74, v55
	v_mul_f32_e32 v3, 0x3fb8aa3b, v2
	v_fma_f32 v74, v2, s33, -v3
	v_rndne_f32_e32 v75, v3
	v_fmac_f32_e32 v74, 0x32a5705f, v2
	v_sub_f32_e32 v3, v3, v75
	v_add_f32_e32 v3, v3, v74
	v_exp_f32_e32 v74, v3
	v_sub_f32_e32 v3, v39, v55
	v_mul_f32_e32 v39, 0x3fb8aa3b, v3
	v_fma_f32 v76, v3, s33, -v39
	v_rndne_f32_e32 v77, v39
	v_fmac_f32_e32 v76, 0x32a5705f, v3
	v_sub_f32_e32 v39, v39, v77
	v_add_f32_e32 v39, v39, v76
	v_cvt_i32_f32_e32 v75, v75
	v_exp_f32_e32 v39, v39
	v_cvt_i32_f32_e32 v76, v77
	v_cmp_ngt_f32_e32 vcc, s46, v2
	v_ldexp_f32 v74, v74, v75
	v_cndmask_b32_e32 v74, 0, v74, vcc
	v_ldexp_f32 v75, v39, v76
	v_sub_f32_e32 v39, v71, v55
	v_mul_f32_e32 v71, 0x3fb8aa3b, v39
	v_fma_f32 v76, v39, s33, -v71
	v_rndne_f32_e32 v77, v71
	v_fmac_f32_e32 v76, 0x32a5705f, v39
	v_sub_f32_e32 v71, v71, v77
	v_add_f32_e32 v76, v71, v76
	v_mov_b32_e32 v71, 0x7f800000
	v_cmp_nlt_f32_e32 vcc, s47, v2
	v_exp_f32_e32 v76, v76
	v_cvt_i32_f32_e32 v77, v77
	v_cndmask_b32_e32 v74, v71, v74, vcc
	v_cmp_ngt_f32_e32 vcc, s46, v3
	v_cndmask_b32_e32 v75, 0, v75, vcc
	v_cmp_nlt_f32_e32 vcc, s47, v3
	v_cndmask_b32_e32 v75, v71, v75, vcc
	v_sub_f32_e32 v46, v46, v55
	v_add_f32_e32 v74, v74, v75
	v_ldexp_f32 v75, v76, v77
	v_mul_f32_e32 v76, 0x3fb8aa3b, v46
	v_fma_f32 v77, v46, s33, -v76
	v_rndne_f32_e32 v78, v76
	v_fmac_f32_e32 v77, 0x32a5705f, v46
	v_sub_f32_e32 v76, v76, v78
	v_add_f32_e32 v76, v76, v77
	v_exp_f32_e32 v76, v76
	v_cvt_i32_f32_e32 v77, v78
	v_cmp_ngt_f32_e32 vcc, s46, v39
	v_cndmask_b32_e32 v75, 0, v75, vcc
	v_cmp_nlt_f32_e32 vcc, s47, v39
	v_cndmask_b32_e32 v75, v71, v75, vcc
	v_sub_f32_e32 v49, v49, v55
	v_add_f32_e32 v74, v74, v75
	v_ldexp_f32 v75, v76, v77
	v_mul_f32_e32 v76, 0x3fb8aa3b, v49
	v_fma_f32 v77, v49, s33, -v76
	v_rndne_f32_e32 v78, v76
	v_fmac_f32_e32 v77, 0x32a5705f, v49
	v_sub_f32_e32 v76, v76, v78
	v_add_f32_e32 v76, v76, v77
	v_exp_f32_e32 v76, v76
	v_cvt_i32_f32_e32 v77, v78
	;; [unrolled: 15-line block ×60, first 2 shown]
	v_cmp_ngt_f32_e32 vcc, s46, v7
	v_cndmask_b32_e32 v75, 0, v75, vcc
	v_cmp_nlt_f32_e32 vcc, s47, v7
	v_sub_f32_e32 v6, v6, v55
	v_cndmask_b32_e32 v75, v71, v75, vcc
	v_mul_f32_e32 v55, 0x3fb8aa3b, v6
	v_add_f32_e32 v74, v74, v75
	v_ldexp_f32 v75, v76, v77
	v_fma_f32 v76, v6, s33, -v55
	v_rndne_f32_e32 v77, v55
	v_fmac_f32_e32 v76, 0x32a5705f, v6
	v_sub_f32_e32 v55, v55, v77
	v_add_f32_e32 v55, v55, v76
	v_exp_f32_e32 v55, v55
	v_cvt_i32_f32_e32 v76, v77
	v_cmp_ngt_f32_e32 vcc, s46, v9
	v_cndmask_b32_e32 v75, 0, v75, vcc
	v_cmp_nlt_f32_e32 vcc, s47, v9
	v_cndmask_b32_e32 v75, v71, v75, vcc
	v_ldexp_f32 v55, v55, v76
	v_cmp_ngt_f32_e32 vcc, s46, v6
	v_cndmask_b32_e32 v55, 0, v55, vcc
	v_cmp_nlt_f32_e32 vcc, s47, v6
	v_add_f32_e32 v74, v74, v75
	v_cndmask_b32_e32 v55, v71, v55, vcc
	v_add_f32_e32 v55, v74, v55
	ds_bpermute_b32 v4, v4, v55
	v_cmp_lt_i32_e32 vcc, 0, v5
	s_waitcnt lgkmcnt(0)
	v_add_f32_e32 v4, v55, v4
	ds_bpermute_b32 v37, v37, v4
	s_waitcnt lgkmcnt(0)
	v_add_f32_e32 v4, v4, v37
	ds_bpermute_b32 v37, v40, v4
	;; [unrolled: 3-line block ×4, first 2 shown]
	s_and_saveexec_b64 s[42:43], vcc
	s_cbranch_execz .LBB128_194
; %bb.129:
	s_and_b64 exec, exec, s[4:5]
	s_cbranch_execz .LBB128_194
; %bb.130:
	s_waitcnt lgkmcnt(0)
	v_add_f32_e32 v4, v4, v37
	s_mov_b32 s4, 0x800000
	v_mov_b32_e32 v5, 0x4f800000
	v_cmp_gt_f32_e32 vcc, s4, v4
	v_cndmask_b32_e32 v5, 1.0, v5, vcc
	v_mul_f32_e32 v4, v4, v5
	v_log_f32_e32 v4, v4
	s_mov_b32 s4, 0x3f317217
	v_lshlrev_b64 v[0:1], 2, v[0:1]
	v_mul_f32_e32 v5, 0x3f317217, v4
	v_fma_f32 v37, v4, s4, -v5
	v_fmac_f32_e32 v37, 0x3377d1cf, v4
	s_mov_b32 s4, 0x7f800000
	v_add_f32_e32 v5, v5, v37
	v_cmp_lt_f32_e64 s[4:5], |v4|, s4
	v_cndmask_b32_e64 v4, v4, v5, s[4:5]
	v_mov_b32_e32 v5, 0x41b17218
	v_cndmask_b32_e32 v5, 0, v5, vcc
	v_sub_f32_e32 v4, v4, v5
	v_mov_b32_e32 v5, s41
	v_add_co_u32_e32 v0, vcc, s40, v0
	v_addc_co_u32_e32 v1, vcc, v5, v1, vcc
	v_sub_f32_e32 v2, v2, v4
	global_store_dword v[0:1], v2, off
	s_and_b64 exec, exec, s[38:39]
	s_cbranch_execz .LBB128_194
; %bb.131:
	v_readlane_b32 s4, v79, 0
	v_sub_f32_e32 v2, v3, v4
	v_readlane_b32 s5, v79, 1
	global_store_dword v[0:1], v2, off offset:128
	s_and_b64 exec, exec, s[4:5]
	s_cbranch_execz .LBB128_194
; %bb.132:
	v_readlane_b32 s4, v79, 2
	v_sub_f32_e32 v2, v39, v4
	v_readlane_b32 s5, v79, 3
	global_store_dword v[0:1], v2, off offset:256
	;; [unrolled: 7-line block ×19, first 2 shown]
	s_and_b64 exec, exec, s[4:5]
	s_cbranch_execz .LBB128_194
; %bb.150:
	v_sub_f32_e32 v2, v64, v4
	global_store_dword v[0:1], v2, off offset:2560
	s_and_b64 exec, exec, s[44:45]
	s_cbranch_execz .LBB128_194
; %bb.151:
	v_sub_f32_e32 v2, v54, v4
	global_store_dword v[0:1], v2, off offset:2688
	s_and_b64 exec, exec, s[0:1]
	s_cbranch_execz .LBB128_194
; %bb.152:
	v_readlane_b32 s0, v79, 38
	v_sub_f32_e32 v2, v60, v4
	v_readlane_b32 s1, v79, 39
	global_store_dword v[0:1], v2, off offset:2816
	s_and_b64 exec, exec, s[0:1]
	s_cbranch_execz .LBB128_194
; %bb.153:
	v_sub_f32_e32 v2, v51, v4
	global_store_dword v[0:1], v2, off offset:2944
	s_and_b64 exec, exec, s[48:49]
	s_cbranch_execz .LBB128_194
; %bb.154:
	v_sub_f32_e32 v2, v57, v4
	;; [unrolled: 5-line block ×9, first 2 shown]
	global_store_dword v[0:1], v2, off offset:3968
	s_and_b64 exec, exec, s[64:65]
	s_cbranch_execz .LBB128_194
; %bb.162:
	v_add_co_u32_e32 v2, vcc, 0x1000, v0
	v_sub_f32_e32 v5, v43, v4
	v_addc_co_u32_e32 v3, vcc, 0, v1, vcc
	global_store_dword v[2:3], v5, off
	s_and_b64 exec, exec, s[66:67]
	s_cbranch_execz .LBB128_194
; %bb.163:
	v_add_co_u32_e32 v2, vcc, 0x1000, v0
	v_sub_f32_e32 v5, v34, v4
	v_addc_co_u32_e32 v3, vcc, 0, v1, vcc
	global_store_dword v[2:3], v5, off offset:128
	s_and_b64 exec, exec, s[68:69]
	s_cbranch_execz .LBB128_194
; %bb.164:
	v_add_co_u32_e32 v2, vcc, 0x1000, v0
	v_sub_f32_e32 v5, v38, v4
	v_addc_co_u32_e32 v3, vcc, 0, v1, vcc
	global_store_dword v[2:3], v5, off offset:256
	;; [unrolled: 7-line block ×31, first 2 shown]
.LBB128_194:
	s_endpgm
	.section	.rodata,"a",@progbits
	.p2align	6, 0x0
	.amdhsa_kernel _ZN12_GLOBAL__N_120softmax_warp_forwardIN3c104HalfEffLi11ELb1ELb0ELi32EEEvPT0_PKT_iiiPKbib
		.amdhsa_group_segment_fixed_size 0
		.amdhsa_private_segment_fixed_size 0
		.amdhsa_kernarg_size 304
		.amdhsa_user_sgpr_count 6
		.amdhsa_user_sgpr_private_segment_buffer 1
		.amdhsa_user_sgpr_dispatch_ptr 0
		.amdhsa_user_sgpr_queue_ptr 0
		.amdhsa_user_sgpr_kernarg_segment_ptr 1
		.amdhsa_user_sgpr_dispatch_id 0
		.amdhsa_user_sgpr_flat_scratch_init 0
		.amdhsa_user_sgpr_kernarg_preload_length 0
		.amdhsa_user_sgpr_kernarg_preload_offset 0
		.amdhsa_user_sgpr_private_segment_size 0
		.amdhsa_uses_dynamic_stack 0
		.amdhsa_system_sgpr_private_segment_wavefront_offset 0
		.amdhsa_system_sgpr_workgroup_id_x 1
		.amdhsa_system_sgpr_workgroup_id_y 0
		.amdhsa_system_sgpr_workgroup_id_z 0
		.amdhsa_system_sgpr_workgroup_info 0
		.amdhsa_system_vgpr_workitem_id 1
		.amdhsa_next_free_vgpr 80
		.amdhsa_next_free_sgpr 96
		.amdhsa_accum_offset 80
		.amdhsa_reserve_vcc 1
		.amdhsa_reserve_flat_scratch 0
		.amdhsa_float_round_mode_32 0
		.amdhsa_float_round_mode_16_64 0
		.amdhsa_float_denorm_mode_32 3
		.amdhsa_float_denorm_mode_16_64 3
		.amdhsa_dx10_clamp 1
		.amdhsa_ieee_mode 1
		.amdhsa_fp16_overflow 0
		.amdhsa_tg_split 0
		.amdhsa_exception_fp_ieee_invalid_op 0
		.amdhsa_exception_fp_denorm_src 0
		.amdhsa_exception_fp_ieee_div_zero 0
		.amdhsa_exception_fp_ieee_overflow 0
		.amdhsa_exception_fp_ieee_underflow 0
		.amdhsa_exception_fp_ieee_inexact 0
		.amdhsa_exception_int_div_zero 0
	.end_amdhsa_kernel
	.section	.text._ZN12_GLOBAL__N_120softmax_warp_forwardIN3c104HalfEffLi11ELb1ELb0ELi32EEEvPT0_PKT_iiiPKbib,"axG",@progbits,_ZN12_GLOBAL__N_120softmax_warp_forwardIN3c104HalfEffLi11ELb1ELb0ELi32EEEvPT0_PKT_iiiPKbib,comdat
.Lfunc_end128:
	.size	_ZN12_GLOBAL__N_120softmax_warp_forwardIN3c104HalfEffLi11ELb1ELb0ELi32EEEvPT0_PKT_iiiPKbib, .Lfunc_end128-_ZN12_GLOBAL__N_120softmax_warp_forwardIN3c104HalfEffLi11ELb1ELb0ELi32EEEvPT0_PKT_iiiPKbib
                                        ; -- End function
	.section	.AMDGPU.csdata,"",@progbits
; Kernel info:
; codeLenInByte = 11788
; NumSgprs: 100
; NumVgprs: 80
; NumAgprs: 0
; TotalNumVgprs: 80
; ScratchSize: 0
; MemoryBound: 0
; FloatMode: 240
; IeeeMode: 1
; LDSByteSize: 0 bytes/workgroup (compile time only)
; SGPRBlocks: 12
; VGPRBlocks: 9
; NumSGPRsForWavesPerEU: 100
; NumVGPRsForWavesPerEU: 80
; AccumOffset: 80
; Occupancy: 6
; WaveLimiterHint : 0
; COMPUTE_PGM_RSRC2:SCRATCH_EN: 0
; COMPUTE_PGM_RSRC2:USER_SGPR: 6
; COMPUTE_PGM_RSRC2:TRAP_HANDLER: 0
; COMPUTE_PGM_RSRC2:TGID_X_EN: 1
; COMPUTE_PGM_RSRC2:TGID_Y_EN: 0
; COMPUTE_PGM_RSRC2:TGID_Z_EN: 0
; COMPUTE_PGM_RSRC2:TIDIG_COMP_CNT: 1
; COMPUTE_PGM_RSRC3_GFX90A:ACCUM_OFFSET: 19
; COMPUTE_PGM_RSRC3_GFX90A:TG_SPLIT: 0
	.section	.text._ZN2at6native12_GLOBAL__N_123cunn_SoftMaxForwardSmemILi8EN3c104HalfEffNS1_25LogSoftMaxForwardEpilogueElEEvPT2_PKT0_T4_,"axG",@progbits,_ZN2at6native12_GLOBAL__N_123cunn_SoftMaxForwardSmemILi8EN3c104HalfEffNS1_25LogSoftMaxForwardEpilogueElEEvPT2_PKT0_T4_,comdat
	.globl	_ZN2at6native12_GLOBAL__N_123cunn_SoftMaxForwardSmemILi8EN3c104HalfEffNS1_25LogSoftMaxForwardEpilogueElEEvPT2_PKT0_T4_ ; -- Begin function _ZN2at6native12_GLOBAL__N_123cunn_SoftMaxForwardSmemILi8EN3c104HalfEffNS1_25LogSoftMaxForwardEpilogueElEEvPT2_PKT0_T4_
	.p2align	8
	.type	_ZN2at6native12_GLOBAL__N_123cunn_SoftMaxForwardSmemILi8EN3c104HalfEffNS1_25LogSoftMaxForwardEpilogueElEEvPT2_PKT0_T4_,@function
_ZN2at6native12_GLOBAL__N_123cunn_SoftMaxForwardSmemILi8EN3c104HalfEffNS1_25LogSoftMaxForwardEpilogueElEEvPT2_PKT0_T4_: ; @_ZN2at6native12_GLOBAL__N_123cunn_SoftMaxForwardSmemILi8EN3c104HalfEffNS1_25LogSoftMaxForwardEpilogueElEEvPT2_PKT0_T4_
; %bb.0:
	s_load_dwordx4 s[24:27], s[4:5], 0x0
	s_load_dwordx2 s[28:29], s[4:5], 0x10
	v_mov_b32_e32 v1, 0
	v_lshlrev_b32_e32 v2, 3, v0
	v_mov_b32_e32 v3, v1
	s_mov_b32 s10, 0
	s_waitcnt lgkmcnt(0)
	v_cmp_gt_i64_e32 vcc, s[28:29], v[2:3]
	v_mov_b32_e32 v6, 0xff7fffff
	s_mul_i32 s33, s29, s6
	s_mul_hi_u32 s36, s28, s6
	s_mul_i32 s30, s28, s6
	s_and_saveexec_b64 s[2:3], vcc
	s_cbranch_execz .LBB129_4
; %bb.1:
	s_load_dword s6, s[4:5], 0x24
	s_add_i32 s31, s36, s33
	s_lshl_b64 s[0:1], s[30:31], 1
	v_lshlrev_b32_e32 v4, 4, v0
	v_add_u32_e32 v7, 0, v4
	s_waitcnt lgkmcnt(0)
	s_and_b32 s8, s6, 0xffff
	s_add_u32 s0, s26, s0
	s_addc_u32 s1, s27, s1
	v_mov_b32_e32 v2, s1
	v_add_co_u32_e64 v3, s[0:1], s0, v4
	v_addc_co_u32_e64 v5, s[0:1], 0, v2, s[0:1]
	v_add_co_u32_e64 v2, s[0:1], 8, v3
	v_addc_co_u32_e64 v3, s[0:1], 0, v5, s[0:1]
	s_lshl_b32 s9, s8, 4
	s_mov_b64 s[6:7], 0
	v_mov_b32_e32 v6, 0xff7fffff
	v_mov_b32_e32 v8, s10
	;; [unrolled: 1-line block ×3, first 2 shown]
	v_pk_mov_b32 v[4:5], v[0:1], v[0:1] op_sel:[0,1]
.LBB129_2:                              ; =>This Inner Loop Header: Depth=1
	global_load_dwordx4 v[10:13], v[2:3], off offset:-8
	v_add_co_u32_e64 v4, s[0:1], s8, v4
	v_addc_co_u32_e64 v5, s[0:1], v5, v8, s[0:1]
	v_add_co_u32_e64 v2, s[0:1], s9, v2
	v_addc_co_u32_e64 v3, s[0:1], v3, v9, s[0:1]
	v_lshlrev_b64 v[14:15], 3, v[4:5]
	v_cmp_le_i64_e64 s[0:1], s[28:29], v[14:15]
	s_or_b64 s[6:7], s[0:1], s[6:7]
	s_waitcnt vmcnt(0)
	ds_write_b128 v7, v[10:13]
	v_cvt_f32_f16_e32 v14, v10
	v_cvt_f32_f16_sdwa v10, v10 dst_sel:DWORD dst_unused:UNUSED_PAD src0_sel:WORD_1
	v_cvt_f32_f16_e32 v15, v11
	v_cvt_f32_f16_sdwa v11, v11 dst_sel:DWORD dst_unused:UNUSED_PAD src0_sel:WORD_1
	;; [unrolled: 2-line block ×4, first 2 shown]
	v_max3_f32 v6, v6, v14, v10
	v_max3_f32 v6, v6, v15, v11
	;; [unrolled: 1-line block ×3, first 2 shown]
	v_add_u32_e32 v7, s9, v7
	v_max3_f32 v6, v6, v17, v13
	s_andn2_b64 exec, exec, s[6:7]
	s_cbranch_execnz .LBB129_2
; %bb.3:
	s_or_b64 exec, exec, s[6:7]
.LBB129_4:
	s_or_b64 exec, exec, s[2:3]
	v_mbcnt_lo_u32_b32 v2, -1, 0
	v_mbcnt_hi_u32_b32 v4, -1, v2
	v_and_b32_e32 v5, 63, v4
	v_cmp_gt_u32_e64 s[0:1], 32, v5
	v_cndmask_b32_e64 v2, 0, 1, s[0:1]
	v_lshlrev_b32_e32 v2, 5, v2
	v_add_lshl_u32 v7, v2, v4, 2
	ds_bpermute_b32 v2, v7, v6
	v_cmp_gt_u32_e64 s[0:1], 48, v5
	v_cndmask_b32_e64 v3, 0, 1, s[0:1]
	v_lshlrev_b32_e32 v3, 4, v3
	v_add_lshl_u32 v11, v3, v4, 2
	s_waitcnt lgkmcnt(0)
	v_cmp_lt_f32_e64 s[0:1], v6, v2
	v_cndmask_b32_e64 v2, v6, v2, s[0:1]
	ds_bpermute_b32 v3, v11, v2
	v_lshrrev_b32_e32 v16, 4, v0
	s_waitcnt lgkmcnt(0)
	s_barrier
	v_cmp_lt_f32_e64 s[0:1], v2, v3
	v_cndmask_b32_e64 v2, v2, v3, s[0:1]
	v_cmp_gt_u32_e64 s[0:1], 56, v5
	v_cndmask_b32_e64 v3, 0, 1, s[0:1]
	v_lshlrev_b32_e32 v3, 3, v3
	v_add_lshl_u32 v12, v3, v4, 2
	ds_bpermute_b32 v3, v12, v2
	s_waitcnt lgkmcnt(0)
	v_cmp_lt_f32_e64 s[0:1], v2, v3
	v_cndmask_b32_e64 v2, v2, v3, s[0:1]
	v_cmp_gt_u32_e64 s[0:1], 60, v5
	v_cndmask_b32_e64 v3, 0, 1, s[0:1]
	v_lshlrev_b32_e32 v3, 2, v3
	v_add_lshl_u32 v13, v3, v4, 2
	ds_bpermute_b32 v3, v13, v2
	s_waitcnt lgkmcnt(0)
	v_cmp_lt_f32_e64 s[0:1], v2, v3
	v_cndmask_b32_e64 v2, v2, v3, s[0:1]
	v_cmp_gt_u32_e64 s[0:1], 62, v5
	v_cndmask_b32_e64 v3, 0, 1, s[0:1]
	v_lshlrev_b32_e32 v3, 1, v3
	v_add_lshl_u32 v14, v3, v4, 2
	ds_bpermute_b32 v6, v14, v2
	s_lshl_b32 s0, s28, 1
	s_add_i32 s31, s0, 0
	v_and_b32_e32 v3, 63, v0
	s_waitcnt lgkmcnt(0)
	v_cmp_lt_f32_e64 s[0:1], v2, v6
	v_cndmask_b32_e64 v2, v2, v6, s[0:1]
	v_cmp_ne_u32_e64 s[0:1], 63, v5
	v_addc_co_u32_e64 v4, s[0:1], 0, v4, s[0:1]
	v_lshlrev_b32_e32 v15, 2, v4
	ds_bpermute_b32 v4, v15, v2
	v_cmp_eq_u32_e64 s[0:1], 0, v3
	s_and_saveexec_b64 s[6:7], s[0:1]
	s_cbranch_execz .LBB129_6
; %bb.5:
	s_waitcnt lgkmcnt(0)
	v_cmp_lt_f32_e64 s[2:3], v2, v4
	v_add_u32_e32 v5, s31, v16
	v_cndmask_b32_e64 v2, v2, v4, s[2:3]
	ds_write_b32 v5, v2
.LBB129_6:
	s_or_b64 exec, exec, s[6:7]
	s_waitcnt lgkmcnt(0)
	s_barrier
	s_load_dword s10, s[4:5], 0x24
	v_mov_b32_e32 v2, 0xff7fffff
	v_lshl_add_u32 v17, v3, 2, s31
	s_waitcnt lgkmcnt(0)
	s_bfe_u32 s2, s10, 0xa0006
	v_cmp_gt_u32_e64 s[2:3], s2, v0
	s_and_saveexec_b64 s[4:5], s[2:3]
	s_cbranch_execnz .LBB129_24
; %bb.7:
	s_or_b64 exec, exec, s[4:5]
	v_cmp_gt_u32_e64 s[4:5], 64, v0
	s_and_saveexec_b64 s[8:9], s[4:5]
	s_cbranch_execnz .LBB129_25
.LBB129_8:
	s_or_b64 exec, exec, s[8:9]
	v_cmp_eq_u32_e64 s[6:7], 0, v0
	s_and_saveexec_b64 s[8:9], s[6:7]
	s_cbranch_execz .LBB129_10
.LBB129_9:
	v_mov_b32_e32 v3, s31
	s_waitcnt lgkmcnt(0)
	ds_write_b32 v3, v2
.LBB129_10:
	s_or_b64 exec, exec, s[8:9]
	s_waitcnt lgkmcnt(0)
	v_mov_b32_e32 v2, s31
	s_barrier
	ds_read_b32 v6, v2
	s_and_b32 s37, s10, 0xffff
	v_mov_b32_e32 v18, 0
	v_lshl_add_u32 v10, v0, 4, 0
	s_and_saveexec_b64 s[26:27], vcc
	s_cbranch_execz .LBB129_14
; %bb.11:
	s_mov_b32 s8, 0
	v_lshl_add_u32 v19, v0, 4, 0
	s_lshl_b32 s38, s37, 4
	s_mov_b64 s[34:35], 0
	v_mov_b32_e32 v18, 0
	s_mov_b32 s39, 0x3fb8aa3b
	s_mov_b32 s40, 0xc2ce8ed0
	;; [unrolled: 1-line block ×3, first 2 shown]
	v_mov_b32_e32 v20, 0x7f800000
	v_mov_b32_e32 v21, s8
	v_pk_mov_b32 v[8:9], v[0:1], v[0:1] op_sel:[0,1]
.LBB129_12:                             ; =>This Inner Loop Header: Depth=1
	ds_read_b128 v[2:5], v19
	v_add_co_u32_e64 v8, s[8:9], s37, v8
	v_addc_co_u32_e64 v9, s[8:9], v9, v21, s[8:9]
	v_lshlrev_b64 v[22:23], 3, v[8:9]
	v_cmp_le_i64_e64 s[8:9], s[28:29], v[22:23]
	s_waitcnt lgkmcnt(0)
	v_cvt_f32_f16_e32 v22, v2
	v_cvt_f32_f16_sdwa v2, v2 dst_sel:DWORD dst_unused:UNUSED_PAD src0_sel:WORD_1
	v_cvt_f32_f16_e32 v23, v3
	v_cvt_f32_f16_sdwa v3, v3 dst_sel:DWORD dst_unused:UNUSED_PAD src0_sel:WORD_1
	;; [unrolled: 2-line block ×4, first 2 shown]
	v_sub_f32_e32 v22, v22, v6
	v_sub_f32_e32 v2, v2, v6
	;; [unrolled: 1-line block ×8, first 2 shown]
	v_mul_f32_e32 v26, 0x3fb8aa3b, v22
	v_mul_f32_e32 v27, 0x3fb8aa3b, v2
	;; [unrolled: 1-line block ×8, first 2 shown]
	v_fma_f32 v34, v22, s39, -v26
	v_rndne_f32_e32 v35, v26
	v_fma_f32 v36, v2, s39, -v27
	v_rndne_f32_e32 v37, v27
	;; [unrolled: 2-line block ×8, first 2 shown]
	v_fmac_f32_e32 v34, 0x32a5705f, v22
	v_sub_f32_e32 v26, v26, v35
	v_fmac_f32_e32 v36, 0x32a5705f, v2
	v_sub_f32_e32 v27, v27, v37
	;; [unrolled: 2-line block ×8, first 2 shown]
	v_add_f32_e32 v26, v26, v34
	v_cvt_i32_f32_e32 v35, v35
	v_add_f32_e32 v27, v27, v36
	v_add_f32_e32 v28, v28, v38
	;; [unrolled: 1-line block ×7, first 2 shown]
	v_exp_f32_e32 v26, v26
	v_cvt_i32_f32_e32 v37, v37
	v_cvt_i32_f32_e32 v39, v39
	;; [unrolled: 1-line block ×7, first 2 shown]
	v_exp_f32_e32 v27, v27
	v_exp_f32_e32 v28, v28
	;; [unrolled: 1-line block ×7, first 2 shown]
	v_ldexp_f32 v26, v26, v35
	v_cmp_ngt_f32_e64 s[22:23], s40, v22
	s_or_b64 s[34:35], s[8:9], s[34:35]
	v_ldexp_f32 v27, v27, v37
	v_cmp_ngt_f32_e64 s[8:9], s40, v2
	v_ldexp_f32 v28, v28, v39
	v_cmp_ngt_f32_e64 s[10:11], s40, v23
	;; [unrolled: 2-line block ×7, first 2 shown]
	v_cndmask_b32_e64 v26, 0, v26, s[22:23]
	v_cmp_nlt_f32_e64 s[22:23], s41, v22
	v_cndmask_b32_e64 v27, 0, v27, s[8:9]
	v_cmp_nlt_f32_e64 s[8:9], s41, v2
	;; [unrolled: 2-line block ×8, first 2 shown]
	v_cndmask_b32_e64 v5, v20, v26, s[22:23]
	v_cndmask_b32_e64 v22, v20, v27, s[8:9]
	v_add_f32_e32 v5, v18, v5
	v_cndmask_b32_e64 v2, v20, v2, s[10:11]
	v_add_f32_e32 v5, v5, v22
	;; [unrolled: 2-line block ×7, first 2 shown]
	v_add_u32_e32 v19, s38, v19
	v_add_f32_e32 v18, v2, v25
	s_andn2_b64 exec, exec, s[34:35]
	s_cbranch_execnz .LBB129_12
; %bb.13:
	s_or_b64 exec, exec, s[34:35]
.LBB129_14:
	s_or_b64 exec, exec, s[26:27]
	ds_bpermute_b32 v2, v7, v18
	s_waitcnt lgkmcnt(0)
	s_barrier
	v_add_f32_e32 v2, v18, v2
	ds_bpermute_b32 v3, v11, v2
	s_waitcnt lgkmcnt(0)
	v_add_f32_e32 v2, v2, v3
	ds_bpermute_b32 v3, v12, v2
	s_waitcnt lgkmcnt(0)
	;; [unrolled: 3-line block ×4, first 2 shown]
	v_add_f32_e32 v2, v2, v3
	ds_bpermute_b32 v3, v15, v2
	s_and_saveexec_b64 s[8:9], s[0:1]
	s_cbranch_execz .LBB129_16
; %bb.15:
	v_add_u32_e32 v4, s31, v16
	s_waitcnt lgkmcnt(0)
	v_add_f32_e32 v2, v2, v3
	ds_write_b32 v4, v2
.LBB129_16:
	s_or_b64 exec, exec, s[8:9]
	v_mov_b32_e32 v2, 0
	s_waitcnt lgkmcnt(0)
	s_barrier
	s_and_saveexec_b64 s[0:1], s[2:3]
	s_cbranch_execnz .LBB129_26
; %bb.17:
	s_or_b64 exec, exec, s[0:1]
	s_and_saveexec_b64 s[0:1], s[4:5]
	s_cbranch_execnz .LBB129_27
.LBB129_18:
	s_or_b64 exec, exec, s[0:1]
	s_and_saveexec_b64 s[0:1], s[6:7]
	s_cbranch_execz .LBB129_20
.LBB129_19:
	v_mov_b32_e32 v3, s31
	s_waitcnt lgkmcnt(0)
	ds_write_b32 v3, v2
.LBB129_20:
	s_or_b64 exec, exec, s[0:1]
	s_waitcnt lgkmcnt(0)
	s_barrier
	s_and_saveexec_b64 s[0:1], vcc
	s_cbranch_execz .LBB129_23
; %bb.21:
	v_mov_b32_e32 v2, s31
	ds_read_b32 v2, v2
	s_mov_b32 s0, 0x800000
	v_mov_b32_e32 v3, 0x4f800000
	s_mov_b32 s1, 0x7f800000
	s_add_i32 s31, s36, s33
	s_waitcnt lgkmcnt(0)
	v_cmp_gt_f32_e32 vcc, s0, v2
	v_cndmask_b32_e32 v3, 1.0, v3, vcc
	v_mul_f32_e32 v2, v2, v3
	v_log_f32_e32 v2, v2
	s_mov_b32 s0, 0x3f317217
	s_lshl_b32 s2, s37, 4
	s_mov_b32 s4, 0
	v_mul_f32_e32 v3, 0x3f317217, v2
	v_fma_f32 v4, v2, s0, -v3
	v_fmac_f32_e32 v4, 0x3377d1cf, v2
	v_add_f32_e32 v3, v3, v4
	v_cmp_lt_f32_e64 s[0:1], |v2|, s1
	v_cndmask_b32_e64 v2, v2, v3, s[0:1]
	s_lshl_b64 s[0:1], s[30:31], 2
	s_add_u32 s0, s24, s0
	v_mov_b32_e32 v3, 0x41b17218
	v_lshlrev_b32_e32 v4, 5, v0
	s_addc_u32 s1, s25, s1
	v_cndmask_b32_e32 v3, 0, v3, vcc
	v_mov_b32_e32 v5, s1
	v_add_co_u32_e32 v4, vcc, s0, v4
	v_addc_co_u32_e32 v5, vcc, 0, v5, vcc
	v_sub_f32_e32 v2, v2, v3
	v_add_co_u32_e32 v4, vcc, 16, v4
	v_mov_b32_e32 v7, v6
	v_mov_b32_e32 v3, v2
	v_addc_co_u32_e32 v5, vcc, 0, v5, vcc
	s_lshl_b32 s3, s37, 5
	s_mov_b64 s[0:1], 0
	v_mov_b32_e32 v8, s4
	v_mov_b32_e32 v9, s4
.LBB129_22:                             ; =>This Inner Loop Header: Depth=1
	ds_read_b128 v[12:15], v10
	v_add_co_u32_e32 v0, vcc, s37, v0
	v_addc_co_u32_e32 v1, vcc, v1, v8, vcc
	v_lshlrev_b64 v[16:17], 3, v[0:1]
	v_cmp_le_i64_e32 vcc, s[28:29], v[16:17]
	s_waitcnt lgkmcnt(0)
	v_cvt_f32_f16_sdwa v17, v12 dst_sel:DWORD dst_unused:UNUSED_PAD src0_sel:WORD_1
	v_cvt_f32_f16_e32 v16, v12
	v_cvt_f32_f16_sdwa v19, v13 dst_sel:DWORD dst_unused:UNUSED_PAD src0_sel:WORD_1
	v_cvt_f32_f16_e32 v18, v13
	;; [unrolled: 2-line block ×4, first 2 shown]
	v_pk_add_f32 v[14:15], v[16:17], v[6:7] neg_lo:[0,1] neg_hi:[0,1]
	v_pk_add_f32 v[16:17], v[18:19], v[6:7] neg_lo:[0,1] neg_hi:[0,1]
	;; [unrolled: 1-line block ×6, first 2 shown]
	s_or_b64 s[0:1], vcc, s[0:1]
	v_pk_add_f32 v[16:17], v[18:19], v[2:3] neg_lo:[0,1] neg_hi:[0,1]
	v_pk_add_f32 v[18:19], v[20:21], v[2:3] neg_lo:[0,1] neg_hi:[0,1]
	global_store_dwordx4 v[4:5], v[12:15], off offset:-16
	global_store_dwordx4 v[4:5], v[16:19], off
	v_add_co_u32_e32 v4, vcc, s3, v4
	v_add_u32_e32 v10, s2, v10
	v_addc_co_u32_e32 v5, vcc, v5, v9, vcc
	s_andn2_b64 exec, exec, s[0:1]
	s_cbranch_execnz .LBB129_22
.LBB129_23:
	s_endpgm
.LBB129_24:
	ds_read_b32 v2, v17
	s_or_b64 exec, exec, s[4:5]
	v_cmp_gt_u32_e64 s[4:5], 64, v0
	s_and_saveexec_b64 s[8:9], s[4:5]
	s_cbranch_execz .LBB129_8
.LBB129_25:
	s_waitcnt lgkmcnt(0)
	ds_bpermute_b32 v3, v7, v2
	s_waitcnt lgkmcnt(0)
	v_cmp_lt_f32_e64 s[6:7], v2, v3
	v_cndmask_b32_e64 v2, v2, v3, s[6:7]
	ds_bpermute_b32 v3, v11, v2
	s_waitcnt lgkmcnt(0)
	v_cmp_lt_f32_e64 s[6:7], v2, v3
	v_cndmask_b32_e64 v2, v2, v3, s[6:7]
	;; [unrolled: 4-line block ×6, first 2 shown]
	s_or_b64 exec, exec, s[8:9]
	v_cmp_eq_u32_e64 s[6:7], 0, v0
	s_and_saveexec_b64 s[8:9], s[6:7]
	s_cbranch_execnz .LBB129_9
	s_branch .LBB129_10
.LBB129_26:
	ds_read_b32 v2, v17
	s_or_b64 exec, exec, s[0:1]
	s_and_saveexec_b64 s[0:1], s[4:5]
	s_cbranch_execz .LBB129_18
.LBB129_27:
	s_waitcnt lgkmcnt(0)
	ds_bpermute_b32 v3, v7, v2
	s_waitcnt lgkmcnt(0)
	v_add_f32_e32 v2, v2, v3
	ds_bpermute_b32 v3, v11, v2
	s_waitcnt lgkmcnt(0)
	v_add_f32_e32 v2, v2, v3
	;; [unrolled: 3-line block ×6, first 2 shown]
	s_or_b64 exec, exec, s[0:1]
	s_and_saveexec_b64 s[0:1], s[6:7]
	s_cbranch_execnz .LBB129_19
	s_branch .LBB129_20
	.section	.rodata,"a",@progbits
	.p2align	6, 0x0
	.amdhsa_kernel _ZN2at6native12_GLOBAL__N_123cunn_SoftMaxForwardSmemILi8EN3c104HalfEffNS1_25LogSoftMaxForwardEpilogueElEEvPT2_PKT0_T4_
		.amdhsa_group_segment_fixed_size 0
		.amdhsa_private_segment_fixed_size 0
		.amdhsa_kernarg_size 280
		.amdhsa_user_sgpr_count 6
		.amdhsa_user_sgpr_private_segment_buffer 1
		.amdhsa_user_sgpr_dispatch_ptr 0
		.amdhsa_user_sgpr_queue_ptr 0
		.amdhsa_user_sgpr_kernarg_segment_ptr 1
		.amdhsa_user_sgpr_dispatch_id 0
		.amdhsa_user_sgpr_flat_scratch_init 0
		.amdhsa_user_sgpr_kernarg_preload_length 0
		.amdhsa_user_sgpr_kernarg_preload_offset 0
		.amdhsa_user_sgpr_private_segment_size 0
		.amdhsa_uses_dynamic_stack 0
		.amdhsa_system_sgpr_private_segment_wavefront_offset 0
		.amdhsa_system_sgpr_workgroup_id_x 1
		.amdhsa_system_sgpr_workgroup_id_y 0
		.amdhsa_system_sgpr_workgroup_id_z 0
		.amdhsa_system_sgpr_workgroup_info 0
		.amdhsa_system_vgpr_workitem_id 0
		.amdhsa_next_free_vgpr 50
		.amdhsa_next_free_sgpr 42
		.amdhsa_accum_offset 52
		.amdhsa_reserve_vcc 1
		.amdhsa_reserve_flat_scratch 0
		.amdhsa_float_round_mode_32 0
		.amdhsa_float_round_mode_16_64 0
		.amdhsa_float_denorm_mode_32 3
		.amdhsa_float_denorm_mode_16_64 3
		.amdhsa_dx10_clamp 1
		.amdhsa_ieee_mode 1
		.amdhsa_fp16_overflow 0
		.amdhsa_tg_split 0
		.amdhsa_exception_fp_ieee_invalid_op 0
		.amdhsa_exception_fp_denorm_src 0
		.amdhsa_exception_fp_ieee_div_zero 0
		.amdhsa_exception_fp_ieee_overflow 0
		.amdhsa_exception_fp_ieee_underflow 0
		.amdhsa_exception_fp_ieee_inexact 0
		.amdhsa_exception_int_div_zero 0
	.end_amdhsa_kernel
	.section	.text._ZN2at6native12_GLOBAL__N_123cunn_SoftMaxForwardSmemILi8EN3c104HalfEffNS1_25LogSoftMaxForwardEpilogueElEEvPT2_PKT0_T4_,"axG",@progbits,_ZN2at6native12_GLOBAL__N_123cunn_SoftMaxForwardSmemILi8EN3c104HalfEffNS1_25LogSoftMaxForwardEpilogueElEEvPT2_PKT0_T4_,comdat
.Lfunc_end129:
	.size	_ZN2at6native12_GLOBAL__N_123cunn_SoftMaxForwardSmemILi8EN3c104HalfEffNS1_25LogSoftMaxForwardEpilogueElEEvPT2_PKT0_T4_, .Lfunc_end129-_ZN2at6native12_GLOBAL__N_123cunn_SoftMaxForwardSmemILi8EN3c104HalfEffNS1_25LogSoftMaxForwardEpilogueElEEvPT2_PKT0_T4_
                                        ; -- End function
	.section	.AMDGPU.csdata,"",@progbits
; Kernel info:
; codeLenInByte = 2788
; NumSgprs: 46
; NumVgprs: 50
; NumAgprs: 0
; TotalNumVgprs: 50
; ScratchSize: 0
; MemoryBound: 0
; FloatMode: 240
; IeeeMode: 1
; LDSByteSize: 0 bytes/workgroup (compile time only)
; SGPRBlocks: 5
; VGPRBlocks: 6
; NumSGPRsForWavesPerEU: 46
; NumVGPRsForWavesPerEU: 50
; AccumOffset: 52
; Occupancy: 8
; WaveLimiterHint : 0
; COMPUTE_PGM_RSRC2:SCRATCH_EN: 0
; COMPUTE_PGM_RSRC2:USER_SGPR: 6
; COMPUTE_PGM_RSRC2:TRAP_HANDLER: 0
; COMPUTE_PGM_RSRC2:TGID_X_EN: 1
; COMPUTE_PGM_RSRC2:TGID_Y_EN: 0
; COMPUTE_PGM_RSRC2:TGID_Z_EN: 0
; COMPUTE_PGM_RSRC2:TIDIG_COMP_CNT: 0
; COMPUTE_PGM_RSRC3_GFX90A:ACCUM_OFFSET: 12
; COMPUTE_PGM_RSRC3_GFX90A:TG_SPLIT: 0
	.section	.text._ZN2at6native12_GLOBAL__N_119cunn_SoftMaxForwardILi8EN3c104HalfEffNS1_25LogSoftMaxForwardEpilogueEEEvPT2_PKT0_i,"axG",@progbits,_ZN2at6native12_GLOBAL__N_119cunn_SoftMaxForwardILi8EN3c104HalfEffNS1_25LogSoftMaxForwardEpilogueEEEvPT2_PKT0_i,comdat
	.globl	_ZN2at6native12_GLOBAL__N_119cunn_SoftMaxForwardILi8EN3c104HalfEffNS1_25LogSoftMaxForwardEpilogueEEEvPT2_PKT0_i ; -- Begin function _ZN2at6native12_GLOBAL__N_119cunn_SoftMaxForwardILi8EN3c104HalfEffNS1_25LogSoftMaxForwardEpilogueEEEvPT2_PKT0_i
	.p2align	8
	.type	_ZN2at6native12_GLOBAL__N_119cunn_SoftMaxForwardILi8EN3c104HalfEffNS1_25LogSoftMaxForwardEpilogueEEEvPT2_PKT0_i,@function
_ZN2at6native12_GLOBAL__N_119cunn_SoftMaxForwardILi8EN3c104HalfEffNS1_25LogSoftMaxForwardEpilogueEEEvPT2_PKT0_i: ; @_ZN2at6native12_GLOBAL__N_119cunn_SoftMaxForwardILi8EN3c104HalfEffNS1_25LogSoftMaxForwardEpilogueEEEvPT2_PKT0_i
; %bb.0:
	s_load_dword s33, s[4:5], 0x10
	s_load_dwordx4 s[24:27], s[4:5], 0x0
	s_mov_b32 s29, 0
	s_waitcnt lgkmcnt(0)
	s_ashr_i32 s0, s33, 31
	s_mul_hi_u32 s1, s33, s6
	s_mul_i32 s0, s0, s6
	s_add_i32 s31, s1, s0
	s_mul_i32 s30, s33, s6
	s_lshl_b64 s[0:1], s[30:31], 1
	s_add_u32 s26, s26, s0
	s_addc_u32 s27, s27, s1
	s_bfe_u32 s28, s26, 0x30001
	s_cmp_lg_u32 s28, 0
	s_cselect_b64 s[12:13], -1, 0
	s_and_b64 vcc, exec, s[12:13]
	s_cbranch_vccz .LBB130_25
; %bb.1:
	s_lshl_b64 s[0:1], s[28:29], 1
	s_sub_u32 s8, s26, s0
	s_subb_u32 s9, s27, s1
	s_add_i32 s7, s28, s33
	v_cmp_le_u32_e32 vcc, s28, v0
	v_cmp_gt_i32_e64 s[0:1], s7, v0
	s_and_b64 s[2:3], vcc, s[0:1]
	v_mov_b32_e32 v4, 0xff7fffff
	s_and_saveexec_b64 s[0:1], s[2:3]
	s_cbranch_execz .LBB130_3
; %bb.2:
	v_lshlrev_b32_e32 v1, 1, v0
	global_load_ushort v1, v1, s[8:9]
	s_waitcnt vmcnt(0)
	v_cvt_f32_f16_e32 v1, v1
	v_max_f32_e32 v4, 0xff7fffff, v1
.LBB130_3:
	s_or_b64 exec, exec, s[0:1]
	s_load_dword s0, s[4:5], 0x24
	s_add_u32 s2, s4, 24
	s_addc_u32 s3, s5, 0
	s_waitcnt lgkmcnt(0)
	s_and_b32 s0, s0, 0xffff
	v_mov_b32_e32 v1, s0
	s_lshl_b32 s0, s0, 1
	v_sub_u32_e64 v1, s7, v1 clamp
	s_add_u32 s0, s8, s0
	v_readfirstlane_b32 s7, v1
	s_addc_u32 s1, s9, 0
	s_branch .LBB130_5
.LBB130_4:
	s_add_u32 s2, s4, 24
	s_addc_u32 s3, s5, 0
	v_mov_b32_e32 v4, 0xff7fffff
	s_mov_b32 s7, s33
	s_mov_b64 s[0:1], s[26:27]
.LBB130_5:
	s_load_dword s8, s[2:3], 0x0
	v_mov_b32_e32 v1, 0
	s_waitcnt lgkmcnt(0)
	s_cmp_lt_u32 s6, s8
	s_cselect_b32 s8, 12, 18
	s_add_u32 s2, s2, s8
	s_addc_u32 s3, s3, 0
	global_load_ushort v5, v1, s[2:3]
	s_waitcnt vmcnt(0)
	v_readfirstlane_b32 s2, v5
	s_lshl_b32 s2, s2, 3
	v_cvt_f32_u32_e32 v1, s2
	s_sub_i32 s3, 0, s2
	v_rcp_iflag_f32_e32 v1, v1
	v_mul_f32_e32 v1, 0x4f7ffffe, v1
	v_cvt_u32_f32_e32 v1, v1
	v_readfirstlane_b32 s8, v1
	s_mul_i32 s3, s3, s8
	s_mul_hi_u32 s3, s8, s3
	s_add_i32 s8, s8, s3
	s_mul_hi_u32 s3, s7, s8
	s_mul_i32 s3, s3, s2
	s_sub_i32 s3, s7, s3
	s_sub_i32 s8, s3, s2
	s_cmp_ge_u32 s3, s2
	s_cselect_b32 s3, s8, s3
	s_sub_i32 s8, s3, s2
	s_cmp_ge_u32 s3, s2
	s_cselect_b32 s2, s8, s3
	s_sub_i32 s10, s7, s2
	v_lshlrev_b32_e32 v1, 3, v0
	v_cmp_gt_i32_e32 vcc, s10, v1
	s_and_saveexec_b64 s[2:3], vcc
	s_cbranch_execz .LBB130_9
; %bb.6:
	s_mov_b64 s[8:9], 0
	v_mov_b32_e32 v6, s1
	v_mov_b32_e32 v2, v0
.LBB130_7:                              ; =>This Inner Loop Header: Depth=1
	v_ashrrev_i32_e32 v3, 31, v2
	v_lshlrev_b64 v[8:9], 4, v[2:3]
	v_add_co_u32_e32 v8, vcc, s0, v8
	v_addc_co_u32_e32 v9, vcc, v6, v9, vcc
	global_load_dwordx4 v[8:11], v[8:9], off
	v_add_u32_e32 v2, v2, v5
	v_lshlrev_b32_e32 v3, 3, v2
	v_cmp_le_i32_e32 vcc, s10, v3
	s_or_b64 s[8:9], vcc, s[8:9]
	s_waitcnt vmcnt(0)
	v_cvt_f32_f16_e32 v3, v8
	v_cvt_f32_f16_sdwa v7, v8 dst_sel:DWORD dst_unused:UNUSED_PAD src0_sel:WORD_1
	v_cvt_f32_f16_e32 v8, v9
	v_cvt_f32_f16_sdwa v9, v9 dst_sel:DWORD dst_unused:UNUSED_PAD src0_sel:WORD_1
	v_cvt_f32_f16_e32 v12, v10
	v_cvt_f32_f16_sdwa v10, v10 dst_sel:DWORD dst_unused:UNUSED_PAD src0_sel:WORD_1
	v_cvt_f32_f16_e32 v13, v11
	v_cvt_f32_f16_sdwa v11, v11 dst_sel:DWORD dst_unused:UNUSED_PAD src0_sel:WORD_1
	v_max3_f32 v3, v4, v3, v7
	v_max3_f32 v3, v3, v8, v9
	;; [unrolled: 1-line block ×4, first 2 shown]
	s_andn2_b64 exec, exec, s[8:9]
	s_cbranch_execnz .LBB130_7
; %bb.8:
	s_or_b64 exec, exec, s[8:9]
.LBB130_9:
	s_or_b64 exec, exec, s[2:3]
	v_add_u32_e32 v2, s10, v0
	v_cmp_gt_i32_e32 vcc, s7, v2
	s_and_saveexec_b64 s[2:3], vcc
	s_cbranch_execz .LBB130_13
; %bb.10:
	s_mov_b64 s[8:9], 0
	v_mov_b32_e32 v6, s1
.LBB130_11:                             ; =>This Inner Loop Header: Depth=1
	v_ashrrev_i32_e32 v3, 31, v2
	v_lshlrev_b64 v[8:9], 1, v[2:3]
	v_add_co_u32_e32 v8, vcc, s0, v8
	v_addc_co_u32_e32 v9, vcc, v6, v9, vcc
	global_load_ushort v3, v[8:9], off
	v_add_u32_e32 v2, v2, v5
	v_max_f32_e32 v4, v4, v4
	v_cmp_le_i32_e32 vcc, s7, v2
	s_or_b64 s[8:9], vcc, s[8:9]
	s_waitcnt vmcnt(0)
	v_cvt_f32_f16_e32 v3, v3
	v_max_f32_e32 v4, v4, v3
	s_andn2_b64 exec, exec, s[8:9]
	s_cbranch_execnz .LBB130_11
; %bb.12:
	s_or_b64 exec, exec, s[8:9]
.LBB130_13:
	s_or_b64 exec, exec, s[2:3]
	v_mbcnt_lo_u32_b32 v2, -1, 0
	v_mbcnt_hi_u32_b32 v5, -1, v2
	v_and_b32_e32 v6, 63, v5
	v_cmp_gt_u32_e32 vcc, 32, v6
	v_cndmask_b32_e64 v2, 0, 1, vcc
	v_lshlrev_b32_e32 v2, 5, v2
	v_add_lshl_u32 v3, v2, v5, 2
	ds_bpermute_b32 v2, v3, v4
	v_cmp_gt_u32_e32 vcc, 48, v6
	v_cndmask_b32_e64 v7, 0, 1, vcc
	v_lshrrev_b32_e32 v14, 4, v0
	s_waitcnt lgkmcnt(0)
	v_cmp_lt_f32_e32 vcc, v4, v2
	v_cndmask_b32_e32 v2, v4, v2, vcc
	v_lshlrev_b32_e32 v4, 4, v7
	v_add_lshl_u32 v9, v4, v5, 2
	ds_bpermute_b32 v4, v9, v2
	s_barrier
	s_waitcnt lgkmcnt(0)
	v_cmp_lt_f32_e32 vcc, v2, v4
	v_cndmask_b32_e32 v2, v2, v4, vcc
	v_cmp_gt_u32_e32 vcc, 56, v6
	v_cndmask_b32_e64 v4, 0, 1, vcc
	v_lshlrev_b32_e32 v4, 3, v4
	v_add_lshl_u32 v10, v4, v5, 2
	ds_bpermute_b32 v4, v10, v2
	s_waitcnt lgkmcnt(0)
	v_cmp_lt_f32_e32 vcc, v2, v4
	v_cndmask_b32_e32 v2, v2, v4, vcc
	v_cmp_gt_u32_e32 vcc, 60, v6
	v_cndmask_b32_e64 v4, 0, 1, vcc
	v_lshlrev_b32_e32 v4, 2, v4
	v_add_lshl_u32 v11, v4, v5, 2
	ds_bpermute_b32 v4, v11, v2
	;; [unrolled: 8-line block ×3, first 2 shown]
	v_and_b32_e32 v4, 63, v0
	v_cmp_eq_u32_e64 s[2:3], 0, v4
	s_waitcnt lgkmcnt(0)
	v_cmp_lt_f32_e32 vcc, v2, v7
	v_cndmask_b32_e32 v2, v2, v7, vcc
	v_cmp_ne_u32_e32 vcc, 63, v6
	v_addc_co_u32_e32 v5, vcc, 0, v5, vcc
	v_lshlrev_b32_e32 v13, 2, v5
	ds_bpermute_b32 v5, v13, v2
	s_and_saveexec_b64 s[0:1], s[2:3]
	s_cbranch_execz .LBB130_15
; %bb.14:
	s_waitcnt lgkmcnt(0)
	v_cmp_lt_f32_e32 vcc, v2, v5
	v_add_u32_e32 v6, 0, v14
	v_cndmask_b32_e32 v2, v2, v5, vcc
	ds_write_b32 v6, v2
.LBB130_15:
	s_or_b64 exec, exec, s[0:1]
	s_waitcnt lgkmcnt(0)
	s_barrier
	s_load_dword s7, s[4:5], 0x24
	s_add_u32 s14, s4, 24
	s_addc_u32 s15, s5, 0
	v_mov_b32_e32 v2, 0xff7fffff
	v_lshl_add_u32 v15, v4, 2, 0
	s_waitcnt lgkmcnt(0)
	s_bfe_u32 s0, s7, 0xa0006
	v_cmp_gt_u32_e64 s[4:5], s0, v0
	s_and_saveexec_b64 s[0:1], s[4:5]
	s_cbranch_execnz .LBB130_23
; %bb.16:
	s_or_b64 exec, exec, s[0:1]
	v_cmp_gt_u32_e64 s[10:11], 64, v0
	s_and_saveexec_b64 s[0:1], s[10:11]
	s_cbranch_execnz .LBB130_24
.LBB130_17:
	s_or_b64 exec, exec, s[0:1]
	v_cmp_eq_u32_e64 s[8:9], 0, v0
	s_and_saveexec_b64 s[0:1], s[8:9]
	s_cbranch_execz .LBB130_19
.LBB130_18:
	v_mov_b32_e32 v4, 0
	s_waitcnt lgkmcnt(0)
	ds_write_b32 v4, v2
.LBB130_19:
	s_or_b64 exec, exec, s[0:1]
	v_mov_b32_e32 v16, 0
	s_waitcnt lgkmcnt(0)
	s_barrier
	ds_read_b32 v2, v16
	v_cndmask_b32_e64 v4, 0, 1, s[12:13]
	s_and_b32 s40, s7, 0xffff
	v_cmp_ne_u32_e64 s[0:1], 1, v4
	s_andn2_b64 vcc, exec, s[12:13]
	s_mov_b32 s29, 0
	s_cbranch_vccnz .LBB130_26
; %bb.20:
	s_lshl_b64 s[12:13], s[28:29], 1
	s_sub_u32 s16, s26, s12
	s_subb_u32 s17, s27, s13
	s_add_i32 s7, s28, s33
	v_cmp_le_u32_e32 vcc, s28, v0
	v_cmp_gt_i32_e64 s[12:13], s7, v0
	s_and_b64 s[18:19], vcc, s[12:13]
	v_mov_b32_e32 v16, 0
	s_and_saveexec_b64 s[12:13], s[18:19]
	s_cbranch_execz .LBB130_22
; %bb.21:
	v_lshlrev_b32_e32 v4, 1, v0
	global_load_ushort v4, v4, s[16:17]
	s_mov_b32 s18, 0x3fb8aa3b
	s_mov_b32 s19, 0x42b17218
	s_waitcnt vmcnt(0)
	v_cvt_f32_f16_e32 v4, v4
	s_waitcnt lgkmcnt(0)
	v_sub_f32_e32 v4, v4, v2
	v_mul_f32_e32 v5, 0x3fb8aa3b, v4
	v_fma_f32 v6, v4, s18, -v5
	v_rndne_f32_e32 v7, v5
	v_fmac_f32_e32 v6, 0x32a5705f, v4
	v_sub_f32_e32 v5, v5, v7
	v_add_f32_e32 v5, v5, v6
	v_cvt_i32_f32_e32 v7, v7
	v_exp_f32_e32 v5, v5
	s_mov_b32 s18, 0xc2ce8ed0
	v_cmp_ngt_f32_e32 vcc, s18, v4
	v_mov_b32_e32 v6, 0x7f800000
	v_ldexp_f32 v5, v5, v7
	v_cndmask_b32_e32 v5, 0, v5, vcc
	v_cmp_nlt_f32_e32 vcc, s19, v4
	v_cndmask_b32_e32 v16, v6, v5, vcc
.LBB130_22:
	s_or_b64 exec, exec, s[12:13]
	v_mov_b32_e32 v4, s40
	v_sub_u32_e64 v4, s7, v4 clamp
	s_lshl_b32 s7, s40, 1
	s_add_u32 s34, s16, s7
	v_readfirstlane_b32 s29, v4
	s_addc_u32 s35, s17, 0
	s_branch .LBB130_27
.LBB130_23:
	ds_read_b32 v2, v15
	s_or_b64 exec, exec, s[0:1]
	v_cmp_gt_u32_e64 s[10:11], 64, v0
	s_and_saveexec_b64 s[0:1], s[10:11]
	s_cbranch_execz .LBB130_17
.LBB130_24:
	s_waitcnt lgkmcnt(0)
	ds_bpermute_b32 v4, v3, v2
	s_waitcnt lgkmcnt(0)
	v_cmp_lt_f32_e32 vcc, v2, v4
	v_cndmask_b32_e32 v2, v2, v4, vcc
	ds_bpermute_b32 v4, v9, v2
	s_waitcnt lgkmcnt(0)
	v_cmp_lt_f32_e32 vcc, v2, v4
	v_cndmask_b32_e32 v2, v2, v4, vcc
	;; [unrolled: 4-line block ×6, first 2 shown]
	s_or_b64 exec, exec, s[0:1]
	v_cmp_eq_u32_e64 s[8:9], 0, v0
	s_and_saveexec_b64 s[0:1], s[8:9]
	s_cbranch_execnz .LBB130_18
	s_branch .LBB130_19
.LBB130_25:
                                        ; implicit-def: $sgpr0_sgpr1
                                        ; implicit-def: $sgpr7
                                        ; implicit-def: $vgpr4
                                        ; implicit-def: $sgpr2_sgpr3
	s_cbranch_execnz .LBB130_4
	s_branch .LBB130_5
.LBB130_26:
	s_mov_b64 s[34:35], s[26:27]
	s_mov_b32 s29, s33
.LBB130_27:
	s_load_dword s7, s[14:15], 0x0
	v_mov_b32_e32 v4, 0
	s_waitcnt lgkmcnt(0)
	s_cmp_lt_u32 s6, s7
	s_cselect_b32 s6, 12, 18
	s_add_u32 s6, s14, s6
	s_addc_u32 s7, s15, 0
	global_load_ushort v8, v4, s[6:7]
	s_waitcnt vmcnt(0)
	v_readfirstlane_b32 s6, v8
	s_lshl_b32 s41, s6, 3
	v_cvt_f32_u32_e32 v4, s41
	s_sub_i32 s6, 0, s41
	v_rcp_iflag_f32_e32 v4, v4
	v_mul_f32_e32 v4, 0x4f7ffffe, v4
	v_cvt_u32_f32_e32 v4, v4
	v_readfirstlane_b32 s42, v4
	s_mul_i32 s6, s6, s42
	s_mul_hi_u32 s6, s42, s6
	s_add_i32 s42, s42, s6
	s_mul_hi_u32 s6, s29, s42
	s_mul_i32 s6, s6, s41
	s_sub_i32 s6, s29, s6
	s_sub_i32 s7, s6, s41
	s_cmp_ge_u32 s6, s41
	s_cselect_b32 s6, s7, s6
	s_sub_i32 s7, s6, s41
	s_cmp_ge_u32 s6, s41
	s_cselect_b32 s6, s7, s6
	s_sub_i32 s43, s29, s6
	v_cmp_gt_i32_e32 vcc, s43, v1
	s_and_saveexec_b64 s[36:37], vcc
	s_cbranch_execz .LBB130_31
; %bb.28:
	s_mov_b64 s[38:39], 0
	v_mov_b32_e32 v17, s35
	s_mov_b32 s44, 0x3fb8aa3b
	s_mov_b32 s45, 0xc2ce8ed0
	;; [unrolled: 1-line block ×3, first 2 shown]
	v_mov_b32_e32 v18, 0x7f800000
	v_mov_b32_e32 v4, v0
.LBB130_29:                             ; =>This Inner Loop Header: Depth=1
	v_ashrrev_i32_e32 v5, 31, v4
	v_lshlrev_b64 v[6:7], 4, v[4:5]
	v_add_co_u32_e32 v6, vcc, s34, v6
	v_addc_co_u32_e32 v7, vcc, v17, v7, vcc
	global_load_dwordx4 v[20:23], v[6:7], off
	v_add_u32_e32 v4, v4, v8
	v_lshlrev_b32_e32 v5, 3, v4
	v_cmp_le_i32_e32 vcc, s43, v5
	s_or_b64 s[38:39], vcc, s[38:39]
	s_waitcnt vmcnt(0)
	v_cvt_f32_f16_e32 v5, v20
	v_cvt_f32_f16_sdwa v6, v20 dst_sel:DWORD dst_unused:UNUSED_PAD src0_sel:WORD_1
	v_cvt_f32_f16_e32 v7, v21
	v_cvt_f32_f16_sdwa v19, v21 dst_sel:DWORD dst_unused:UNUSED_PAD src0_sel:WORD_1
	;; [unrolled: 2-line block ×4, first 2 shown]
	v_sub_f32_e32 v5, v5, v2
	v_sub_f32_e32 v6, v6, v2
	v_mul_f32_e32 v24, 0x3fb8aa3b, v5
	v_sub_f32_e32 v7, v7, v2
	v_sub_f32_e32 v19, v19, v2
	;; [unrolled: 1-line block ×6, first 2 shown]
	v_mul_f32_e32 v25, 0x3fb8aa3b, v6
	v_fma_f32 v32, v5, s44, -v24
	v_rndne_f32_e32 v33, v24
	v_mul_f32_e32 v26, 0x3fb8aa3b, v7
	v_mul_f32_e32 v27, 0x3fb8aa3b, v19
	;; [unrolled: 1-line block ×6, first 2 shown]
	v_fma_f32 v34, v6, s44, -v25
	v_rndne_f32_e32 v35, v25
	v_fmac_f32_e32 v32, 0x32a5705f, v5
	v_sub_f32_e32 v24, v24, v33
	v_fma_f32 v36, v7, s44, -v26
	v_rndne_f32_e32 v37, v26
	v_fma_f32 v38, v19, s44, -v27
	v_rndne_f32_e32 v39, v27
	;; [unrolled: 2-line block ×6, first 2 shown]
	v_fmac_f32_e32 v34, 0x32a5705f, v6
	v_sub_f32_e32 v25, v25, v35
	v_add_f32_e32 v24, v24, v32
	v_cvt_i32_f32_e32 v33, v33
	v_fmac_f32_e32 v36, 0x32a5705f, v7
	v_sub_f32_e32 v26, v26, v37
	v_fmac_f32_e32 v38, 0x32a5705f, v19
	v_sub_f32_e32 v27, v27, v39
	;; [unrolled: 2-line block ×6, first 2 shown]
	v_add_f32_e32 v25, v25, v34
	v_exp_f32_e32 v24, v24
	v_cvt_i32_f32_e32 v35, v35
	v_add_f32_e32 v26, v26, v36
	v_add_f32_e32 v27, v27, v38
	;; [unrolled: 1-line block ×6, first 2 shown]
	v_exp_f32_e32 v25, v25
	v_cvt_i32_f32_e32 v37, v37
	v_cvt_i32_f32_e32 v39, v39
	;; [unrolled: 1-line block ×6, first 2 shown]
	v_exp_f32_e32 v26, v26
	v_exp_f32_e32 v27, v27
	;; [unrolled: 1-line block ×6, first 2 shown]
	v_ldexp_f32 v24, v24, v33
	v_cmp_ngt_f32_e64 s[22:23], s45, v5
	v_ldexp_f32 v25, v25, v35
	v_cmp_ngt_f32_e32 vcc, s45, v6
	v_cndmask_b32_e64 v24, 0, v24, s[22:23]
	v_cmp_nlt_f32_e64 s[22:23], s46, v5
	v_ldexp_f32 v26, v26, v37
	v_cmp_ngt_f32_e64 s[6:7], s45, v7
	v_ldexp_f32 v27, v27, v39
	v_cmp_ngt_f32_e64 s[12:13], s45, v19
	;; [unrolled: 2-line block ×6, first 2 shown]
	v_cndmask_b32_e32 v25, 0, v25, vcc
	v_cmp_nlt_f32_e32 vcc, s46, v6
	v_cndmask_b32_e64 v5, v18, v24, s[22:23]
	v_cndmask_b32_e64 v6, 0, v26, s[6:7]
	v_cmp_nlt_f32_e64 s[6:7], s46, v7
	v_cndmask_b32_e64 v7, 0, v27, s[12:13]
	v_cmp_nlt_f32_e64 s[12:13], s46, v19
	;; [unrolled: 2-line block ×6, first 2 shown]
	v_cndmask_b32_e32 v23, v18, v25, vcc
	v_add_f32_e32 v5, v16, v5
	v_cndmask_b32_e64 v6, v18, v6, s[6:7]
	v_add_f32_e32 v5, v5, v23
	v_cndmask_b32_e64 v7, v18, v7, s[12:13]
	;; [unrolled: 2-line block ×6, first 2 shown]
	v_add_f32_e32 v5, v5, v21
	v_add_f32_e32 v16, v5, v22
	s_andn2_b64 exec, exec, s[38:39]
	s_cbranch_execnz .LBB130_29
; %bb.30:
	s_or_b64 exec, exec, s[38:39]
.LBB130_31:
	s_or_b64 exec, exec, s[36:37]
	v_add_u32_e32 v4, s43, v0
	v_cmp_gt_i32_e32 vcc, s29, v4
	s_and_saveexec_b64 s[12:13], vcc
	s_cbranch_execz .LBB130_35
; %bb.32:
	s_mov_b64 s[14:15], 0
	v_mov_b32_e32 v6, s35
	s_mov_b32 s16, 0x3fb8aa3b
	s_mov_b32 s17, 0xc2ce8ed0
	;; [unrolled: 1-line block ×3, first 2 shown]
	v_mov_b32_e32 v7, 0x7f800000
.LBB130_33:                             ; =>This Inner Loop Header: Depth=1
	v_ashrrev_i32_e32 v5, 31, v4
	v_lshlrev_b64 v[18:19], 1, v[4:5]
	v_add_co_u32_e32 v18, vcc, s34, v18
	v_addc_co_u32_e32 v19, vcc, v6, v19, vcc
	global_load_ushort v5, v[18:19], off
	v_add_u32_e32 v4, v4, v8
	v_cmp_le_i32_e32 vcc, s29, v4
	s_or_b64 s[14:15], vcc, s[14:15]
	s_waitcnt vmcnt(0)
	v_cvt_f32_f16_e32 v5, v5
	v_sub_f32_e32 v5, v5, v2
	v_mul_f32_e32 v17, 0x3fb8aa3b, v5
	v_fma_f32 v18, v5, s16, -v17
	v_rndne_f32_e32 v19, v17
	v_fmac_f32_e32 v18, 0x32a5705f, v5
	v_sub_f32_e32 v17, v17, v19
	v_add_f32_e32 v17, v17, v18
	v_cvt_i32_f32_e32 v19, v19
	v_exp_f32_e32 v17, v17
	v_cmp_ngt_f32_e64 s[6:7], s17, v5
	v_ldexp_f32 v17, v17, v19
	v_cndmask_b32_e64 v17, 0, v17, s[6:7]
	v_cmp_nlt_f32_e64 s[6:7], s18, v5
	v_cndmask_b32_e64 v5, v7, v17, s[6:7]
	v_add_f32_e32 v16, v16, v5
	s_andn2_b64 exec, exec, s[14:15]
	s_cbranch_execnz .LBB130_33
; %bb.34:
	s_or_b64 exec, exec, s[14:15]
.LBB130_35:
	s_or_b64 exec, exec, s[12:13]
	ds_bpermute_b32 v4, v3, v16
	s_waitcnt lgkmcnt(0)
	s_barrier
	v_add_f32_e32 v4, v16, v4
	ds_bpermute_b32 v5, v9, v4
	s_waitcnt lgkmcnt(0)
	v_add_f32_e32 v4, v4, v5
	ds_bpermute_b32 v5, v10, v4
	s_waitcnt lgkmcnt(0)
	;; [unrolled: 3-line block ×4, first 2 shown]
	v_add_f32_e32 v4, v4, v5
	ds_bpermute_b32 v5, v13, v4
	s_and_saveexec_b64 s[6:7], s[2:3]
	s_cbranch_execz .LBB130_37
; %bb.36:
	v_add_u32_e32 v6, 0, v14
	s_waitcnt lgkmcnt(0)
	v_add_f32_e32 v4, v4, v5
	ds_write_b32 v6, v4
.LBB130_37:
	s_or_b64 exec, exec, s[6:7]
	v_mov_b32_e32 v4, 0
	s_waitcnt lgkmcnt(0)
	s_barrier
	s_and_saveexec_b64 s[2:3], s[4:5]
	s_cbranch_execnz .LBB130_58
; %bb.38:
	s_or_b64 exec, exec, s[2:3]
	s_and_saveexec_b64 s[2:3], s[10:11]
	s_cbranch_execnz .LBB130_59
.LBB130_39:
	s_or_b64 exec, exec, s[2:3]
	s_and_saveexec_b64 s[2:3], s[8:9]
	s_cbranch_execz .LBB130_41
.LBB130_40:
	v_mov_b32_e32 v3, 0
	s_waitcnt lgkmcnt(0)
	ds_write_b32 v3, v4
.LBB130_41:
	s_or_b64 exec, exec, s[2:3]
	v_mov_b32_e32 v3, 0
	s_waitcnt lgkmcnt(0)
	s_barrier
	ds_read_b32 v3, v3
	s_lshl_b64 s[2:3], s[30:31], 2
	s_add_u32 s6, s24, s2
	s_mov_b32 s2, 0x800000
	v_mov_b32_e32 v4, 0x4f800000
	s_waitcnt lgkmcnt(0)
	v_cmp_gt_f32_e32 vcc, s2, v3
	v_cndmask_b32_e32 v4, 1.0, v4, vcc
	v_mul_f32_e32 v3, v3, v4
	v_log_f32_e32 v3, v3
	s_mov_b32 s2, 0x3f317217
	s_addc_u32 s7, s25, s3
	s_bfe_u32 s4, s6, 0x20002
	v_mul_f32_e32 v4, 0x3f317217, v3
	v_fma_f32 v5, v3, s2, -v4
	v_fmac_f32_e32 v5, 0x3377d1cf, v3
	s_mov_b32 s2, 0x7f800000
	v_add_f32_e32 v4, v4, v5
	v_cmp_lt_f32_e64 s[2:3], |v3|, s2
	v_cndmask_b32_e64 v3, v3, v4, s[2:3]
	v_mov_b32_e32 v4, 0x41b17218
	v_cndmask_b32_e32 v4, 0, v4, vcc
	v_sub_f32_e32 v4, v3, v4
	s_cmp_lg_u32 s28, s4
	s_mov_b64 s[2:3], -1
	s_cbranch_scc0 .LBB130_46
; %bb.42:
	v_cmp_gt_i32_e32 vcc, s33, v0
	s_and_saveexec_b64 s[2:3], vcc
	s_cbranch_execz .LBB130_45
; %bb.43:
	s_mov_b64 s[4:5], 0
	v_mov_b32_e32 v3, s27
	v_mov_b32_e32 v5, s7
	;; [unrolled: 1-line block ×3, first 2 shown]
.LBB130_44:                             ; =>This Inner Loop Header: Depth=1
	v_ashrrev_i32_e32 v7, 31, v6
	v_lshlrev_b64 v[10:11], 1, v[6:7]
	v_add_co_u32_e32 v10, vcc, s26, v10
	v_addc_co_u32_e32 v11, vcc, v3, v11, vcc
	global_load_ushort v9, v[10:11], off
	v_lshlrev_b64 v[10:11], 2, v[6:7]
	v_add_co_u32_e32 v10, vcc, s6, v10
	v_add_u32_e32 v6, s40, v6
	v_addc_co_u32_e32 v11, vcc, v5, v11, vcc
	v_cmp_le_i32_e32 vcc, s33, v6
	s_or_b64 s[4:5], vcc, s[4:5]
	s_waitcnt vmcnt(0)
	v_cvt_f32_f16_e32 v7, v9
	v_sub_f32_e32 v7, v7, v2
	v_sub_f32_e32 v7, v7, v4
	global_store_dword v[10:11], v7, off
	s_andn2_b64 exec, exec, s[4:5]
	s_cbranch_execnz .LBB130_44
.LBB130_45:
	s_or_b64 exec, exec, s[2:3]
	s_mov_b64 s[2:3], 0
.LBB130_46:
	s_andn2_b64 vcc, exec, s[2:3]
	s_cbranch_vccnz .LBB130_57
; %bb.47:
	s_and_b64 vcc, exec, s[0:1]
	s_cbranch_vccnz .LBB130_51
; %bb.48:
	s_mov_b32 s29, 0
	s_lshl_b64 s[0:1], s[28:29], 1
	s_sub_u32 s2, s26, s0
	s_subb_u32 s3, s27, s1
	s_lshl_b64 s[0:1], s[28:29], 2
	s_sub_u32 s4, s6, s0
	s_subb_u32 s5, s7, s1
	s_add_i32 s6, s28, s33
	v_cmp_le_u32_e32 vcc, s28, v0
	v_cmp_gt_i32_e64 s[0:1], s6, v0
	s_and_b64 s[8:9], vcc, s[0:1]
	s_and_saveexec_b64 s[0:1], s[8:9]
	s_cbranch_execz .LBB130_50
; %bb.49:
	v_lshlrev_b32_e32 v3, 1, v0
	global_load_ushort v3, v3, s[2:3]
	v_lshlrev_b32_e32 v5, 2, v0
	s_waitcnt vmcnt(0)
	v_cvt_f32_f16_e32 v3, v3
	v_sub_f32_e32 v3, v3, v2
	v_sub_f32_e32 v3, v3, v4
	global_store_dword v5, v3, s[4:5]
.LBB130_50:
	s_or_b64 exec, exec, s[0:1]
	s_lshl_b32 s0, s40, 1
	s_add_u32 s26, s2, s0
	v_mov_b32_e32 v3, s40
	s_addc_u32 s27, s3, 0
	s_lshl_b32 s0, s40, 2
	v_sub_u32_e64 v3, s6, v3 clamp
	s_add_u32 s6, s4, s0
	v_readfirstlane_b32 s33, v3
	s_addc_u32 s7, s5, 0
.LBB130_51:
	s_mul_hi_u32 s0, s33, s42
	s_mul_i32 s0, s0, s41
	s_sub_i32 s0, s33, s0
	s_sub_i32 s1, s0, s41
	s_cmp_ge_u32 s0, s41
	s_cselect_b32 s0, s1, s0
	s_sub_i32 s1, s0, s41
	s_cmp_ge_u32 s0, s41
	s_cselect_b32 s0, s1, s0
	s_sub_i32 s4, s33, s0
	v_cmp_gt_i32_e32 vcc, s4, v1
	s_and_saveexec_b64 s[0:1], vcc
	s_cbranch_execz .LBB130_54
; %bb.52:
	v_mov_b32_e32 v3, v2
	v_mov_b32_e32 v5, v4
	s_mov_b64 s[2:3], 0
	v_mov_b32_e32 v1, s27
	v_mov_b32_e32 v9, s7
	;; [unrolled: 1-line block ×3, first 2 shown]
.LBB130_53:                             ; =>This Inner Loop Header: Depth=1
	v_ashrrev_i32_e32 v7, 31, v6
	v_lshlrev_b64 v[10:11], 4, v[6:7]
	v_add_co_u32_e32 v10, vcc, s26, v10
	v_addc_co_u32_e32 v11, vcc, v1, v11, vcc
	global_load_dwordx4 v[10:13], v[10:11], off
	v_lshlrev_b64 v[14:15], 5, v[6:7]
	v_add_co_u32_e32 v18, vcc, s6, v14
	v_addc_co_u32_e32 v19, vcc, v9, v15, vcc
	v_add_u32_e32 v6, v6, v8
	v_lshlrev_b32_e32 v7, 3, v6
	v_cmp_le_i32_e32 vcc, s4, v7
	s_or_b64 s[2:3], vcc, s[2:3]
	s_waitcnt vmcnt(0)
	v_cvt_f32_f16_e32 v14, v10
	v_cvt_f32_f16_sdwa v15, v10 dst_sel:DWORD dst_unused:UNUSED_PAD src0_sel:WORD_1
	v_cvt_f32_f16_e32 v10, v11
	v_cvt_f32_f16_sdwa v11, v11 dst_sel:DWORD dst_unused:UNUSED_PAD src0_sel:WORD_1
	;; [unrolled: 2-line block ×4, first 2 shown]
	v_pk_add_f32 v[14:15], v[14:15], v[2:3] neg_lo:[0,1] neg_hi:[0,1]
	v_pk_add_f32 v[20:21], v[10:11], v[2:3] neg_lo:[0,1] neg_hi:[0,1]
	v_pk_add_f32 v[16:17], v[16:17], v[2:3] neg_lo:[0,1] neg_hi:[0,1]
	v_pk_add_f32 v[22:23], v[12:13], v[2:3] neg_lo:[0,1] neg_hi:[0,1]
	v_pk_add_f32 v[10:11], v[14:15], v[4:5] neg_lo:[0,1] neg_hi:[0,1]
	v_pk_add_f32 v[12:13], v[20:21], v[4:5] neg_lo:[0,1] neg_hi:[0,1]
	v_pk_add_f32 v[14:15], v[16:17], v[4:5] neg_lo:[0,1] neg_hi:[0,1]
	v_pk_add_f32 v[16:17], v[22:23], v[4:5] neg_lo:[0,1] neg_hi:[0,1]
	global_store_dwordx4 v[18:19], v[10:13], off
	global_store_dwordx4 v[18:19], v[14:17], off offset:16
	s_andn2_b64 exec, exec, s[2:3]
	s_cbranch_execnz .LBB130_53
.LBB130_54:
	s_or_b64 exec, exec, s[0:1]
	v_add_u32_e32 v0, s4, v0
	v_cmp_gt_i32_e32 vcc, s33, v0
	s_and_saveexec_b64 s[0:1], vcc
	s_cbranch_execz .LBB130_57
; %bb.55:
	s_mov_b64 s[0:1], 0
	v_mov_b32_e32 v3, s27
	v_mov_b32_e32 v5, s7
.LBB130_56:                             ; =>This Inner Loop Header: Depth=1
	v_ashrrev_i32_e32 v1, 31, v0
	v_lshlrev_b64 v[6:7], 1, v[0:1]
	v_add_co_u32_e32 v6, vcc, s26, v6
	v_addc_co_u32_e32 v7, vcc, v3, v7, vcc
	global_load_ushort v9, v[6:7], off
	v_lshlrev_b64 v[6:7], 2, v[0:1]
	v_add_co_u32_e32 v6, vcc, s6, v6
	v_add_u32_e32 v0, v0, v8
	v_addc_co_u32_e32 v7, vcc, v5, v7, vcc
	v_cmp_le_i32_e32 vcc, s33, v0
	s_or_b64 s[0:1], vcc, s[0:1]
	s_waitcnt vmcnt(0)
	v_cvt_f32_f16_e32 v1, v9
	v_sub_f32_e32 v1, v1, v2
	v_sub_f32_e32 v1, v1, v4
	global_store_dword v[6:7], v1, off
	s_andn2_b64 exec, exec, s[0:1]
	s_cbranch_execnz .LBB130_56
.LBB130_57:
	s_endpgm
.LBB130_58:
	ds_read_b32 v4, v15
	s_or_b64 exec, exec, s[2:3]
	s_and_saveexec_b64 s[2:3], s[10:11]
	s_cbranch_execz .LBB130_39
.LBB130_59:
	s_waitcnt lgkmcnt(0)
	ds_bpermute_b32 v3, v3, v4
	s_waitcnt lgkmcnt(0)
	v_add_f32_e32 v3, v4, v3
	ds_bpermute_b32 v4, v9, v3
	s_waitcnt lgkmcnt(0)
	v_add_f32_e32 v3, v3, v4
	;; [unrolled: 3-line block ×6, first 2 shown]
	s_or_b64 exec, exec, s[2:3]
	s_and_saveexec_b64 s[2:3], s[8:9]
	s_cbranch_execnz .LBB130_40
	s_branch .LBB130_41
	.section	.rodata,"a",@progbits
	.p2align	6, 0x0
	.amdhsa_kernel _ZN2at6native12_GLOBAL__N_119cunn_SoftMaxForwardILi8EN3c104HalfEffNS1_25LogSoftMaxForwardEpilogueEEEvPT2_PKT0_i
		.amdhsa_group_segment_fixed_size 0
		.amdhsa_private_segment_fixed_size 0
		.amdhsa_kernarg_size 280
		.amdhsa_user_sgpr_count 6
		.amdhsa_user_sgpr_private_segment_buffer 1
		.amdhsa_user_sgpr_dispatch_ptr 0
		.amdhsa_user_sgpr_queue_ptr 0
		.amdhsa_user_sgpr_kernarg_segment_ptr 1
		.amdhsa_user_sgpr_dispatch_id 0
		.amdhsa_user_sgpr_flat_scratch_init 0
		.amdhsa_user_sgpr_kernarg_preload_length 0
		.amdhsa_user_sgpr_kernarg_preload_offset 0
		.amdhsa_user_sgpr_private_segment_size 0
		.amdhsa_uses_dynamic_stack 0
		.amdhsa_system_sgpr_private_segment_wavefront_offset 0
		.amdhsa_system_sgpr_workgroup_id_x 1
		.amdhsa_system_sgpr_workgroup_id_y 0
		.amdhsa_system_sgpr_workgroup_id_z 0
		.amdhsa_system_sgpr_workgroup_info 0
		.amdhsa_system_vgpr_workitem_id 0
		.amdhsa_next_free_vgpr 48
		.amdhsa_next_free_sgpr 47
		.amdhsa_accum_offset 48
		.amdhsa_reserve_vcc 1
		.amdhsa_reserve_flat_scratch 0
		.amdhsa_float_round_mode_32 0
		.amdhsa_float_round_mode_16_64 0
		.amdhsa_float_denorm_mode_32 3
		.amdhsa_float_denorm_mode_16_64 3
		.amdhsa_dx10_clamp 1
		.amdhsa_ieee_mode 1
		.amdhsa_fp16_overflow 0
		.amdhsa_tg_split 0
		.amdhsa_exception_fp_ieee_invalid_op 0
		.amdhsa_exception_fp_denorm_src 0
		.amdhsa_exception_fp_ieee_div_zero 0
		.amdhsa_exception_fp_ieee_overflow 0
		.amdhsa_exception_fp_ieee_underflow 0
		.amdhsa_exception_fp_ieee_inexact 0
		.amdhsa_exception_int_div_zero 0
	.end_amdhsa_kernel
	.section	.text._ZN2at6native12_GLOBAL__N_119cunn_SoftMaxForwardILi8EN3c104HalfEffNS1_25LogSoftMaxForwardEpilogueEEEvPT2_PKT0_i,"axG",@progbits,_ZN2at6native12_GLOBAL__N_119cunn_SoftMaxForwardILi8EN3c104HalfEffNS1_25LogSoftMaxForwardEpilogueEEEvPT2_PKT0_i,comdat
.Lfunc_end130:
	.size	_ZN2at6native12_GLOBAL__N_119cunn_SoftMaxForwardILi8EN3c104HalfEffNS1_25LogSoftMaxForwardEpilogueEEEvPT2_PKT0_i, .Lfunc_end130-_ZN2at6native12_GLOBAL__N_119cunn_SoftMaxForwardILi8EN3c104HalfEffNS1_25LogSoftMaxForwardEpilogueEEEvPT2_PKT0_i
                                        ; -- End function
	.section	.AMDGPU.csdata,"",@progbits
; Kernel info:
; codeLenInByte = 3944
; NumSgprs: 51
; NumVgprs: 48
; NumAgprs: 0
; TotalNumVgprs: 48
; ScratchSize: 0
; MemoryBound: 0
; FloatMode: 240
; IeeeMode: 1
; LDSByteSize: 0 bytes/workgroup (compile time only)
; SGPRBlocks: 6
; VGPRBlocks: 5
; NumSGPRsForWavesPerEU: 51
; NumVGPRsForWavesPerEU: 48
; AccumOffset: 48
; Occupancy: 8
; WaveLimiterHint : 0
; COMPUTE_PGM_RSRC2:SCRATCH_EN: 0
; COMPUTE_PGM_RSRC2:USER_SGPR: 6
; COMPUTE_PGM_RSRC2:TRAP_HANDLER: 0
; COMPUTE_PGM_RSRC2:TGID_X_EN: 1
; COMPUTE_PGM_RSRC2:TGID_Y_EN: 0
; COMPUTE_PGM_RSRC2:TGID_Z_EN: 0
; COMPUTE_PGM_RSRC2:TIDIG_COMP_CNT: 0
; COMPUTE_PGM_RSRC3_GFX90A:ACCUM_OFFSET: 11
; COMPUTE_PGM_RSRC3_GFX90A:TG_SPLIT: 0
	.section	.text._ZN12_GLOBAL__N_120softmax_warp_forwardIN3c108BFloat16ES2_fLi0ELb1ELb0ELi64EEEvPT0_PKT_iiiPKbib,"axG",@progbits,_ZN12_GLOBAL__N_120softmax_warp_forwardIN3c108BFloat16ES2_fLi0ELb1ELb0ELi64EEEvPT0_PKT_iiiPKbib,comdat
	.globl	_ZN12_GLOBAL__N_120softmax_warp_forwardIN3c108BFloat16ES2_fLi0ELb1ELb0ELi64EEEvPT0_PKT_iiiPKbib ; -- Begin function _ZN12_GLOBAL__N_120softmax_warp_forwardIN3c108BFloat16ES2_fLi0ELb1ELb0ELi64EEEvPT0_PKT_iiiPKbib
	.p2align	8
	.type	_ZN12_GLOBAL__N_120softmax_warp_forwardIN3c108BFloat16ES2_fLi0ELb1ELb0ELi64EEEvPT0_PKT_iiiPKbib,@function
_ZN12_GLOBAL__N_120softmax_warp_forwardIN3c108BFloat16ES2_fLi0ELb1ELb0ELi64EEEvPT0_PKT_iiiPKbib: ; @_ZN12_GLOBAL__N_120softmax_warp_forwardIN3c108BFloat16ES2_fLi0ELb1ELb0ELi64EEEvPT0_PKT_iiiPKbib
; %bb.0:
	s_load_dword s0, s[4:5], 0x3c
	s_load_dwordx8 s[8:15], s[4:5], 0x0
	v_bfe_u32 v1, v0, 10, 10
	v_and_b32_e32 v0, 0x3ff, v0
	s_waitcnt lgkmcnt(0)
	s_lshr_b32 s0, s0, 16
	s_mul_i32 s6, s6, s0
	v_add_lshl_u32 v1, s6, v1, 1
	v_mad_u64_u32 v[2:3], s[0:1], v1, s13, v[0:1]
	v_ashrrev_i32_e32 v3, 31, v2
	v_lshlrev_b64 v[2:3], 1, v[2:3]
	v_sub_u32_e32 v6, s12, v1
	v_mov_b32_e32 v1, s11
	v_add_co_u32_e32 v4, vcc, s10, v2
	v_addc_co_u32_e32 v5, vcc, v1, v3, vcc
	v_cmp_gt_i32_e32 vcc, s14, v0
	v_cmp_lt_i32_e64 s[0:1], 0, v6
	s_and_b64 s[4:5], vcc, s[0:1]
	v_mov_b32_e32 v1, 0xff800000
	v_mov_b32_e32 v0, 0xff800000
	s_and_saveexec_b64 s[2:3], s[4:5]
	s_cbranch_execz .LBB131_2
; %bb.1:
	global_load_ushort v0, v[4:5], off
	s_waitcnt vmcnt(0)
	v_lshlrev_b32_e32 v0, 16, v0
.LBB131_2:
	s_or_b64 exec, exec, s[2:3]
	v_cmp_lt_i32_e64 s[2:3], 1, v6
	s_and_b64 s[2:3], vcc, s[2:3]
	s_and_saveexec_b64 s[4:5], s[2:3]
	s_cbranch_execz .LBB131_4
; %bb.3:
	s_mov_b32 s15, 0
	s_lshl_b64 s[2:3], s[14:15], 1
	v_mov_b32_e32 v1, s3
	v_add_co_u32_e64 v4, s[2:3], s2, v4
	v_addc_co_u32_e64 v5, s[2:3], v5, v1, s[2:3]
	global_load_ushort v1, v[4:5], off
	s_waitcnt vmcnt(0)
	v_lshlrev_b32_e32 v1, 16, v1
.LBB131_4:
	s_or_b64 exec, exec, s[4:5]
	s_and_saveexec_b64 s[2:3], s[0:1]
	s_cbranch_execz .LBB131_10
; %bb.5:
	v_pk_add_f32 v[8:9], v[0:1], v[0:1] neg_lo:[0,1] neg_hi:[0,1]
	s_mov_b32 s3, 0x3fb8aa3b
	v_mul_f32_e32 v5, 0x3fb8aa3b, v9
	v_fma_f32 v7, v9, s3, -v5
	v_rndne_f32_e32 v10, v5
	v_fmac_f32_e32 v7, 0x32a5705f, v9
	v_sub_f32_e32 v5, v5, v10
	v_add_f32_e32 v5, v5, v7
	v_exp_f32_e32 v5, v5
	v_cvt_i32_f32_e32 v7, v10
	v_mov_b32_e32 v4, s9
	v_add_co_u32_e64 v2, s[0:1], s8, v2
	v_addc_co_u32_e64 v3, s[0:1], v4, v3, s[0:1]
	v_ldexp_f32 v4, v5, v7
	v_mul_f32_e32 v5, 0x3fb8aa3b, v8
	v_fma_f32 v7, v8, s3, -v5
	v_rndne_f32_e32 v10, v5
	v_fmac_f32_e32 v7, 0x32a5705f, v8
	v_sub_f32_e32 v5, v5, v10
	v_add_f32_e32 v5, v5, v7
	v_exp_f32_e32 v5, v5
	v_cvt_i32_f32_e32 v7, v10
	s_mov_b32 s4, 0xc2ce8ed0
	v_cmp_ngt_f32_e64 s[0:1], s4, v9
	s_mov_b32 s5, 0x42b17218
	v_cndmask_b32_e64 v4, 0, v4, s[0:1]
	v_mov_b32_e32 v10, 0x7f800000
	v_cmp_nlt_f32_e64 s[0:1], s5, v9
	v_cndmask_b32_e64 v4, v10, v4, s[0:1]
	v_ldexp_f32 v5, v5, v7
	v_cmp_ngt_f32_e64 s[0:1], s4, v8
	v_cndmask_b32_e64 v5, 0, v5, s[0:1]
	v_cmp_nlt_f32_e64 s[0:1], s5, v8
	s_mov_b32 s2, 0x7f800000
	v_cndmask_b32_e64 v5, v10, v5, s[0:1]
	s_and_saveexec_b64 s[4:5], vcc
	s_cbranch_execz .LBB131_7
; %bb.6:
	s_mov_b32 s0, 0x800000
	v_mov_b32_e32 v7, 0x4f800000
	v_cmp_gt_f32_e64 s[0:1], s0, v5
	v_cndmask_b32_e64 v7, 1.0, v7, s[0:1]
	v_mul_f32_e32 v5, v5, v7
	v_log_f32_e32 v5, v5
	s_mov_b32 s3, 0x3f317217
	v_sub_f32_e32 v0, v0, v0
	v_mul_f32_e32 v7, 0x3f317217, v5
	v_fma_f32 v8, v5, s3, -v7
	v_fmac_f32_e32 v8, 0x3377d1cf, v5
	v_add_f32_e32 v7, v7, v8
	v_cmp_lt_f32_e64 s[2:3], |v5|, s2
	v_cndmask_b32_e64 v5, v5, v7, s[2:3]
	v_mov_b32_e32 v7, 0x41b17218
	v_cndmask_b32_e64 v7, 0, v7, s[0:1]
	v_sub_f32_e32 v5, v5, v7
	v_sub_f32_e32 v0, v0, v5
	v_bfe_u32 v5, v0, 16, 1
	s_movk_i32 s0, 0x7fff
	v_add3_u32 v5, v0, v5, s0
	v_lshrrev_b32_e32 v5, 16, v5
	v_mov_b32_e32 v7, 0x7fc0
	v_cmp_o_f32_e64 s[0:1], v0, v0
	v_cndmask_b32_e64 v0, v7, v5, s[0:1]
	global_store_short v[2:3], v0, off
.LBB131_7:
	s_or_b64 exec, exec, s[4:5]
	v_cmp_ne_u32_e64 s[0:1], 1, v6
	s_and_b64 exec, exec, s[0:1]
	s_cbranch_execz .LBB131_10
; %bb.8:
	s_and_b64 exec, exec, vcc
	s_cbranch_execz .LBB131_10
; %bb.9:
	s_mov_b32 s0, 0x800000
	v_mov_b32_e32 v0, 0x4f800000
	v_cmp_gt_f32_e32 vcc, s0, v4
	v_cndmask_b32_e32 v0, 1.0, v0, vcc
	v_mul_f32_e32 v0, v4, v0
	v_log_f32_e32 v0, v0
	s_mov_b32 s0, 0x3f317217
	v_sub_f32_e32 v1, v1, v1
	s_mov_b32 s15, 0
	v_mul_f32_e32 v4, 0x3f317217, v0
	v_fma_f32 v5, v0, s0, -v4
	v_fmac_f32_e32 v5, 0x3377d1cf, v0
	s_mov_b32 s0, 0x7f800000
	v_add_f32_e32 v4, v4, v5
	v_cmp_lt_f32_e64 s[0:1], |v0|, s0
	v_cndmask_b32_e64 v0, v0, v4, s[0:1]
	v_mov_b32_e32 v4, 0x41b17218
	v_cndmask_b32_e32 v4, 0, v4, vcc
	v_sub_f32_e32 v0, v0, v4
	v_sub_f32_e32 v0, v1, v0
	v_bfe_u32 v1, v0, 16, 1
	s_movk_i32 s0, 0x7fff
	v_add3_u32 v1, v0, v1, s0
	v_lshrrev_b32_e32 v1, 16, v1
	v_mov_b32_e32 v4, 0x7fc0
	v_cmp_o_f32_e32 vcc, v0, v0
	s_lshl_b64 s[0:1], s[14:15], 1
	v_cndmask_b32_e32 v4, v4, v1, vcc
	v_mov_b32_e32 v1, s1
	v_add_co_u32_e32 v0, vcc, s0, v2
	v_addc_co_u32_e32 v1, vcc, v3, v1, vcc
	global_store_short v[0:1], v4, off
.LBB131_10:
	s_endpgm
	.section	.rodata,"a",@progbits
	.p2align	6, 0x0
	.amdhsa_kernel _ZN12_GLOBAL__N_120softmax_warp_forwardIN3c108BFloat16ES2_fLi0ELb1ELb0ELi64EEEvPT0_PKT_iiiPKbib
		.amdhsa_group_segment_fixed_size 0
		.amdhsa_private_segment_fixed_size 0
		.amdhsa_kernarg_size 304
		.amdhsa_user_sgpr_count 6
		.amdhsa_user_sgpr_private_segment_buffer 1
		.amdhsa_user_sgpr_dispatch_ptr 0
		.amdhsa_user_sgpr_queue_ptr 0
		.amdhsa_user_sgpr_kernarg_segment_ptr 1
		.amdhsa_user_sgpr_dispatch_id 0
		.amdhsa_user_sgpr_flat_scratch_init 0
		.amdhsa_user_sgpr_kernarg_preload_length 0
		.amdhsa_user_sgpr_kernarg_preload_offset 0
		.amdhsa_user_sgpr_private_segment_size 0
		.amdhsa_uses_dynamic_stack 0
		.amdhsa_system_sgpr_private_segment_wavefront_offset 0
		.amdhsa_system_sgpr_workgroup_id_x 1
		.amdhsa_system_sgpr_workgroup_id_y 0
		.amdhsa_system_sgpr_workgroup_id_z 0
		.amdhsa_system_sgpr_workgroup_info 0
		.amdhsa_system_vgpr_workitem_id 1
		.amdhsa_next_free_vgpr 11
		.amdhsa_next_free_sgpr 16
		.amdhsa_accum_offset 12
		.amdhsa_reserve_vcc 1
		.amdhsa_reserve_flat_scratch 0
		.amdhsa_float_round_mode_32 0
		.amdhsa_float_round_mode_16_64 0
		.amdhsa_float_denorm_mode_32 3
		.amdhsa_float_denorm_mode_16_64 3
		.amdhsa_dx10_clamp 1
		.amdhsa_ieee_mode 1
		.amdhsa_fp16_overflow 0
		.amdhsa_tg_split 0
		.amdhsa_exception_fp_ieee_invalid_op 0
		.amdhsa_exception_fp_denorm_src 0
		.amdhsa_exception_fp_ieee_div_zero 0
		.amdhsa_exception_fp_ieee_overflow 0
		.amdhsa_exception_fp_ieee_underflow 0
		.amdhsa_exception_fp_ieee_inexact 0
		.amdhsa_exception_int_div_zero 0
	.end_amdhsa_kernel
	.section	.text._ZN12_GLOBAL__N_120softmax_warp_forwardIN3c108BFloat16ES2_fLi0ELb1ELb0ELi64EEEvPT0_PKT_iiiPKbib,"axG",@progbits,_ZN12_GLOBAL__N_120softmax_warp_forwardIN3c108BFloat16ES2_fLi0ELb1ELb0ELi64EEEvPT0_PKT_iiiPKbib,comdat
.Lfunc_end131:
	.size	_ZN12_GLOBAL__N_120softmax_warp_forwardIN3c108BFloat16ES2_fLi0ELb1ELb0ELi64EEEvPT0_PKT_iiiPKbib, .Lfunc_end131-_ZN12_GLOBAL__N_120softmax_warp_forwardIN3c108BFloat16ES2_fLi0ELb1ELb0ELi64EEEvPT0_PKT_iiiPKbib
                                        ; -- End function
	.section	.AMDGPU.csdata,"",@progbits
; Kernel info:
; codeLenInByte = 860
; NumSgprs: 20
; NumVgprs: 11
; NumAgprs: 0
; TotalNumVgprs: 11
; ScratchSize: 0
; MemoryBound: 0
; FloatMode: 240
; IeeeMode: 1
; LDSByteSize: 0 bytes/workgroup (compile time only)
; SGPRBlocks: 2
; VGPRBlocks: 1
; NumSGPRsForWavesPerEU: 20
; NumVGPRsForWavesPerEU: 11
; AccumOffset: 12
; Occupancy: 8
; WaveLimiterHint : 0
; COMPUTE_PGM_RSRC2:SCRATCH_EN: 0
; COMPUTE_PGM_RSRC2:USER_SGPR: 6
; COMPUTE_PGM_RSRC2:TRAP_HANDLER: 0
; COMPUTE_PGM_RSRC2:TGID_X_EN: 1
; COMPUTE_PGM_RSRC2:TGID_Y_EN: 0
; COMPUTE_PGM_RSRC2:TGID_Z_EN: 0
; COMPUTE_PGM_RSRC2:TIDIG_COMP_CNT: 1
; COMPUTE_PGM_RSRC3_GFX90A:ACCUM_OFFSET: 2
; COMPUTE_PGM_RSRC3_GFX90A:TG_SPLIT: 0
	.section	.text._ZN12_GLOBAL__N_120softmax_warp_forwardIN3c108BFloat16ES2_fLi0ELb1ELb0ELi32EEEvPT0_PKT_iiiPKbib,"axG",@progbits,_ZN12_GLOBAL__N_120softmax_warp_forwardIN3c108BFloat16ES2_fLi0ELb1ELb0ELi32EEEvPT0_PKT_iiiPKbib,comdat
	.globl	_ZN12_GLOBAL__N_120softmax_warp_forwardIN3c108BFloat16ES2_fLi0ELb1ELb0ELi32EEEvPT0_PKT_iiiPKbib ; -- Begin function _ZN12_GLOBAL__N_120softmax_warp_forwardIN3c108BFloat16ES2_fLi0ELb1ELb0ELi32EEEvPT0_PKT_iiiPKbib
	.p2align	8
	.type	_ZN12_GLOBAL__N_120softmax_warp_forwardIN3c108BFloat16ES2_fLi0ELb1ELb0ELi32EEEvPT0_PKT_iiiPKbib,@function
_ZN12_GLOBAL__N_120softmax_warp_forwardIN3c108BFloat16ES2_fLi0ELb1ELb0ELi32EEEvPT0_PKT_iiiPKbib: ; @_ZN12_GLOBAL__N_120softmax_warp_forwardIN3c108BFloat16ES2_fLi0ELb1ELb0ELi32EEEvPT0_PKT_iiiPKbib
; %bb.0:
	s_load_dword s0, s[4:5], 0x3c
	s_load_dwordx8 s[8:15], s[4:5], 0x0
	v_bfe_u32 v1, v0, 10, 10
	v_and_b32_e32 v0, 0x3ff, v0
	s_waitcnt lgkmcnt(0)
	s_lshr_b32 s0, s0, 16
	s_mul_i32 s6, s6, s0
	v_add_lshl_u32 v1, s6, v1, 1
	v_mad_u64_u32 v[2:3], s[0:1], v1, s13, v[0:1]
	v_ashrrev_i32_e32 v3, 31, v2
	v_lshlrev_b64 v[2:3], 1, v[2:3]
	v_sub_u32_e32 v6, s12, v1
	v_mov_b32_e32 v1, s11
	v_add_co_u32_e32 v4, vcc, s10, v2
	v_addc_co_u32_e32 v5, vcc, v1, v3, vcc
	v_cmp_gt_i32_e32 vcc, s14, v0
	v_cmp_lt_i32_e64 s[0:1], 0, v6
	s_and_b64 s[4:5], vcc, s[0:1]
	v_mov_b32_e32 v1, 0xff800000
	v_mov_b32_e32 v0, 0xff800000
	s_and_saveexec_b64 s[2:3], s[4:5]
	s_cbranch_execz .LBB132_2
; %bb.1:
	global_load_ushort v0, v[4:5], off
	s_waitcnt vmcnt(0)
	v_lshlrev_b32_e32 v0, 16, v0
.LBB132_2:
	s_or_b64 exec, exec, s[2:3]
	v_cmp_lt_i32_e64 s[2:3], 1, v6
	s_and_b64 s[2:3], vcc, s[2:3]
	s_and_saveexec_b64 s[4:5], s[2:3]
	s_cbranch_execz .LBB132_4
; %bb.3:
	s_mov_b32 s15, 0
	s_lshl_b64 s[2:3], s[14:15], 1
	v_mov_b32_e32 v1, s3
	v_add_co_u32_e64 v4, s[2:3], s2, v4
	v_addc_co_u32_e64 v5, s[2:3], v5, v1, s[2:3]
	global_load_ushort v1, v[4:5], off
	s_waitcnt vmcnt(0)
	v_lshlrev_b32_e32 v1, 16, v1
.LBB132_4:
	s_or_b64 exec, exec, s[4:5]
	s_and_saveexec_b64 s[2:3], s[0:1]
	s_cbranch_execz .LBB132_10
; %bb.5:
	v_pk_add_f32 v[8:9], v[0:1], v[0:1] neg_lo:[0,1] neg_hi:[0,1]
	s_mov_b32 s3, 0x3fb8aa3b
	v_mul_f32_e32 v5, 0x3fb8aa3b, v9
	v_fma_f32 v7, v9, s3, -v5
	v_rndne_f32_e32 v10, v5
	v_fmac_f32_e32 v7, 0x32a5705f, v9
	v_sub_f32_e32 v5, v5, v10
	v_add_f32_e32 v5, v5, v7
	v_exp_f32_e32 v5, v5
	v_cvt_i32_f32_e32 v7, v10
	v_mov_b32_e32 v4, s9
	v_add_co_u32_e64 v2, s[0:1], s8, v2
	v_addc_co_u32_e64 v3, s[0:1], v4, v3, s[0:1]
	v_ldexp_f32 v4, v5, v7
	v_mul_f32_e32 v5, 0x3fb8aa3b, v8
	v_fma_f32 v7, v8, s3, -v5
	v_rndne_f32_e32 v10, v5
	v_fmac_f32_e32 v7, 0x32a5705f, v8
	v_sub_f32_e32 v5, v5, v10
	v_add_f32_e32 v5, v5, v7
	v_exp_f32_e32 v5, v5
	v_cvt_i32_f32_e32 v7, v10
	s_mov_b32 s4, 0xc2ce8ed0
	v_cmp_ngt_f32_e64 s[0:1], s4, v9
	s_mov_b32 s5, 0x42b17218
	v_cndmask_b32_e64 v4, 0, v4, s[0:1]
	v_mov_b32_e32 v10, 0x7f800000
	v_cmp_nlt_f32_e64 s[0:1], s5, v9
	v_cndmask_b32_e64 v4, v10, v4, s[0:1]
	v_ldexp_f32 v5, v5, v7
	v_cmp_ngt_f32_e64 s[0:1], s4, v8
	v_cndmask_b32_e64 v5, 0, v5, s[0:1]
	v_cmp_nlt_f32_e64 s[0:1], s5, v8
	s_mov_b32 s2, 0x7f800000
	v_cndmask_b32_e64 v5, v10, v5, s[0:1]
	s_and_saveexec_b64 s[4:5], vcc
	s_cbranch_execz .LBB132_7
; %bb.6:
	s_mov_b32 s0, 0x800000
	v_mov_b32_e32 v7, 0x4f800000
	v_cmp_gt_f32_e64 s[0:1], s0, v5
	v_cndmask_b32_e64 v7, 1.0, v7, s[0:1]
	v_mul_f32_e32 v5, v5, v7
	v_log_f32_e32 v5, v5
	s_mov_b32 s3, 0x3f317217
	v_sub_f32_e32 v0, v0, v0
	v_mul_f32_e32 v7, 0x3f317217, v5
	v_fma_f32 v8, v5, s3, -v7
	v_fmac_f32_e32 v8, 0x3377d1cf, v5
	v_add_f32_e32 v7, v7, v8
	v_cmp_lt_f32_e64 s[2:3], |v5|, s2
	v_cndmask_b32_e64 v5, v5, v7, s[2:3]
	v_mov_b32_e32 v7, 0x41b17218
	v_cndmask_b32_e64 v7, 0, v7, s[0:1]
	v_sub_f32_e32 v5, v5, v7
	v_sub_f32_e32 v0, v0, v5
	v_bfe_u32 v5, v0, 16, 1
	s_movk_i32 s0, 0x7fff
	v_add3_u32 v5, v0, v5, s0
	v_lshrrev_b32_e32 v5, 16, v5
	v_mov_b32_e32 v7, 0x7fc0
	v_cmp_o_f32_e64 s[0:1], v0, v0
	v_cndmask_b32_e64 v0, v7, v5, s[0:1]
	global_store_short v[2:3], v0, off
.LBB132_7:
	s_or_b64 exec, exec, s[4:5]
	v_cmp_ne_u32_e64 s[0:1], 1, v6
	s_and_b64 exec, exec, s[0:1]
	s_cbranch_execz .LBB132_10
; %bb.8:
	s_and_b64 exec, exec, vcc
	s_cbranch_execz .LBB132_10
; %bb.9:
	s_mov_b32 s0, 0x800000
	v_mov_b32_e32 v0, 0x4f800000
	v_cmp_gt_f32_e32 vcc, s0, v4
	v_cndmask_b32_e32 v0, 1.0, v0, vcc
	v_mul_f32_e32 v0, v4, v0
	v_log_f32_e32 v0, v0
	s_mov_b32 s0, 0x3f317217
	v_sub_f32_e32 v1, v1, v1
	s_mov_b32 s15, 0
	v_mul_f32_e32 v4, 0x3f317217, v0
	v_fma_f32 v5, v0, s0, -v4
	v_fmac_f32_e32 v5, 0x3377d1cf, v0
	s_mov_b32 s0, 0x7f800000
	v_add_f32_e32 v4, v4, v5
	v_cmp_lt_f32_e64 s[0:1], |v0|, s0
	v_cndmask_b32_e64 v0, v0, v4, s[0:1]
	v_mov_b32_e32 v4, 0x41b17218
	v_cndmask_b32_e32 v4, 0, v4, vcc
	v_sub_f32_e32 v0, v0, v4
	v_sub_f32_e32 v0, v1, v0
	v_bfe_u32 v1, v0, 16, 1
	s_movk_i32 s0, 0x7fff
	v_add3_u32 v1, v0, v1, s0
	v_lshrrev_b32_e32 v1, 16, v1
	v_mov_b32_e32 v4, 0x7fc0
	v_cmp_o_f32_e32 vcc, v0, v0
	s_lshl_b64 s[0:1], s[14:15], 1
	v_cndmask_b32_e32 v4, v4, v1, vcc
	v_mov_b32_e32 v1, s1
	v_add_co_u32_e32 v0, vcc, s0, v2
	v_addc_co_u32_e32 v1, vcc, v3, v1, vcc
	global_store_short v[0:1], v4, off
.LBB132_10:
	s_endpgm
	.section	.rodata,"a",@progbits
	.p2align	6, 0x0
	.amdhsa_kernel _ZN12_GLOBAL__N_120softmax_warp_forwardIN3c108BFloat16ES2_fLi0ELb1ELb0ELi32EEEvPT0_PKT_iiiPKbib
		.amdhsa_group_segment_fixed_size 0
		.amdhsa_private_segment_fixed_size 0
		.amdhsa_kernarg_size 304
		.amdhsa_user_sgpr_count 6
		.amdhsa_user_sgpr_private_segment_buffer 1
		.amdhsa_user_sgpr_dispatch_ptr 0
		.amdhsa_user_sgpr_queue_ptr 0
		.amdhsa_user_sgpr_kernarg_segment_ptr 1
		.amdhsa_user_sgpr_dispatch_id 0
		.amdhsa_user_sgpr_flat_scratch_init 0
		.amdhsa_user_sgpr_kernarg_preload_length 0
		.amdhsa_user_sgpr_kernarg_preload_offset 0
		.amdhsa_user_sgpr_private_segment_size 0
		.amdhsa_uses_dynamic_stack 0
		.amdhsa_system_sgpr_private_segment_wavefront_offset 0
		.amdhsa_system_sgpr_workgroup_id_x 1
		.amdhsa_system_sgpr_workgroup_id_y 0
		.amdhsa_system_sgpr_workgroup_id_z 0
		.amdhsa_system_sgpr_workgroup_info 0
		.amdhsa_system_vgpr_workitem_id 1
		.amdhsa_next_free_vgpr 11
		.amdhsa_next_free_sgpr 16
		.amdhsa_accum_offset 12
		.amdhsa_reserve_vcc 1
		.amdhsa_reserve_flat_scratch 0
		.amdhsa_float_round_mode_32 0
		.amdhsa_float_round_mode_16_64 0
		.amdhsa_float_denorm_mode_32 3
		.amdhsa_float_denorm_mode_16_64 3
		.amdhsa_dx10_clamp 1
		.amdhsa_ieee_mode 1
		.amdhsa_fp16_overflow 0
		.amdhsa_tg_split 0
		.amdhsa_exception_fp_ieee_invalid_op 0
		.amdhsa_exception_fp_denorm_src 0
		.amdhsa_exception_fp_ieee_div_zero 0
		.amdhsa_exception_fp_ieee_overflow 0
		.amdhsa_exception_fp_ieee_underflow 0
		.amdhsa_exception_fp_ieee_inexact 0
		.amdhsa_exception_int_div_zero 0
	.end_amdhsa_kernel
	.section	.text._ZN12_GLOBAL__N_120softmax_warp_forwardIN3c108BFloat16ES2_fLi0ELb1ELb0ELi32EEEvPT0_PKT_iiiPKbib,"axG",@progbits,_ZN12_GLOBAL__N_120softmax_warp_forwardIN3c108BFloat16ES2_fLi0ELb1ELb0ELi32EEEvPT0_PKT_iiiPKbib,comdat
.Lfunc_end132:
	.size	_ZN12_GLOBAL__N_120softmax_warp_forwardIN3c108BFloat16ES2_fLi0ELb1ELb0ELi32EEEvPT0_PKT_iiiPKbib, .Lfunc_end132-_ZN12_GLOBAL__N_120softmax_warp_forwardIN3c108BFloat16ES2_fLi0ELb1ELb0ELi32EEEvPT0_PKT_iiiPKbib
                                        ; -- End function
	.section	.AMDGPU.csdata,"",@progbits
; Kernel info:
; codeLenInByte = 860
; NumSgprs: 20
; NumVgprs: 11
; NumAgprs: 0
; TotalNumVgprs: 11
; ScratchSize: 0
; MemoryBound: 0
; FloatMode: 240
; IeeeMode: 1
; LDSByteSize: 0 bytes/workgroup (compile time only)
; SGPRBlocks: 2
; VGPRBlocks: 1
; NumSGPRsForWavesPerEU: 20
; NumVGPRsForWavesPerEU: 11
; AccumOffset: 12
; Occupancy: 8
; WaveLimiterHint : 0
; COMPUTE_PGM_RSRC2:SCRATCH_EN: 0
; COMPUTE_PGM_RSRC2:USER_SGPR: 6
; COMPUTE_PGM_RSRC2:TRAP_HANDLER: 0
; COMPUTE_PGM_RSRC2:TGID_X_EN: 1
; COMPUTE_PGM_RSRC2:TGID_Y_EN: 0
; COMPUTE_PGM_RSRC2:TGID_Z_EN: 0
; COMPUTE_PGM_RSRC2:TIDIG_COMP_CNT: 1
; COMPUTE_PGM_RSRC3_GFX90A:ACCUM_OFFSET: 2
; COMPUTE_PGM_RSRC3_GFX90A:TG_SPLIT: 0
	.section	.text._ZN12_GLOBAL__N_120softmax_warp_forwardIN3c108BFloat16ES2_fLi1ELb1ELb0ELi64EEEvPT0_PKT_iiiPKbib,"axG",@progbits,_ZN12_GLOBAL__N_120softmax_warp_forwardIN3c108BFloat16ES2_fLi1ELb1ELb0ELi64EEEvPT0_PKT_iiiPKbib,comdat
	.globl	_ZN12_GLOBAL__N_120softmax_warp_forwardIN3c108BFloat16ES2_fLi1ELb1ELb0ELi64EEEvPT0_PKT_iiiPKbib ; -- Begin function _ZN12_GLOBAL__N_120softmax_warp_forwardIN3c108BFloat16ES2_fLi1ELb1ELb0ELi64EEEvPT0_PKT_iiiPKbib
	.p2align	8
	.type	_ZN12_GLOBAL__N_120softmax_warp_forwardIN3c108BFloat16ES2_fLi1ELb1ELb0ELi64EEEvPT0_PKT_iiiPKbib,@function
_ZN12_GLOBAL__N_120softmax_warp_forwardIN3c108BFloat16ES2_fLi1ELb1ELb0ELi64EEEvPT0_PKT_iiiPKbib: ; @_ZN12_GLOBAL__N_120softmax_warp_forwardIN3c108BFloat16ES2_fLi1ELb1ELb0ELi64EEEvPT0_PKT_iiiPKbib
; %bb.0:
	s_load_dword s0, s[4:5], 0x3c
	s_load_dwordx8 s[8:15], s[4:5], 0x0
	v_bfe_u32 v1, v0, 10, 10
	v_and_b32_e32 v0, 0x3ff, v0
	s_waitcnt lgkmcnt(0)
	s_lshr_b32 s0, s0, 16
	s_mul_i32 s6, s6, s0
	v_add_lshl_u32 v1, s6, v1, 1
	v_mad_u64_u32 v[2:3], s[0:1], v1, s13, v[0:1]
	v_ashrrev_i32_e32 v3, 31, v2
	v_lshlrev_b64 v[4:5], 1, v[2:3]
	v_sub_u32_e32 v10, s12, v1
	v_mov_b32_e32 v1, s11
	v_add_co_u32_e32 v2, vcc, s10, v4
	v_addc_co_u32_e32 v3, vcc, v1, v5, vcc
	v_cmp_gt_i32_e32 vcc, s14, v0
	v_cmp_lt_i32_e64 s[0:1], 0, v10
	s_and_b64 s[4:5], vcc, s[0:1]
	v_mov_b32_e32 v1, 0xff800000
	v_mov_b32_e32 v0, 0xff800000
	s_and_saveexec_b64 s[2:3], s[4:5]
	s_cbranch_execz .LBB133_2
; %bb.1:
	global_load_ushort v0, v[2:3], off
	s_waitcnt vmcnt(0)
	v_lshlrev_b32_e32 v0, 16, v0
.LBB133_2:
	s_or_b64 exec, exec, s[2:3]
	v_cmp_lt_i32_e64 s[2:3], 1, v10
	s_and_b64 s[2:3], vcc, s[2:3]
	s_and_saveexec_b64 s[4:5], s[2:3]
	s_cbranch_execz .LBB133_4
; %bb.3:
	s_mov_b32 s15, 0
	s_lshl_b64 s[2:3], s[14:15], 1
	v_mov_b32_e32 v1, s3
	v_add_co_u32_e64 v2, s[2:3], s2, v2
	v_addc_co_u32_e64 v3, s[2:3], v3, v1, s[2:3]
	global_load_ushort v1, v[2:3], off
	s_waitcnt vmcnt(0)
	v_lshlrev_b32_e32 v1, 16, v1
.LBB133_4:
	s_or_b64 exec, exec, s[4:5]
	v_mbcnt_lo_u32_b32 v2, -1, 0
	v_mbcnt_hi_u32_b32 v2, -1, v2
	v_and_b32_e32 v6, 0x7e, v2
	v_xor_b32_e32 v3, 1, v2
	v_add_u32_e32 v6, 2, v6
	v_cmp_lt_i32_e64 s[2:3], v3, v6
	v_cndmask_b32_e64 v2, v2, v3, s[2:3]
	v_lshlrev_b32_e32 v9, 2, v2
	ds_bpermute_b32 v2, v9, v1
	ds_bpermute_b32 v6, v9, v0
	s_mov_b32 s4, 0x3fb8aa3b
	s_mov_b32 s5, 0xc2ce8ed0
	;; [unrolled: 1-line block ×3, first 2 shown]
	s_waitcnt lgkmcnt(1)
	v_cmp_lt_f32_e64 s[2:3], v1, v2
	v_cndmask_b32_e64 v3, v1, v2, s[2:3]
	s_waitcnt lgkmcnt(0)
	v_cmp_lt_f32_e64 s[2:3], v0, v6
	v_cndmask_b32_e64 v2, v0, v6, s[2:3]
	v_pk_add_f32 v[6:7], v[0:1], v[2:3] neg_lo:[0,1] neg_hi:[0,1]
	v_mul_f32_e32 v8, 0x3fb8aa3b, v7
	v_fma_f32 v11, v7, s4, -v8
	v_rndne_f32_e32 v12, v8
	v_fmac_f32_e32 v11, 0x32a5705f, v7
	v_sub_f32_e32 v8, v8, v12
	v_add_f32_e32 v8, v8, v11
	v_exp_f32_e32 v8, v8
	v_cvt_i32_f32_e32 v11, v12
	v_cmp_ngt_f32_e64 s[2:3], s5, v7
	v_ldexp_f32 v8, v8, v11
	v_mul_f32_e32 v11, 0x3fb8aa3b, v6
	v_fma_f32 v12, v6, s4, -v11
	v_rndne_f32_e32 v13, v11
	v_fmac_f32_e32 v12, 0x32a5705f, v6
	v_sub_f32_e32 v11, v11, v13
	v_add_f32_e32 v11, v11, v12
	v_exp_f32_e32 v11, v11
	v_cvt_i32_f32_e32 v12, v13
	v_cndmask_b32_e64 v8, 0, v8, s[2:3]
	v_mov_b32_e32 v13, 0x7f800000
	v_cmp_nlt_f32_e64 s[2:3], s6, v7
	v_cndmask_b32_e64 v7, v13, v8, s[2:3]
	v_ldexp_f32 v8, v11, v12
	v_cmp_ngt_f32_e64 s[2:3], s5, v6
	v_cndmask_b32_e64 v8, 0, v8, s[2:3]
	v_cmp_nlt_f32_e64 s[2:3], s6, v6
	v_cndmask_b32_e64 v6, v13, v8, s[2:3]
	ds_bpermute_b32 v8, v9, v6
	ds_bpermute_b32 v9, v9, v7
	s_and_saveexec_b64 s[2:3], s[0:1]
	s_cbranch_execz .LBB133_10
; %bb.5:
	v_mov_b32_e32 v11, s9
	v_add_co_u32_e64 v4, s[0:1], s8, v4
	v_addc_co_u32_e64 v5, s[0:1], v11, v5, s[0:1]
	s_waitcnt lgkmcnt(0)
	v_pk_add_f32 v[6:7], v[6:7], v[8:9]
	s_and_saveexec_b64 s[4:5], vcc
	s_cbranch_execz .LBB133_7
; %bb.6:
	s_mov_b32 s0, 0x800000
	v_mov_b32_e32 v8, 0x4f800000
	v_cmp_gt_f32_e64 s[0:1], s0, v6
	v_cndmask_b32_e64 v8, 1.0, v8, s[0:1]
	v_mul_f32_e32 v6, v6, v8
	v_log_f32_e32 v6, v6
	s_mov_b32 s2, 0x3f317217
	v_sub_f32_e32 v0, v0, v2
	v_mul_f32_e32 v8, 0x3f317217, v6
	v_fma_f32 v9, v6, s2, -v8
	v_fmac_f32_e32 v9, 0x3377d1cf, v6
	s_mov_b32 s2, 0x7f800000
	v_add_f32_e32 v8, v8, v9
	v_cmp_lt_f32_e64 s[2:3], |v6|, s2
	v_cndmask_b32_e64 v6, v6, v8, s[2:3]
	v_mov_b32_e32 v8, 0x41b17218
	v_cndmask_b32_e64 v8, 0, v8, s[0:1]
	v_sub_f32_e32 v6, v6, v8
	v_sub_f32_e32 v0, v0, v6
	v_bfe_u32 v2, v0, 16, 1
	s_movk_i32 s0, 0x7fff
	v_add3_u32 v2, v0, v2, s0
	v_lshrrev_b32_e32 v2, 16, v2
	v_mov_b32_e32 v6, 0x7fc0
	v_cmp_o_f32_e64 s[0:1], v0, v0
	v_cndmask_b32_e64 v0, v6, v2, s[0:1]
	global_store_short v[4:5], v0, off
.LBB133_7:
	s_or_b64 exec, exec, s[4:5]
	v_cmp_ne_u32_e64 s[0:1], 1, v10
	s_and_b64 exec, exec, s[0:1]
	s_cbranch_execz .LBB133_10
; %bb.8:
	s_and_b64 exec, exec, vcc
	s_cbranch_execz .LBB133_10
; %bb.9:
	s_mov_b32 s0, 0x800000
	v_mov_b32_e32 v0, 0x4f800000
	v_cmp_gt_f32_e32 vcc, s0, v7
	v_cndmask_b32_e32 v0, 1.0, v0, vcc
	v_mul_f32_e32 v0, v7, v0
	v_log_f32_e32 v0, v0
	s_mov_b32 s0, 0x3f317217
	v_sub_f32_e32 v1, v1, v3
	s_mov_b32 s15, 0
	v_mul_f32_e32 v2, 0x3f317217, v0
	v_fma_f32 v6, v0, s0, -v2
	v_fmac_f32_e32 v6, 0x3377d1cf, v0
	s_mov_b32 s0, 0x7f800000
	v_add_f32_e32 v2, v2, v6
	v_cmp_lt_f32_e64 s[0:1], |v0|, s0
	v_cndmask_b32_e64 v0, v0, v2, s[0:1]
	v_mov_b32_e32 v2, 0x41b17218
	v_cndmask_b32_e32 v2, 0, v2, vcc
	v_sub_f32_e32 v0, v0, v2
	v_sub_f32_e32 v0, v1, v0
	v_bfe_u32 v1, v0, 16, 1
	s_movk_i32 s0, 0x7fff
	v_add3_u32 v1, v0, v1, s0
	v_lshrrev_b32_e32 v1, 16, v1
	v_mov_b32_e32 v2, 0x7fc0
	v_cmp_o_f32_e32 vcc, v0, v0
	s_lshl_b64 s[0:1], s[14:15], 1
	v_cndmask_b32_e32 v2, v2, v1, vcc
	v_mov_b32_e32 v1, s1
	v_add_co_u32_e32 v0, vcc, s0, v4
	v_addc_co_u32_e32 v1, vcc, v5, v1, vcc
	global_store_short v[0:1], v2, off
.LBB133_10:
	s_endpgm
	.section	.rodata,"a",@progbits
	.p2align	6, 0x0
	.amdhsa_kernel _ZN12_GLOBAL__N_120softmax_warp_forwardIN3c108BFloat16ES2_fLi1ELb1ELb0ELi64EEEvPT0_PKT_iiiPKbib
		.amdhsa_group_segment_fixed_size 0
		.amdhsa_private_segment_fixed_size 0
		.amdhsa_kernarg_size 304
		.amdhsa_user_sgpr_count 6
		.amdhsa_user_sgpr_private_segment_buffer 1
		.amdhsa_user_sgpr_dispatch_ptr 0
		.amdhsa_user_sgpr_queue_ptr 0
		.amdhsa_user_sgpr_kernarg_segment_ptr 1
		.amdhsa_user_sgpr_dispatch_id 0
		.amdhsa_user_sgpr_flat_scratch_init 0
		.amdhsa_user_sgpr_kernarg_preload_length 0
		.amdhsa_user_sgpr_kernarg_preload_offset 0
		.amdhsa_user_sgpr_private_segment_size 0
		.amdhsa_uses_dynamic_stack 0
		.amdhsa_system_sgpr_private_segment_wavefront_offset 0
		.amdhsa_system_sgpr_workgroup_id_x 1
		.amdhsa_system_sgpr_workgroup_id_y 0
		.amdhsa_system_sgpr_workgroup_id_z 0
		.amdhsa_system_sgpr_workgroup_info 0
		.amdhsa_system_vgpr_workitem_id 1
		.amdhsa_next_free_vgpr 14
		.amdhsa_next_free_sgpr 16
		.amdhsa_accum_offset 16
		.amdhsa_reserve_vcc 1
		.amdhsa_reserve_flat_scratch 0
		.amdhsa_float_round_mode_32 0
		.amdhsa_float_round_mode_16_64 0
		.amdhsa_float_denorm_mode_32 3
		.amdhsa_float_denorm_mode_16_64 3
		.amdhsa_dx10_clamp 1
		.amdhsa_ieee_mode 1
		.amdhsa_fp16_overflow 0
		.amdhsa_tg_split 0
		.amdhsa_exception_fp_ieee_invalid_op 0
		.amdhsa_exception_fp_denorm_src 0
		.amdhsa_exception_fp_ieee_div_zero 0
		.amdhsa_exception_fp_ieee_overflow 0
		.amdhsa_exception_fp_ieee_underflow 0
		.amdhsa_exception_fp_ieee_inexact 0
		.amdhsa_exception_int_div_zero 0
	.end_amdhsa_kernel
	.section	.text._ZN12_GLOBAL__N_120softmax_warp_forwardIN3c108BFloat16ES2_fLi1ELb1ELb0ELi64EEEvPT0_PKT_iiiPKbib,"axG",@progbits,_ZN12_GLOBAL__N_120softmax_warp_forwardIN3c108BFloat16ES2_fLi1ELb1ELb0ELi64EEEvPT0_PKT_iiiPKbib,comdat
.Lfunc_end133:
	.size	_ZN12_GLOBAL__N_120softmax_warp_forwardIN3c108BFloat16ES2_fLi1ELb1ELb0ELi64EEEvPT0_PKT_iiiPKbib, .Lfunc_end133-_ZN12_GLOBAL__N_120softmax_warp_forwardIN3c108BFloat16ES2_fLi1ELb1ELb0ELi64EEEvPT0_PKT_iiiPKbib
                                        ; -- End function
	.section	.AMDGPU.csdata,"",@progbits
; Kernel info:
; codeLenInByte = 996
; NumSgprs: 20
; NumVgprs: 14
; NumAgprs: 0
; TotalNumVgprs: 14
; ScratchSize: 0
; MemoryBound: 0
; FloatMode: 240
; IeeeMode: 1
; LDSByteSize: 0 bytes/workgroup (compile time only)
; SGPRBlocks: 2
; VGPRBlocks: 1
; NumSGPRsForWavesPerEU: 20
; NumVGPRsForWavesPerEU: 14
; AccumOffset: 16
; Occupancy: 8
; WaveLimiterHint : 0
; COMPUTE_PGM_RSRC2:SCRATCH_EN: 0
; COMPUTE_PGM_RSRC2:USER_SGPR: 6
; COMPUTE_PGM_RSRC2:TRAP_HANDLER: 0
; COMPUTE_PGM_RSRC2:TGID_X_EN: 1
; COMPUTE_PGM_RSRC2:TGID_Y_EN: 0
; COMPUTE_PGM_RSRC2:TGID_Z_EN: 0
; COMPUTE_PGM_RSRC2:TIDIG_COMP_CNT: 1
; COMPUTE_PGM_RSRC3_GFX90A:ACCUM_OFFSET: 3
; COMPUTE_PGM_RSRC3_GFX90A:TG_SPLIT: 0
	.section	.text._ZN12_GLOBAL__N_120softmax_warp_forwardIN3c108BFloat16ES2_fLi1ELb1ELb0ELi32EEEvPT0_PKT_iiiPKbib,"axG",@progbits,_ZN12_GLOBAL__N_120softmax_warp_forwardIN3c108BFloat16ES2_fLi1ELb1ELb0ELi32EEEvPT0_PKT_iiiPKbib,comdat
	.globl	_ZN12_GLOBAL__N_120softmax_warp_forwardIN3c108BFloat16ES2_fLi1ELb1ELb0ELi32EEEvPT0_PKT_iiiPKbib ; -- Begin function _ZN12_GLOBAL__N_120softmax_warp_forwardIN3c108BFloat16ES2_fLi1ELb1ELb0ELi32EEEvPT0_PKT_iiiPKbib
	.p2align	8
	.type	_ZN12_GLOBAL__N_120softmax_warp_forwardIN3c108BFloat16ES2_fLi1ELb1ELb0ELi32EEEvPT0_PKT_iiiPKbib,@function
_ZN12_GLOBAL__N_120softmax_warp_forwardIN3c108BFloat16ES2_fLi1ELb1ELb0ELi32EEEvPT0_PKT_iiiPKbib: ; @_ZN12_GLOBAL__N_120softmax_warp_forwardIN3c108BFloat16ES2_fLi1ELb1ELb0ELi32EEEvPT0_PKT_iiiPKbib
; %bb.0:
	s_load_dword s0, s[4:5], 0x3c
	s_load_dwordx8 s[8:15], s[4:5], 0x0
	v_bfe_u32 v1, v0, 10, 10
	v_and_b32_e32 v0, 0x3ff, v0
	s_waitcnt lgkmcnt(0)
	s_lshr_b32 s0, s0, 16
	s_mul_i32 s6, s6, s0
	v_add_lshl_u32 v1, s6, v1, 1
	v_mad_u64_u32 v[2:3], s[0:1], v1, s13, v[0:1]
	v_ashrrev_i32_e32 v3, 31, v2
	v_lshlrev_b64 v[4:5], 1, v[2:3]
	v_sub_u32_e32 v10, s12, v1
	v_mov_b32_e32 v1, s11
	v_add_co_u32_e32 v2, vcc, s10, v4
	v_addc_co_u32_e32 v3, vcc, v1, v5, vcc
	v_cmp_gt_i32_e32 vcc, s14, v0
	v_cmp_lt_i32_e64 s[0:1], 0, v10
	s_and_b64 s[4:5], vcc, s[0:1]
	v_mov_b32_e32 v1, 0xff800000
	v_mov_b32_e32 v0, 0xff800000
	s_and_saveexec_b64 s[2:3], s[4:5]
	s_cbranch_execz .LBB134_2
; %bb.1:
	global_load_ushort v0, v[2:3], off
	s_waitcnt vmcnt(0)
	v_lshlrev_b32_e32 v0, 16, v0
.LBB134_2:
	s_or_b64 exec, exec, s[2:3]
	v_cmp_lt_i32_e64 s[2:3], 1, v10
	s_and_b64 s[2:3], vcc, s[2:3]
	s_and_saveexec_b64 s[4:5], s[2:3]
	s_cbranch_execz .LBB134_4
; %bb.3:
	s_mov_b32 s15, 0
	s_lshl_b64 s[2:3], s[14:15], 1
	v_mov_b32_e32 v1, s3
	v_add_co_u32_e64 v2, s[2:3], s2, v2
	v_addc_co_u32_e64 v3, s[2:3], v3, v1, s[2:3]
	global_load_ushort v1, v[2:3], off
	s_waitcnt vmcnt(0)
	v_lshlrev_b32_e32 v1, 16, v1
.LBB134_4:
	s_or_b64 exec, exec, s[4:5]
	v_mbcnt_lo_u32_b32 v2, -1, 0
	v_mbcnt_hi_u32_b32 v2, -1, v2
	v_and_b32_e32 v6, 0x7e, v2
	v_xor_b32_e32 v3, 1, v2
	v_add_u32_e32 v6, 2, v6
	v_cmp_lt_i32_e64 s[2:3], v3, v6
	v_cndmask_b32_e64 v2, v2, v3, s[2:3]
	v_lshlrev_b32_e32 v9, 2, v2
	ds_bpermute_b32 v2, v9, v1
	ds_bpermute_b32 v6, v9, v0
	s_mov_b32 s4, 0x3fb8aa3b
	s_mov_b32 s5, 0xc2ce8ed0
	;; [unrolled: 1-line block ×3, first 2 shown]
	s_waitcnt lgkmcnt(1)
	v_cmp_lt_f32_e64 s[2:3], v1, v2
	v_cndmask_b32_e64 v3, v1, v2, s[2:3]
	s_waitcnt lgkmcnt(0)
	v_cmp_lt_f32_e64 s[2:3], v0, v6
	v_cndmask_b32_e64 v2, v0, v6, s[2:3]
	v_pk_add_f32 v[6:7], v[0:1], v[2:3] neg_lo:[0,1] neg_hi:[0,1]
	v_mul_f32_e32 v8, 0x3fb8aa3b, v7
	v_fma_f32 v11, v7, s4, -v8
	v_rndne_f32_e32 v12, v8
	v_fmac_f32_e32 v11, 0x32a5705f, v7
	v_sub_f32_e32 v8, v8, v12
	v_add_f32_e32 v8, v8, v11
	v_exp_f32_e32 v8, v8
	v_cvt_i32_f32_e32 v11, v12
	v_cmp_ngt_f32_e64 s[2:3], s5, v7
	v_ldexp_f32 v8, v8, v11
	v_mul_f32_e32 v11, 0x3fb8aa3b, v6
	v_fma_f32 v12, v6, s4, -v11
	v_rndne_f32_e32 v13, v11
	v_fmac_f32_e32 v12, 0x32a5705f, v6
	v_sub_f32_e32 v11, v11, v13
	v_add_f32_e32 v11, v11, v12
	v_exp_f32_e32 v11, v11
	v_cvt_i32_f32_e32 v12, v13
	v_cndmask_b32_e64 v8, 0, v8, s[2:3]
	v_mov_b32_e32 v13, 0x7f800000
	v_cmp_nlt_f32_e64 s[2:3], s6, v7
	v_cndmask_b32_e64 v7, v13, v8, s[2:3]
	v_ldexp_f32 v8, v11, v12
	v_cmp_ngt_f32_e64 s[2:3], s5, v6
	v_cndmask_b32_e64 v8, 0, v8, s[2:3]
	v_cmp_nlt_f32_e64 s[2:3], s6, v6
	v_cndmask_b32_e64 v6, v13, v8, s[2:3]
	ds_bpermute_b32 v8, v9, v6
	ds_bpermute_b32 v9, v9, v7
	s_and_saveexec_b64 s[2:3], s[0:1]
	s_cbranch_execz .LBB134_10
; %bb.5:
	v_mov_b32_e32 v11, s9
	v_add_co_u32_e64 v4, s[0:1], s8, v4
	v_addc_co_u32_e64 v5, s[0:1], v11, v5, s[0:1]
	s_waitcnt lgkmcnt(0)
	v_pk_add_f32 v[6:7], v[6:7], v[8:9]
	s_and_saveexec_b64 s[4:5], vcc
	s_cbranch_execz .LBB134_7
; %bb.6:
	s_mov_b32 s0, 0x800000
	v_mov_b32_e32 v8, 0x4f800000
	v_cmp_gt_f32_e64 s[0:1], s0, v6
	v_cndmask_b32_e64 v8, 1.0, v8, s[0:1]
	v_mul_f32_e32 v6, v6, v8
	v_log_f32_e32 v6, v6
	s_mov_b32 s2, 0x3f317217
	v_sub_f32_e32 v0, v0, v2
	v_mul_f32_e32 v8, 0x3f317217, v6
	v_fma_f32 v9, v6, s2, -v8
	v_fmac_f32_e32 v9, 0x3377d1cf, v6
	s_mov_b32 s2, 0x7f800000
	v_add_f32_e32 v8, v8, v9
	v_cmp_lt_f32_e64 s[2:3], |v6|, s2
	v_cndmask_b32_e64 v6, v6, v8, s[2:3]
	v_mov_b32_e32 v8, 0x41b17218
	v_cndmask_b32_e64 v8, 0, v8, s[0:1]
	v_sub_f32_e32 v6, v6, v8
	v_sub_f32_e32 v0, v0, v6
	v_bfe_u32 v2, v0, 16, 1
	s_movk_i32 s0, 0x7fff
	v_add3_u32 v2, v0, v2, s0
	v_lshrrev_b32_e32 v2, 16, v2
	v_mov_b32_e32 v6, 0x7fc0
	v_cmp_o_f32_e64 s[0:1], v0, v0
	v_cndmask_b32_e64 v0, v6, v2, s[0:1]
	global_store_short v[4:5], v0, off
.LBB134_7:
	s_or_b64 exec, exec, s[4:5]
	v_cmp_ne_u32_e64 s[0:1], 1, v10
	s_and_b64 exec, exec, s[0:1]
	s_cbranch_execz .LBB134_10
; %bb.8:
	s_and_b64 exec, exec, vcc
	s_cbranch_execz .LBB134_10
; %bb.9:
	s_mov_b32 s0, 0x800000
	v_mov_b32_e32 v0, 0x4f800000
	v_cmp_gt_f32_e32 vcc, s0, v7
	v_cndmask_b32_e32 v0, 1.0, v0, vcc
	v_mul_f32_e32 v0, v7, v0
	v_log_f32_e32 v0, v0
	s_mov_b32 s0, 0x3f317217
	v_sub_f32_e32 v1, v1, v3
	s_mov_b32 s15, 0
	v_mul_f32_e32 v2, 0x3f317217, v0
	v_fma_f32 v6, v0, s0, -v2
	v_fmac_f32_e32 v6, 0x3377d1cf, v0
	s_mov_b32 s0, 0x7f800000
	v_add_f32_e32 v2, v2, v6
	v_cmp_lt_f32_e64 s[0:1], |v0|, s0
	v_cndmask_b32_e64 v0, v0, v2, s[0:1]
	v_mov_b32_e32 v2, 0x41b17218
	v_cndmask_b32_e32 v2, 0, v2, vcc
	v_sub_f32_e32 v0, v0, v2
	v_sub_f32_e32 v0, v1, v0
	v_bfe_u32 v1, v0, 16, 1
	s_movk_i32 s0, 0x7fff
	v_add3_u32 v1, v0, v1, s0
	v_lshrrev_b32_e32 v1, 16, v1
	v_mov_b32_e32 v2, 0x7fc0
	v_cmp_o_f32_e32 vcc, v0, v0
	s_lshl_b64 s[0:1], s[14:15], 1
	v_cndmask_b32_e32 v2, v2, v1, vcc
	v_mov_b32_e32 v1, s1
	v_add_co_u32_e32 v0, vcc, s0, v4
	v_addc_co_u32_e32 v1, vcc, v5, v1, vcc
	global_store_short v[0:1], v2, off
.LBB134_10:
	s_endpgm
	.section	.rodata,"a",@progbits
	.p2align	6, 0x0
	.amdhsa_kernel _ZN12_GLOBAL__N_120softmax_warp_forwardIN3c108BFloat16ES2_fLi1ELb1ELb0ELi32EEEvPT0_PKT_iiiPKbib
		.amdhsa_group_segment_fixed_size 0
		.amdhsa_private_segment_fixed_size 0
		.amdhsa_kernarg_size 304
		.amdhsa_user_sgpr_count 6
		.amdhsa_user_sgpr_private_segment_buffer 1
		.amdhsa_user_sgpr_dispatch_ptr 0
		.amdhsa_user_sgpr_queue_ptr 0
		.amdhsa_user_sgpr_kernarg_segment_ptr 1
		.amdhsa_user_sgpr_dispatch_id 0
		.amdhsa_user_sgpr_flat_scratch_init 0
		.amdhsa_user_sgpr_kernarg_preload_length 0
		.amdhsa_user_sgpr_kernarg_preload_offset 0
		.amdhsa_user_sgpr_private_segment_size 0
		.amdhsa_uses_dynamic_stack 0
		.amdhsa_system_sgpr_private_segment_wavefront_offset 0
		.amdhsa_system_sgpr_workgroup_id_x 1
		.amdhsa_system_sgpr_workgroup_id_y 0
		.amdhsa_system_sgpr_workgroup_id_z 0
		.amdhsa_system_sgpr_workgroup_info 0
		.amdhsa_system_vgpr_workitem_id 1
		.amdhsa_next_free_vgpr 14
		.amdhsa_next_free_sgpr 16
		.amdhsa_accum_offset 16
		.amdhsa_reserve_vcc 1
		.amdhsa_reserve_flat_scratch 0
		.amdhsa_float_round_mode_32 0
		.amdhsa_float_round_mode_16_64 0
		.amdhsa_float_denorm_mode_32 3
		.amdhsa_float_denorm_mode_16_64 3
		.amdhsa_dx10_clamp 1
		.amdhsa_ieee_mode 1
		.amdhsa_fp16_overflow 0
		.amdhsa_tg_split 0
		.amdhsa_exception_fp_ieee_invalid_op 0
		.amdhsa_exception_fp_denorm_src 0
		.amdhsa_exception_fp_ieee_div_zero 0
		.amdhsa_exception_fp_ieee_overflow 0
		.amdhsa_exception_fp_ieee_underflow 0
		.amdhsa_exception_fp_ieee_inexact 0
		.amdhsa_exception_int_div_zero 0
	.end_amdhsa_kernel
	.section	.text._ZN12_GLOBAL__N_120softmax_warp_forwardIN3c108BFloat16ES2_fLi1ELb1ELb0ELi32EEEvPT0_PKT_iiiPKbib,"axG",@progbits,_ZN12_GLOBAL__N_120softmax_warp_forwardIN3c108BFloat16ES2_fLi1ELb1ELb0ELi32EEEvPT0_PKT_iiiPKbib,comdat
.Lfunc_end134:
	.size	_ZN12_GLOBAL__N_120softmax_warp_forwardIN3c108BFloat16ES2_fLi1ELb1ELb0ELi32EEEvPT0_PKT_iiiPKbib, .Lfunc_end134-_ZN12_GLOBAL__N_120softmax_warp_forwardIN3c108BFloat16ES2_fLi1ELb1ELb0ELi32EEEvPT0_PKT_iiiPKbib
                                        ; -- End function
	.section	.AMDGPU.csdata,"",@progbits
; Kernel info:
; codeLenInByte = 996
; NumSgprs: 20
; NumVgprs: 14
; NumAgprs: 0
; TotalNumVgprs: 14
; ScratchSize: 0
; MemoryBound: 0
; FloatMode: 240
; IeeeMode: 1
; LDSByteSize: 0 bytes/workgroup (compile time only)
; SGPRBlocks: 2
; VGPRBlocks: 1
; NumSGPRsForWavesPerEU: 20
; NumVGPRsForWavesPerEU: 14
; AccumOffset: 16
; Occupancy: 8
; WaveLimiterHint : 0
; COMPUTE_PGM_RSRC2:SCRATCH_EN: 0
; COMPUTE_PGM_RSRC2:USER_SGPR: 6
; COMPUTE_PGM_RSRC2:TRAP_HANDLER: 0
; COMPUTE_PGM_RSRC2:TGID_X_EN: 1
; COMPUTE_PGM_RSRC2:TGID_Y_EN: 0
; COMPUTE_PGM_RSRC2:TGID_Z_EN: 0
; COMPUTE_PGM_RSRC2:TIDIG_COMP_CNT: 1
; COMPUTE_PGM_RSRC3_GFX90A:ACCUM_OFFSET: 3
; COMPUTE_PGM_RSRC3_GFX90A:TG_SPLIT: 0
	.section	.text._ZN12_GLOBAL__N_120softmax_warp_forwardIN3c108BFloat16ES2_fLi2ELb1ELb0ELi64EEEvPT0_PKT_iiiPKbib,"axG",@progbits,_ZN12_GLOBAL__N_120softmax_warp_forwardIN3c108BFloat16ES2_fLi2ELb1ELb0ELi64EEEvPT0_PKT_iiiPKbib,comdat
	.globl	_ZN12_GLOBAL__N_120softmax_warp_forwardIN3c108BFloat16ES2_fLi2ELb1ELb0ELi64EEEvPT0_PKT_iiiPKbib ; -- Begin function _ZN12_GLOBAL__N_120softmax_warp_forwardIN3c108BFloat16ES2_fLi2ELb1ELb0ELi64EEEvPT0_PKT_iiiPKbib
	.p2align	8
	.type	_ZN12_GLOBAL__N_120softmax_warp_forwardIN3c108BFloat16ES2_fLi2ELb1ELb0ELi64EEEvPT0_PKT_iiiPKbib,@function
_ZN12_GLOBAL__N_120softmax_warp_forwardIN3c108BFloat16ES2_fLi2ELb1ELb0ELi64EEEvPT0_PKT_iiiPKbib: ; @_ZN12_GLOBAL__N_120softmax_warp_forwardIN3c108BFloat16ES2_fLi2ELb1ELb0ELi64EEEvPT0_PKT_iiiPKbib
; %bb.0:
	s_load_dword s0, s[4:5], 0x3c
	s_load_dwordx8 s[8:15], s[4:5], 0x0
	v_bfe_u32 v1, v0, 10, 10
	v_and_b32_e32 v0, 0x3ff, v0
	s_waitcnt lgkmcnt(0)
	s_lshr_b32 s0, s0, 16
	s_mul_i32 s6, s6, s0
	v_add_lshl_u32 v1, s6, v1, 1
	v_mad_u64_u32 v[2:3], s[0:1], v1, s13, v[0:1]
	v_ashrrev_i32_e32 v3, 31, v2
	v_lshlrev_b64 v[4:5], 1, v[2:3]
	v_sub_u32_e32 v10, s12, v1
	v_mov_b32_e32 v1, s11
	v_add_co_u32_e32 v2, vcc, s10, v4
	v_addc_co_u32_e32 v3, vcc, v1, v5, vcc
	v_cmp_gt_i32_e32 vcc, s14, v0
	v_cmp_lt_i32_e64 s[0:1], 0, v10
	s_and_b64 s[4:5], vcc, s[0:1]
	v_mov_b32_e32 v1, 0xff800000
	v_mov_b32_e32 v0, 0xff800000
	s_and_saveexec_b64 s[2:3], s[4:5]
	s_cbranch_execz .LBB135_2
; %bb.1:
	global_load_ushort v0, v[2:3], off
	s_waitcnt vmcnt(0)
	v_lshlrev_b32_e32 v0, 16, v0
.LBB135_2:
	s_or_b64 exec, exec, s[2:3]
	v_cmp_lt_i32_e64 s[2:3], 1, v10
	s_and_b64 s[2:3], vcc, s[2:3]
	s_and_saveexec_b64 s[4:5], s[2:3]
	s_cbranch_execz .LBB135_4
; %bb.3:
	s_mov_b32 s15, 0
	s_lshl_b64 s[2:3], s[14:15], 1
	v_mov_b32_e32 v1, s3
	v_add_co_u32_e64 v2, s[2:3], s2, v2
	v_addc_co_u32_e64 v3, s[2:3], v3, v1, s[2:3]
	global_load_ushort v1, v[2:3], off
	s_waitcnt vmcnt(0)
	v_lshlrev_b32_e32 v1, 16, v1
.LBB135_4:
	s_or_b64 exec, exec, s[4:5]
	v_mbcnt_lo_u32_b32 v2, -1, 0
	v_mbcnt_hi_u32_b32 v2, -1, v2
	v_and_b32_e32 v3, 0x7c, v2
	v_add_u32_e32 v3, 4, v3
	v_xor_b32_e32 v6, 2, v2
	v_cmp_lt_i32_e64 s[2:3], v6, v3
	v_cndmask_b32_e64 v6, v2, v6, s[2:3]
	v_lshlrev_b32_e32 v9, 2, v6
	ds_bpermute_b32 v7, v9, v1
	ds_bpermute_b32 v6, v9, v0
	v_xor_b32_e32 v8, 1, v2
	v_cmp_lt_i32_e64 s[2:3], v8, v3
	v_cndmask_b32_e64 v2, v2, v8, s[2:3]
	s_waitcnt lgkmcnt(1)
	v_cmp_lt_f32_e64 s[2:3], v1, v7
	v_lshlrev_b32_e32 v11, 2, v2
	v_cndmask_b32_e64 v2, v1, v7, s[2:3]
	s_waitcnt lgkmcnt(0)
	v_cmp_lt_f32_e64 s[2:3], v0, v6
	ds_bpermute_b32 v3, v11, v2
	v_cndmask_b32_e64 v6, v0, v6, s[2:3]
	ds_bpermute_b32 v7, v11, v6
	s_mov_b32 s4, 0x3fb8aa3b
	s_mov_b32 s5, 0xc2ce8ed0
	s_waitcnt lgkmcnt(1)
	v_cmp_lt_f32_e64 s[2:3], v2, v3
	v_cndmask_b32_e64 v3, v2, v3, s[2:3]
	s_waitcnt lgkmcnt(0)
	v_cmp_lt_f32_e64 s[2:3], v6, v7
	v_cndmask_b32_e64 v2, v6, v7, s[2:3]
	v_pk_add_f32 v[6:7], v[0:1], v[2:3] neg_lo:[0,1] neg_hi:[0,1]
	v_mul_f32_e32 v8, 0x3fb8aa3b, v7
	v_fma_f32 v12, v7, s4, -v8
	v_rndne_f32_e32 v13, v8
	v_fmac_f32_e32 v12, 0x32a5705f, v7
	v_sub_f32_e32 v8, v8, v13
	v_add_f32_e32 v8, v8, v12
	v_exp_f32_e32 v8, v8
	v_cvt_i32_f32_e32 v12, v13
	v_cmp_ngt_f32_e64 s[2:3], s5, v7
	s_mov_b32 s6, 0x42b17218
	v_ldexp_f32 v8, v8, v12
	v_mul_f32_e32 v12, 0x3fb8aa3b, v6
	v_fma_f32 v13, v6, s4, -v12
	v_rndne_f32_e32 v14, v12
	v_fmac_f32_e32 v13, 0x32a5705f, v6
	v_sub_f32_e32 v12, v12, v14
	v_add_f32_e32 v12, v12, v13
	v_exp_f32_e32 v12, v12
	v_cvt_i32_f32_e32 v13, v14
	v_cndmask_b32_e64 v8, 0, v8, s[2:3]
	v_mov_b32_e32 v14, 0x7f800000
	v_cmp_nlt_f32_e64 s[2:3], s6, v7
	v_cndmask_b32_e64 v7, v14, v8, s[2:3]
	v_ldexp_f32 v8, v12, v13
	v_cmp_ngt_f32_e64 s[2:3], s5, v6
	v_cndmask_b32_e64 v8, 0, v8, s[2:3]
	v_cmp_nlt_f32_e64 s[2:3], s6, v6
	v_cndmask_b32_e64 v6, v14, v8, s[2:3]
	ds_bpermute_b32 v8, v9, v6
	ds_bpermute_b32 v9, v9, v7
	s_waitcnt lgkmcnt(0)
	v_pk_add_f32 v[6:7], v[6:7], v[8:9]
	ds_bpermute_b32 v8, v11, v6
	ds_bpermute_b32 v9, v11, v7
	s_and_saveexec_b64 s[2:3], s[0:1]
	s_cbranch_execz .LBB135_10
; %bb.5:
	v_mov_b32_e32 v11, s9
	v_add_co_u32_e64 v4, s[0:1], s8, v4
	v_addc_co_u32_e64 v5, s[0:1], v11, v5, s[0:1]
	s_waitcnt lgkmcnt(0)
	v_pk_add_f32 v[6:7], v[6:7], v[8:9]
	s_and_saveexec_b64 s[4:5], vcc
	s_cbranch_execz .LBB135_7
; %bb.6:
	s_mov_b32 s0, 0x800000
	v_mov_b32_e32 v8, 0x4f800000
	v_cmp_gt_f32_e64 s[0:1], s0, v6
	v_cndmask_b32_e64 v8, 1.0, v8, s[0:1]
	v_mul_f32_e32 v6, v6, v8
	v_log_f32_e32 v6, v6
	s_mov_b32 s2, 0x3f317217
	v_sub_f32_e32 v0, v0, v2
	v_mul_f32_e32 v8, 0x3f317217, v6
	v_fma_f32 v9, v6, s2, -v8
	v_fmac_f32_e32 v9, 0x3377d1cf, v6
	s_mov_b32 s2, 0x7f800000
	v_add_f32_e32 v8, v8, v9
	v_cmp_lt_f32_e64 s[2:3], |v6|, s2
	v_cndmask_b32_e64 v6, v6, v8, s[2:3]
	v_mov_b32_e32 v8, 0x41b17218
	v_cndmask_b32_e64 v8, 0, v8, s[0:1]
	v_sub_f32_e32 v6, v6, v8
	v_sub_f32_e32 v0, v0, v6
	v_bfe_u32 v2, v0, 16, 1
	s_movk_i32 s0, 0x7fff
	v_add3_u32 v2, v0, v2, s0
	v_lshrrev_b32_e32 v2, 16, v2
	v_mov_b32_e32 v6, 0x7fc0
	v_cmp_o_f32_e64 s[0:1], v0, v0
	v_cndmask_b32_e64 v0, v6, v2, s[0:1]
	global_store_short v[4:5], v0, off
.LBB135_7:
	s_or_b64 exec, exec, s[4:5]
	v_cmp_ne_u32_e64 s[0:1], 1, v10
	s_and_b64 exec, exec, s[0:1]
	s_cbranch_execz .LBB135_10
; %bb.8:
	s_and_b64 exec, exec, vcc
	s_cbranch_execz .LBB135_10
; %bb.9:
	s_mov_b32 s0, 0x800000
	v_mov_b32_e32 v0, 0x4f800000
	v_cmp_gt_f32_e32 vcc, s0, v7
	v_cndmask_b32_e32 v0, 1.0, v0, vcc
	v_mul_f32_e32 v0, v7, v0
	v_log_f32_e32 v0, v0
	s_mov_b32 s0, 0x3f317217
	v_sub_f32_e32 v1, v1, v3
	s_mov_b32 s15, 0
	v_mul_f32_e32 v2, 0x3f317217, v0
	v_fma_f32 v6, v0, s0, -v2
	v_fmac_f32_e32 v6, 0x3377d1cf, v0
	s_mov_b32 s0, 0x7f800000
	v_add_f32_e32 v2, v2, v6
	v_cmp_lt_f32_e64 s[0:1], |v0|, s0
	v_cndmask_b32_e64 v0, v0, v2, s[0:1]
	v_mov_b32_e32 v2, 0x41b17218
	v_cndmask_b32_e32 v2, 0, v2, vcc
	v_sub_f32_e32 v0, v0, v2
	v_sub_f32_e32 v0, v1, v0
	v_bfe_u32 v1, v0, 16, 1
	s_movk_i32 s0, 0x7fff
	v_add3_u32 v1, v0, v1, s0
	v_lshrrev_b32_e32 v1, 16, v1
	v_mov_b32_e32 v2, 0x7fc0
	v_cmp_o_f32_e32 vcc, v0, v0
	s_lshl_b64 s[0:1], s[14:15], 1
	v_cndmask_b32_e32 v2, v2, v1, vcc
	v_mov_b32_e32 v1, s1
	v_add_co_u32_e32 v0, vcc, s0, v4
	v_addc_co_u32_e32 v1, vcc, v5, v1, vcc
	global_store_short v[0:1], v2, off
.LBB135_10:
	s_endpgm
	.section	.rodata,"a",@progbits
	.p2align	6, 0x0
	.amdhsa_kernel _ZN12_GLOBAL__N_120softmax_warp_forwardIN3c108BFloat16ES2_fLi2ELb1ELb0ELi64EEEvPT0_PKT_iiiPKbib
		.amdhsa_group_segment_fixed_size 0
		.amdhsa_private_segment_fixed_size 0
		.amdhsa_kernarg_size 304
		.amdhsa_user_sgpr_count 6
		.amdhsa_user_sgpr_private_segment_buffer 1
		.amdhsa_user_sgpr_dispatch_ptr 0
		.amdhsa_user_sgpr_queue_ptr 0
		.amdhsa_user_sgpr_kernarg_segment_ptr 1
		.amdhsa_user_sgpr_dispatch_id 0
		.amdhsa_user_sgpr_flat_scratch_init 0
		.amdhsa_user_sgpr_kernarg_preload_length 0
		.amdhsa_user_sgpr_kernarg_preload_offset 0
		.amdhsa_user_sgpr_private_segment_size 0
		.amdhsa_uses_dynamic_stack 0
		.amdhsa_system_sgpr_private_segment_wavefront_offset 0
		.amdhsa_system_sgpr_workgroup_id_x 1
		.amdhsa_system_sgpr_workgroup_id_y 0
		.amdhsa_system_sgpr_workgroup_id_z 0
		.amdhsa_system_sgpr_workgroup_info 0
		.amdhsa_system_vgpr_workitem_id 1
		.amdhsa_next_free_vgpr 15
		.amdhsa_next_free_sgpr 16
		.amdhsa_accum_offset 16
		.amdhsa_reserve_vcc 1
		.amdhsa_reserve_flat_scratch 0
		.amdhsa_float_round_mode_32 0
		.amdhsa_float_round_mode_16_64 0
		.amdhsa_float_denorm_mode_32 3
		.amdhsa_float_denorm_mode_16_64 3
		.amdhsa_dx10_clamp 1
		.amdhsa_ieee_mode 1
		.amdhsa_fp16_overflow 0
		.amdhsa_tg_split 0
		.amdhsa_exception_fp_ieee_invalid_op 0
		.amdhsa_exception_fp_denorm_src 0
		.amdhsa_exception_fp_ieee_div_zero 0
		.amdhsa_exception_fp_ieee_overflow 0
		.amdhsa_exception_fp_ieee_underflow 0
		.amdhsa_exception_fp_ieee_inexact 0
		.amdhsa_exception_int_div_zero 0
	.end_amdhsa_kernel
	.section	.text._ZN12_GLOBAL__N_120softmax_warp_forwardIN3c108BFloat16ES2_fLi2ELb1ELb0ELi64EEEvPT0_PKT_iiiPKbib,"axG",@progbits,_ZN12_GLOBAL__N_120softmax_warp_forwardIN3c108BFloat16ES2_fLi2ELb1ELb0ELi64EEEvPT0_PKT_iiiPKbib,comdat
.Lfunc_end135:
	.size	_ZN12_GLOBAL__N_120softmax_warp_forwardIN3c108BFloat16ES2_fLi2ELb1ELb0ELi64EEEvPT0_PKT_iiiPKbib, .Lfunc_end135-_ZN12_GLOBAL__N_120softmax_warp_forwardIN3c108BFloat16ES2_fLi2ELb1ELb0ELi64EEEvPT0_PKT_iiiPKbib
                                        ; -- End function
	.section	.AMDGPU.csdata,"",@progbits
; Kernel info:
; codeLenInByte = 1104
; NumSgprs: 20
; NumVgprs: 15
; NumAgprs: 0
; TotalNumVgprs: 15
; ScratchSize: 0
; MemoryBound: 0
; FloatMode: 240
; IeeeMode: 1
; LDSByteSize: 0 bytes/workgroup (compile time only)
; SGPRBlocks: 2
; VGPRBlocks: 1
; NumSGPRsForWavesPerEU: 20
; NumVGPRsForWavesPerEU: 15
; AccumOffset: 16
; Occupancy: 8
; WaveLimiterHint : 0
; COMPUTE_PGM_RSRC2:SCRATCH_EN: 0
; COMPUTE_PGM_RSRC2:USER_SGPR: 6
; COMPUTE_PGM_RSRC2:TRAP_HANDLER: 0
; COMPUTE_PGM_RSRC2:TGID_X_EN: 1
; COMPUTE_PGM_RSRC2:TGID_Y_EN: 0
; COMPUTE_PGM_RSRC2:TGID_Z_EN: 0
; COMPUTE_PGM_RSRC2:TIDIG_COMP_CNT: 1
; COMPUTE_PGM_RSRC3_GFX90A:ACCUM_OFFSET: 3
; COMPUTE_PGM_RSRC3_GFX90A:TG_SPLIT: 0
	.section	.text._ZN12_GLOBAL__N_120softmax_warp_forwardIN3c108BFloat16ES2_fLi2ELb1ELb0ELi32EEEvPT0_PKT_iiiPKbib,"axG",@progbits,_ZN12_GLOBAL__N_120softmax_warp_forwardIN3c108BFloat16ES2_fLi2ELb1ELb0ELi32EEEvPT0_PKT_iiiPKbib,comdat
	.globl	_ZN12_GLOBAL__N_120softmax_warp_forwardIN3c108BFloat16ES2_fLi2ELb1ELb0ELi32EEEvPT0_PKT_iiiPKbib ; -- Begin function _ZN12_GLOBAL__N_120softmax_warp_forwardIN3c108BFloat16ES2_fLi2ELb1ELb0ELi32EEEvPT0_PKT_iiiPKbib
	.p2align	8
	.type	_ZN12_GLOBAL__N_120softmax_warp_forwardIN3c108BFloat16ES2_fLi2ELb1ELb0ELi32EEEvPT0_PKT_iiiPKbib,@function
_ZN12_GLOBAL__N_120softmax_warp_forwardIN3c108BFloat16ES2_fLi2ELb1ELb0ELi32EEEvPT0_PKT_iiiPKbib: ; @_ZN12_GLOBAL__N_120softmax_warp_forwardIN3c108BFloat16ES2_fLi2ELb1ELb0ELi32EEEvPT0_PKT_iiiPKbib
; %bb.0:
	s_load_dword s0, s[4:5], 0x3c
	s_load_dwordx8 s[8:15], s[4:5], 0x0
	v_bfe_u32 v1, v0, 10, 10
	v_and_b32_e32 v0, 0x3ff, v0
	s_waitcnt lgkmcnt(0)
	s_lshr_b32 s0, s0, 16
	s_mul_i32 s6, s6, s0
	v_add_lshl_u32 v1, s6, v1, 1
	v_mad_u64_u32 v[2:3], s[0:1], v1, s13, v[0:1]
	v_ashrrev_i32_e32 v3, 31, v2
	v_lshlrev_b64 v[4:5], 1, v[2:3]
	v_sub_u32_e32 v10, s12, v1
	v_mov_b32_e32 v1, s11
	v_add_co_u32_e32 v2, vcc, s10, v4
	v_addc_co_u32_e32 v3, vcc, v1, v5, vcc
	v_cmp_gt_i32_e32 vcc, s14, v0
	v_cmp_lt_i32_e64 s[0:1], 0, v10
	s_and_b64 s[4:5], vcc, s[0:1]
	v_mov_b32_e32 v1, 0xff800000
	v_mov_b32_e32 v0, 0xff800000
	s_and_saveexec_b64 s[2:3], s[4:5]
	s_cbranch_execz .LBB136_2
; %bb.1:
	global_load_ushort v0, v[2:3], off
	s_waitcnt vmcnt(0)
	v_lshlrev_b32_e32 v0, 16, v0
.LBB136_2:
	s_or_b64 exec, exec, s[2:3]
	v_cmp_lt_i32_e64 s[2:3], 1, v10
	s_and_b64 s[2:3], vcc, s[2:3]
	s_and_saveexec_b64 s[4:5], s[2:3]
	s_cbranch_execz .LBB136_4
; %bb.3:
	s_mov_b32 s15, 0
	s_lshl_b64 s[2:3], s[14:15], 1
	v_mov_b32_e32 v1, s3
	v_add_co_u32_e64 v2, s[2:3], s2, v2
	v_addc_co_u32_e64 v3, s[2:3], v3, v1, s[2:3]
	global_load_ushort v1, v[2:3], off
	s_waitcnt vmcnt(0)
	v_lshlrev_b32_e32 v1, 16, v1
.LBB136_4:
	s_or_b64 exec, exec, s[4:5]
	v_mbcnt_lo_u32_b32 v2, -1, 0
	v_mbcnt_hi_u32_b32 v2, -1, v2
	v_and_b32_e32 v3, 0x7c, v2
	v_add_u32_e32 v3, 4, v3
	v_xor_b32_e32 v6, 2, v2
	v_cmp_lt_i32_e64 s[2:3], v6, v3
	v_cndmask_b32_e64 v6, v2, v6, s[2:3]
	v_lshlrev_b32_e32 v9, 2, v6
	ds_bpermute_b32 v7, v9, v1
	ds_bpermute_b32 v6, v9, v0
	v_xor_b32_e32 v8, 1, v2
	v_cmp_lt_i32_e64 s[2:3], v8, v3
	v_cndmask_b32_e64 v2, v2, v8, s[2:3]
	s_waitcnt lgkmcnt(1)
	v_cmp_lt_f32_e64 s[2:3], v1, v7
	v_lshlrev_b32_e32 v11, 2, v2
	v_cndmask_b32_e64 v2, v1, v7, s[2:3]
	s_waitcnt lgkmcnt(0)
	v_cmp_lt_f32_e64 s[2:3], v0, v6
	ds_bpermute_b32 v3, v11, v2
	v_cndmask_b32_e64 v6, v0, v6, s[2:3]
	ds_bpermute_b32 v7, v11, v6
	s_mov_b32 s4, 0x3fb8aa3b
	s_mov_b32 s5, 0xc2ce8ed0
	s_waitcnt lgkmcnt(1)
	v_cmp_lt_f32_e64 s[2:3], v2, v3
	v_cndmask_b32_e64 v3, v2, v3, s[2:3]
	s_waitcnt lgkmcnt(0)
	v_cmp_lt_f32_e64 s[2:3], v6, v7
	v_cndmask_b32_e64 v2, v6, v7, s[2:3]
	v_pk_add_f32 v[6:7], v[0:1], v[2:3] neg_lo:[0,1] neg_hi:[0,1]
	v_mul_f32_e32 v8, 0x3fb8aa3b, v7
	v_fma_f32 v12, v7, s4, -v8
	v_rndne_f32_e32 v13, v8
	v_fmac_f32_e32 v12, 0x32a5705f, v7
	v_sub_f32_e32 v8, v8, v13
	v_add_f32_e32 v8, v8, v12
	v_exp_f32_e32 v8, v8
	v_cvt_i32_f32_e32 v12, v13
	v_cmp_ngt_f32_e64 s[2:3], s5, v7
	s_mov_b32 s6, 0x42b17218
	v_ldexp_f32 v8, v8, v12
	v_mul_f32_e32 v12, 0x3fb8aa3b, v6
	v_fma_f32 v13, v6, s4, -v12
	v_rndne_f32_e32 v14, v12
	v_fmac_f32_e32 v13, 0x32a5705f, v6
	v_sub_f32_e32 v12, v12, v14
	v_add_f32_e32 v12, v12, v13
	v_exp_f32_e32 v12, v12
	v_cvt_i32_f32_e32 v13, v14
	v_cndmask_b32_e64 v8, 0, v8, s[2:3]
	v_mov_b32_e32 v14, 0x7f800000
	v_cmp_nlt_f32_e64 s[2:3], s6, v7
	v_cndmask_b32_e64 v7, v14, v8, s[2:3]
	v_ldexp_f32 v8, v12, v13
	v_cmp_ngt_f32_e64 s[2:3], s5, v6
	v_cndmask_b32_e64 v8, 0, v8, s[2:3]
	v_cmp_nlt_f32_e64 s[2:3], s6, v6
	v_cndmask_b32_e64 v6, v14, v8, s[2:3]
	ds_bpermute_b32 v8, v9, v6
	ds_bpermute_b32 v9, v9, v7
	s_waitcnt lgkmcnt(0)
	v_pk_add_f32 v[6:7], v[6:7], v[8:9]
	ds_bpermute_b32 v8, v11, v6
	ds_bpermute_b32 v9, v11, v7
	s_and_saveexec_b64 s[2:3], s[0:1]
	s_cbranch_execz .LBB136_10
; %bb.5:
	v_mov_b32_e32 v11, s9
	v_add_co_u32_e64 v4, s[0:1], s8, v4
	v_addc_co_u32_e64 v5, s[0:1], v11, v5, s[0:1]
	s_waitcnt lgkmcnt(0)
	v_pk_add_f32 v[6:7], v[6:7], v[8:9]
	s_and_saveexec_b64 s[4:5], vcc
	s_cbranch_execz .LBB136_7
; %bb.6:
	s_mov_b32 s0, 0x800000
	v_mov_b32_e32 v8, 0x4f800000
	v_cmp_gt_f32_e64 s[0:1], s0, v6
	v_cndmask_b32_e64 v8, 1.0, v8, s[0:1]
	v_mul_f32_e32 v6, v6, v8
	v_log_f32_e32 v6, v6
	s_mov_b32 s2, 0x3f317217
	v_sub_f32_e32 v0, v0, v2
	v_mul_f32_e32 v8, 0x3f317217, v6
	v_fma_f32 v9, v6, s2, -v8
	v_fmac_f32_e32 v9, 0x3377d1cf, v6
	s_mov_b32 s2, 0x7f800000
	v_add_f32_e32 v8, v8, v9
	v_cmp_lt_f32_e64 s[2:3], |v6|, s2
	v_cndmask_b32_e64 v6, v6, v8, s[2:3]
	v_mov_b32_e32 v8, 0x41b17218
	v_cndmask_b32_e64 v8, 0, v8, s[0:1]
	v_sub_f32_e32 v6, v6, v8
	v_sub_f32_e32 v0, v0, v6
	v_bfe_u32 v2, v0, 16, 1
	s_movk_i32 s0, 0x7fff
	v_add3_u32 v2, v0, v2, s0
	v_lshrrev_b32_e32 v2, 16, v2
	v_mov_b32_e32 v6, 0x7fc0
	v_cmp_o_f32_e64 s[0:1], v0, v0
	v_cndmask_b32_e64 v0, v6, v2, s[0:1]
	global_store_short v[4:5], v0, off
.LBB136_7:
	s_or_b64 exec, exec, s[4:5]
	v_cmp_ne_u32_e64 s[0:1], 1, v10
	s_and_b64 exec, exec, s[0:1]
	s_cbranch_execz .LBB136_10
; %bb.8:
	s_and_b64 exec, exec, vcc
	s_cbranch_execz .LBB136_10
; %bb.9:
	s_mov_b32 s0, 0x800000
	v_mov_b32_e32 v0, 0x4f800000
	v_cmp_gt_f32_e32 vcc, s0, v7
	v_cndmask_b32_e32 v0, 1.0, v0, vcc
	v_mul_f32_e32 v0, v7, v0
	v_log_f32_e32 v0, v0
	s_mov_b32 s0, 0x3f317217
	v_sub_f32_e32 v1, v1, v3
	s_mov_b32 s15, 0
	v_mul_f32_e32 v2, 0x3f317217, v0
	v_fma_f32 v6, v0, s0, -v2
	v_fmac_f32_e32 v6, 0x3377d1cf, v0
	s_mov_b32 s0, 0x7f800000
	v_add_f32_e32 v2, v2, v6
	v_cmp_lt_f32_e64 s[0:1], |v0|, s0
	v_cndmask_b32_e64 v0, v0, v2, s[0:1]
	v_mov_b32_e32 v2, 0x41b17218
	v_cndmask_b32_e32 v2, 0, v2, vcc
	v_sub_f32_e32 v0, v0, v2
	v_sub_f32_e32 v0, v1, v0
	v_bfe_u32 v1, v0, 16, 1
	s_movk_i32 s0, 0x7fff
	v_add3_u32 v1, v0, v1, s0
	v_lshrrev_b32_e32 v1, 16, v1
	v_mov_b32_e32 v2, 0x7fc0
	v_cmp_o_f32_e32 vcc, v0, v0
	s_lshl_b64 s[0:1], s[14:15], 1
	v_cndmask_b32_e32 v2, v2, v1, vcc
	v_mov_b32_e32 v1, s1
	v_add_co_u32_e32 v0, vcc, s0, v4
	v_addc_co_u32_e32 v1, vcc, v5, v1, vcc
	global_store_short v[0:1], v2, off
.LBB136_10:
	s_endpgm
	.section	.rodata,"a",@progbits
	.p2align	6, 0x0
	.amdhsa_kernel _ZN12_GLOBAL__N_120softmax_warp_forwardIN3c108BFloat16ES2_fLi2ELb1ELb0ELi32EEEvPT0_PKT_iiiPKbib
		.amdhsa_group_segment_fixed_size 0
		.amdhsa_private_segment_fixed_size 0
		.amdhsa_kernarg_size 304
		.amdhsa_user_sgpr_count 6
		.amdhsa_user_sgpr_private_segment_buffer 1
		.amdhsa_user_sgpr_dispatch_ptr 0
		.amdhsa_user_sgpr_queue_ptr 0
		.amdhsa_user_sgpr_kernarg_segment_ptr 1
		.amdhsa_user_sgpr_dispatch_id 0
		.amdhsa_user_sgpr_flat_scratch_init 0
		.amdhsa_user_sgpr_kernarg_preload_length 0
		.amdhsa_user_sgpr_kernarg_preload_offset 0
		.amdhsa_user_sgpr_private_segment_size 0
		.amdhsa_uses_dynamic_stack 0
		.amdhsa_system_sgpr_private_segment_wavefront_offset 0
		.amdhsa_system_sgpr_workgroup_id_x 1
		.amdhsa_system_sgpr_workgroup_id_y 0
		.amdhsa_system_sgpr_workgroup_id_z 0
		.amdhsa_system_sgpr_workgroup_info 0
		.amdhsa_system_vgpr_workitem_id 1
		.amdhsa_next_free_vgpr 15
		.amdhsa_next_free_sgpr 16
		.amdhsa_accum_offset 16
		.amdhsa_reserve_vcc 1
		.amdhsa_reserve_flat_scratch 0
		.amdhsa_float_round_mode_32 0
		.amdhsa_float_round_mode_16_64 0
		.amdhsa_float_denorm_mode_32 3
		.amdhsa_float_denorm_mode_16_64 3
		.amdhsa_dx10_clamp 1
		.amdhsa_ieee_mode 1
		.amdhsa_fp16_overflow 0
		.amdhsa_tg_split 0
		.amdhsa_exception_fp_ieee_invalid_op 0
		.amdhsa_exception_fp_denorm_src 0
		.amdhsa_exception_fp_ieee_div_zero 0
		.amdhsa_exception_fp_ieee_overflow 0
		.amdhsa_exception_fp_ieee_underflow 0
		.amdhsa_exception_fp_ieee_inexact 0
		.amdhsa_exception_int_div_zero 0
	.end_amdhsa_kernel
	.section	.text._ZN12_GLOBAL__N_120softmax_warp_forwardIN3c108BFloat16ES2_fLi2ELb1ELb0ELi32EEEvPT0_PKT_iiiPKbib,"axG",@progbits,_ZN12_GLOBAL__N_120softmax_warp_forwardIN3c108BFloat16ES2_fLi2ELb1ELb0ELi32EEEvPT0_PKT_iiiPKbib,comdat
.Lfunc_end136:
	.size	_ZN12_GLOBAL__N_120softmax_warp_forwardIN3c108BFloat16ES2_fLi2ELb1ELb0ELi32EEEvPT0_PKT_iiiPKbib, .Lfunc_end136-_ZN12_GLOBAL__N_120softmax_warp_forwardIN3c108BFloat16ES2_fLi2ELb1ELb0ELi32EEEvPT0_PKT_iiiPKbib
                                        ; -- End function
	.section	.AMDGPU.csdata,"",@progbits
; Kernel info:
; codeLenInByte = 1104
; NumSgprs: 20
; NumVgprs: 15
; NumAgprs: 0
; TotalNumVgprs: 15
; ScratchSize: 0
; MemoryBound: 0
; FloatMode: 240
; IeeeMode: 1
; LDSByteSize: 0 bytes/workgroup (compile time only)
; SGPRBlocks: 2
; VGPRBlocks: 1
; NumSGPRsForWavesPerEU: 20
; NumVGPRsForWavesPerEU: 15
; AccumOffset: 16
; Occupancy: 8
; WaveLimiterHint : 0
; COMPUTE_PGM_RSRC2:SCRATCH_EN: 0
; COMPUTE_PGM_RSRC2:USER_SGPR: 6
; COMPUTE_PGM_RSRC2:TRAP_HANDLER: 0
; COMPUTE_PGM_RSRC2:TGID_X_EN: 1
; COMPUTE_PGM_RSRC2:TGID_Y_EN: 0
; COMPUTE_PGM_RSRC2:TGID_Z_EN: 0
; COMPUTE_PGM_RSRC2:TIDIG_COMP_CNT: 1
; COMPUTE_PGM_RSRC3_GFX90A:ACCUM_OFFSET: 3
; COMPUTE_PGM_RSRC3_GFX90A:TG_SPLIT: 0
	.section	.text._ZN12_GLOBAL__N_120softmax_warp_forwardIN3c108BFloat16ES2_fLi3ELb1ELb0ELi64EEEvPT0_PKT_iiiPKbib,"axG",@progbits,_ZN12_GLOBAL__N_120softmax_warp_forwardIN3c108BFloat16ES2_fLi3ELb1ELb0ELi64EEEvPT0_PKT_iiiPKbib,comdat
	.globl	_ZN12_GLOBAL__N_120softmax_warp_forwardIN3c108BFloat16ES2_fLi3ELb1ELb0ELi64EEEvPT0_PKT_iiiPKbib ; -- Begin function _ZN12_GLOBAL__N_120softmax_warp_forwardIN3c108BFloat16ES2_fLi3ELb1ELb0ELi64EEEvPT0_PKT_iiiPKbib
	.p2align	8
	.type	_ZN12_GLOBAL__N_120softmax_warp_forwardIN3c108BFloat16ES2_fLi3ELb1ELb0ELi64EEEvPT0_PKT_iiiPKbib,@function
_ZN12_GLOBAL__N_120softmax_warp_forwardIN3c108BFloat16ES2_fLi3ELb1ELb0ELi64EEEvPT0_PKT_iiiPKbib: ; @_ZN12_GLOBAL__N_120softmax_warp_forwardIN3c108BFloat16ES2_fLi3ELb1ELb0ELi64EEEvPT0_PKT_iiiPKbib
; %bb.0:
	s_load_dword s0, s[4:5], 0x3c
	s_load_dwordx8 s[8:15], s[4:5], 0x0
	v_bfe_u32 v1, v0, 10, 10
	v_and_b32_e32 v0, 0x3ff, v0
	s_waitcnt lgkmcnt(0)
	s_lshr_b32 s0, s0, 16
	s_mul_i32 s6, s6, s0
	v_add_lshl_u32 v1, s6, v1, 1
	v_mad_u64_u32 v[2:3], s[0:1], v1, s13, v[0:1]
	v_ashrrev_i32_e32 v3, 31, v2
	v_lshlrev_b64 v[2:3], 1, v[2:3]
	v_sub_u32_e32 v10, s12, v1
	v_mov_b32_e32 v1, s11
	v_add_co_u32_e32 v4, vcc, s10, v2
	v_addc_co_u32_e32 v5, vcc, v1, v3, vcc
	v_cmp_gt_i32_e32 vcc, s14, v0
	v_cmp_lt_i32_e64 s[0:1], 0, v10
	s_and_b64 s[4:5], vcc, s[0:1]
	v_mov_b32_e32 v1, 0xff800000
	v_mov_b32_e32 v0, 0xff800000
	s_and_saveexec_b64 s[2:3], s[4:5]
	s_cbranch_execz .LBB137_2
; %bb.1:
	global_load_ushort v0, v[4:5], off
	s_waitcnt vmcnt(0)
	v_lshlrev_b32_e32 v0, 16, v0
.LBB137_2:
	s_or_b64 exec, exec, s[2:3]
	v_cmp_lt_i32_e64 s[2:3], 1, v10
	s_and_b64 s[2:3], vcc, s[2:3]
	s_and_saveexec_b64 s[4:5], s[2:3]
	s_cbranch_execz .LBB137_4
; %bb.3:
	s_mov_b32 s15, 0
	s_lshl_b64 s[2:3], s[14:15], 1
	v_mov_b32_e32 v1, s3
	v_add_co_u32_e64 v4, s[2:3], s2, v4
	v_addc_co_u32_e64 v5, s[2:3], v5, v1, s[2:3]
	global_load_ushort v1, v[4:5], off
	s_waitcnt vmcnt(0)
	v_lshlrev_b32_e32 v1, 16, v1
.LBB137_4:
	s_or_b64 exec, exec, s[4:5]
	v_mbcnt_lo_u32_b32 v4, -1, 0
	v_mbcnt_hi_u32_b32 v4, -1, v4
	v_and_b32_e32 v5, 0x78, v4
	v_add_u32_e32 v5, 8, v5
	v_xor_b32_e32 v6, 4, v4
	v_cmp_lt_i32_e64 s[2:3], v6, v5
	v_cndmask_b32_e64 v6, v4, v6, s[2:3]
	v_lshlrev_b32_e32 v9, 2, v6
	ds_bpermute_b32 v7, v9, v1
	v_xor_b32_e32 v8, 2, v4
	ds_bpermute_b32 v6, v9, v0
	v_cmp_lt_i32_e64 s[2:3], v8, v5
	v_cndmask_b32_e64 v8, v4, v8, s[2:3]
	v_lshlrev_b32_e32 v11, 2, v8
	v_xor_b32_e32 v8, 1, v4
	v_cmp_lt_i32_e64 s[2:3], v8, v5
	v_cndmask_b32_e64 v4, v4, v8, s[2:3]
	s_waitcnt lgkmcnt(1)
	v_cmp_lt_f32_e64 s[2:3], v1, v7
	v_cndmask_b32_e64 v5, v1, v7, s[2:3]
	s_waitcnt lgkmcnt(0)
	v_cmp_lt_f32_e64 s[2:3], v0, v6
	ds_bpermute_b32 v7, v11, v5
	v_cndmask_b32_e64 v6, v0, v6, s[2:3]
	ds_bpermute_b32 v8, v11, v6
	v_lshlrev_b32_e32 v12, 2, v4
	s_mov_b32 s4, 0x3fb8aa3b
	s_waitcnt lgkmcnt(1)
	v_cmp_lt_f32_e64 s[2:3], v5, v7
	v_cndmask_b32_e64 v4, v5, v7, s[2:3]
	s_waitcnt lgkmcnt(0)
	v_cmp_lt_f32_e64 s[2:3], v6, v8
	ds_bpermute_b32 v5, v12, v4
	v_cndmask_b32_e64 v6, v6, v8, s[2:3]
	ds_bpermute_b32 v7, v12, v6
	s_mov_b32 s5, 0xc2ce8ed0
	s_mov_b32 s6, 0x42b17218
	s_waitcnt lgkmcnt(1)
	v_cmp_lt_f32_e64 s[2:3], v4, v5
	v_cndmask_b32_e64 v5, v4, v5, s[2:3]
	s_waitcnt lgkmcnt(0)
	v_cmp_lt_f32_e64 s[2:3], v6, v7
	v_cndmask_b32_e64 v4, v6, v7, s[2:3]
	v_pk_add_f32 v[6:7], v[0:1], v[4:5] neg_lo:[0,1] neg_hi:[0,1]
	v_mul_f32_e32 v8, 0x3fb8aa3b, v7
	v_fma_f32 v13, v7, s4, -v8
	v_rndne_f32_e32 v14, v8
	v_fmac_f32_e32 v13, 0x32a5705f, v7
	v_sub_f32_e32 v8, v8, v14
	v_add_f32_e32 v8, v8, v13
	v_exp_f32_e32 v8, v8
	v_cvt_i32_f32_e32 v13, v14
	v_cmp_ngt_f32_e64 s[2:3], s5, v7
	v_ldexp_f32 v8, v8, v13
	v_mul_f32_e32 v13, 0x3fb8aa3b, v6
	v_fma_f32 v14, v6, s4, -v13
	v_rndne_f32_e32 v15, v13
	v_fmac_f32_e32 v14, 0x32a5705f, v6
	v_sub_f32_e32 v13, v13, v15
	v_add_f32_e32 v13, v13, v14
	v_exp_f32_e32 v13, v13
	v_cvt_i32_f32_e32 v14, v15
	v_cndmask_b32_e64 v8, 0, v8, s[2:3]
	v_mov_b32_e32 v15, 0x7f800000
	v_cmp_nlt_f32_e64 s[2:3], s6, v7
	v_cndmask_b32_e64 v7, v15, v8, s[2:3]
	v_ldexp_f32 v8, v13, v14
	v_cmp_ngt_f32_e64 s[2:3], s5, v6
	v_cndmask_b32_e64 v8, 0, v8, s[2:3]
	v_cmp_nlt_f32_e64 s[2:3], s6, v6
	v_cndmask_b32_e64 v6, v15, v8, s[2:3]
	ds_bpermute_b32 v8, v9, v6
	ds_bpermute_b32 v9, v9, v7
	s_waitcnt lgkmcnt(0)
	v_pk_add_f32 v[6:7], v[6:7], v[8:9]
	ds_bpermute_b32 v8, v11, v6
	ds_bpermute_b32 v9, v11, v7
	s_waitcnt lgkmcnt(0)
	v_pk_add_f32 v[6:7], v[6:7], v[8:9]
	ds_bpermute_b32 v8, v12, v6
	ds_bpermute_b32 v9, v12, v7
	s_and_saveexec_b64 s[2:3], s[0:1]
	s_cbranch_execz .LBB137_10
; %bb.5:
	v_mov_b32_e32 v11, s9
	v_add_co_u32_e64 v2, s[0:1], s8, v2
	v_addc_co_u32_e64 v3, s[0:1], v11, v3, s[0:1]
	s_waitcnt lgkmcnt(0)
	v_pk_add_f32 v[6:7], v[6:7], v[8:9]
	s_and_saveexec_b64 s[4:5], vcc
	s_cbranch_execz .LBB137_7
; %bb.6:
	s_mov_b32 s0, 0x800000
	v_mov_b32_e32 v8, 0x4f800000
	v_cmp_gt_f32_e64 s[0:1], s0, v6
	v_cndmask_b32_e64 v8, 1.0, v8, s[0:1]
	v_mul_f32_e32 v6, v6, v8
	v_log_f32_e32 v6, v6
	s_mov_b32 s2, 0x3f317217
	v_sub_f32_e32 v0, v0, v4
	v_mul_f32_e32 v8, 0x3f317217, v6
	v_fma_f32 v9, v6, s2, -v8
	v_fmac_f32_e32 v9, 0x3377d1cf, v6
	s_mov_b32 s2, 0x7f800000
	v_add_f32_e32 v8, v8, v9
	v_cmp_lt_f32_e64 s[2:3], |v6|, s2
	v_cndmask_b32_e64 v6, v6, v8, s[2:3]
	v_mov_b32_e32 v8, 0x41b17218
	v_cndmask_b32_e64 v8, 0, v8, s[0:1]
	v_sub_f32_e32 v6, v6, v8
	v_sub_f32_e32 v0, v0, v6
	v_bfe_u32 v4, v0, 16, 1
	s_movk_i32 s0, 0x7fff
	v_add3_u32 v4, v0, v4, s0
	v_lshrrev_b32_e32 v4, 16, v4
	v_mov_b32_e32 v6, 0x7fc0
	v_cmp_o_f32_e64 s[0:1], v0, v0
	v_cndmask_b32_e64 v0, v6, v4, s[0:1]
	global_store_short v[2:3], v0, off
.LBB137_7:
	s_or_b64 exec, exec, s[4:5]
	v_cmp_ne_u32_e64 s[0:1], 1, v10
	s_and_b64 exec, exec, s[0:1]
	s_cbranch_execz .LBB137_10
; %bb.8:
	s_and_b64 exec, exec, vcc
	s_cbranch_execz .LBB137_10
; %bb.9:
	s_mov_b32 s0, 0x800000
	v_mov_b32_e32 v0, 0x4f800000
	v_cmp_gt_f32_e32 vcc, s0, v7
	v_cndmask_b32_e32 v0, 1.0, v0, vcc
	v_mul_f32_e32 v0, v7, v0
	v_log_f32_e32 v0, v0
	s_mov_b32 s0, 0x3f317217
	v_sub_f32_e32 v1, v1, v5
	s_mov_b32 s15, 0
	v_mul_f32_e32 v4, 0x3f317217, v0
	v_fma_f32 v6, v0, s0, -v4
	v_fmac_f32_e32 v6, 0x3377d1cf, v0
	s_mov_b32 s0, 0x7f800000
	v_add_f32_e32 v4, v4, v6
	v_cmp_lt_f32_e64 s[0:1], |v0|, s0
	v_cndmask_b32_e64 v0, v0, v4, s[0:1]
	v_mov_b32_e32 v4, 0x41b17218
	v_cndmask_b32_e32 v4, 0, v4, vcc
	v_sub_f32_e32 v0, v0, v4
	v_sub_f32_e32 v0, v1, v0
	v_bfe_u32 v1, v0, 16, 1
	s_movk_i32 s0, 0x7fff
	v_add3_u32 v1, v0, v1, s0
	v_lshrrev_b32_e32 v1, 16, v1
	v_mov_b32_e32 v4, 0x7fc0
	v_cmp_o_f32_e32 vcc, v0, v0
	s_lshl_b64 s[0:1], s[14:15], 1
	v_cndmask_b32_e32 v4, v4, v1, vcc
	v_mov_b32_e32 v1, s1
	v_add_co_u32_e32 v0, vcc, s0, v2
	v_addc_co_u32_e32 v1, vcc, v3, v1, vcc
	global_store_short v[0:1], v4, off
.LBB137_10:
	s_endpgm
	.section	.rodata,"a",@progbits
	.p2align	6, 0x0
	.amdhsa_kernel _ZN12_GLOBAL__N_120softmax_warp_forwardIN3c108BFloat16ES2_fLi3ELb1ELb0ELi64EEEvPT0_PKT_iiiPKbib
		.amdhsa_group_segment_fixed_size 0
		.amdhsa_private_segment_fixed_size 0
		.amdhsa_kernarg_size 304
		.amdhsa_user_sgpr_count 6
		.amdhsa_user_sgpr_private_segment_buffer 1
		.amdhsa_user_sgpr_dispatch_ptr 0
		.amdhsa_user_sgpr_queue_ptr 0
		.amdhsa_user_sgpr_kernarg_segment_ptr 1
		.amdhsa_user_sgpr_dispatch_id 0
		.amdhsa_user_sgpr_flat_scratch_init 0
		.amdhsa_user_sgpr_kernarg_preload_length 0
		.amdhsa_user_sgpr_kernarg_preload_offset 0
		.amdhsa_user_sgpr_private_segment_size 0
		.amdhsa_uses_dynamic_stack 0
		.amdhsa_system_sgpr_private_segment_wavefront_offset 0
		.amdhsa_system_sgpr_workgroup_id_x 1
		.amdhsa_system_sgpr_workgroup_id_y 0
		.amdhsa_system_sgpr_workgroup_id_z 0
		.amdhsa_system_sgpr_workgroup_info 0
		.amdhsa_system_vgpr_workitem_id 1
		.amdhsa_next_free_vgpr 16
		.amdhsa_next_free_sgpr 16
		.amdhsa_accum_offset 16
		.amdhsa_reserve_vcc 1
		.amdhsa_reserve_flat_scratch 0
		.amdhsa_float_round_mode_32 0
		.amdhsa_float_round_mode_16_64 0
		.amdhsa_float_denorm_mode_32 3
		.amdhsa_float_denorm_mode_16_64 3
		.amdhsa_dx10_clamp 1
		.amdhsa_ieee_mode 1
		.amdhsa_fp16_overflow 0
		.amdhsa_tg_split 0
		.amdhsa_exception_fp_ieee_invalid_op 0
		.amdhsa_exception_fp_denorm_src 0
		.amdhsa_exception_fp_ieee_div_zero 0
		.amdhsa_exception_fp_ieee_overflow 0
		.amdhsa_exception_fp_ieee_underflow 0
		.amdhsa_exception_fp_ieee_inexact 0
		.amdhsa_exception_int_div_zero 0
	.end_amdhsa_kernel
	.section	.text._ZN12_GLOBAL__N_120softmax_warp_forwardIN3c108BFloat16ES2_fLi3ELb1ELb0ELi64EEEvPT0_PKT_iiiPKbib,"axG",@progbits,_ZN12_GLOBAL__N_120softmax_warp_forwardIN3c108BFloat16ES2_fLi3ELb1ELb0ELi64EEEvPT0_PKT_iiiPKbib,comdat
.Lfunc_end137:
	.size	_ZN12_GLOBAL__N_120softmax_warp_forwardIN3c108BFloat16ES2_fLi3ELb1ELb0ELi64EEEvPT0_PKT_iiiPKbib, .Lfunc_end137-_ZN12_GLOBAL__N_120softmax_warp_forwardIN3c108BFloat16ES2_fLi3ELb1ELb0ELi64EEEvPT0_PKT_iiiPKbib
                                        ; -- End function
	.section	.AMDGPU.csdata,"",@progbits
; Kernel info:
; codeLenInByte = 1212
; NumSgprs: 20
; NumVgprs: 16
; NumAgprs: 0
; TotalNumVgprs: 16
; ScratchSize: 0
; MemoryBound: 0
; FloatMode: 240
; IeeeMode: 1
; LDSByteSize: 0 bytes/workgroup (compile time only)
; SGPRBlocks: 2
; VGPRBlocks: 1
; NumSGPRsForWavesPerEU: 20
; NumVGPRsForWavesPerEU: 16
; AccumOffset: 16
; Occupancy: 8
; WaveLimiterHint : 0
; COMPUTE_PGM_RSRC2:SCRATCH_EN: 0
; COMPUTE_PGM_RSRC2:USER_SGPR: 6
; COMPUTE_PGM_RSRC2:TRAP_HANDLER: 0
; COMPUTE_PGM_RSRC2:TGID_X_EN: 1
; COMPUTE_PGM_RSRC2:TGID_Y_EN: 0
; COMPUTE_PGM_RSRC2:TGID_Z_EN: 0
; COMPUTE_PGM_RSRC2:TIDIG_COMP_CNT: 1
; COMPUTE_PGM_RSRC3_GFX90A:ACCUM_OFFSET: 3
; COMPUTE_PGM_RSRC3_GFX90A:TG_SPLIT: 0
	.section	.text._ZN12_GLOBAL__N_120softmax_warp_forwardIN3c108BFloat16ES2_fLi3ELb1ELb0ELi32EEEvPT0_PKT_iiiPKbib,"axG",@progbits,_ZN12_GLOBAL__N_120softmax_warp_forwardIN3c108BFloat16ES2_fLi3ELb1ELb0ELi32EEEvPT0_PKT_iiiPKbib,comdat
	.globl	_ZN12_GLOBAL__N_120softmax_warp_forwardIN3c108BFloat16ES2_fLi3ELb1ELb0ELi32EEEvPT0_PKT_iiiPKbib ; -- Begin function _ZN12_GLOBAL__N_120softmax_warp_forwardIN3c108BFloat16ES2_fLi3ELb1ELb0ELi32EEEvPT0_PKT_iiiPKbib
	.p2align	8
	.type	_ZN12_GLOBAL__N_120softmax_warp_forwardIN3c108BFloat16ES2_fLi3ELb1ELb0ELi32EEEvPT0_PKT_iiiPKbib,@function
_ZN12_GLOBAL__N_120softmax_warp_forwardIN3c108BFloat16ES2_fLi3ELb1ELb0ELi32EEEvPT0_PKT_iiiPKbib: ; @_ZN12_GLOBAL__N_120softmax_warp_forwardIN3c108BFloat16ES2_fLi3ELb1ELb0ELi32EEEvPT0_PKT_iiiPKbib
; %bb.0:
	s_load_dword s0, s[4:5], 0x3c
	s_load_dwordx8 s[8:15], s[4:5], 0x0
	v_bfe_u32 v1, v0, 10, 10
	v_and_b32_e32 v0, 0x3ff, v0
	s_waitcnt lgkmcnt(0)
	s_lshr_b32 s0, s0, 16
	s_mul_i32 s6, s6, s0
	v_add_lshl_u32 v1, s6, v1, 1
	v_mad_u64_u32 v[2:3], s[0:1], v1, s13, v[0:1]
	v_ashrrev_i32_e32 v3, 31, v2
	v_lshlrev_b64 v[2:3], 1, v[2:3]
	v_sub_u32_e32 v10, s12, v1
	v_mov_b32_e32 v1, s11
	v_add_co_u32_e32 v4, vcc, s10, v2
	v_addc_co_u32_e32 v5, vcc, v1, v3, vcc
	v_cmp_gt_i32_e32 vcc, s14, v0
	v_cmp_lt_i32_e64 s[0:1], 0, v10
	s_and_b64 s[4:5], vcc, s[0:1]
	v_mov_b32_e32 v1, 0xff800000
	v_mov_b32_e32 v0, 0xff800000
	s_and_saveexec_b64 s[2:3], s[4:5]
	s_cbranch_execz .LBB138_2
; %bb.1:
	global_load_ushort v0, v[4:5], off
	s_waitcnt vmcnt(0)
	v_lshlrev_b32_e32 v0, 16, v0
.LBB138_2:
	s_or_b64 exec, exec, s[2:3]
	v_cmp_lt_i32_e64 s[2:3], 1, v10
	s_and_b64 s[2:3], vcc, s[2:3]
	s_and_saveexec_b64 s[4:5], s[2:3]
	s_cbranch_execz .LBB138_4
; %bb.3:
	s_mov_b32 s15, 0
	s_lshl_b64 s[2:3], s[14:15], 1
	v_mov_b32_e32 v1, s3
	v_add_co_u32_e64 v4, s[2:3], s2, v4
	v_addc_co_u32_e64 v5, s[2:3], v5, v1, s[2:3]
	global_load_ushort v1, v[4:5], off
	s_waitcnt vmcnt(0)
	v_lshlrev_b32_e32 v1, 16, v1
.LBB138_4:
	s_or_b64 exec, exec, s[4:5]
	v_mbcnt_lo_u32_b32 v4, -1, 0
	v_mbcnt_hi_u32_b32 v4, -1, v4
	v_and_b32_e32 v5, 0x78, v4
	v_add_u32_e32 v5, 8, v5
	v_xor_b32_e32 v6, 4, v4
	v_cmp_lt_i32_e64 s[2:3], v6, v5
	v_cndmask_b32_e64 v6, v4, v6, s[2:3]
	v_lshlrev_b32_e32 v9, 2, v6
	ds_bpermute_b32 v7, v9, v1
	v_xor_b32_e32 v8, 2, v4
	ds_bpermute_b32 v6, v9, v0
	v_cmp_lt_i32_e64 s[2:3], v8, v5
	v_cndmask_b32_e64 v8, v4, v8, s[2:3]
	v_lshlrev_b32_e32 v11, 2, v8
	v_xor_b32_e32 v8, 1, v4
	v_cmp_lt_i32_e64 s[2:3], v8, v5
	v_cndmask_b32_e64 v4, v4, v8, s[2:3]
	s_waitcnt lgkmcnt(1)
	v_cmp_lt_f32_e64 s[2:3], v1, v7
	v_cndmask_b32_e64 v5, v1, v7, s[2:3]
	s_waitcnt lgkmcnt(0)
	v_cmp_lt_f32_e64 s[2:3], v0, v6
	ds_bpermute_b32 v7, v11, v5
	v_cndmask_b32_e64 v6, v0, v6, s[2:3]
	ds_bpermute_b32 v8, v11, v6
	v_lshlrev_b32_e32 v12, 2, v4
	s_mov_b32 s4, 0x3fb8aa3b
	s_waitcnt lgkmcnt(1)
	v_cmp_lt_f32_e64 s[2:3], v5, v7
	v_cndmask_b32_e64 v4, v5, v7, s[2:3]
	s_waitcnt lgkmcnt(0)
	v_cmp_lt_f32_e64 s[2:3], v6, v8
	ds_bpermute_b32 v5, v12, v4
	v_cndmask_b32_e64 v6, v6, v8, s[2:3]
	ds_bpermute_b32 v7, v12, v6
	s_mov_b32 s5, 0xc2ce8ed0
	s_mov_b32 s6, 0x42b17218
	s_waitcnt lgkmcnt(1)
	v_cmp_lt_f32_e64 s[2:3], v4, v5
	v_cndmask_b32_e64 v5, v4, v5, s[2:3]
	s_waitcnt lgkmcnt(0)
	v_cmp_lt_f32_e64 s[2:3], v6, v7
	v_cndmask_b32_e64 v4, v6, v7, s[2:3]
	v_pk_add_f32 v[6:7], v[0:1], v[4:5] neg_lo:[0,1] neg_hi:[0,1]
	v_mul_f32_e32 v8, 0x3fb8aa3b, v7
	v_fma_f32 v13, v7, s4, -v8
	v_rndne_f32_e32 v14, v8
	v_fmac_f32_e32 v13, 0x32a5705f, v7
	v_sub_f32_e32 v8, v8, v14
	v_add_f32_e32 v8, v8, v13
	v_exp_f32_e32 v8, v8
	v_cvt_i32_f32_e32 v13, v14
	v_cmp_ngt_f32_e64 s[2:3], s5, v7
	v_ldexp_f32 v8, v8, v13
	v_mul_f32_e32 v13, 0x3fb8aa3b, v6
	v_fma_f32 v14, v6, s4, -v13
	v_rndne_f32_e32 v15, v13
	v_fmac_f32_e32 v14, 0x32a5705f, v6
	v_sub_f32_e32 v13, v13, v15
	v_add_f32_e32 v13, v13, v14
	v_exp_f32_e32 v13, v13
	v_cvt_i32_f32_e32 v14, v15
	v_cndmask_b32_e64 v8, 0, v8, s[2:3]
	v_mov_b32_e32 v15, 0x7f800000
	v_cmp_nlt_f32_e64 s[2:3], s6, v7
	v_cndmask_b32_e64 v7, v15, v8, s[2:3]
	v_ldexp_f32 v8, v13, v14
	v_cmp_ngt_f32_e64 s[2:3], s5, v6
	v_cndmask_b32_e64 v8, 0, v8, s[2:3]
	v_cmp_nlt_f32_e64 s[2:3], s6, v6
	v_cndmask_b32_e64 v6, v15, v8, s[2:3]
	ds_bpermute_b32 v8, v9, v6
	ds_bpermute_b32 v9, v9, v7
	s_waitcnt lgkmcnt(0)
	v_pk_add_f32 v[6:7], v[6:7], v[8:9]
	ds_bpermute_b32 v8, v11, v6
	ds_bpermute_b32 v9, v11, v7
	s_waitcnt lgkmcnt(0)
	v_pk_add_f32 v[6:7], v[6:7], v[8:9]
	ds_bpermute_b32 v8, v12, v6
	ds_bpermute_b32 v9, v12, v7
	s_and_saveexec_b64 s[2:3], s[0:1]
	s_cbranch_execz .LBB138_10
; %bb.5:
	v_mov_b32_e32 v11, s9
	v_add_co_u32_e64 v2, s[0:1], s8, v2
	v_addc_co_u32_e64 v3, s[0:1], v11, v3, s[0:1]
	s_waitcnt lgkmcnt(0)
	v_pk_add_f32 v[6:7], v[6:7], v[8:9]
	s_and_saveexec_b64 s[4:5], vcc
	s_cbranch_execz .LBB138_7
; %bb.6:
	s_mov_b32 s0, 0x800000
	v_mov_b32_e32 v8, 0x4f800000
	v_cmp_gt_f32_e64 s[0:1], s0, v6
	v_cndmask_b32_e64 v8, 1.0, v8, s[0:1]
	v_mul_f32_e32 v6, v6, v8
	v_log_f32_e32 v6, v6
	s_mov_b32 s2, 0x3f317217
	v_sub_f32_e32 v0, v0, v4
	v_mul_f32_e32 v8, 0x3f317217, v6
	v_fma_f32 v9, v6, s2, -v8
	v_fmac_f32_e32 v9, 0x3377d1cf, v6
	s_mov_b32 s2, 0x7f800000
	v_add_f32_e32 v8, v8, v9
	v_cmp_lt_f32_e64 s[2:3], |v6|, s2
	v_cndmask_b32_e64 v6, v6, v8, s[2:3]
	v_mov_b32_e32 v8, 0x41b17218
	v_cndmask_b32_e64 v8, 0, v8, s[0:1]
	v_sub_f32_e32 v6, v6, v8
	v_sub_f32_e32 v0, v0, v6
	v_bfe_u32 v4, v0, 16, 1
	s_movk_i32 s0, 0x7fff
	v_add3_u32 v4, v0, v4, s0
	v_lshrrev_b32_e32 v4, 16, v4
	v_mov_b32_e32 v6, 0x7fc0
	v_cmp_o_f32_e64 s[0:1], v0, v0
	v_cndmask_b32_e64 v0, v6, v4, s[0:1]
	global_store_short v[2:3], v0, off
.LBB138_7:
	s_or_b64 exec, exec, s[4:5]
	v_cmp_ne_u32_e64 s[0:1], 1, v10
	s_and_b64 exec, exec, s[0:1]
	s_cbranch_execz .LBB138_10
; %bb.8:
	s_and_b64 exec, exec, vcc
	s_cbranch_execz .LBB138_10
; %bb.9:
	s_mov_b32 s0, 0x800000
	v_mov_b32_e32 v0, 0x4f800000
	v_cmp_gt_f32_e32 vcc, s0, v7
	v_cndmask_b32_e32 v0, 1.0, v0, vcc
	v_mul_f32_e32 v0, v7, v0
	v_log_f32_e32 v0, v0
	s_mov_b32 s0, 0x3f317217
	v_sub_f32_e32 v1, v1, v5
	s_mov_b32 s15, 0
	v_mul_f32_e32 v4, 0x3f317217, v0
	v_fma_f32 v6, v0, s0, -v4
	v_fmac_f32_e32 v6, 0x3377d1cf, v0
	s_mov_b32 s0, 0x7f800000
	v_add_f32_e32 v4, v4, v6
	v_cmp_lt_f32_e64 s[0:1], |v0|, s0
	v_cndmask_b32_e64 v0, v0, v4, s[0:1]
	v_mov_b32_e32 v4, 0x41b17218
	v_cndmask_b32_e32 v4, 0, v4, vcc
	v_sub_f32_e32 v0, v0, v4
	v_sub_f32_e32 v0, v1, v0
	v_bfe_u32 v1, v0, 16, 1
	s_movk_i32 s0, 0x7fff
	v_add3_u32 v1, v0, v1, s0
	v_lshrrev_b32_e32 v1, 16, v1
	v_mov_b32_e32 v4, 0x7fc0
	v_cmp_o_f32_e32 vcc, v0, v0
	s_lshl_b64 s[0:1], s[14:15], 1
	v_cndmask_b32_e32 v4, v4, v1, vcc
	v_mov_b32_e32 v1, s1
	v_add_co_u32_e32 v0, vcc, s0, v2
	v_addc_co_u32_e32 v1, vcc, v3, v1, vcc
	global_store_short v[0:1], v4, off
.LBB138_10:
	s_endpgm
	.section	.rodata,"a",@progbits
	.p2align	6, 0x0
	.amdhsa_kernel _ZN12_GLOBAL__N_120softmax_warp_forwardIN3c108BFloat16ES2_fLi3ELb1ELb0ELi32EEEvPT0_PKT_iiiPKbib
		.amdhsa_group_segment_fixed_size 0
		.amdhsa_private_segment_fixed_size 0
		.amdhsa_kernarg_size 304
		.amdhsa_user_sgpr_count 6
		.amdhsa_user_sgpr_private_segment_buffer 1
		.amdhsa_user_sgpr_dispatch_ptr 0
		.amdhsa_user_sgpr_queue_ptr 0
		.amdhsa_user_sgpr_kernarg_segment_ptr 1
		.amdhsa_user_sgpr_dispatch_id 0
		.amdhsa_user_sgpr_flat_scratch_init 0
		.amdhsa_user_sgpr_kernarg_preload_length 0
		.amdhsa_user_sgpr_kernarg_preload_offset 0
		.amdhsa_user_sgpr_private_segment_size 0
		.amdhsa_uses_dynamic_stack 0
		.amdhsa_system_sgpr_private_segment_wavefront_offset 0
		.amdhsa_system_sgpr_workgroup_id_x 1
		.amdhsa_system_sgpr_workgroup_id_y 0
		.amdhsa_system_sgpr_workgroup_id_z 0
		.amdhsa_system_sgpr_workgroup_info 0
		.amdhsa_system_vgpr_workitem_id 1
		.amdhsa_next_free_vgpr 16
		.amdhsa_next_free_sgpr 16
		.amdhsa_accum_offset 16
		.amdhsa_reserve_vcc 1
		.amdhsa_reserve_flat_scratch 0
		.amdhsa_float_round_mode_32 0
		.amdhsa_float_round_mode_16_64 0
		.amdhsa_float_denorm_mode_32 3
		.amdhsa_float_denorm_mode_16_64 3
		.amdhsa_dx10_clamp 1
		.amdhsa_ieee_mode 1
		.amdhsa_fp16_overflow 0
		.amdhsa_tg_split 0
		.amdhsa_exception_fp_ieee_invalid_op 0
		.amdhsa_exception_fp_denorm_src 0
		.amdhsa_exception_fp_ieee_div_zero 0
		.amdhsa_exception_fp_ieee_overflow 0
		.amdhsa_exception_fp_ieee_underflow 0
		.amdhsa_exception_fp_ieee_inexact 0
		.amdhsa_exception_int_div_zero 0
	.end_amdhsa_kernel
	.section	.text._ZN12_GLOBAL__N_120softmax_warp_forwardIN3c108BFloat16ES2_fLi3ELb1ELb0ELi32EEEvPT0_PKT_iiiPKbib,"axG",@progbits,_ZN12_GLOBAL__N_120softmax_warp_forwardIN3c108BFloat16ES2_fLi3ELb1ELb0ELi32EEEvPT0_PKT_iiiPKbib,comdat
.Lfunc_end138:
	.size	_ZN12_GLOBAL__N_120softmax_warp_forwardIN3c108BFloat16ES2_fLi3ELb1ELb0ELi32EEEvPT0_PKT_iiiPKbib, .Lfunc_end138-_ZN12_GLOBAL__N_120softmax_warp_forwardIN3c108BFloat16ES2_fLi3ELb1ELb0ELi32EEEvPT0_PKT_iiiPKbib
                                        ; -- End function
	.section	.AMDGPU.csdata,"",@progbits
; Kernel info:
; codeLenInByte = 1212
; NumSgprs: 20
; NumVgprs: 16
; NumAgprs: 0
; TotalNumVgprs: 16
; ScratchSize: 0
; MemoryBound: 0
; FloatMode: 240
; IeeeMode: 1
; LDSByteSize: 0 bytes/workgroup (compile time only)
; SGPRBlocks: 2
; VGPRBlocks: 1
; NumSGPRsForWavesPerEU: 20
; NumVGPRsForWavesPerEU: 16
; AccumOffset: 16
; Occupancy: 8
; WaveLimiterHint : 0
; COMPUTE_PGM_RSRC2:SCRATCH_EN: 0
; COMPUTE_PGM_RSRC2:USER_SGPR: 6
; COMPUTE_PGM_RSRC2:TRAP_HANDLER: 0
; COMPUTE_PGM_RSRC2:TGID_X_EN: 1
; COMPUTE_PGM_RSRC2:TGID_Y_EN: 0
; COMPUTE_PGM_RSRC2:TGID_Z_EN: 0
; COMPUTE_PGM_RSRC2:TIDIG_COMP_CNT: 1
; COMPUTE_PGM_RSRC3_GFX90A:ACCUM_OFFSET: 3
; COMPUTE_PGM_RSRC3_GFX90A:TG_SPLIT: 0
	.section	.text._ZN12_GLOBAL__N_120softmax_warp_forwardIN3c108BFloat16ES2_fLi4ELb1ELb0ELi64EEEvPT0_PKT_iiiPKbib,"axG",@progbits,_ZN12_GLOBAL__N_120softmax_warp_forwardIN3c108BFloat16ES2_fLi4ELb1ELb0ELi64EEEvPT0_PKT_iiiPKbib,comdat
	.globl	_ZN12_GLOBAL__N_120softmax_warp_forwardIN3c108BFloat16ES2_fLi4ELb1ELb0ELi64EEEvPT0_PKT_iiiPKbib ; -- Begin function _ZN12_GLOBAL__N_120softmax_warp_forwardIN3c108BFloat16ES2_fLi4ELb1ELb0ELi64EEEvPT0_PKT_iiiPKbib
	.p2align	8
	.type	_ZN12_GLOBAL__N_120softmax_warp_forwardIN3c108BFloat16ES2_fLi4ELb1ELb0ELi64EEEvPT0_PKT_iiiPKbib,@function
_ZN12_GLOBAL__N_120softmax_warp_forwardIN3c108BFloat16ES2_fLi4ELb1ELb0ELi64EEEvPT0_PKT_iiiPKbib: ; @_ZN12_GLOBAL__N_120softmax_warp_forwardIN3c108BFloat16ES2_fLi4ELb1ELb0ELi64EEEvPT0_PKT_iiiPKbib
; %bb.0:
	s_load_dword s0, s[4:5], 0x3c
	s_load_dwordx8 s[8:15], s[4:5], 0x0
	v_bfe_u32 v1, v0, 10, 10
	v_and_b32_e32 v0, 0x3ff, v0
	s_waitcnt lgkmcnt(0)
	s_lshr_b32 s0, s0, 16
	s_mul_i32 s6, s6, s0
	v_add_lshl_u32 v1, s6, v1, 1
	v_mad_u64_u32 v[2:3], s[0:1], v1, s13, v[0:1]
	v_ashrrev_i32_e32 v3, 31, v2
	v_lshlrev_b64 v[2:3], 1, v[2:3]
	v_sub_u32_e32 v10, s12, v1
	v_mov_b32_e32 v1, s11
	v_add_co_u32_e32 v4, vcc, s10, v2
	v_addc_co_u32_e32 v5, vcc, v1, v3, vcc
	v_cmp_gt_i32_e32 vcc, s14, v0
	v_cmp_lt_i32_e64 s[0:1], 0, v10
	s_and_b64 s[4:5], vcc, s[0:1]
	v_mov_b32_e32 v1, 0xff800000
	v_mov_b32_e32 v0, 0xff800000
	s_and_saveexec_b64 s[2:3], s[4:5]
	s_cbranch_execz .LBB139_2
; %bb.1:
	global_load_ushort v0, v[4:5], off
	s_waitcnt vmcnt(0)
	v_lshlrev_b32_e32 v0, 16, v0
.LBB139_2:
	s_or_b64 exec, exec, s[2:3]
	v_cmp_lt_i32_e64 s[2:3], 1, v10
	s_and_b64 s[2:3], vcc, s[2:3]
	s_and_saveexec_b64 s[4:5], s[2:3]
	s_cbranch_execz .LBB139_4
; %bb.3:
	s_mov_b32 s15, 0
	s_lshl_b64 s[2:3], s[14:15], 1
	v_mov_b32_e32 v1, s3
	v_add_co_u32_e64 v4, s[2:3], s2, v4
	v_addc_co_u32_e64 v5, s[2:3], v5, v1, s[2:3]
	global_load_ushort v1, v[4:5], off
	s_waitcnt vmcnt(0)
	v_lshlrev_b32_e32 v1, 16, v1
.LBB139_4:
	s_or_b64 exec, exec, s[4:5]
	v_mbcnt_lo_u32_b32 v4, -1, 0
	v_mbcnt_hi_u32_b32 v4, -1, v4
	v_and_b32_e32 v5, 0x70, v4
	v_add_u32_e32 v5, 16, v5
	v_xor_b32_e32 v6, 8, v4
	v_cmp_lt_i32_e64 s[2:3], v6, v5
	v_cndmask_b32_e64 v6, v4, v6, s[2:3]
	v_lshlrev_b32_e32 v9, 2, v6
	ds_bpermute_b32 v6, v9, v1
	ds_bpermute_b32 v7, v9, v0
	v_xor_b32_e32 v8, 4, v4
	v_xor_b32_e32 v13, 2, v4
	v_xor_b32_e32 v14, 1, v4
	s_waitcnt lgkmcnt(1)
	v_cmp_lt_f32_e64 s[2:3], v1, v6
	v_cndmask_b32_e64 v6, v1, v6, s[2:3]
	s_waitcnt lgkmcnt(0)
	v_cmp_lt_f32_e64 s[2:3], v0, v7
	v_cndmask_b32_e64 v7, v0, v7, s[2:3]
	v_cmp_lt_i32_e64 s[2:3], v8, v5
	v_cndmask_b32_e64 v8, v4, v8, s[2:3]
	v_lshlrev_b32_e32 v11, 2, v8
	ds_bpermute_b32 v12, v11, v6
	ds_bpermute_b32 v8, v11, v7
	v_cmp_lt_i32_e64 s[2:3], v13, v5
	v_cndmask_b32_e64 v13, v4, v13, s[2:3]
	v_cmp_lt_i32_e64 s[2:3], v14, v5
	v_cndmask_b32_e64 v4, v4, v14, s[2:3]
	s_waitcnt lgkmcnt(1)
	v_cmp_lt_f32_e64 s[2:3], v6, v12
	v_lshlrev_b32_e32 v13, 2, v13
	v_cndmask_b32_e64 v5, v6, v12, s[2:3]
	s_waitcnt lgkmcnt(0)
	v_cmp_lt_f32_e64 s[2:3], v7, v8
	ds_bpermute_b32 v6, v13, v5
	v_cndmask_b32_e64 v7, v7, v8, s[2:3]
	ds_bpermute_b32 v8, v13, v7
	v_lshlrev_b32_e32 v12, 2, v4
	s_mov_b32 s4, 0x3fb8aa3b
	s_waitcnt lgkmcnt(1)
	v_cmp_lt_f32_e64 s[2:3], v5, v6
	v_cndmask_b32_e64 v4, v5, v6, s[2:3]
	s_waitcnt lgkmcnt(0)
	v_cmp_lt_f32_e64 s[2:3], v7, v8
	ds_bpermute_b32 v5, v12, v4
	v_cndmask_b32_e64 v6, v7, v8, s[2:3]
	ds_bpermute_b32 v7, v12, v6
	s_mov_b32 s5, 0xc2ce8ed0
	s_mov_b32 s6, 0x42b17218
	s_waitcnt lgkmcnt(1)
	v_cmp_lt_f32_e64 s[2:3], v4, v5
	v_cndmask_b32_e64 v5, v4, v5, s[2:3]
	s_waitcnt lgkmcnt(0)
	v_cmp_lt_f32_e64 s[2:3], v6, v7
	v_cndmask_b32_e64 v4, v6, v7, s[2:3]
	v_pk_add_f32 v[6:7], v[0:1], v[4:5] neg_lo:[0,1] neg_hi:[0,1]
	v_mul_f32_e32 v8, 0x3fb8aa3b, v7
	v_fma_f32 v14, v7, s4, -v8
	v_rndne_f32_e32 v15, v8
	v_fmac_f32_e32 v14, 0x32a5705f, v7
	v_sub_f32_e32 v8, v8, v15
	v_add_f32_e32 v8, v8, v14
	v_exp_f32_e32 v8, v8
	v_cvt_i32_f32_e32 v14, v15
	v_cmp_ngt_f32_e64 s[2:3], s5, v7
	v_ldexp_f32 v8, v8, v14
	v_mul_f32_e32 v14, 0x3fb8aa3b, v6
	v_fma_f32 v15, v6, s4, -v14
	v_rndne_f32_e32 v16, v14
	v_fmac_f32_e32 v15, 0x32a5705f, v6
	v_sub_f32_e32 v14, v14, v16
	v_add_f32_e32 v14, v14, v15
	v_exp_f32_e32 v14, v14
	v_cvt_i32_f32_e32 v15, v16
	v_cndmask_b32_e64 v8, 0, v8, s[2:3]
	v_mov_b32_e32 v16, 0x7f800000
	v_cmp_nlt_f32_e64 s[2:3], s6, v7
	v_cndmask_b32_e64 v7, v16, v8, s[2:3]
	v_ldexp_f32 v8, v14, v15
	v_cmp_ngt_f32_e64 s[2:3], s5, v6
	v_cndmask_b32_e64 v8, 0, v8, s[2:3]
	v_cmp_nlt_f32_e64 s[2:3], s6, v6
	v_cndmask_b32_e64 v6, v16, v8, s[2:3]
	ds_bpermute_b32 v8, v9, v6
	ds_bpermute_b32 v9, v9, v7
	s_waitcnt lgkmcnt(0)
	v_pk_add_f32 v[6:7], v[6:7], v[8:9]
	ds_bpermute_b32 v8, v11, v6
	ds_bpermute_b32 v9, v11, v7
	s_waitcnt lgkmcnt(0)
	v_pk_add_f32 v[6:7], v[6:7], v[8:9]
	;; [unrolled: 4-line block ×3, first 2 shown]
	ds_bpermute_b32 v8, v12, v6
	ds_bpermute_b32 v9, v12, v7
	s_and_saveexec_b64 s[2:3], s[0:1]
	s_cbranch_execz .LBB139_10
; %bb.5:
	v_mov_b32_e32 v11, s9
	v_add_co_u32_e64 v2, s[0:1], s8, v2
	v_addc_co_u32_e64 v3, s[0:1], v11, v3, s[0:1]
	s_waitcnt lgkmcnt(0)
	v_pk_add_f32 v[6:7], v[6:7], v[8:9]
	s_and_saveexec_b64 s[4:5], vcc
	s_cbranch_execz .LBB139_7
; %bb.6:
	s_mov_b32 s0, 0x800000
	v_mov_b32_e32 v8, 0x4f800000
	v_cmp_gt_f32_e64 s[0:1], s0, v6
	v_cndmask_b32_e64 v8, 1.0, v8, s[0:1]
	v_mul_f32_e32 v6, v6, v8
	v_log_f32_e32 v6, v6
	s_mov_b32 s2, 0x3f317217
	v_sub_f32_e32 v0, v0, v4
	v_mul_f32_e32 v8, 0x3f317217, v6
	v_fma_f32 v9, v6, s2, -v8
	v_fmac_f32_e32 v9, 0x3377d1cf, v6
	s_mov_b32 s2, 0x7f800000
	v_add_f32_e32 v8, v8, v9
	v_cmp_lt_f32_e64 s[2:3], |v6|, s2
	v_cndmask_b32_e64 v6, v6, v8, s[2:3]
	v_mov_b32_e32 v8, 0x41b17218
	v_cndmask_b32_e64 v8, 0, v8, s[0:1]
	v_sub_f32_e32 v6, v6, v8
	v_sub_f32_e32 v0, v0, v6
	v_bfe_u32 v4, v0, 16, 1
	s_movk_i32 s0, 0x7fff
	v_add3_u32 v4, v0, v4, s0
	v_lshrrev_b32_e32 v4, 16, v4
	v_mov_b32_e32 v6, 0x7fc0
	v_cmp_o_f32_e64 s[0:1], v0, v0
	v_cndmask_b32_e64 v0, v6, v4, s[0:1]
	global_store_short v[2:3], v0, off
.LBB139_7:
	s_or_b64 exec, exec, s[4:5]
	v_cmp_ne_u32_e64 s[0:1], 1, v10
	s_and_b64 exec, exec, s[0:1]
	s_cbranch_execz .LBB139_10
; %bb.8:
	s_and_b64 exec, exec, vcc
	s_cbranch_execz .LBB139_10
; %bb.9:
	s_mov_b32 s0, 0x800000
	v_mov_b32_e32 v0, 0x4f800000
	v_cmp_gt_f32_e32 vcc, s0, v7
	v_cndmask_b32_e32 v0, 1.0, v0, vcc
	v_mul_f32_e32 v0, v7, v0
	v_log_f32_e32 v0, v0
	s_mov_b32 s0, 0x3f317217
	v_sub_f32_e32 v1, v1, v5
	s_mov_b32 s15, 0
	v_mul_f32_e32 v4, 0x3f317217, v0
	v_fma_f32 v6, v0, s0, -v4
	v_fmac_f32_e32 v6, 0x3377d1cf, v0
	s_mov_b32 s0, 0x7f800000
	v_add_f32_e32 v4, v4, v6
	v_cmp_lt_f32_e64 s[0:1], |v0|, s0
	v_cndmask_b32_e64 v0, v0, v4, s[0:1]
	v_mov_b32_e32 v4, 0x41b17218
	v_cndmask_b32_e32 v4, 0, v4, vcc
	v_sub_f32_e32 v0, v0, v4
	v_sub_f32_e32 v0, v1, v0
	v_bfe_u32 v1, v0, 16, 1
	s_movk_i32 s0, 0x7fff
	v_add3_u32 v1, v0, v1, s0
	v_lshrrev_b32_e32 v1, 16, v1
	v_mov_b32_e32 v4, 0x7fc0
	v_cmp_o_f32_e32 vcc, v0, v0
	s_lshl_b64 s[0:1], s[14:15], 1
	v_cndmask_b32_e32 v4, v4, v1, vcc
	v_mov_b32_e32 v1, s1
	v_add_co_u32_e32 v0, vcc, s0, v2
	v_addc_co_u32_e32 v1, vcc, v3, v1, vcc
	global_store_short v[0:1], v4, off
.LBB139_10:
	s_endpgm
	.section	.rodata,"a",@progbits
	.p2align	6, 0x0
	.amdhsa_kernel _ZN12_GLOBAL__N_120softmax_warp_forwardIN3c108BFloat16ES2_fLi4ELb1ELb0ELi64EEEvPT0_PKT_iiiPKbib
		.amdhsa_group_segment_fixed_size 0
		.amdhsa_private_segment_fixed_size 0
		.amdhsa_kernarg_size 304
		.amdhsa_user_sgpr_count 6
		.amdhsa_user_sgpr_private_segment_buffer 1
		.amdhsa_user_sgpr_dispatch_ptr 0
		.amdhsa_user_sgpr_queue_ptr 0
		.amdhsa_user_sgpr_kernarg_segment_ptr 1
		.amdhsa_user_sgpr_dispatch_id 0
		.amdhsa_user_sgpr_flat_scratch_init 0
		.amdhsa_user_sgpr_kernarg_preload_length 0
		.amdhsa_user_sgpr_kernarg_preload_offset 0
		.amdhsa_user_sgpr_private_segment_size 0
		.amdhsa_uses_dynamic_stack 0
		.amdhsa_system_sgpr_private_segment_wavefront_offset 0
		.amdhsa_system_sgpr_workgroup_id_x 1
		.amdhsa_system_sgpr_workgroup_id_y 0
		.amdhsa_system_sgpr_workgroup_id_z 0
		.amdhsa_system_sgpr_workgroup_info 0
		.amdhsa_system_vgpr_workitem_id 1
		.amdhsa_next_free_vgpr 17
		.amdhsa_next_free_sgpr 16
		.amdhsa_accum_offset 20
		.amdhsa_reserve_vcc 1
		.amdhsa_reserve_flat_scratch 0
		.amdhsa_float_round_mode_32 0
		.amdhsa_float_round_mode_16_64 0
		.amdhsa_float_denorm_mode_32 3
		.amdhsa_float_denorm_mode_16_64 3
		.amdhsa_dx10_clamp 1
		.amdhsa_ieee_mode 1
		.amdhsa_fp16_overflow 0
		.amdhsa_tg_split 0
		.amdhsa_exception_fp_ieee_invalid_op 0
		.amdhsa_exception_fp_denorm_src 0
		.amdhsa_exception_fp_ieee_div_zero 0
		.amdhsa_exception_fp_ieee_overflow 0
		.amdhsa_exception_fp_ieee_underflow 0
		.amdhsa_exception_fp_ieee_inexact 0
		.amdhsa_exception_int_div_zero 0
	.end_amdhsa_kernel
	.section	.text._ZN12_GLOBAL__N_120softmax_warp_forwardIN3c108BFloat16ES2_fLi4ELb1ELb0ELi64EEEvPT0_PKT_iiiPKbib,"axG",@progbits,_ZN12_GLOBAL__N_120softmax_warp_forwardIN3c108BFloat16ES2_fLi4ELb1ELb0ELi64EEEvPT0_PKT_iiiPKbib,comdat
.Lfunc_end139:
	.size	_ZN12_GLOBAL__N_120softmax_warp_forwardIN3c108BFloat16ES2_fLi4ELb1ELb0ELi64EEEvPT0_PKT_iiiPKbib, .Lfunc_end139-_ZN12_GLOBAL__N_120softmax_warp_forwardIN3c108BFloat16ES2_fLi4ELb1ELb0ELi64EEEvPT0_PKT_iiiPKbib
                                        ; -- End function
	.section	.AMDGPU.csdata,"",@progbits
; Kernel info:
; codeLenInByte = 1320
; NumSgprs: 20
; NumVgprs: 17
; NumAgprs: 0
; TotalNumVgprs: 17
; ScratchSize: 0
; MemoryBound: 0
; FloatMode: 240
; IeeeMode: 1
; LDSByteSize: 0 bytes/workgroup (compile time only)
; SGPRBlocks: 2
; VGPRBlocks: 2
; NumSGPRsForWavesPerEU: 20
; NumVGPRsForWavesPerEU: 17
; AccumOffset: 20
; Occupancy: 8
; WaveLimiterHint : 0
; COMPUTE_PGM_RSRC2:SCRATCH_EN: 0
; COMPUTE_PGM_RSRC2:USER_SGPR: 6
; COMPUTE_PGM_RSRC2:TRAP_HANDLER: 0
; COMPUTE_PGM_RSRC2:TGID_X_EN: 1
; COMPUTE_PGM_RSRC2:TGID_Y_EN: 0
; COMPUTE_PGM_RSRC2:TGID_Z_EN: 0
; COMPUTE_PGM_RSRC2:TIDIG_COMP_CNT: 1
; COMPUTE_PGM_RSRC3_GFX90A:ACCUM_OFFSET: 4
; COMPUTE_PGM_RSRC3_GFX90A:TG_SPLIT: 0
	.section	.text._ZN12_GLOBAL__N_120softmax_warp_forwardIN3c108BFloat16ES2_fLi4ELb1ELb0ELi32EEEvPT0_PKT_iiiPKbib,"axG",@progbits,_ZN12_GLOBAL__N_120softmax_warp_forwardIN3c108BFloat16ES2_fLi4ELb1ELb0ELi32EEEvPT0_PKT_iiiPKbib,comdat
	.globl	_ZN12_GLOBAL__N_120softmax_warp_forwardIN3c108BFloat16ES2_fLi4ELb1ELb0ELi32EEEvPT0_PKT_iiiPKbib ; -- Begin function _ZN12_GLOBAL__N_120softmax_warp_forwardIN3c108BFloat16ES2_fLi4ELb1ELb0ELi32EEEvPT0_PKT_iiiPKbib
	.p2align	8
	.type	_ZN12_GLOBAL__N_120softmax_warp_forwardIN3c108BFloat16ES2_fLi4ELb1ELb0ELi32EEEvPT0_PKT_iiiPKbib,@function
_ZN12_GLOBAL__N_120softmax_warp_forwardIN3c108BFloat16ES2_fLi4ELb1ELb0ELi32EEEvPT0_PKT_iiiPKbib: ; @_ZN12_GLOBAL__N_120softmax_warp_forwardIN3c108BFloat16ES2_fLi4ELb1ELb0ELi32EEEvPT0_PKT_iiiPKbib
; %bb.0:
	s_load_dword s0, s[4:5], 0x3c
	s_load_dwordx8 s[8:15], s[4:5], 0x0
	v_bfe_u32 v1, v0, 10, 10
	v_and_b32_e32 v0, 0x3ff, v0
	s_waitcnt lgkmcnt(0)
	s_lshr_b32 s0, s0, 16
	s_mul_i32 s6, s6, s0
	v_add_lshl_u32 v1, s6, v1, 1
	v_mad_u64_u32 v[2:3], s[0:1], v1, s13, v[0:1]
	v_ashrrev_i32_e32 v3, 31, v2
	v_lshlrev_b64 v[2:3], 1, v[2:3]
	v_sub_u32_e32 v10, s12, v1
	v_mov_b32_e32 v1, s11
	v_add_co_u32_e32 v4, vcc, s10, v2
	v_addc_co_u32_e32 v5, vcc, v1, v3, vcc
	v_cmp_gt_i32_e32 vcc, s14, v0
	v_cmp_lt_i32_e64 s[0:1], 0, v10
	s_and_b64 s[4:5], vcc, s[0:1]
	v_mov_b32_e32 v1, 0xff800000
	v_mov_b32_e32 v0, 0xff800000
	s_and_saveexec_b64 s[2:3], s[4:5]
	s_cbranch_execz .LBB140_2
; %bb.1:
	global_load_ushort v0, v[4:5], off
	s_waitcnt vmcnt(0)
	v_lshlrev_b32_e32 v0, 16, v0
.LBB140_2:
	s_or_b64 exec, exec, s[2:3]
	v_cmp_lt_i32_e64 s[2:3], 1, v10
	s_and_b64 s[2:3], vcc, s[2:3]
	s_and_saveexec_b64 s[4:5], s[2:3]
	s_cbranch_execz .LBB140_4
; %bb.3:
	s_mov_b32 s15, 0
	s_lshl_b64 s[2:3], s[14:15], 1
	v_mov_b32_e32 v1, s3
	v_add_co_u32_e64 v4, s[2:3], s2, v4
	v_addc_co_u32_e64 v5, s[2:3], v5, v1, s[2:3]
	global_load_ushort v1, v[4:5], off
	s_waitcnt vmcnt(0)
	v_lshlrev_b32_e32 v1, 16, v1
.LBB140_4:
	s_or_b64 exec, exec, s[4:5]
	v_mbcnt_lo_u32_b32 v4, -1, 0
	v_mbcnt_hi_u32_b32 v4, -1, v4
	v_and_b32_e32 v5, 0x70, v4
	v_add_u32_e32 v5, 16, v5
	v_xor_b32_e32 v6, 8, v4
	v_cmp_lt_i32_e64 s[2:3], v6, v5
	v_cndmask_b32_e64 v6, v4, v6, s[2:3]
	v_lshlrev_b32_e32 v9, 2, v6
	ds_bpermute_b32 v6, v9, v1
	ds_bpermute_b32 v7, v9, v0
	v_xor_b32_e32 v8, 4, v4
	v_xor_b32_e32 v13, 2, v4
	;; [unrolled: 1-line block ×3, first 2 shown]
	s_waitcnt lgkmcnt(1)
	v_cmp_lt_f32_e64 s[2:3], v1, v6
	v_cndmask_b32_e64 v6, v1, v6, s[2:3]
	s_waitcnt lgkmcnt(0)
	v_cmp_lt_f32_e64 s[2:3], v0, v7
	v_cndmask_b32_e64 v7, v0, v7, s[2:3]
	v_cmp_lt_i32_e64 s[2:3], v8, v5
	v_cndmask_b32_e64 v8, v4, v8, s[2:3]
	v_lshlrev_b32_e32 v11, 2, v8
	ds_bpermute_b32 v12, v11, v6
	ds_bpermute_b32 v8, v11, v7
	v_cmp_lt_i32_e64 s[2:3], v13, v5
	v_cndmask_b32_e64 v13, v4, v13, s[2:3]
	v_cmp_lt_i32_e64 s[2:3], v14, v5
	v_cndmask_b32_e64 v4, v4, v14, s[2:3]
	s_waitcnt lgkmcnt(1)
	v_cmp_lt_f32_e64 s[2:3], v6, v12
	v_lshlrev_b32_e32 v13, 2, v13
	v_cndmask_b32_e64 v5, v6, v12, s[2:3]
	s_waitcnt lgkmcnt(0)
	v_cmp_lt_f32_e64 s[2:3], v7, v8
	ds_bpermute_b32 v6, v13, v5
	v_cndmask_b32_e64 v7, v7, v8, s[2:3]
	ds_bpermute_b32 v8, v13, v7
	v_lshlrev_b32_e32 v12, 2, v4
	s_mov_b32 s4, 0x3fb8aa3b
	s_waitcnt lgkmcnt(1)
	v_cmp_lt_f32_e64 s[2:3], v5, v6
	v_cndmask_b32_e64 v4, v5, v6, s[2:3]
	s_waitcnt lgkmcnt(0)
	v_cmp_lt_f32_e64 s[2:3], v7, v8
	ds_bpermute_b32 v5, v12, v4
	v_cndmask_b32_e64 v6, v7, v8, s[2:3]
	ds_bpermute_b32 v7, v12, v6
	s_mov_b32 s5, 0xc2ce8ed0
	s_mov_b32 s6, 0x42b17218
	s_waitcnt lgkmcnt(1)
	v_cmp_lt_f32_e64 s[2:3], v4, v5
	v_cndmask_b32_e64 v5, v4, v5, s[2:3]
	s_waitcnt lgkmcnt(0)
	v_cmp_lt_f32_e64 s[2:3], v6, v7
	v_cndmask_b32_e64 v4, v6, v7, s[2:3]
	v_pk_add_f32 v[6:7], v[0:1], v[4:5] neg_lo:[0,1] neg_hi:[0,1]
	v_mul_f32_e32 v8, 0x3fb8aa3b, v7
	v_fma_f32 v14, v7, s4, -v8
	v_rndne_f32_e32 v15, v8
	v_fmac_f32_e32 v14, 0x32a5705f, v7
	v_sub_f32_e32 v8, v8, v15
	v_add_f32_e32 v8, v8, v14
	v_exp_f32_e32 v8, v8
	v_cvt_i32_f32_e32 v14, v15
	v_cmp_ngt_f32_e64 s[2:3], s5, v7
	v_ldexp_f32 v8, v8, v14
	v_mul_f32_e32 v14, 0x3fb8aa3b, v6
	v_fma_f32 v15, v6, s4, -v14
	v_rndne_f32_e32 v16, v14
	v_fmac_f32_e32 v15, 0x32a5705f, v6
	v_sub_f32_e32 v14, v14, v16
	v_add_f32_e32 v14, v14, v15
	v_exp_f32_e32 v14, v14
	v_cvt_i32_f32_e32 v15, v16
	v_cndmask_b32_e64 v8, 0, v8, s[2:3]
	v_mov_b32_e32 v16, 0x7f800000
	v_cmp_nlt_f32_e64 s[2:3], s6, v7
	v_cndmask_b32_e64 v7, v16, v8, s[2:3]
	v_ldexp_f32 v8, v14, v15
	v_cmp_ngt_f32_e64 s[2:3], s5, v6
	v_cndmask_b32_e64 v8, 0, v8, s[2:3]
	v_cmp_nlt_f32_e64 s[2:3], s6, v6
	v_cndmask_b32_e64 v6, v16, v8, s[2:3]
	ds_bpermute_b32 v8, v9, v6
	ds_bpermute_b32 v9, v9, v7
	s_waitcnt lgkmcnt(0)
	v_pk_add_f32 v[6:7], v[6:7], v[8:9]
	ds_bpermute_b32 v8, v11, v6
	ds_bpermute_b32 v9, v11, v7
	s_waitcnt lgkmcnt(0)
	v_pk_add_f32 v[6:7], v[6:7], v[8:9]
	;; [unrolled: 4-line block ×3, first 2 shown]
	ds_bpermute_b32 v8, v12, v6
	ds_bpermute_b32 v9, v12, v7
	s_and_saveexec_b64 s[2:3], s[0:1]
	s_cbranch_execz .LBB140_10
; %bb.5:
	v_mov_b32_e32 v11, s9
	v_add_co_u32_e64 v2, s[0:1], s8, v2
	v_addc_co_u32_e64 v3, s[0:1], v11, v3, s[0:1]
	s_waitcnt lgkmcnt(0)
	v_pk_add_f32 v[6:7], v[6:7], v[8:9]
	s_and_saveexec_b64 s[4:5], vcc
	s_cbranch_execz .LBB140_7
; %bb.6:
	s_mov_b32 s0, 0x800000
	v_mov_b32_e32 v8, 0x4f800000
	v_cmp_gt_f32_e64 s[0:1], s0, v6
	v_cndmask_b32_e64 v8, 1.0, v8, s[0:1]
	v_mul_f32_e32 v6, v6, v8
	v_log_f32_e32 v6, v6
	s_mov_b32 s2, 0x3f317217
	v_sub_f32_e32 v0, v0, v4
	v_mul_f32_e32 v8, 0x3f317217, v6
	v_fma_f32 v9, v6, s2, -v8
	v_fmac_f32_e32 v9, 0x3377d1cf, v6
	s_mov_b32 s2, 0x7f800000
	v_add_f32_e32 v8, v8, v9
	v_cmp_lt_f32_e64 s[2:3], |v6|, s2
	v_cndmask_b32_e64 v6, v6, v8, s[2:3]
	v_mov_b32_e32 v8, 0x41b17218
	v_cndmask_b32_e64 v8, 0, v8, s[0:1]
	v_sub_f32_e32 v6, v6, v8
	v_sub_f32_e32 v0, v0, v6
	v_bfe_u32 v4, v0, 16, 1
	s_movk_i32 s0, 0x7fff
	v_add3_u32 v4, v0, v4, s0
	v_lshrrev_b32_e32 v4, 16, v4
	v_mov_b32_e32 v6, 0x7fc0
	v_cmp_o_f32_e64 s[0:1], v0, v0
	v_cndmask_b32_e64 v0, v6, v4, s[0:1]
	global_store_short v[2:3], v0, off
.LBB140_7:
	s_or_b64 exec, exec, s[4:5]
	v_cmp_ne_u32_e64 s[0:1], 1, v10
	s_and_b64 exec, exec, s[0:1]
	s_cbranch_execz .LBB140_10
; %bb.8:
	s_and_b64 exec, exec, vcc
	s_cbranch_execz .LBB140_10
; %bb.9:
	s_mov_b32 s0, 0x800000
	v_mov_b32_e32 v0, 0x4f800000
	v_cmp_gt_f32_e32 vcc, s0, v7
	v_cndmask_b32_e32 v0, 1.0, v0, vcc
	v_mul_f32_e32 v0, v7, v0
	v_log_f32_e32 v0, v0
	s_mov_b32 s0, 0x3f317217
	v_sub_f32_e32 v1, v1, v5
	s_mov_b32 s15, 0
	v_mul_f32_e32 v4, 0x3f317217, v0
	v_fma_f32 v6, v0, s0, -v4
	v_fmac_f32_e32 v6, 0x3377d1cf, v0
	s_mov_b32 s0, 0x7f800000
	v_add_f32_e32 v4, v4, v6
	v_cmp_lt_f32_e64 s[0:1], |v0|, s0
	v_cndmask_b32_e64 v0, v0, v4, s[0:1]
	v_mov_b32_e32 v4, 0x41b17218
	v_cndmask_b32_e32 v4, 0, v4, vcc
	v_sub_f32_e32 v0, v0, v4
	v_sub_f32_e32 v0, v1, v0
	v_bfe_u32 v1, v0, 16, 1
	s_movk_i32 s0, 0x7fff
	v_add3_u32 v1, v0, v1, s0
	v_lshrrev_b32_e32 v1, 16, v1
	v_mov_b32_e32 v4, 0x7fc0
	v_cmp_o_f32_e32 vcc, v0, v0
	s_lshl_b64 s[0:1], s[14:15], 1
	v_cndmask_b32_e32 v4, v4, v1, vcc
	v_mov_b32_e32 v1, s1
	v_add_co_u32_e32 v0, vcc, s0, v2
	v_addc_co_u32_e32 v1, vcc, v3, v1, vcc
	global_store_short v[0:1], v4, off
.LBB140_10:
	s_endpgm
	.section	.rodata,"a",@progbits
	.p2align	6, 0x0
	.amdhsa_kernel _ZN12_GLOBAL__N_120softmax_warp_forwardIN3c108BFloat16ES2_fLi4ELb1ELb0ELi32EEEvPT0_PKT_iiiPKbib
		.amdhsa_group_segment_fixed_size 0
		.amdhsa_private_segment_fixed_size 0
		.amdhsa_kernarg_size 304
		.amdhsa_user_sgpr_count 6
		.amdhsa_user_sgpr_private_segment_buffer 1
		.amdhsa_user_sgpr_dispatch_ptr 0
		.amdhsa_user_sgpr_queue_ptr 0
		.amdhsa_user_sgpr_kernarg_segment_ptr 1
		.amdhsa_user_sgpr_dispatch_id 0
		.amdhsa_user_sgpr_flat_scratch_init 0
		.amdhsa_user_sgpr_kernarg_preload_length 0
		.amdhsa_user_sgpr_kernarg_preload_offset 0
		.amdhsa_user_sgpr_private_segment_size 0
		.amdhsa_uses_dynamic_stack 0
		.amdhsa_system_sgpr_private_segment_wavefront_offset 0
		.amdhsa_system_sgpr_workgroup_id_x 1
		.amdhsa_system_sgpr_workgroup_id_y 0
		.amdhsa_system_sgpr_workgroup_id_z 0
		.amdhsa_system_sgpr_workgroup_info 0
		.amdhsa_system_vgpr_workitem_id 1
		.amdhsa_next_free_vgpr 17
		.amdhsa_next_free_sgpr 16
		.amdhsa_accum_offset 20
		.amdhsa_reserve_vcc 1
		.amdhsa_reserve_flat_scratch 0
		.amdhsa_float_round_mode_32 0
		.amdhsa_float_round_mode_16_64 0
		.amdhsa_float_denorm_mode_32 3
		.amdhsa_float_denorm_mode_16_64 3
		.amdhsa_dx10_clamp 1
		.amdhsa_ieee_mode 1
		.amdhsa_fp16_overflow 0
		.amdhsa_tg_split 0
		.amdhsa_exception_fp_ieee_invalid_op 0
		.amdhsa_exception_fp_denorm_src 0
		.amdhsa_exception_fp_ieee_div_zero 0
		.amdhsa_exception_fp_ieee_overflow 0
		.amdhsa_exception_fp_ieee_underflow 0
		.amdhsa_exception_fp_ieee_inexact 0
		.amdhsa_exception_int_div_zero 0
	.end_amdhsa_kernel
	.section	.text._ZN12_GLOBAL__N_120softmax_warp_forwardIN3c108BFloat16ES2_fLi4ELb1ELb0ELi32EEEvPT0_PKT_iiiPKbib,"axG",@progbits,_ZN12_GLOBAL__N_120softmax_warp_forwardIN3c108BFloat16ES2_fLi4ELb1ELb0ELi32EEEvPT0_PKT_iiiPKbib,comdat
.Lfunc_end140:
	.size	_ZN12_GLOBAL__N_120softmax_warp_forwardIN3c108BFloat16ES2_fLi4ELb1ELb0ELi32EEEvPT0_PKT_iiiPKbib, .Lfunc_end140-_ZN12_GLOBAL__N_120softmax_warp_forwardIN3c108BFloat16ES2_fLi4ELb1ELb0ELi32EEEvPT0_PKT_iiiPKbib
                                        ; -- End function
	.section	.AMDGPU.csdata,"",@progbits
; Kernel info:
; codeLenInByte = 1320
; NumSgprs: 20
; NumVgprs: 17
; NumAgprs: 0
; TotalNumVgprs: 17
; ScratchSize: 0
; MemoryBound: 0
; FloatMode: 240
; IeeeMode: 1
; LDSByteSize: 0 bytes/workgroup (compile time only)
; SGPRBlocks: 2
; VGPRBlocks: 2
; NumSGPRsForWavesPerEU: 20
; NumVGPRsForWavesPerEU: 17
; AccumOffset: 20
; Occupancy: 8
; WaveLimiterHint : 0
; COMPUTE_PGM_RSRC2:SCRATCH_EN: 0
; COMPUTE_PGM_RSRC2:USER_SGPR: 6
; COMPUTE_PGM_RSRC2:TRAP_HANDLER: 0
; COMPUTE_PGM_RSRC2:TGID_X_EN: 1
; COMPUTE_PGM_RSRC2:TGID_Y_EN: 0
; COMPUTE_PGM_RSRC2:TGID_Z_EN: 0
; COMPUTE_PGM_RSRC2:TIDIG_COMP_CNT: 1
; COMPUTE_PGM_RSRC3_GFX90A:ACCUM_OFFSET: 4
; COMPUTE_PGM_RSRC3_GFX90A:TG_SPLIT: 0
	.section	.text._ZN12_GLOBAL__N_120softmax_warp_forwardIN3c108BFloat16ES2_fLi5ELb1ELb0ELi64EEEvPT0_PKT_iiiPKbib,"axG",@progbits,_ZN12_GLOBAL__N_120softmax_warp_forwardIN3c108BFloat16ES2_fLi5ELb1ELb0ELi64EEEvPT0_PKT_iiiPKbib,comdat
	.globl	_ZN12_GLOBAL__N_120softmax_warp_forwardIN3c108BFloat16ES2_fLi5ELb1ELb0ELi64EEEvPT0_PKT_iiiPKbib ; -- Begin function _ZN12_GLOBAL__N_120softmax_warp_forwardIN3c108BFloat16ES2_fLi5ELb1ELb0ELi64EEEvPT0_PKT_iiiPKbib
	.p2align	8
	.type	_ZN12_GLOBAL__N_120softmax_warp_forwardIN3c108BFloat16ES2_fLi5ELb1ELb0ELi64EEEvPT0_PKT_iiiPKbib,@function
_ZN12_GLOBAL__N_120softmax_warp_forwardIN3c108BFloat16ES2_fLi5ELb1ELb0ELi64EEEvPT0_PKT_iiiPKbib: ; @_ZN12_GLOBAL__N_120softmax_warp_forwardIN3c108BFloat16ES2_fLi5ELb1ELb0ELi64EEEvPT0_PKT_iiiPKbib
; %bb.0:
	s_load_dword s0, s[4:5], 0x3c
	s_load_dwordx8 s[8:15], s[4:5], 0x0
	v_bfe_u32 v1, v0, 10, 10
	v_and_b32_e32 v0, 0x3ff, v0
	s_waitcnt lgkmcnt(0)
	s_lshr_b32 s0, s0, 16
	s_mul_i32 s6, s6, s0
	v_add_lshl_u32 v1, s6, v1, 1
	v_mad_u64_u32 v[2:3], s[0:1], v1, s13, v[0:1]
	v_ashrrev_i32_e32 v3, 31, v2
	v_lshlrev_b64 v[2:3], 1, v[2:3]
	v_sub_u32_e32 v10, s12, v1
	v_mov_b32_e32 v1, s11
	v_add_co_u32_e32 v4, vcc, s10, v2
	v_addc_co_u32_e32 v5, vcc, v1, v3, vcc
	v_cmp_gt_i32_e32 vcc, s14, v0
	v_cmp_lt_i32_e64 s[0:1], 0, v10
	s_and_b64 s[4:5], vcc, s[0:1]
	v_mov_b32_e32 v1, 0xff800000
	v_mov_b32_e32 v0, 0xff800000
	s_and_saveexec_b64 s[2:3], s[4:5]
	s_cbranch_execz .LBB141_2
; %bb.1:
	global_load_ushort v0, v[4:5], off
	s_waitcnt vmcnt(0)
	v_lshlrev_b32_e32 v0, 16, v0
.LBB141_2:
	s_or_b64 exec, exec, s[2:3]
	v_cmp_lt_i32_e64 s[2:3], 1, v10
	s_and_b64 s[2:3], vcc, s[2:3]
	s_and_saveexec_b64 s[4:5], s[2:3]
	s_cbranch_execz .LBB141_4
; %bb.3:
	s_mov_b32 s15, 0
	s_lshl_b64 s[2:3], s[14:15], 1
	v_mov_b32_e32 v1, s3
	v_add_co_u32_e64 v4, s[2:3], s2, v4
	v_addc_co_u32_e64 v5, s[2:3], v5, v1, s[2:3]
	global_load_ushort v1, v[4:5], off
	s_waitcnt vmcnt(0)
	v_lshlrev_b32_e32 v1, 16, v1
.LBB141_4:
	s_or_b64 exec, exec, s[4:5]
	v_mbcnt_lo_u32_b32 v4, -1, 0
	v_mbcnt_hi_u32_b32 v4, -1, v4
	v_and_b32_e32 v5, 0x60, v4
	v_add_u32_e32 v5, 32, v5
	v_xor_b32_e32 v6, 16, v4
	v_cmp_lt_i32_e64 s[2:3], v6, v5
	v_cndmask_b32_e64 v6, v4, v6, s[2:3]
	v_lshlrev_b32_e32 v9, 2, v6
	ds_bpermute_b32 v7, v9, v1
	ds_bpermute_b32 v6, v9, v0
	v_xor_b32_e32 v8, 8, v4
	v_cmp_lt_i32_e64 s[2:3], v8, v5
	v_cndmask_b32_e64 v8, v4, v8, s[2:3]
	s_waitcnt lgkmcnt(1)
	v_cmp_lt_f32_e64 s[2:3], v1, v7
	v_lshlrev_b32_e32 v11, 2, v8
	v_cndmask_b32_e64 v7, v1, v7, s[2:3]
	s_waitcnt lgkmcnt(0)
	v_cmp_lt_f32_e64 s[2:3], v0, v6
	ds_bpermute_b32 v8, v11, v7
	v_cndmask_b32_e64 v6, v0, v6, s[2:3]
	ds_bpermute_b32 v12, v11, v6
	v_xor_b32_e32 v14, 2, v4
	v_xor_b32_e32 v15, 1, v4
	s_waitcnt lgkmcnt(1)
	v_cmp_lt_f32_e64 s[2:3], v7, v8
	v_cndmask_b32_e64 v7, v7, v8, s[2:3]
	s_waitcnt lgkmcnt(0)
	v_cmp_lt_f32_e64 s[2:3], v6, v12
	v_xor_b32_e32 v8, 4, v4
	v_cndmask_b32_e64 v6, v6, v12, s[2:3]
	v_cmp_lt_i32_e64 s[2:3], v8, v5
	v_cndmask_b32_e64 v8, v4, v8, s[2:3]
	v_lshlrev_b32_e32 v12, 2, v8
	ds_bpermute_b32 v13, v12, v7
	ds_bpermute_b32 v8, v12, v6
	v_cmp_lt_i32_e64 s[2:3], v14, v5
	v_cndmask_b32_e64 v14, v4, v14, s[2:3]
	v_cmp_lt_i32_e64 s[2:3], v15, v5
	v_cndmask_b32_e64 v4, v4, v15, s[2:3]
	s_waitcnt lgkmcnt(1)
	v_cmp_lt_f32_e64 s[2:3], v7, v13
	v_lshlrev_b32_e32 v14, 2, v14
	v_cndmask_b32_e64 v5, v7, v13, s[2:3]
	s_waitcnt lgkmcnt(0)
	v_cmp_lt_f32_e64 s[2:3], v6, v8
	ds_bpermute_b32 v7, v14, v5
	v_cndmask_b32_e64 v6, v6, v8, s[2:3]
	ds_bpermute_b32 v8, v14, v6
	v_lshlrev_b32_e32 v13, 2, v4
	s_mov_b32 s4, 0x3fb8aa3b
	s_waitcnt lgkmcnt(1)
	v_cmp_lt_f32_e64 s[2:3], v5, v7
	v_cndmask_b32_e64 v4, v5, v7, s[2:3]
	s_waitcnt lgkmcnt(0)
	v_cmp_lt_f32_e64 s[2:3], v6, v8
	ds_bpermute_b32 v5, v13, v4
	v_cndmask_b32_e64 v6, v6, v8, s[2:3]
	ds_bpermute_b32 v7, v13, v6
	s_mov_b32 s5, 0xc2ce8ed0
	s_mov_b32 s6, 0x42b17218
	s_waitcnt lgkmcnt(1)
	v_cmp_lt_f32_e64 s[2:3], v4, v5
	v_cndmask_b32_e64 v5, v4, v5, s[2:3]
	s_waitcnt lgkmcnt(0)
	v_cmp_lt_f32_e64 s[2:3], v6, v7
	v_cndmask_b32_e64 v4, v6, v7, s[2:3]
	v_pk_add_f32 v[6:7], v[0:1], v[4:5] neg_lo:[0,1] neg_hi:[0,1]
	v_mul_f32_e32 v8, 0x3fb8aa3b, v7
	v_fma_f32 v15, v7, s4, -v8
	v_rndne_f32_e32 v16, v8
	v_fmac_f32_e32 v15, 0x32a5705f, v7
	v_sub_f32_e32 v8, v8, v16
	v_add_f32_e32 v8, v8, v15
	v_exp_f32_e32 v8, v8
	v_cvt_i32_f32_e32 v15, v16
	v_cmp_ngt_f32_e64 s[2:3], s5, v7
	v_ldexp_f32 v8, v8, v15
	v_mul_f32_e32 v15, 0x3fb8aa3b, v6
	v_fma_f32 v16, v6, s4, -v15
	v_rndne_f32_e32 v17, v15
	v_fmac_f32_e32 v16, 0x32a5705f, v6
	v_sub_f32_e32 v15, v15, v17
	v_add_f32_e32 v15, v15, v16
	v_exp_f32_e32 v15, v15
	v_cvt_i32_f32_e32 v16, v17
	v_cndmask_b32_e64 v8, 0, v8, s[2:3]
	v_mov_b32_e32 v17, 0x7f800000
	v_cmp_nlt_f32_e64 s[2:3], s6, v7
	v_cndmask_b32_e64 v7, v17, v8, s[2:3]
	v_ldexp_f32 v8, v15, v16
	v_cmp_ngt_f32_e64 s[2:3], s5, v6
	v_cndmask_b32_e64 v8, 0, v8, s[2:3]
	v_cmp_nlt_f32_e64 s[2:3], s6, v6
	v_cndmask_b32_e64 v6, v17, v8, s[2:3]
	ds_bpermute_b32 v8, v9, v6
	ds_bpermute_b32 v9, v9, v7
	s_waitcnt lgkmcnt(0)
	v_pk_add_f32 v[6:7], v[6:7], v[8:9]
	ds_bpermute_b32 v8, v11, v6
	ds_bpermute_b32 v9, v11, v7
	s_waitcnt lgkmcnt(0)
	v_pk_add_f32 v[6:7], v[6:7], v[8:9]
	;; [unrolled: 4-line block ×4, first 2 shown]
	ds_bpermute_b32 v8, v13, v6
	ds_bpermute_b32 v9, v13, v7
	s_and_saveexec_b64 s[2:3], s[0:1]
	s_cbranch_execz .LBB141_10
; %bb.5:
	v_mov_b32_e32 v11, s9
	v_add_co_u32_e64 v2, s[0:1], s8, v2
	v_addc_co_u32_e64 v3, s[0:1], v11, v3, s[0:1]
	s_waitcnt lgkmcnt(0)
	v_pk_add_f32 v[6:7], v[6:7], v[8:9]
	s_and_saveexec_b64 s[4:5], vcc
	s_cbranch_execz .LBB141_7
; %bb.6:
	s_mov_b32 s0, 0x800000
	v_mov_b32_e32 v8, 0x4f800000
	v_cmp_gt_f32_e64 s[0:1], s0, v6
	v_cndmask_b32_e64 v8, 1.0, v8, s[0:1]
	v_mul_f32_e32 v6, v6, v8
	v_log_f32_e32 v6, v6
	s_mov_b32 s2, 0x3f317217
	v_sub_f32_e32 v0, v0, v4
	v_mul_f32_e32 v8, 0x3f317217, v6
	v_fma_f32 v9, v6, s2, -v8
	v_fmac_f32_e32 v9, 0x3377d1cf, v6
	s_mov_b32 s2, 0x7f800000
	v_add_f32_e32 v8, v8, v9
	v_cmp_lt_f32_e64 s[2:3], |v6|, s2
	v_cndmask_b32_e64 v6, v6, v8, s[2:3]
	v_mov_b32_e32 v8, 0x41b17218
	v_cndmask_b32_e64 v8, 0, v8, s[0:1]
	v_sub_f32_e32 v6, v6, v8
	v_sub_f32_e32 v0, v0, v6
	v_bfe_u32 v4, v0, 16, 1
	s_movk_i32 s0, 0x7fff
	v_add3_u32 v4, v0, v4, s0
	v_lshrrev_b32_e32 v4, 16, v4
	v_mov_b32_e32 v6, 0x7fc0
	v_cmp_o_f32_e64 s[0:1], v0, v0
	v_cndmask_b32_e64 v0, v6, v4, s[0:1]
	global_store_short v[2:3], v0, off
.LBB141_7:
	s_or_b64 exec, exec, s[4:5]
	v_cmp_ne_u32_e64 s[0:1], 1, v10
	s_and_b64 exec, exec, s[0:1]
	s_cbranch_execz .LBB141_10
; %bb.8:
	s_and_b64 exec, exec, vcc
	s_cbranch_execz .LBB141_10
; %bb.9:
	s_mov_b32 s0, 0x800000
	v_mov_b32_e32 v0, 0x4f800000
	v_cmp_gt_f32_e32 vcc, s0, v7
	v_cndmask_b32_e32 v0, 1.0, v0, vcc
	v_mul_f32_e32 v0, v7, v0
	v_log_f32_e32 v0, v0
	s_mov_b32 s0, 0x3f317217
	v_sub_f32_e32 v1, v1, v5
	s_mov_b32 s15, 0
	v_mul_f32_e32 v4, 0x3f317217, v0
	v_fma_f32 v6, v0, s0, -v4
	v_fmac_f32_e32 v6, 0x3377d1cf, v0
	s_mov_b32 s0, 0x7f800000
	v_add_f32_e32 v4, v4, v6
	v_cmp_lt_f32_e64 s[0:1], |v0|, s0
	v_cndmask_b32_e64 v0, v0, v4, s[0:1]
	v_mov_b32_e32 v4, 0x41b17218
	v_cndmask_b32_e32 v4, 0, v4, vcc
	v_sub_f32_e32 v0, v0, v4
	v_sub_f32_e32 v0, v1, v0
	v_bfe_u32 v1, v0, 16, 1
	s_movk_i32 s0, 0x7fff
	v_add3_u32 v1, v0, v1, s0
	v_lshrrev_b32_e32 v1, 16, v1
	v_mov_b32_e32 v4, 0x7fc0
	v_cmp_o_f32_e32 vcc, v0, v0
	s_lshl_b64 s[0:1], s[14:15], 1
	v_cndmask_b32_e32 v4, v4, v1, vcc
	v_mov_b32_e32 v1, s1
	v_add_co_u32_e32 v0, vcc, s0, v2
	v_addc_co_u32_e32 v1, vcc, v3, v1, vcc
	global_store_short v[0:1], v4, off
.LBB141_10:
	s_endpgm
	.section	.rodata,"a",@progbits
	.p2align	6, 0x0
	.amdhsa_kernel _ZN12_GLOBAL__N_120softmax_warp_forwardIN3c108BFloat16ES2_fLi5ELb1ELb0ELi64EEEvPT0_PKT_iiiPKbib
		.amdhsa_group_segment_fixed_size 0
		.amdhsa_private_segment_fixed_size 0
		.amdhsa_kernarg_size 304
		.amdhsa_user_sgpr_count 6
		.amdhsa_user_sgpr_private_segment_buffer 1
		.amdhsa_user_sgpr_dispatch_ptr 0
		.amdhsa_user_sgpr_queue_ptr 0
		.amdhsa_user_sgpr_kernarg_segment_ptr 1
		.amdhsa_user_sgpr_dispatch_id 0
		.amdhsa_user_sgpr_flat_scratch_init 0
		.amdhsa_user_sgpr_kernarg_preload_length 0
		.amdhsa_user_sgpr_kernarg_preload_offset 0
		.amdhsa_user_sgpr_private_segment_size 0
		.amdhsa_uses_dynamic_stack 0
		.amdhsa_system_sgpr_private_segment_wavefront_offset 0
		.amdhsa_system_sgpr_workgroup_id_x 1
		.amdhsa_system_sgpr_workgroup_id_y 0
		.amdhsa_system_sgpr_workgroup_id_z 0
		.amdhsa_system_sgpr_workgroup_info 0
		.amdhsa_system_vgpr_workitem_id 1
		.amdhsa_next_free_vgpr 18
		.amdhsa_next_free_sgpr 16
		.amdhsa_accum_offset 20
		.amdhsa_reserve_vcc 1
		.amdhsa_reserve_flat_scratch 0
		.amdhsa_float_round_mode_32 0
		.amdhsa_float_round_mode_16_64 0
		.amdhsa_float_denorm_mode_32 3
		.amdhsa_float_denorm_mode_16_64 3
		.amdhsa_dx10_clamp 1
		.amdhsa_ieee_mode 1
		.amdhsa_fp16_overflow 0
		.amdhsa_tg_split 0
		.amdhsa_exception_fp_ieee_invalid_op 0
		.amdhsa_exception_fp_denorm_src 0
		.amdhsa_exception_fp_ieee_div_zero 0
		.amdhsa_exception_fp_ieee_overflow 0
		.amdhsa_exception_fp_ieee_underflow 0
		.amdhsa_exception_fp_ieee_inexact 0
		.amdhsa_exception_int_div_zero 0
	.end_amdhsa_kernel
	.section	.text._ZN12_GLOBAL__N_120softmax_warp_forwardIN3c108BFloat16ES2_fLi5ELb1ELb0ELi64EEEvPT0_PKT_iiiPKbib,"axG",@progbits,_ZN12_GLOBAL__N_120softmax_warp_forwardIN3c108BFloat16ES2_fLi5ELb1ELb0ELi64EEEvPT0_PKT_iiiPKbib,comdat
.Lfunc_end141:
	.size	_ZN12_GLOBAL__N_120softmax_warp_forwardIN3c108BFloat16ES2_fLi5ELb1ELb0ELi64EEEvPT0_PKT_iiiPKbib, .Lfunc_end141-_ZN12_GLOBAL__N_120softmax_warp_forwardIN3c108BFloat16ES2_fLi5ELb1ELb0ELi64EEEvPT0_PKT_iiiPKbib
                                        ; -- End function
	.section	.AMDGPU.csdata,"",@progbits
; Kernel info:
; codeLenInByte = 1428
; NumSgprs: 20
; NumVgprs: 18
; NumAgprs: 0
; TotalNumVgprs: 18
; ScratchSize: 0
; MemoryBound: 0
; FloatMode: 240
; IeeeMode: 1
; LDSByteSize: 0 bytes/workgroup (compile time only)
; SGPRBlocks: 2
; VGPRBlocks: 2
; NumSGPRsForWavesPerEU: 20
; NumVGPRsForWavesPerEU: 18
; AccumOffset: 20
; Occupancy: 8
; WaveLimiterHint : 0
; COMPUTE_PGM_RSRC2:SCRATCH_EN: 0
; COMPUTE_PGM_RSRC2:USER_SGPR: 6
; COMPUTE_PGM_RSRC2:TRAP_HANDLER: 0
; COMPUTE_PGM_RSRC2:TGID_X_EN: 1
; COMPUTE_PGM_RSRC2:TGID_Y_EN: 0
; COMPUTE_PGM_RSRC2:TGID_Z_EN: 0
; COMPUTE_PGM_RSRC2:TIDIG_COMP_CNT: 1
; COMPUTE_PGM_RSRC3_GFX90A:ACCUM_OFFSET: 4
; COMPUTE_PGM_RSRC3_GFX90A:TG_SPLIT: 0
	.section	.text._ZN12_GLOBAL__N_120softmax_warp_forwardIN3c108BFloat16ES2_fLi5ELb1ELb0ELi32EEEvPT0_PKT_iiiPKbib,"axG",@progbits,_ZN12_GLOBAL__N_120softmax_warp_forwardIN3c108BFloat16ES2_fLi5ELb1ELb0ELi32EEEvPT0_PKT_iiiPKbib,comdat
	.globl	_ZN12_GLOBAL__N_120softmax_warp_forwardIN3c108BFloat16ES2_fLi5ELb1ELb0ELi32EEEvPT0_PKT_iiiPKbib ; -- Begin function _ZN12_GLOBAL__N_120softmax_warp_forwardIN3c108BFloat16ES2_fLi5ELb1ELb0ELi32EEEvPT0_PKT_iiiPKbib
	.p2align	8
	.type	_ZN12_GLOBAL__N_120softmax_warp_forwardIN3c108BFloat16ES2_fLi5ELb1ELb0ELi32EEEvPT0_PKT_iiiPKbib,@function
_ZN12_GLOBAL__N_120softmax_warp_forwardIN3c108BFloat16ES2_fLi5ELb1ELb0ELi32EEEvPT0_PKT_iiiPKbib: ; @_ZN12_GLOBAL__N_120softmax_warp_forwardIN3c108BFloat16ES2_fLi5ELb1ELb0ELi32EEEvPT0_PKT_iiiPKbib
; %bb.0:
	s_load_dword s0, s[4:5], 0x3c
	s_load_dwordx8 s[8:15], s[4:5], 0x0
	v_bfe_u32 v1, v0, 10, 10
	v_and_b32_e32 v0, 0x3ff, v0
	s_waitcnt lgkmcnt(0)
	s_lshr_b32 s0, s0, 16
	s_mul_i32 s6, s6, s0
	v_add_lshl_u32 v1, s6, v1, 1
	v_mad_u64_u32 v[2:3], s[0:1], v1, s13, v[0:1]
	v_ashrrev_i32_e32 v3, 31, v2
	v_lshlrev_b64 v[2:3], 1, v[2:3]
	v_sub_u32_e32 v10, s12, v1
	v_mov_b32_e32 v1, s11
	v_add_co_u32_e32 v4, vcc, s10, v2
	v_addc_co_u32_e32 v5, vcc, v1, v3, vcc
	v_cmp_gt_i32_e32 vcc, s14, v0
	v_cmp_lt_i32_e64 s[0:1], 0, v10
	s_and_b64 s[4:5], vcc, s[0:1]
	v_mov_b32_e32 v1, 0xff800000
	v_mov_b32_e32 v0, 0xff800000
	s_and_saveexec_b64 s[2:3], s[4:5]
	s_cbranch_execz .LBB142_2
; %bb.1:
	global_load_ushort v0, v[4:5], off
	s_waitcnt vmcnt(0)
	v_lshlrev_b32_e32 v0, 16, v0
.LBB142_2:
	s_or_b64 exec, exec, s[2:3]
	v_cmp_lt_i32_e64 s[2:3], 1, v10
	s_and_b64 s[2:3], vcc, s[2:3]
	s_and_saveexec_b64 s[4:5], s[2:3]
	s_cbranch_execz .LBB142_4
; %bb.3:
	s_mov_b32 s15, 0
	s_lshl_b64 s[2:3], s[14:15], 1
	v_mov_b32_e32 v1, s3
	v_add_co_u32_e64 v4, s[2:3], s2, v4
	v_addc_co_u32_e64 v5, s[2:3], v5, v1, s[2:3]
	global_load_ushort v1, v[4:5], off
	s_waitcnt vmcnt(0)
	v_lshlrev_b32_e32 v1, 16, v1
.LBB142_4:
	s_or_b64 exec, exec, s[4:5]
	v_mbcnt_lo_u32_b32 v4, -1, 0
	v_mbcnt_hi_u32_b32 v4, -1, v4
	v_and_b32_e32 v5, 0x60, v4
	v_add_u32_e32 v5, 32, v5
	v_xor_b32_e32 v6, 16, v4
	v_cmp_lt_i32_e64 s[2:3], v6, v5
	v_cndmask_b32_e64 v6, v4, v6, s[2:3]
	v_lshlrev_b32_e32 v9, 2, v6
	ds_bpermute_b32 v7, v9, v1
	ds_bpermute_b32 v6, v9, v0
	v_xor_b32_e32 v8, 8, v4
	v_cmp_lt_i32_e64 s[2:3], v8, v5
	v_cndmask_b32_e64 v8, v4, v8, s[2:3]
	s_waitcnt lgkmcnt(1)
	v_cmp_lt_f32_e64 s[2:3], v1, v7
	v_lshlrev_b32_e32 v11, 2, v8
	v_cndmask_b32_e64 v7, v1, v7, s[2:3]
	s_waitcnt lgkmcnt(0)
	v_cmp_lt_f32_e64 s[2:3], v0, v6
	ds_bpermute_b32 v8, v11, v7
	v_cndmask_b32_e64 v6, v0, v6, s[2:3]
	ds_bpermute_b32 v12, v11, v6
	v_xor_b32_e32 v14, 2, v4
	v_xor_b32_e32 v15, 1, v4
	s_waitcnt lgkmcnt(1)
	v_cmp_lt_f32_e64 s[2:3], v7, v8
	v_cndmask_b32_e64 v7, v7, v8, s[2:3]
	s_waitcnt lgkmcnt(0)
	v_cmp_lt_f32_e64 s[2:3], v6, v12
	v_xor_b32_e32 v8, 4, v4
	v_cndmask_b32_e64 v6, v6, v12, s[2:3]
	v_cmp_lt_i32_e64 s[2:3], v8, v5
	v_cndmask_b32_e64 v8, v4, v8, s[2:3]
	v_lshlrev_b32_e32 v12, 2, v8
	ds_bpermute_b32 v13, v12, v7
	ds_bpermute_b32 v8, v12, v6
	v_cmp_lt_i32_e64 s[2:3], v14, v5
	v_cndmask_b32_e64 v14, v4, v14, s[2:3]
	v_cmp_lt_i32_e64 s[2:3], v15, v5
	v_cndmask_b32_e64 v4, v4, v15, s[2:3]
	s_waitcnt lgkmcnt(1)
	v_cmp_lt_f32_e64 s[2:3], v7, v13
	v_lshlrev_b32_e32 v14, 2, v14
	v_cndmask_b32_e64 v5, v7, v13, s[2:3]
	s_waitcnt lgkmcnt(0)
	v_cmp_lt_f32_e64 s[2:3], v6, v8
	ds_bpermute_b32 v7, v14, v5
	v_cndmask_b32_e64 v6, v6, v8, s[2:3]
	ds_bpermute_b32 v8, v14, v6
	v_lshlrev_b32_e32 v13, 2, v4
	s_mov_b32 s4, 0x3fb8aa3b
	s_waitcnt lgkmcnt(1)
	v_cmp_lt_f32_e64 s[2:3], v5, v7
	v_cndmask_b32_e64 v4, v5, v7, s[2:3]
	s_waitcnt lgkmcnt(0)
	v_cmp_lt_f32_e64 s[2:3], v6, v8
	ds_bpermute_b32 v5, v13, v4
	v_cndmask_b32_e64 v6, v6, v8, s[2:3]
	ds_bpermute_b32 v7, v13, v6
	s_mov_b32 s5, 0xc2ce8ed0
	s_mov_b32 s6, 0x42b17218
	s_waitcnt lgkmcnt(1)
	v_cmp_lt_f32_e64 s[2:3], v4, v5
	v_cndmask_b32_e64 v5, v4, v5, s[2:3]
	s_waitcnt lgkmcnt(0)
	v_cmp_lt_f32_e64 s[2:3], v6, v7
	v_cndmask_b32_e64 v4, v6, v7, s[2:3]
	v_pk_add_f32 v[6:7], v[0:1], v[4:5] neg_lo:[0,1] neg_hi:[0,1]
	v_mul_f32_e32 v8, 0x3fb8aa3b, v7
	v_fma_f32 v15, v7, s4, -v8
	v_rndne_f32_e32 v16, v8
	v_fmac_f32_e32 v15, 0x32a5705f, v7
	v_sub_f32_e32 v8, v8, v16
	v_add_f32_e32 v8, v8, v15
	v_exp_f32_e32 v8, v8
	v_cvt_i32_f32_e32 v15, v16
	v_cmp_ngt_f32_e64 s[2:3], s5, v7
	v_ldexp_f32 v8, v8, v15
	v_mul_f32_e32 v15, 0x3fb8aa3b, v6
	v_fma_f32 v16, v6, s4, -v15
	v_rndne_f32_e32 v17, v15
	v_fmac_f32_e32 v16, 0x32a5705f, v6
	v_sub_f32_e32 v15, v15, v17
	v_add_f32_e32 v15, v15, v16
	v_exp_f32_e32 v15, v15
	v_cvt_i32_f32_e32 v16, v17
	v_cndmask_b32_e64 v8, 0, v8, s[2:3]
	v_mov_b32_e32 v17, 0x7f800000
	v_cmp_nlt_f32_e64 s[2:3], s6, v7
	v_cndmask_b32_e64 v7, v17, v8, s[2:3]
	v_ldexp_f32 v8, v15, v16
	v_cmp_ngt_f32_e64 s[2:3], s5, v6
	v_cndmask_b32_e64 v8, 0, v8, s[2:3]
	v_cmp_nlt_f32_e64 s[2:3], s6, v6
	v_cndmask_b32_e64 v6, v17, v8, s[2:3]
	ds_bpermute_b32 v8, v9, v6
	ds_bpermute_b32 v9, v9, v7
	s_waitcnt lgkmcnt(0)
	v_pk_add_f32 v[6:7], v[6:7], v[8:9]
	ds_bpermute_b32 v8, v11, v6
	ds_bpermute_b32 v9, v11, v7
	s_waitcnt lgkmcnt(0)
	v_pk_add_f32 v[6:7], v[6:7], v[8:9]
	ds_bpermute_b32 v8, v12, v6
	ds_bpermute_b32 v9, v12, v7
	s_waitcnt lgkmcnt(0)
	v_pk_add_f32 v[6:7], v[6:7], v[8:9]
	ds_bpermute_b32 v8, v14, v6
	ds_bpermute_b32 v9, v14, v7
	s_waitcnt lgkmcnt(0)
	v_pk_add_f32 v[6:7], v[6:7], v[8:9]
	ds_bpermute_b32 v8, v13, v6
	ds_bpermute_b32 v9, v13, v7
	s_and_saveexec_b64 s[2:3], s[0:1]
	s_cbranch_execz .LBB142_10
; %bb.5:
	v_mov_b32_e32 v11, s9
	v_add_co_u32_e64 v2, s[0:1], s8, v2
	v_addc_co_u32_e64 v3, s[0:1], v11, v3, s[0:1]
	s_waitcnt lgkmcnt(0)
	v_pk_add_f32 v[6:7], v[6:7], v[8:9]
	s_and_saveexec_b64 s[4:5], vcc
	s_cbranch_execz .LBB142_7
; %bb.6:
	s_mov_b32 s0, 0x800000
	v_mov_b32_e32 v8, 0x4f800000
	v_cmp_gt_f32_e64 s[0:1], s0, v6
	v_cndmask_b32_e64 v8, 1.0, v8, s[0:1]
	v_mul_f32_e32 v6, v6, v8
	v_log_f32_e32 v6, v6
	s_mov_b32 s2, 0x3f317217
	v_sub_f32_e32 v0, v0, v4
	v_mul_f32_e32 v8, 0x3f317217, v6
	v_fma_f32 v9, v6, s2, -v8
	v_fmac_f32_e32 v9, 0x3377d1cf, v6
	s_mov_b32 s2, 0x7f800000
	v_add_f32_e32 v8, v8, v9
	v_cmp_lt_f32_e64 s[2:3], |v6|, s2
	v_cndmask_b32_e64 v6, v6, v8, s[2:3]
	v_mov_b32_e32 v8, 0x41b17218
	v_cndmask_b32_e64 v8, 0, v8, s[0:1]
	v_sub_f32_e32 v6, v6, v8
	v_sub_f32_e32 v0, v0, v6
	v_bfe_u32 v4, v0, 16, 1
	s_movk_i32 s0, 0x7fff
	v_add3_u32 v4, v0, v4, s0
	v_lshrrev_b32_e32 v4, 16, v4
	v_mov_b32_e32 v6, 0x7fc0
	v_cmp_o_f32_e64 s[0:1], v0, v0
	v_cndmask_b32_e64 v0, v6, v4, s[0:1]
	global_store_short v[2:3], v0, off
.LBB142_7:
	s_or_b64 exec, exec, s[4:5]
	v_cmp_ne_u32_e64 s[0:1], 1, v10
	s_and_b64 exec, exec, s[0:1]
	s_cbranch_execz .LBB142_10
; %bb.8:
	s_and_b64 exec, exec, vcc
	s_cbranch_execz .LBB142_10
; %bb.9:
	s_mov_b32 s0, 0x800000
	v_mov_b32_e32 v0, 0x4f800000
	v_cmp_gt_f32_e32 vcc, s0, v7
	v_cndmask_b32_e32 v0, 1.0, v0, vcc
	v_mul_f32_e32 v0, v7, v0
	v_log_f32_e32 v0, v0
	s_mov_b32 s0, 0x3f317217
	v_sub_f32_e32 v1, v1, v5
	s_mov_b32 s15, 0
	v_mul_f32_e32 v4, 0x3f317217, v0
	v_fma_f32 v6, v0, s0, -v4
	v_fmac_f32_e32 v6, 0x3377d1cf, v0
	s_mov_b32 s0, 0x7f800000
	v_add_f32_e32 v4, v4, v6
	v_cmp_lt_f32_e64 s[0:1], |v0|, s0
	v_cndmask_b32_e64 v0, v0, v4, s[0:1]
	v_mov_b32_e32 v4, 0x41b17218
	v_cndmask_b32_e32 v4, 0, v4, vcc
	v_sub_f32_e32 v0, v0, v4
	v_sub_f32_e32 v0, v1, v0
	v_bfe_u32 v1, v0, 16, 1
	s_movk_i32 s0, 0x7fff
	v_add3_u32 v1, v0, v1, s0
	v_lshrrev_b32_e32 v1, 16, v1
	v_mov_b32_e32 v4, 0x7fc0
	v_cmp_o_f32_e32 vcc, v0, v0
	s_lshl_b64 s[0:1], s[14:15], 1
	v_cndmask_b32_e32 v4, v4, v1, vcc
	v_mov_b32_e32 v1, s1
	v_add_co_u32_e32 v0, vcc, s0, v2
	v_addc_co_u32_e32 v1, vcc, v3, v1, vcc
	global_store_short v[0:1], v4, off
.LBB142_10:
	s_endpgm
	.section	.rodata,"a",@progbits
	.p2align	6, 0x0
	.amdhsa_kernel _ZN12_GLOBAL__N_120softmax_warp_forwardIN3c108BFloat16ES2_fLi5ELb1ELb0ELi32EEEvPT0_PKT_iiiPKbib
		.amdhsa_group_segment_fixed_size 0
		.amdhsa_private_segment_fixed_size 0
		.amdhsa_kernarg_size 304
		.amdhsa_user_sgpr_count 6
		.amdhsa_user_sgpr_private_segment_buffer 1
		.amdhsa_user_sgpr_dispatch_ptr 0
		.amdhsa_user_sgpr_queue_ptr 0
		.amdhsa_user_sgpr_kernarg_segment_ptr 1
		.amdhsa_user_sgpr_dispatch_id 0
		.amdhsa_user_sgpr_flat_scratch_init 0
		.amdhsa_user_sgpr_kernarg_preload_length 0
		.amdhsa_user_sgpr_kernarg_preload_offset 0
		.amdhsa_user_sgpr_private_segment_size 0
		.amdhsa_uses_dynamic_stack 0
		.amdhsa_system_sgpr_private_segment_wavefront_offset 0
		.amdhsa_system_sgpr_workgroup_id_x 1
		.amdhsa_system_sgpr_workgroup_id_y 0
		.amdhsa_system_sgpr_workgroup_id_z 0
		.amdhsa_system_sgpr_workgroup_info 0
		.amdhsa_system_vgpr_workitem_id 1
		.amdhsa_next_free_vgpr 18
		.amdhsa_next_free_sgpr 16
		.amdhsa_accum_offset 20
		.amdhsa_reserve_vcc 1
		.amdhsa_reserve_flat_scratch 0
		.amdhsa_float_round_mode_32 0
		.amdhsa_float_round_mode_16_64 0
		.amdhsa_float_denorm_mode_32 3
		.amdhsa_float_denorm_mode_16_64 3
		.amdhsa_dx10_clamp 1
		.amdhsa_ieee_mode 1
		.amdhsa_fp16_overflow 0
		.amdhsa_tg_split 0
		.amdhsa_exception_fp_ieee_invalid_op 0
		.amdhsa_exception_fp_denorm_src 0
		.amdhsa_exception_fp_ieee_div_zero 0
		.amdhsa_exception_fp_ieee_overflow 0
		.amdhsa_exception_fp_ieee_underflow 0
		.amdhsa_exception_fp_ieee_inexact 0
		.amdhsa_exception_int_div_zero 0
	.end_amdhsa_kernel
	.section	.text._ZN12_GLOBAL__N_120softmax_warp_forwardIN3c108BFloat16ES2_fLi5ELb1ELb0ELi32EEEvPT0_PKT_iiiPKbib,"axG",@progbits,_ZN12_GLOBAL__N_120softmax_warp_forwardIN3c108BFloat16ES2_fLi5ELb1ELb0ELi32EEEvPT0_PKT_iiiPKbib,comdat
.Lfunc_end142:
	.size	_ZN12_GLOBAL__N_120softmax_warp_forwardIN3c108BFloat16ES2_fLi5ELb1ELb0ELi32EEEvPT0_PKT_iiiPKbib, .Lfunc_end142-_ZN12_GLOBAL__N_120softmax_warp_forwardIN3c108BFloat16ES2_fLi5ELb1ELb0ELi32EEEvPT0_PKT_iiiPKbib
                                        ; -- End function
	.section	.AMDGPU.csdata,"",@progbits
; Kernel info:
; codeLenInByte = 1428
; NumSgprs: 20
; NumVgprs: 18
; NumAgprs: 0
; TotalNumVgprs: 18
; ScratchSize: 0
; MemoryBound: 0
; FloatMode: 240
; IeeeMode: 1
; LDSByteSize: 0 bytes/workgroup (compile time only)
; SGPRBlocks: 2
; VGPRBlocks: 2
; NumSGPRsForWavesPerEU: 20
; NumVGPRsForWavesPerEU: 18
; AccumOffset: 20
; Occupancy: 8
; WaveLimiterHint : 0
; COMPUTE_PGM_RSRC2:SCRATCH_EN: 0
; COMPUTE_PGM_RSRC2:USER_SGPR: 6
; COMPUTE_PGM_RSRC2:TRAP_HANDLER: 0
; COMPUTE_PGM_RSRC2:TGID_X_EN: 1
; COMPUTE_PGM_RSRC2:TGID_Y_EN: 0
; COMPUTE_PGM_RSRC2:TGID_Z_EN: 0
; COMPUTE_PGM_RSRC2:TIDIG_COMP_CNT: 1
; COMPUTE_PGM_RSRC3_GFX90A:ACCUM_OFFSET: 4
; COMPUTE_PGM_RSRC3_GFX90A:TG_SPLIT: 0
	.section	.text._ZN12_GLOBAL__N_120softmax_warp_forwardIN3c108BFloat16ES2_fLi6ELb1ELb0ELi64EEEvPT0_PKT_iiiPKbib,"axG",@progbits,_ZN12_GLOBAL__N_120softmax_warp_forwardIN3c108BFloat16ES2_fLi6ELb1ELb0ELi64EEEvPT0_PKT_iiiPKbib,comdat
	.globl	_ZN12_GLOBAL__N_120softmax_warp_forwardIN3c108BFloat16ES2_fLi6ELb1ELb0ELi64EEEvPT0_PKT_iiiPKbib ; -- Begin function _ZN12_GLOBAL__N_120softmax_warp_forwardIN3c108BFloat16ES2_fLi6ELb1ELb0ELi64EEEvPT0_PKT_iiiPKbib
	.p2align	8
	.type	_ZN12_GLOBAL__N_120softmax_warp_forwardIN3c108BFloat16ES2_fLi6ELb1ELb0ELi64EEEvPT0_PKT_iiiPKbib,@function
_ZN12_GLOBAL__N_120softmax_warp_forwardIN3c108BFloat16ES2_fLi6ELb1ELb0ELi64EEEvPT0_PKT_iiiPKbib: ; @_ZN12_GLOBAL__N_120softmax_warp_forwardIN3c108BFloat16ES2_fLi6ELb1ELb0ELi64EEEvPT0_PKT_iiiPKbib
; %bb.0:
	s_load_dword s0, s[4:5], 0x3c
	s_load_dwordx8 s[8:15], s[4:5], 0x0
	v_bfe_u32 v1, v0, 10, 10
	v_and_b32_e32 v0, 0x3ff, v0
	s_waitcnt lgkmcnt(0)
	s_lshr_b32 s0, s0, 16
	s_mul_i32 s6, s6, s0
	v_add_lshl_u32 v1, s6, v1, 1
	v_mad_u64_u32 v[2:3], s[0:1], v1, s13, v[0:1]
	v_ashrrev_i32_e32 v3, 31, v2
	v_lshlrev_b64 v[2:3], 1, v[2:3]
	v_sub_u32_e32 v10, s12, v1
	v_mov_b32_e32 v1, s11
	v_add_co_u32_e32 v4, vcc, s10, v2
	v_addc_co_u32_e32 v5, vcc, v1, v3, vcc
	v_cmp_gt_i32_e32 vcc, s14, v0
	v_cmp_lt_i32_e64 s[0:1], 0, v10
	s_and_b64 s[4:5], vcc, s[0:1]
	v_mov_b32_e32 v1, 0xff800000
	v_mov_b32_e32 v0, 0xff800000
	s_and_saveexec_b64 s[2:3], s[4:5]
	s_cbranch_execz .LBB143_2
; %bb.1:
	global_load_ushort v0, v[4:5], off
	s_waitcnt vmcnt(0)
	v_lshlrev_b32_e32 v0, 16, v0
.LBB143_2:
	s_or_b64 exec, exec, s[2:3]
	v_cmp_lt_i32_e64 s[2:3], 1, v10
	s_and_b64 s[2:3], vcc, s[2:3]
	s_and_saveexec_b64 s[4:5], s[2:3]
	s_cbranch_execz .LBB143_4
; %bb.3:
	s_mov_b32 s15, 0
	s_lshl_b64 s[2:3], s[14:15], 1
	v_mov_b32_e32 v1, s3
	v_add_co_u32_e64 v4, s[2:3], s2, v4
	v_addc_co_u32_e64 v5, s[2:3], v5, v1, s[2:3]
	global_load_ushort v1, v[4:5], off
	s_waitcnt vmcnt(0)
	v_lshlrev_b32_e32 v1, 16, v1
.LBB143_4:
	s_or_b64 exec, exec, s[4:5]
	v_mbcnt_lo_u32_b32 v4, -1, 0
	v_mbcnt_hi_u32_b32 v4, -1, v4
	v_and_b32_e32 v5, 64, v4
	v_add_u32_e32 v5, 64, v5
	v_xor_b32_e32 v6, 32, v4
	v_cmp_lt_i32_e64 s[2:3], v6, v5
	v_cndmask_b32_e64 v6, v4, v6, s[2:3]
	v_lshlrev_b32_e32 v9, 2, v6
	ds_bpermute_b32 v7, v9, v1
	v_xor_b32_e32 v8, 16, v4
	ds_bpermute_b32 v6, v9, v0
	v_cmp_lt_i32_e64 s[2:3], v8, v5
	v_cndmask_b32_e64 v8, v4, v8, s[2:3]
	v_lshlrev_b32_e32 v11, 2, v8
	v_xor_b32_e32 v8, 8, v4
	v_cmp_lt_i32_e64 s[2:3], v8, v5
	v_cndmask_b32_e64 v8, v4, v8, s[2:3]
	s_waitcnt lgkmcnt(1)
	v_cmp_lt_f32_e64 s[2:3], v1, v7
	v_cndmask_b32_e64 v7, v1, v7, s[2:3]
	s_waitcnt lgkmcnt(0)
	v_cmp_lt_f32_e64 s[2:3], v0, v6
	ds_bpermute_b32 v13, v11, v7
	v_cndmask_b32_e64 v6, v0, v6, s[2:3]
	ds_bpermute_b32 v14, v11, v6
	v_lshlrev_b32_e32 v12, 2, v8
	v_xor_b32_e32 v8, 4, v4
	v_cmp_lt_i32_e64 s[2:3], v8, v5
	v_cndmask_b32_e64 v8, v4, v8, s[2:3]
	s_waitcnt lgkmcnt(1)
	v_cmp_lt_f32_e64 s[2:3], v7, v13
	v_cndmask_b32_e64 v7, v7, v13, s[2:3]
	s_waitcnt lgkmcnt(0)
	v_cmp_lt_f32_e64 s[2:3], v6, v14
	ds_bpermute_b32 v13, v12, v7
	v_cndmask_b32_e64 v6, v6, v14, s[2:3]
	ds_bpermute_b32 v14, v12, v6
	v_lshlrev_b32_e32 v15, 2, v8
	v_xor_b32_e32 v16, 1, v4
	s_waitcnt lgkmcnt(1)
	v_cmp_lt_f32_e64 s[2:3], v7, v13
	v_cndmask_b32_e64 v7, v7, v13, s[2:3]
	s_waitcnt lgkmcnt(0)
	v_cmp_lt_f32_e64 s[2:3], v6, v14
	ds_bpermute_b32 v8, v15, v7
	v_cndmask_b32_e64 v6, v6, v14, s[2:3]
	ds_bpermute_b32 v13, v15, v6
	s_mov_b32 s4, 0x3fb8aa3b
	s_mov_b32 s5, 0xc2ce8ed0
	s_waitcnt lgkmcnt(1)
	v_cmp_lt_f32_e64 s[2:3], v7, v8
	v_cndmask_b32_e64 v7, v7, v8, s[2:3]
	s_waitcnt lgkmcnt(0)
	v_cmp_lt_f32_e64 s[2:3], v6, v13
	v_xor_b32_e32 v8, 2, v4
	v_cndmask_b32_e64 v6, v6, v13, s[2:3]
	v_cmp_lt_i32_e64 s[2:3], v8, v5
	v_cndmask_b32_e64 v8, v4, v8, s[2:3]
	v_lshlrev_b32_e32 v13, 2, v8
	ds_bpermute_b32 v14, v13, v7
	ds_bpermute_b32 v8, v13, v6
	v_cmp_lt_i32_e64 s[2:3], v16, v5
	v_cndmask_b32_e64 v4, v4, v16, s[2:3]
	v_lshlrev_b32_e32 v16, 2, v4
	s_waitcnt lgkmcnt(1)
	v_cmp_lt_f32_e64 s[2:3], v7, v14
	v_cndmask_b32_e64 v4, v7, v14, s[2:3]
	s_waitcnt lgkmcnt(0)
	v_cmp_lt_f32_e64 s[2:3], v6, v8
	ds_bpermute_b32 v5, v16, v4
	v_cndmask_b32_e64 v6, v6, v8, s[2:3]
	ds_bpermute_b32 v7, v16, v6
	s_mov_b32 s6, 0x42b17218
	s_waitcnt lgkmcnt(1)
	v_cmp_lt_f32_e64 s[2:3], v4, v5
	v_cndmask_b32_e64 v5, v4, v5, s[2:3]
	s_waitcnt lgkmcnt(0)
	v_cmp_lt_f32_e64 s[2:3], v6, v7
	v_cndmask_b32_e64 v4, v6, v7, s[2:3]
	v_pk_add_f32 v[6:7], v[0:1], v[4:5] neg_lo:[0,1] neg_hi:[0,1]
	v_mul_f32_e32 v8, 0x3fb8aa3b, v7
	v_fma_f32 v14, v7, s4, -v8
	v_rndne_f32_e32 v17, v8
	v_fmac_f32_e32 v14, 0x32a5705f, v7
	v_sub_f32_e32 v8, v8, v17
	v_add_f32_e32 v8, v8, v14
	v_exp_f32_e32 v8, v8
	v_cvt_i32_f32_e32 v14, v17
	v_cmp_ngt_f32_e64 s[2:3], s5, v7
	v_ldexp_f32 v8, v8, v14
	v_mul_f32_e32 v14, 0x3fb8aa3b, v6
	v_fma_f32 v17, v6, s4, -v14
	v_rndne_f32_e32 v18, v14
	v_fmac_f32_e32 v17, 0x32a5705f, v6
	v_sub_f32_e32 v14, v14, v18
	v_add_f32_e32 v14, v14, v17
	v_exp_f32_e32 v14, v14
	v_cvt_i32_f32_e32 v17, v18
	v_cndmask_b32_e64 v8, 0, v8, s[2:3]
	v_mov_b32_e32 v18, 0x7f800000
	v_cmp_nlt_f32_e64 s[2:3], s6, v7
	v_cndmask_b32_e64 v7, v18, v8, s[2:3]
	v_ldexp_f32 v8, v14, v17
	v_cmp_ngt_f32_e64 s[2:3], s5, v6
	v_cndmask_b32_e64 v8, 0, v8, s[2:3]
	v_cmp_nlt_f32_e64 s[2:3], s6, v6
	v_cndmask_b32_e64 v6, v18, v8, s[2:3]
	ds_bpermute_b32 v8, v9, v6
	ds_bpermute_b32 v9, v9, v7
	s_waitcnt lgkmcnt(0)
	v_pk_add_f32 v[6:7], v[6:7], v[8:9]
	ds_bpermute_b32 v8, v11, v6
	ds_bpermute_b32 v9, v11, v7
	s_waitcnt lgkmcnt(0)
	v_pk_add_f32 v[6:7], v[6:7], v[8:9]
	;; [unrolled: 4-line block ×5, first 2 shown]
	ds_bpermute_b32 v8, v16, v6
	ds_bpermute_b32 v9, v16, v7
	s_and_saveexec_b64 s[2:3], s[0:1]
	s_cbranch_execz .LBB143_10
; %bb.5:
	v_mov_b32_e32 v11, s9
	v_add_co_u32_e64 v2, s[0:1], s8, v2
	v_addc_co_u32_e64 v3, s[0:1], v11, v3, s[0:1]
	s_waitcnt lgkmcnt(0)
	v_pk_add_f32 v[6:7], v[6:7], v[8:9]
	s_and_saveexec_b64 s[4:5], vcc
	s_cbranch_execz .LBB143_7
; %bb.6:
	s_mov_b32 s0, 0x800000
	v_mov_b32_e32 v8, 0x4f800000
	v_cmp_gt_f32_e64 s[0:1], s0, v6
	v_cndmask_b32_e64 v8, 1.0, v8, s[0:1]
	v_mul_f32_e32 v6, v6, v8
	v_log_f32_e32 v6, v6
	s_mov_b32 s2, 0x3f317217
	v_sub_f32_e32 v0, v0, v4
	v_mul_f32_e32 v8, 0x3f317217, v6
	v_fma_f32 v9, v6, s2, -v8
	v_fmac_f32_e32 v9, 0x3377d1cf, v6
	s_mov_b32 s2, 0x7f800000
	v_add_f32_e32 v8, v8, v9
	v_cmp_lt_f32_e64 s[2:3], |v6|, s2
	v_cndmask_b32_e64 v6, v6, v8, s[2:3]
	v_mov_b32_e32 v8, 0x41b17218
	v_cndmask_b32_e64 v8, 0, v8, s[0:1]
	v_sub_f32_e32 v6, v6, v8
	v_sub_f32_e32 v0, v0, v6
	v_bfe_u32 v4, v0, 16, 1
	s_movk_i32 s0, 0x7fff
	v_add3_u32 v4, v0, v4, s0
	v_lshrrev_b32_e32 v4, 16, v4
	v_mov_b32_e32 v6, 0x7fc0
	v_cmp_o_f32_e64 s[0:1], v0, v0
	v_cndmask_b32_e64 v0, v6, v4, s[0:1]
	global_store_short v[2:3], v0, off
.LBB143_7:
	s_or_b64 exec, exec, s[4:5]
	v_cmp_ne_u32_e64 s[0:1], 1, v10
	s_and_b64 exec, exec, s[0:1]
	s_cbranch_execz .LBB143_10
; %bb.8:
	s_and_b64 exec, exec, vcc
	s_cbranch_execz .LBB143_10
; %bb.9:
	s_mov_b32 s0, 0x800000
	v_mov_b32_e32 v0, 0x4f800000
	v_cmp_gt_f32_e32 vcc, s0, v7
	v_cndmask_b32_e32 v0, 1.0, v0, vcc
	v_mul_f32_e32 v0, v7, v0
	v_log_f32_e32 v0, v0
	s_mov_b32 s0, 0x3f317217
	v_sub_f32_e32 v1, v1, v5
	s_mov_b32 s15, 0
	v_mul_f32_e32 v4, 0x3f317217, v0
	v_fma_f32 v6, v0, s0, -v4
	v_fmac_f32_e32 v6, 0x3377d1cf, v0
	s_mov_b32 s0, 0x7f800000
	v_add_f32_e32 v4, v4, v6
	v_cmp_lt_f32_e64 s[0:1], |v0|, s0
	v_cndmask_b32_e64 v0, v0, v4, s[0:1]
	v_mov_b32_e32 v4, 0x41b17218
	v_cndmask_b32_e32 v4, 0, v4, vcc
	v_sub_f32_e32 v0, v0, v4
	v_sub_f32_e32 v0, v1, v0
	v_bfe_u32 v1, v0, 16, 1
	s_movk_i32 s0, 0x7fff
	v_add3_u32 v1, v0, v1, s0
	v_lshrrev_b32_e32 v1, 16, v1
	v_mov_b32_e32 v4, 0x7fc0
	v_cmp_o_f32_e32 vcc, v0, v0
	s_lshl_b64 s[0:1], s[14:15], 1
	v_cndmask_b32_e32 v4, v4, v1, vcc
	v_mov_b32_e32 v1, s1
	v_add_co_u32_e32 v0, vcc, s0, v2
	v_addc_co_u32_e32 v1, vcc, v3, v1, vcc
	global_store_short v[0:1], v4, off
.LBB143_10:
	s_endpgm
	.section	.rodata,"a",@progbits
	.p2align	6, 0x0
	.amdhsa_kernel _ZN12_GLOBAL__N_120softmax_warp_forwardIN3c108BFloat16ES2_fLi6ELb1ELb0ELi64EEEvPT0_PKT_iiiPKbib
		.amdhsa_group_segment_fixed_size 0
		.amdhsa_private_segment_fixed_size 0
		.amdhsa_kernarg_size 304
		.amdhsa_user_sgpr_count 6
		.amdhsa_user_sgpr_private_segment_buffer 1
		.amdhsa_user_sgpr_dispatch_ptr 0
		.amdhsa_user_sgpr_queue_ptr 0
		.amdhsa_user_sgpr_kernarg_segment_ptr 1
		.amdhsa_user_sgpr_dispatch_id 0
		.amdhsa_user_sgpr_flat_scratch_init 0
		.amdhsa_user_sgpr_kernarg_preload_length 0
		.amdhsa_user_sgpr_kernarg_preload_offset 0
		.amdhsa_user_sgpr_private_segment_size 0
		.amdhsa_uses_dynamic_stack 0
		.amdhsa_system_sgpr_private_segment_wavefront_offset 0
		.amdhsa_system_sgpr_workgroup_id_x 1
		.amdhsa_system_sgpr_workgroup_id_y 0
		.amdhsa_system_sgpr_workgroup_id_z 0
		.amdhsa_system_sgpr_workgroup_info 0
		.amdhsa_system_vgpr_workitem_id 1
		.amdhsa_next_free_vgpr 19
		.amdhsa_next_free_sgpr 16
		.amdhsa_accum_offset 20
		.amdhsa_reserve_vcc 1
		.amdhsa_reserve_flat_scratch 0
		.amdhsa_float_round_mode_32 0
		.amdhsa_float_round_mode_16_64 0
		.amdhsa_float_denorm_mode_32 3
		.amdhsa_float_denorm_mode_16_64 3
		.amdhsa_dx10_clamp 1
		.amdhsa_ieee_mode 1
		.amdhsa_fp16_overflow 0
		.amdhsa_tg_split 0
		.amdhsa_exception_fp_ieee_invalid_op 0
		.amdhsa_exception_fp_denorm_src 0
		.amdhsa_exception_fp_ieee_div_zero 0
		.amdhsa_exception_fp_ieee_overflow 0
		.amdhsa_exception_fp_ieee_underflow 0
		.amdhsa_exception_fp_ieee_inexact 0
		.amdhsa_exception_int_div_zero 0
	.end_amdhsa_kernel
	.section	.text._ZN12_GLOBAL__N_120softmax_warp_forwardIN3c108BFloat16ES2_fLi6ELb1ELb0ELi64EEEvPT0_PKT_iiiPKbib,"axG",@progbits,_ZN12_GLOBAL__N_120softmax_warp_forwardIN3c108BFloat16ES2_fLi6ELb1ELb0ELi64EEEvPT0_PKT_iiiPKbib,comdat
.Lfunc_end143:
	.size	_ZN12_GLOBAL__N_120softmax_warp_forwardIN3c108BFloat16ES2_fLi6ELb1ELb0ELi64EEEvPT0_PKT_iiiPKbib, .Lfunc_end143-_ZN12_GLOBAL__N_120softmax_warp_forwardIN3c108BFloat16ES2_fLi6ELb1ELb0ELi64EEEvPT0_PKT_iiiPKbib
                                        ; -- End function
	.section	.AMDGPU.csdata,"",@progbits
; Kernel info:
; codeLenInByte = 1532
; NumSgprs: 20
; NumVgprs: 19
; NumAgprs: 0
; TotalNumVgprs: 19
; ScratchSize: 0
; MemoryBound: 0
; FloatMode: 240
; IeeeMode: 1
; LDSByteSize: 0 bytes/workgroup (compile time only)
; SGPRBlocks: 2
; VGPRBlocks: 2
; NumSGPRsForWavesPerEU: 20
; NumVGPRsForWavesPerEU: 19
; AccumOffset: 20
; Occupancy: 8
; WaveLimiterHint : 0
; COMPUTE_PGM_RSRC2:SCRATCH_EN: 0
; COMPUTE_PGM_RSRC2:USER_SGPR: 6
; COMPUTE_PGM_RSRC2:TRAP_HANDLER: 0
; COMPUTE_PGM_RSRC2:TGID_X_EN: 1
; COMPUTE_PGM_RSRC2:TGID_Y_EN: 0
; COMPUTE_PGM_RSRC2:TGID_Z_EN: 0
; COMPUTE_PGM_RSRC2:TIDIG_COMP_CNT: 1
; COMPUTE_PGM_RSRC3_GFX90A:ACCUM_OFFSET: 4
; COMPUTE_PGM_RSRC3_GFX90A:TG_SPLIT: 0
	.section	.text._ZN12_GLOBAL__N_120softmax_warp_forwardIN3c108BFloat16ES2_fLi6ELb1ELb0ELi32EEEvPT0_PKT_iiiPKbib,"axG",@progbits,_ZN12_GLOBAL__N_120softmax_warp_forwardIN3c108BFloat16ES2_fLi6ELb1ELb0ELi32EEEvPT0_PKT_iiiPKbib,comdat
	.globl	_ZN12_GLOBAL__N_120softmax_warp_forwardIN3c108BFloat16ES2_fLi6ELb1ELb0ELi32EEEvPT0_PKT_iiiPKbib ; -- Begin function _ZN12_GLOBAL__N_120softmax_warp_forwardIN3c108BFloat16ES2_fLi6ELb1ELb0ELi32EEEvPT0_PKT_iiiPKbib
	.p2align	8
	.type	_ZN12_GLOBAL__N_120softmax_warp_forwardIN3c108BFloat16ES2_fLi6ELb1ELb0ELi32EEEvPT0_PKT_iiiPKbib,@function
_ZN12_GLOBAL__N_120softmax_warp_forwardIN3c108BFloat16ES2_fLi6ELb1ELb0ELi32EEEvPT0_PKT_iiiPKbib: ; @_ZN12_GLOBAL__N_120softmax_warp_forwardIN3c108BFloat16ES2_fLi6ELb1ELb0ELi32EEEvPT0_PKT_iiiPKbib
; %bb.0:
	s_load_dword s0, s[4:5], 0x3c
	s_load_dwordx8 s[8:15], s[4:5], 0x0
	v_bfe_u32 v1, v0, 10, 10
	v_and_b32_e32 v8, 0x3ff, v0
	v_mov_b32_e32 v2, 0xff800000
	s_waitcnt lgkmcnt(0)
	s_lshr_b32 s0, s0, 16
	s_mul_i32 s6, s6, s0
	v_add_lshl_u32 v1, s6, v1, 1
	v_sub_u32_e32 v12, s12, v1
	v_mad_u64_u32 v[0:1], s[0:1], v1, s13, v[8:9]
	v_ashrrev_i32_e32 v1, 31, v0
	v_lshlrev_b64 v[4:5], 1, v[0:1]
	v_mov_b32_e32 v0, s11
	v_add_co_u32_e32 v6, vcc, s10, v4
	v_cmp_lt_i32_e64 s[2:3], 0, v12
	v_cmp_gt_i32_e64 s[0:1], s14, v8
	v_addc_co_u32_e32 v7, vcc, v0, v5, vcc
	s_and_b64 s[6:7], s[2:3], s[0:1]
	v_mov_b32_e32 v0, 0xff800000
	s_and_saveexec_b64 s[4:5], s[6:7]
	s_cbranch_execz .LBB144_2
; %bb.1:
	global_load_ushort v1, v[6:7], off
	s_waitcnt vmcnt(0)
	v_lshlrev_b32_e32 v2, 16, v1
.LBB144_2:
	s_or_b64 exec, exec, s[4:5]
	v_add_u32_e32 v1, 32, v8
	v_cmp_gt_i32_e32 vcc, s14, v1
	s_and_b64 s[6:7], s[2:3], vcc
	s_and_saveexec_b64 s[4:5], s[6:7]
	s_cbranch_execz .LBB144_4
; %bb.3:
	global_load_ushort v0, v[6:7], off offset:64
	s_waitcnt vmcnt(0)
	v_lshlrev_b32_e32 v0, 16, v0
.LBB144_4:
	s_or_b64 exec, exec, s[4:5]
	v_cmp_lt_i32_e64 s[4:5], 1, v12
	s_and_b64 s[6:7], s[4:5], s[0:1]
	v_mov_b32_e32 v1, 0xff800000
	v_mov_b32_e32 v3, 0xff800000
	s_and_saveexec_b64 s[10:11], s[6:7]
	s_cbranch_execz .LBB144_6
; %bb.5:
	s_mov_b32 s15, 0
	s_lshl_b64 s[6:7], s[14:15], 1
	v_mov_b32_e32 v3, s7
	v_add_co_u32_e64 v8, s[6:7], s6, v6
	v_addc_co_u32_e64 v9, s[6:7], v7, v3, s[6:7]
	global_load_ushort v3, v[8:9], off
	s_waitcnt vmcnt(0)
	v_lshlrev_b32_e32 v3, 16, v3
.LBB144_6:
	s_or_b64 exec, exec, s[10:11]
	s_and_b64 s[4:5], s[4:5], vcc
	s_and_saveexec_b64 s[6:7], s[4:5]
	s_cbranch_execz .LBB144_8
; %bb.7:
	s_mov_b32 s15, 0
	s_lshl_b64 s[4:5], s[14:15], 1
	v_mov_b32_e32 v1, s5
	v_add_co_u32_e64 v6, s[4:5], s4, v6
	v_addc_co_u32_e64 v7, s[4:5], v7, v1, s[4:5]
	global_load_ushort v1, v[6:7], off offset:64
	s_waitcnt vmcnt(0)
	v_lshlrev_b32_e32 v1, 16, v1
.LBB144_8:
	s_or_b64 exec, exec, s[6:7]
	v_mbcnt_lo_u32_b32 v6, -1, 0
	v_mbcnt_hi_u32_b32 v6, -1, v6
	v_and_b32_e32 v7, 0x60, v6
	v_add_u32_e32 v7, 32, v7
	v_xor_b32_e32 v8, 16, v6
	v_cmp_lt_i32_e64 s[4:5], v8, v7
	v_cndmask_b32_e64 v8, v6, v8, s[4:5]
	v_lshlrev_b32_e32 v13, 2, v8
	v_xor_b32_e32 v8, 8, v6
	v_cmp_lt_i32_e64 s[4:5], v8, v7
	v_cndmask_b32_e64 v8, v6, v8, s[4:5]
	v_cmp_gt_f32_e64 s[4:5], v3, v1
	v_cndmask_b32_e64 v9, v1, v3, s[4:5]
	v_cmp_gt_f32_e64 s[4:5], v2, v0
	ds_bpermute_b32 v10, v13, v9
	v_cndmask_b32_e64 v11, v0, v2, s[4:5]
	ds_bpermute_b32 v15, v13, v11
	v_lshlrev_b32_e32 v14, 2, v8
	v_xor_b32_e32 v8, 4, v6
	v_cmp_lt_i32_e64 s[4:5], v8, v7
	v_cndmask_b32_e64 v8, v6, v8, s[4:5]
	s_waitcnt lgkmcnt(1)
	v_cmp_lt_f32_e64 s[4:5], v9, v10
	v_cndmask_b32_e64 v9, v9, v10, s[4:5]
	s_waitcnt lgkmcnt(0)
	v_cmp_lt_f32_e64 s[4:5], v11, v15
	ds_bpermute_b32 v10, v14, v9
	v_cndmask_b32_e64 v11, v11, v15, s[4:5]
	ds_bpermute_b32 v15, v14, v11
	v_lshlrev_b32_e32 v16, 2, v8
	v_xor_b32_e32 v17, 1, v6
	s_waitcnt lgkmcnt(1)
	v_cmp_lt_f32_e64 s[4:5], v9, v10
	v_cndmask_b32_e64 v8, v9, v10, s[4:5]
	s_waitcnt lgkmcnt(0)
	v_cmp_lt_f32_e64 s[4:5], v11, v15
	ds_bpermute_b32 v9, v16, v8
	v_cndmask_b32_e64 v10, v11, v15, s[4:5]
	ds_bpermute_b32 v11, v16, v10
	s_mov_b32 s6, 0x3fb8aa3b
	s_mov_b32 s7, 0xc2ce8ed0
	s_waitcnt lgkmcnt(1)
	v_cmp_lt_f32_e64 s[4:5], v8, v9
	v_cndmask_b32_e64 v8, v8, v9, s[4:5]
	s_waitcnt lgkmcnt(0)
	v_cmp_lt_f32_e64 s[4:5], v10, v11
	v_cndmask_b32_e64 v9, v10, v11, s[4:5]
	v_xor_b32_e32 v10, 2, v6
	v_cmp_lt_i32_e64 s[4:5], v10, v7
	v_cndmask_b32_e64 v10, v6, v10, s[4:5]
	v_lshlrev_b32_e32 v15, 2, v10
	ds_bpermute_b32 v11, v15, v8
	ds_bpermute_b32 v10, v15, v9
	v_cmp_lt_i32_e64 s[4:5], v17, v7
	v_cndmask_b32_e64 v6, v6, v17, s[4:5]
	v_lshlrev_b32_e32 v17, 2, v6
	s_waitcnt lgkmcnt(1)
	v_cmp_lt_f32_e64 s[4:5], v8, v11
	v_cndmask_b32_e64 v6, v8, v11, s[4:5]
	s_waitcnt lgkmcnt(0)
	v_cmp_lt_f32_e64 s[4:5], v9, v10
	ds_bpermute_b32 v7, v17, v6
	v_cndmask_b32_e64 v8, v9, v10, s[4:5]
	ds_bpermute_b32 v9, v17, v8
	s_mov_b32 s10, 0x42b17218
	s_waitcnt lgkmcnt(1)
	v_cmp_lt_f32_e64 s[4:5], v6, v7
	v_cndmask_b32_e64 v7, v6, v7, s[4:5]
	s_waitcnt lgkmcnt(0)
	v_cmp_lt_f32_e64 s[4:5], v8, v9
	v_cndmask_b32_e64 v6, v8, v9, s[4:5]
	v_pk_add_f32 v[8:9], v[2:3], v[6:7] neg_lo:[0,1] neg_hi:[0,1]
	v_mul_f32_e32 v10, 0x3fb8aa3b, v9
	v_fma_f32 v11, v9, s6, -v10
	v_rndne_f32_e32 v18, v10
	v_fmac_f32_e32 v11, 0x32a5705f, v9
	v_sub_f32_e32 v10, v10, v18
	v_add_f32_e32 v10, v10, v11
	v_exp_f32_e32 v10, v10
	v_cvt_i32_f32_e32 v11, v18
	v_cmp_ngt_f32_e64 s[4:5], s7, v9
	v_ldexp_f32 v10, v10, v11
	v_mul_f32_e32 v11, 0x3fb8aa3b, v8
	v_fma_f32 v18, v8, s6, -v11
	v_rndne_f32_e32 v19, v11
	v_fmac_f32_e32 v18, 0x32a5705f, v8
	v_sub_f32_e32 v11, v11, v19
	v_add_f32_e32 v11, v11, v18
	v_exp_f32_e32 v11, v11
	v_cvt_i32_f32_e32 v18, v19
	v_cndmask_b32_e64 v10, 0, v10, s[4:5]
	v_mov_b32_e32 v19, 0x7f800000
	v_cmp_nlt_f32_e64 s[4:5], s10, v9
	v_cndmask_b32_e64 v9, v19, v10, s[4:5]
	v_ldexp_f32 v18, v11, v18
	v_pk_add_f32 v[10:11], v[0:1], v[6:7] neg_lo:[0,1] neg_hi:[0,1]
	v_mul_f32_e32 v20, 0x3fb8aa3b, v11
	v_fma_f32 v21, v11, s6, -v20
	v_rndne_f32_e32 v22, v20
	v_fmac_f32_e32 v21, 0x32a5705f, v11
	v_sub_f32_e32 v20, v20, v22
	v_add_f32_e32 v20, v20, v21
	v_exp_f32_e32 v20, v20
	v_cvt_i32_f32_e32 v21, v22
	v_cmp_ngt_f32_e64 s[4:5], s7, v8
	v_cndmask_b32_e64 v18, 0, v18, s[4:5]
	v_cmp_nlt_f32_e64 s[4:5], s10, v8
	v_cndmask_b32_e64 v8, v19, v18, s[4:5]
	v_ldexp_f32 v18, v20, v21
	v_mul_f32_e32 v20, 0x3fb8aa3b, v10
	v_fma_f32 v21, v10, s6, -v20
	v_rndne_f32_e32 v22, v20
	v_fmac_f32_e32 v21, 0x32a5705f, v10
	v_sub_f32_e32 v20, v20, v22
	v_add_f32_e32 v20, v20, v21
	v_exp_f32_e32 v20, v20
	v_cvt_i32_f32_e32 v21, v22
	v_cmp_ngt_f32_e64 s[4:5], s7, v11
	v_cndmask_b32_e64 v18, 0, v18, s[4:5]
	v_cmp_nlt_f32_e64 s[4:5], s10, v11
	v_cndmask_b32_e64 v11, v19, v18, s[4:5]
	v_ldexp_f32 v18, v20, v21
	v_cmp_ngt_f32_e64 s[4:5], s7, v10
	v_cndmask_b32_e64 v18, 0, v18, s[4:5]
	v_cmp_nlt_f32_e64 s[4:5], s10, v10
	v_cndmask_b32_e64 v10, v19, v18, s[4:5]
	v_pk_add_f32 v[8:9], v[8:9], v[10:11]
	ds_bpermute_b32 v10, v13, v8
	ds_bpermute_b32 v11, v13, v9
	s_waitcnt lgkmcnt(0)
	v_pk_add_f32 v[8:9], v[8:9], v[10:11]
	ds_bpermute_b32 v10, v14, v8
	ds_bpermute_b32 v11, v14, v9
	s_waitcnt lgkmcnt(0)
	;; [unrolled: 4-line block ×4, first 2 shown]
	v_pk_add_f32 v[8:9], v[8:9], v[10:11]
	ds_bpermute_b32 v10, v17, v8
	ds_bpermute_b32 v11, v17, v9
	s_and_saveexec_b64 s[4:5], s[2:3]
	s_cbranch_execz .LBB144_16
; %bb.9:
	v_mov_b32_e32 v13, s9
	v_add_co_u32_e64 v4, s[2:3], s8, v4
	v_addc_co_u32_e64 v5, s[2:3], v13, v5, s[2:3]
	s_waitcnt lgkmcnt(0)
	v_pk_add_f32 v[8:9], v[8:9], v[10:11]
	s_and_saveexec_b64 s[6:7], s[0:1]
	s_cbranch_execz .LBB144_12
; %bb.10:
	s_mov_b32 s2, 0x800000
	v_mov_b32_e32 v10, 0x4f800000
	v_cmp_gt_f32_e64 s[2:3], s2, v8
	v_cndmask_b32_e64 v10, 1.0, v10, s[2:3]
	v_mul_f32_e32 v8, v8, v10
	v_log_f32_e32 v8, v8
	s_mov_b32 s4, 0x3f317217
	v_sub_f32_e32 v2, v2, v6
	v_mul_f32_e32 v10, 0x3f317217, v8
	v_fma_f32 v11, v8, s4, -v10
	v_fmac_f32_e32 v11, 0x3377d1cf, v8
	s_mov_b32 s4, 0x7f800000
	v_add_f32_e32 v10, v10, v11
	v_cmp_lt_f32_e64 s[4:5], |v8|, s4
	v_cndmask_b32_e64 v8, v8, v10, s[4:5]
	v_mov_b32_e32 v10, 0x41b17218
	v_cndmask_b32_e64 v10, 0, v10, s[2:3]
	v_sub_f32_e32 v8, v8, v10
	v_sub_f32_e32 v10, v2, v8
	v_bfe_u32 v2, v10, 16, 1
	s_movk_i32 s4, 0x7fff
	v_add3_u32 v2, v10, v2, s4
	v_lshrrev_b32_e32 v11, 16, v2
	v_mov_b32_e32 v2, 0x7fc0
	v_cmp_o_f32_e64 s[2:3], v10, v10
	v_cndmask_b32_e64 v10, v2, v11, s[2:3]
	global_store_short v[4:5], v10, off
	s_and_b64 exec, exec, vcc
	s_cbranch_execz .LBB144_12
; %bb.11:
	v_sub_f32_e32 v0, v0, v6
	v_sub_f32_e32 v0, v0, v8
	v_bfe_u32 v6, v0, 16, 1
	v_add3_u32 v6, v0, v6, s4
	v_lshrrev_b32_e32 v6, 16, v6
	v_cmp_o_f32_e64 s[2:3], v0, v0
	v_cndmask_b32_e64 v0, v2, v6, s[2:3]
	global_store_short v[4:5], v0, off offset:64
.LBB144_12:
	s_or_b64 exec, exec, s[6:7]
	v_cmp_ne_u32_e64 s[2:3], 1, v12
	s_and_b64 exec, exec, s[2:3]
	s_cbranch_execz .LBB144_16
; %bb.13:
	s_and_b64 exec, exec, s[0:1]
	s_cbranch_execz .LBB144_16
; %bb.14:
	s_mov_b32 s0, 0x800000
	v_mov_b32_e32 v0, 0x4f800000
	v_cmp_gt_f32_e64 s[0:1], s0, v9
	v_cndmask_b32_e64 v0, 1.0, v0, s[0:1]
	v_mul_f32_e32 v0, v9, v0
	v_log_f32_e32 v0, v0
	s_mov_b32 s2, 0x3f317217
	s_mov_b32 s15, 0
	v_mul_f32_e32 v2, 0x3f317217, v0
	v_fma_f32 v6, v0, s2, -v2
	v_fmac_f32_e32 v6, 0x3377d1cf, v0
	s_mov_b32 s2, 0x7f800000
	v_add_f32_e32 v2, v2, v6
	v_cmp_lt_f32_e64 s[2:3], |v0|, s2
	v_cndmask_b32_e64 v0, v0, v2, s[2:3]
	v_mov_b32_e32 v2, 0x41b17218
	v_cndmask_b32_e64 v2, 0, v2, s[0:1]
	v_sub_f32_e32 v0, v0, v2
	v_sub_f32_e32 v2, v3, v7
	;; [unrolled: 1-line block ×3, first 2 shown]
	v_bfe_u32 v2, v3, 16, 1
	s_movk_i32 s2, 0x7fff
	v_add3_u32 v2, v3, v2, s2
	v_lshrrev_b32_e32 v6, 16, v2
	v_mov_b32_e32 v2, 0x7fc0
	v_cmp_o_f32_e64 s[0:1], v3, v3
	v_cndmask_b32_e64 v3, v2, v6, s[0:1]
	s_lshl_b64 s[0:1], s[14:15], 1
	v_mov_b32_e32 v6, s1
	v_add_co_u32_e64 v8, s[0:1], s0, v4
	v_addc_co_u32_e64 v9, s[0:1], v5, v6, s[0:1]
	global_store_short v[8:9], v3, off
	s_and_b64 exec, exec, vcc
	s_cbranch_execz .LBB144_16
; %bb.15:
	v_sub_f32_e32 v1, v1, v7
	v_sub_f32_e32 v0, v1, v0
	v_bfe_u32 v1, v0, 16, 1
	v_add3_u32 v1, v0, v1, s2
	s_ashr_i32 s15, s14, 31
	v_lshrrev_b32_e32 v1, 16, v1
	v_cmp_o_f32_e32 vcc, v0, v0
	s_lshl_b64 s[0:1], s[14:15], 1
	v_cndmask_b32_e32 v2, v2, v1, vcc
	v_mov_b32_e32 v1, s1
	v_add_co_u32_e32 v0, vcc, s0, v4
	v_addc_co_u32_e32 v1, vcc, v5, v1, vcc
	global_store_short v[0:1], v2, off offset:64
.LBB144_16:
	s_endpgm
	.section	.rodata,"a",@progbits
	.p2align	6, 0x0
	.amdhsa_kernel _ZN12_GLOBAL__N_120softmax_warp_forwardIN3c108BFloat16ES2_fLi6ELb1ELb0ELi32EEEvPT0_PKT_iiiPKbib
		.amdhsa_group_segment_fixed_size 0
		.amdhsa_private_segment_fixed_size 0
		.amdhsa_kernarg_size 304
		.amdhsa_user_sgpr_count 6
		.amdhsa_user_sgpr_private_segment_buffer 1
		.amdhsa_user_sgpr_dispatch_ptr 0
		.amdhsa_user_sgpr_queue_ptr 0
		.amdhsa_user_sgpr_kernarg_segment_ptr 1
		.amdhsa_user_sgpr_dispatch_id 0
		.amdhsa_user_sgpr_flat_scratch_init 0
		.amdhsa_user_sgpr_kernarg_preload_length 0
		.amdhsa_user_sgpr_kernarg_preload_offset 0
		.amdhsa_user_sgpr_private_segment_size 0
		.amdhsa_uses_dynamic_stack 0
		.amdhsa_system_sgpr_private_segment_wavefront_offset 0
		.amdhsa_system_sgpr_workgroup_id_x 1
		.amdhsa_system_sgpr_workgroup_id_y 0
		.amdhsa_system_sgpr_workgroup_id_z 0
		.amdhsa_system_sgpr_workgroup_info 0
		.amdhsa_system_vgpr_workitem_id 1
		.amdhsa_next_free_vgpr 23
		.amdhsa_next_free_sgpr 16
		.amdhsa_accum_offset 24
		.amdhsa_reserve_vcc 1
		.amdhsa_reserve_flat_scratch 0
		.amdhsa_float_round_mode_32 0
		.amdhsa_float_round_mode_16_64 0
		.amdhsa_float_denorm_mode_32 3
		.amdhsa_float_denorm_mode_16_64 3
		.amdhsa_dx10_clamp 1
		.amdhsa_ieee_mode 1
		.amdhsa_fp16_overflow 0
		.amdhsa_tg_split 0
		.amdhsa_exception_fp_ieee_invalid_op 0
		.amdhsa_exception_fp_denorm_src 0
		.amdhsa_exception_fp_ieee_div_zero 0
		.amdhsa_exception_fp_ieee_overflow 0
		.amdhsa_exception_fp_ieee_underflow 0
		.amdhsa_exception_fp_ieee_inexact 0
		.amdhsa_exception_int_div_zero 0
	.end_amdhsa_kernel
	.section	.text._ZN12_GLOBAL__N_120softmax_warp_forwardIN3c108BFloat16ES2_fLi6ELb1ELb0ELi32EEEvPT0_PKT_iiiPKbib,"axG",@progbits,_ZN12_GLOBAL__N_120softmax_warp_forwardIN3c108BFloat16ES2_fLi6ELb1ELb0ELi32EEEvPT0_PKT_iiiPKbib,comdat
.Lfunc_end144:
	.size	_ZN12_GLOBAL__N_120softmax_warp_forwardIN3c108BFloat16ES2_fLi6ELb1ELb0ELi32EEEvPT0_PKT_iiiPKbib, .Lfunc_end144-_ZN12_GLOBAL__N_120softmax_warp_forwardIN3c108BFloat16ES2_fLi6ELb1ELb0ELi32EEEvPT0_PKT_iiiPKbib
                                        ; -- End function
	.section	.AMDGPU.csdata,"",@progbits
; Kernel info:
; codeLenInByte = 1924
; NumSgprs: 20
; NumVgprs: 23
; NumAgprs: 0
; TotalNumVgprs: 23
; ScratchSize: 0
; MemoryBound: 0
; FloatMode: 240
; IeeeMode: 1
; LDSByteSize: 0 bytes/workgroup (compile time only)
; SGPRBlocks: 2
; VGPRBlocks: 2
; NumSGPRsForWavesPerEU: 20
; NumVGPRsForWavesPerEU: 23
; AccumOffset: 24
; Occupancy: 8
; WaveLimiterHint : 0
; COMPUTE_PGM_RSRC2:SCRATCH_EN: 0
; COMPUTE_PGM_RSRC2:USER_SGPR: 6
; COMPUTE_PGM_RSRC2:TRAP_HANDLER: 0
; COMPUTE_PGM_RSRC2:TGID_X_EN: 1
; COMPUTE_PGM_RSRC2:TGID_Y_EN: 0
; COMPUTE_PGM_RSRC2:TGID_Z_EN: 0
; COMPUTE_PGM_RSRC2:TIDIG_COMP_CNT: 1
; COMPUTE_PGM_RSRC3_GFX90A:ACCUM_OFFSET: 5
; COMPUTE_PGM_RSRC3_GFX90A:TG_SPLIT: 0
	.section	.text._ZN12_GLOBAL__N_120softmax_warp_forwardIN3c108BFloat16ES2_fLi7ELb1ELb0ELi64EEEvPT0_PKT_iiiPKbib,"axG",@progbits,_ZN12_GLOBAL__N_120softmax_warp_forwardIN3c108BFloat16ES2_fLi7ELb1ELb0ELi64EEEvPT0_PKT_iiiPKbib,comdat
	.globl	_ZN12_GLOBAL__N_120softmax_warp_forwardIN3c108BFloat16ES2_fLi7ELb1ELb0ELi64EEEvPT0_PKT_iiiPKbib ; -- Begin function _ZN12_GLOBAL__N_120softmax_warp_forwardIN3c108BFloat16ES2_fLi7ELb1ELb0ELi64EEEvPT0_PKT_iiiPKbib
	.p2align	8
	.type	_ZN12_GLOBAL__N_120softmax_warp_forwardIN3c108BFloat16ES2_fLi7ELb1ELb0ELi64EEEvPT0_PKT_iiiPKbib,@function
_ZN12_GLOBAL__N_120softmax_warp_forwardIN3c108BFloat16ES2_fLi7ELb1ELb0ELi64EEEvPT0_PKT_iiiPKbib: ; @_ZN12_GLOBAL__N_120softmax_warp_forwardIN3c108BFloat16ES2_fLi7ELb1ELb0ELi64EEEvPT0_PKT_iiiPKbib
; %bb.0:
	s_load_dword s0, s[4:5], 0x3c
	s_load_dwordx8 s[8:15], s[4:5], 0x0
	v_bfe_u32 v1, v0, 10, 10
	v_and_b32_e32 v8, 0x3ff, v0
	v_mov_b32_e32 v2, 0xff800000
	s_waitcnt lgkmcnt(0)
	s_lshr_b32 s0, s0, 16
	s_mul_i32 s6, s6, s0
	v_add_lshl_u32 v1, s6, v1, 1
	v_sub_u32_e32 v12, s12, v1
	v_mad_u64_u32 v[0:1], s[0:1], v1, s13, v[8:9]
	v_ashrrev_i32_e32 v1, 31, v0
	v_lshlrev_b64 v[4:5], 1, v[0:1]
	v_mov_b32_e32 v0, s11
	v_add_co_u32_e32 v6, vcc, s10, v4
	v_cmp_lt_i32_e64 s[2:3], 0, v12
	v_cmp_gt_i32_e64 s[0:1], s14, v8
	v_addc_co_u32_e32 v7, vcc, v0, v5, vcc
	s_and_b64 s[6:7], s[2:3], s[0:1]
	v_mov_b32_e32 v0, 0xff800000
	s_and_saveexec_b64 s[4:5], s[6:7]
	s_cbranch_execz .LBB145_2
; %bb.1:
	global_load_ushort v1, v[6:7], off
	s_waitcnt vmcnt(0)
	v_lshlrev_b32_e32 v2, 16, v1
.LBB145_2:
	s_or_b64 exec, exec, s[4:5]
	v_add_u32_e32 v1, 64, v8
	v_cmp_gt_i32_e32 vcc, s14, v1
	s_and_b64 s[6:7], s[2:3], vcc
	s_and_saveexec_b64 s[4:5], s[6:7]
	s_cbranch_execz .LBB145_4
; %bb.3:
	global_load_ushort v0, v[6:7], off offset:128
	s_waitcnt vmcnt(0)
	v_lshlrev_b32_e32 v0, 16, v0
.LBB145_4:
	s_or_b64 exec, exec, s[4:5]
	v_cmp_lt_i32_e64 s[4:5], 1, v12
	s_and_b64 s[6:7], s[4:5], s[0:1]
	v_mov_b32_e32 v1, 0xff800000
	v_mov_b32_e32 v3, 0xff800000
	s_and_saveexec_b64 s[10:11], s[6:7]
	s_cbranch_execz .LBB145_6
; %bb.5:
	s_mov_b32 s15, 0
	s_lshl_b64 s[6:7], s[14:15], 1
	v_mov_b32_e32 v3, s7
	v_add_co_u32_e64 v8, s[6:7], s6, v6
	v_addc_co_u32_e64 v9, s[6:7], v7, v3, s[6:7]
	global_load_ushort v3, v[8:9], off
	s_waitcnt vmcnt(0)
	v_lshlrev_b32_e32 v3, 16, v3
.LBB145_6:
	s_or_b64 exec, exec, s[10:11]
	s_and_b64 s[4:5], s[4:5], vcc
	s_and_saveexec_b64 s[6:7], s[4:5]
	s_cbranch_execz .LBB145_8
; %bb.7:
	s_mov_b32 s15, 0
	s_lshl_b64 s[4:5], s[14:15], 1
	v_mov_b32_e32 v1, s5
	v_add_co_u32_e64 v6, s[4:5], s4, v6
	v_addc_co_u32_e64 v7, s[4:5], v7, v1, s[4:5]
	global_load_ushort v1, v[6:7], off offset:128
	s_waitcnt vmcnt(0)
	v_lshlrev_b32_e32 v1, 16, v1
.LBB145_8:
	s_or_b64 exec, exec, s[6:7]
	v_mbcnt_lo_u32_b32 v6, -1, 0
	v_mbcnt_hi_u32_b32 v6, -1, v6
	v_and_b32_e32 v7, 64, v6
	v_add_u32_e32 v7, 64, v7
	v_xor_b32_e32 v8, 32, v6
	v_cmp_lt_i32_e64 s[4:5], v8, v7
	v_cndmask_b32_e64 v8, v6, v8, s[4:5]
	v_lshlrev_b32_e32 v13, 2, v8
	v_xor_b32_e32 v8, 16, v6
	v_cmp_lt_i32_e64 s[4:5], v8, v7
	v_cndmask_b32_e64 v8, v6, v8, s[4:5]
	v_lshlrev_b32_e32 v14, 2, v8
	v_xor_b32_e32 v8, 8, v6
	v_cmp_lt_i32_e64 s[4:5], v8, v7
	v_cndmask_b32_e64 v8, v6, v8, s[4:5]
	v_cmp_gt_f32_e64 s[4:5], v3, v1
	v_lshlrev_b32_e32 v15, 2, v8
	v_cndmask_b32_e64 v8, v1, v3, s[4:5]
	v_cmp_gt_f32_e64 s[4:5], v2, v0
	ds_bpermute_b32 v9, v13, v8
	v_cndmask_b32_e64 v10, v0, v2, s[4:5]
	ds_bpermute_b32 v11, v13, v10
	v_xor_b32_e32 v16, 4, v6
	v_xor_b32_e32 v18, 1, v6
	s_waitcnt lgkmcnt(1)
	v_cmp_lt_f32_e64 s[4:5], v8, v9
	v_cndmask_b32_e64 v8, v8, v9, s[4:5]
	s_waitcnt lgkmcnt(0)
	v_cmp_lt_f32_e64 s[4:5], v10, v11
	ds_bpermute_b32 v9, v14, v8
	v_cndmask_b32_e64 v10, v10, v11, s[4:5]
	ds_bpermute_b32 v11, v14, v10
	v_cmp_lt_i32_e64 s[4:5], v16, v7
	v_cndmask_b32_e64 v16, v6, v16, s[4:5]
	s_waitcnt lgkmcnt(1)
	v_cmp_lt_f32_e64 s[4:5], v8, v9
	v_cndmask_b32_e64 v8, v8, v9, s[4:5]
	s_waitcnt lgkmcnt(0)
	v_cmp_lt_f32_e64 s[4:5], v10, v11
	ds_bpermute_b32 v9, v15, v8
	v_cndmask_b32_e64 v10, v10, v11, s[4:5]
	ds_bpermute_b32 v11, v15, v10
	v_lshlrev_b32_e32 v16, 2, v16
	s_mov_b32 s6, 0x3fb8aa3b
	s_waitcnt lgkmcnt(1)
	v_cmp_lt_f32_e64 s[4:5], v8, v9
	v_cndmask_b32_e64 v8, v8, v9, s[4:5]
	s_waitcnt lgkmcnt(0)
	v_cmp_lt_f32_e64 s[4:5], v10, v11
	ds_bpermute_b32 v9, v16, v8
	v_cndmask_b32_e64 v10, v10, v11, s[4:5]
	ds_bpermute_b32 v11, v16, v10
	s_mov_b32 s7, 0xc2ce8ed0
	s_mov_b32 s10, 0x42b17218
	s_waitcnt lgkmcnt(1)
	v_cmp_lt_f32_e64 s[4:5], v8, v9
	v_cndmask_b32_e64 v8, v8, v9, s[4:5]
	s_waitcnt lgkmcnt(0)
	v_cmp_lt_f32_e64 s[4:5], v10, v11
	v_cndmask_b32_e64 v9, v10, v11, s[4:5]
	v_xor_b32_e32 v10, 2, v6
	v_cmp_lt_i32_e64 s[4:5], v10, v7
	v_cndmask_b32_e64 v10, v6, v10, s[4:5]
	v_lshlrev_b32_e32 v17, 2, v10
	ds_bpermute_b32 v11, v17, v8
	ds_bpermute_b32 v10, v17, v9
	v_cmp_lt_i32_e64 s[4:5], v18, v7
	v_cndmask_b32_e64 v6, v6, v18, s[4:5]
	v_lshlrev_b32_e32 v18, 2, v6
	s_waitcnt lgkmcnt(1)
	v_cmp_lt_f32_e64 s[4:5], v8, v11
	v_cndmask_b32_e64 v6, v8, v11, s[4:5]
	s_waitcnt lgkmcnt(0)
	v_cmp_lt_f32_e64 s[4:5], v9, v10
	ds_bpermute_b32 v7, v18, v6
	v_cndmask_b32_e64 v8, v9, v10, s[4:5]
	ds_bpermute_b32 v9, v18, v8
	s_waitcnt lgkmcnt(1)
	v_cmp_lt_f32_e64 s[4:5], v6, v7
	v_cndmask_b32_e64 v7, v6, v7, s[4:5]
	s_waitcnt lgkmcnt(0)
	v_cmp_lt_f32_e64 s[4:5], v8, v9
	v_cndmask_b32_e64 v6, v8, v9, s[4:5]
	v_pk_add_f32 v[8:9], v[2:3], v[6:7] neg_lo:[0,1] neg_hi:[0,1]
	v_mul_f32_e32 v10, 0x3fb8aa3b, v9
	v_fma_f32 v11, v9, s6, -v10
	v_rndne_f32_e32 v19, v10
	v_fmac_f32_e32 v11, 0x32a5705f, v9
	v_sub_f32_e32 v10, v10, v19
	v_add_f32_e32 v10, v10, v11
	v_exp_f32_e32 v10, v10
	v_cvt_i32_f32_e32 v11, v19
	v_cmp_ngt_f32_e64 s[4:5], s7, v9
	v_ldexp_f32 v10, v10, v11
	v_mul_f32_e32 v11, 0x3fb8aa3b, v8
	v_fma_f32 v19, v8, s6, -v11
	v_rndne_f32_e32 v20, v11
	v_fmac_f32_e32 v19, 0x32a5705f, v8
	v_sub_f32_e32 v11, v11, v20
	v_add_f32_e32 v11, v11, v19
	v_exp_f32_e32 v11, v11
	v_cvt_i32_f32_e32 v19, v20
	v_cndmask_b32_e64 v10, 0, v10, s[4:5]
	v_mov_b32_e32 v20, 0x7f800000
	v_cmp_nlt_f32_e64 s[4:5], s10, v9
	v_cndmask_b32_e64 v9, v20, v10, s[4:5]
	v_ldexp_f32 v19, v11, v19
	v_pk_add_f32 v[10:11], v[0:1], v[6:7] neg_lo:[0,1] neg_hi:[0,1]
	v_mul_f32_e32 v21, 0x3fb8aa3b, v11
	v_fma_f32 v22, v11, s6, -v21
	v_rndne_f32_e32 v23, v21
	v_fmac_f32_e32 v22, 0x32a5705f, v11
	v_sub_f32_e32 v21, v21, v23
	v_add_f32_e32 v21, v21, v22
	v_exp_f32_e32 v21, v21
	v_cvt_i32_f32_e32 v22, v23
	v_cmp_ngt_f32_e64 s[4:5], s7, v8
	v_cndmask_b32_e64 v19, 0, v19, s[4:5]
	v_cmp_nlt_f32_e64 s[4:5], s10, v8
	v_cndmask_b32_e64 v8, v20, v19, s[4:5]
	v_ldexp_f32 v19, v21, v22
	v_mul_f32_e32 v21, 0x3fb8aa3b, v10
	v_fma_f32 v22, v10, s6, -v21
	v_rndne_f32_e32 v23, v21
	v_fmac_f32_e32 v22, 0x32a5705f, v10
	v_sub_f32_e32 v21, v21, v23
	v_add_f32_e32 v21, v21, v22
	v_exp_f32_e32 v21, v21
	v_cvt_i32_f32_e32 v22, v23
	v_cmp_ngt_f32_e64 s[4:5], s7, v11
	v_cndmask_b32_e64 v19, 0, v19, s[4:5]
	v_cmp_nlt_f32_e64 s[4:5], s10, v11
	v_cndmask_b32_e64 v11, v20, v19, s[4:5]
	v_ldexp_f32 v19, v21, v22
	v_cmp_ngt_f32_e64 s[4:5], s7, v10
	v_cndmask_b32_e64 v19, 0, v19, s[4:5]
	v_cmp_nlt_f32_e64 s[4:5], s10, v10
	v_cndmask_b32_e64 v10, v20, v19, s[4:5]
	v_pk_add_f32 v[8:9], v[8:9], v[10:11]
	ds_bpermute_b32 v10, v13, v8
	ds_bpermute_b32 v11, v13, v9
	s_waitcnt lgkmcnt(0)
	v_pk_add_f32 v[8:9], v[8:9], v[10:11]
	ds_bpermute_b32 v10, v14, v8
	ds_bpermute_b32 v11, v14, v9
	s_waitcnt lgkmcnt(0)
	;; [unrolled: 4-line block ×5, first 2 shown]
	v_pk_add_f32 v[8:9], v[8:9], v[10:11]
	ds_bpermute_b32 v10, v18, v8
	ds_bpermute_b32 v11, v18, v9
	s_and_saveexec_b64 s[4:5], s[2:3]
	s_cbranch_execz .LBB145_16
; %bb.9:
	v_mov_b32_e32 v13, s9
	v_add_co_u32_e64 v4, s[2:3], s8, v4
	v_addc_co_u32_e64 v5, s[2:3], v13, v5, s[2:3]
	s_waitcnt lgkmcnt(0)
	v_pk_add_f32 v[8:9], v[8:9], v[10:11]
	s_and_saveexec_b64 s[6:7], s[0:1]
	s_cbranch_execz .LBB145_12
; %bb.10:
	s_mov_b32 s2, 0x800000
	v_mov_b32_e32 v10, 0x4f800000
	v_cmp_gt_f32_e64 s[2:3], s2, v8
	v_cndmask_b32_e64 v10, 1.0, v10, s[2:3]
	v_mul_f32_e32 v8, v8, v10
	v_log_f32_e32 v8, v8
	s_mov_b32 s4, 0x3f317217
	v_sub_f32_e32 v2, v2, v6
	v_mul_f32_e32 v10, 0x3f317217, v8
	v_fma_f32 v11, v8, s4, -v10
	v_fmac_f32_e32 v11, 0x3377d1cf, v8
	s_mov_b32 s4, 0x7f800000
	v_add_f32_e32 v10, v10, v11
	v_cmp_lt_f32_e64 s[4:5], |v8|, s4
	v_cndmask_b32_e64 v8, v8, v10, s[4:5]
	v_mov_b32_e32 v10, 0x41b17218
	v_cndmask_b32_e64 v10, 0, v10, s[2:3]
	v_sub_f32_e32 v8, v8, v10
	v_sub_f32_e32 v10, v2, v8
	v_bfe_u32 v2, v10, 16, 1
	s_movk_i32 s4, 0x7fff
	v_add3_u32 v2, v10, v2, s4
	v_lshrrev_b32_e32 v11, 16, v2
	v_mov_b32_e32 v2, 0x7fc0
	v_cmp_o_f32_e64 s[2:3], v10, v10
	v_cndmask_b32_e64 v10, v2, v11, s[2:3]
	global_store_short v[4:5], v10, off
	s_and_b64 exec, exec, vcc
	s_cbranch_execz .LBB145_12
; %bb.11:
	v_sub_f32_e32 v0, v0, v6
	v_sub_f32_e32 v0, v0, v8
	v_bfe_u32 v6, v0, 16, 1
	v_add3_u32 v6, v0, v6, s4
	v_lshrrev_b32_e32 v6, 16, v6
	v_cmp_o_f32_e64 s[2:3], v0, v0
	v_cndmask_b32_e64 v0, v2, v6, s[2:3]
	global_store_short v[4:5], v0, off offset:128
.LBB145_12:
	s_or_b64 exec, exec, s[6:7]
	v_cmp_ne_u32_e64 s[2:3], 1, v12
	s_and_b64 exec, exec, s[2:3]
	s_cbranch_execz .LBB145_16
; %bb.13:
	s_and_b64 exec, exec, s[0:1]
	s_cbranch_execz .LBB145_16
; %bb.14:
	s_mov_b32 s0, 0x800000
	v_mov_b32_e32 v0, 0x4f800000
	v_cmp_gt_f32_e64 s[0:1], s0, v9
	v_cndmask_b32_e64 v0, 1.0, v0, s[0:1]
	v_mul_f32_e32 v0, v9, v0
	v_log_f32_e32 v0, v0
	s_mov_b32 s2, 0x3f317217
	s_mov_b32 s15, 0
	v_mul_f32_e32 v2, 0x3f317217, v0
	v_fma_f32 v6, v0, s2, -v2
	v_fmac_f32_e32 v6, 0x3377d1cf, v0
	s_mov_b32 s2, 0x7f800000
	v_add_f32_e32 v2, v2, v6
	v_cmp_lt_f32_e64 s[2:3], |v0|, s2
	v_cndmask_b32_e64 v0, v0, v2, s[2:3]
	v_mov_b32_e32 v2, 0x41b17218
	v_cndmask_b32_e64 v2, 0, v2, s[0:1]
	v_sub_f32_e32 v0, v0, v2
	v_sub_f32_e32 v2, v3, v7
	;; [unrolled: 1-line block ×3, first 2 shown]
	v_bfe_u32 v2, v3, 16, 1
	s_movk_i32 s2, 0x7fff
	v_add3_u32 v2, v3, v2, s2
	v_lshrrev_b32_e32 v6, 16, v2
	v_mov_b32_e32 v2, 0x7fc0
	v_cmp_o_f32_e64 s[0:1], v3, v3
	v_cndmask_b32_e64 v3, v2, v6, s[0:1]
	s_lshl_b64 s[0:1], s[14:15], 1
	v_mov_b32_e32 v6, s1
	v_add_co_u32_e64 v8, s[0:1], s0, v4
	v_addc_co_u32_e64 v9, s[0:1], v5, v6, s[0:1]
	global_store_short v[8:9], v3, off
	s_and_b64 exec, exec, vcc
	s_cbranch_execz .LBB145_16
; %bb.15:
	v_sub_f32_e32 v1, v1, v7
	v_sub_f32_e32 v0, v1, v0
	v_bfe_u32 v1, v0, 16, 1
	v_add3_u32 v1, v0, v1, s2
	s_ashr_i32 s15, s14, 31
	v_lshrrev_b32_e32 v1, 16, v1
	v_cmp_o_f32_e32 vcc, v0, v0
	s_lshl_b64 s[0:1], s[14:15], 1
	v_cndmask_b32_e32 v2, v2, v1, vcc
	v_mov_b32_e32 v1, s1
	v_add_co_u32_e32 v0, vcc, s0, v4
	v_addc_co_u32_e32 v1, vcc, v5, v1, vcc
	global_store_short v[0:1], v2, off offset:128
.LBB145_16:
	s_endpgm
	.section	.rodata,"a",@progbits
	.p2align	6, 0x0
	.amdhsa_kernel _ZN12_GLOBAL__N_120softmax_warp_forwardIN3c108BFloat16ES2_fLi7ELb1ELb0ELi64EEEvPT0_PKT_iiiPKbib
		.amdhsa_group_segment_fixed_size 0
		.amdhsa_private_segment_fixed_size 0
		.amdhsa_kernarg_size 304
		.amdhsa_user_sgpr_count 6
		.amdhsa_user_sgpr_private_segment_buffer 1
		.amdhsa_user_sgpr_dispatch_ptr 0
		.amdhsa_user_sgpr_queue_ptr 0
		.amdhsa_user_sgpr_kernarg_segment_ptr 1
		.amdhsa_user_sgpr_dispatch_id 0
		.amdhsa_user_sgpr_flat_scratch_init 0
		.amdhsa_user_sgpr_kernarg_preload_length 0
		.amdhsa_user_sgpr_kernarg_preload_offset 0
		.amdhsa_user_sgpr_private_segment_size 0
		.amdhsa_uses_dynamic_stack 0
		.amdhsa_system_sgpr_private_segment_wavefront_offset 0
		.amdhsa_system_sgpr_workgroup_id_x 1
		.amdhsa_system_sgpr_workgroup_id_y 0
		.amdhsa_system_sgpr_workgroup_id_z 0
		.amdhsa_system_sgpr_workgroup_info 0
		.amdhsa_system_vgpr_workitem_id 1
		.amdhsa_next_free_vgpr 24
		.amdhsa_next_free_sgpr 16
		.amdhsa_accum_offset 24
		.amdhsa_reserve_vcc 1
		.amdhsa_reserve_flat_scratch 0
		.amdhsa_float_round_mode_32 0
		.amdhsa_float_round_mode_16_64 0
		.amdhsa_float_denorm_mode_32 3
		.amdhsa_float_denorm_mode_16_64 3
		.amdhsa_dx10_clamp 1
		.amdhsa_ieee_mode 1
		.amdhsa_fp16_overflow 0
		.amdhsa_tg_split 0
		.amdhsa_exception_fp_ieee_invalid_op 0
		.amdhsa_exception_fp_denorm_src 0
		.amdhsa_exception_fp_ieee_div_zero 0
		.amdhsa_exception_fp_ieee_overflow 0
		.amdhsa_exception_fp_ieee_underflow 0
		.amdhsa_exception_fp_ieee_inexact 0
		.amdhsa_exception_int_div_zero 0
	.end_amdhsa_kernel
	.section	.text._ZN12_GLOBAL__N_120softmax_warp_forwardIN3c108BFloat16ES2_fLi7ELb1ELb0ELi64EEEvPT0_PKT_iiiPKbib,"axG",@progbits,_ZN12_GLOBAL__N_120softmax_warp_forwardIN3c108BFloat16ES2_fLi7ELb1ELb0ELi64EEEvPT0_PKT_iiiPKbib,comdat
.Lfunc_end145:
	.size	_ZN12_GLOBAL__N_120softmax_warp_forwardIN3c108BFloat16ES2_fLi7ELb1ELb0ELi64EEEvPT0_PKT_iiiPKbib, .Lfunc_end145-_ZN12_GLOBAL__N_120softmax_warp_forwardIN3c108BFloat16ES2_fLi7ELb1ELb0ELi64EEEvPT0_PKT_iiiPKbib
                                        ; -- End function
	.section	.AMDGPU.csdata,"",@progbits
; Kernel info:
; codeLenInByte = 2028
; NumSgprs: 20
; NumVgprs: 24
; NumAgprs: 0
; TotalNumVgprs: 24
; ScratchSize: 0
; MemoryBound: 0
; FloatMode: 240
; IeeeMode: 1
; LDSByteSize: 0 bytes/workgroup (compile time only)
; SGPRBlocks: 2
; VGPRBlocks: 2
; NumSGPRsForWavesPerEU: 20
; NumVGPRsForWavesPerEU: 24
; AccumOffset: 24
; Occupancy: 8
; WaveLimiterHint : 0
; COMPUTE_PGM_RSRC2:SCRATCH_EN: 0
; COMPUTE_PGM_RSRC2:USER_SGPR: 6
; COMPUTE_PGM_RSRC2:TRAP_HANDLER: 0
; COMPUTE_PGM_RSRC2:TGID_X_EN: 1
; COMPUTE_PGM_RSRC2:TGID_Y_EN: 0
; COMPUTE_PGM_RSRC2:TGID_Z_EN: 0
; COMPUTE_PGM_RSRC2:TIDIG_COMP_CNT: 1
; COMPUTE_PGM_RSRC3_GFX90A:ACCUM_OFFSET: 5
; COMPUTE_PGM_RSRC3_GFX90A:TG_SPLIT: 0
	.section	.text._ZN12_GLOBAL__N_120softmax_warp_forwardIN3c108BFloat16ES2_fLi7ELb1ELb0ELi32EEEvPT0_PKT_iiiPKbib,"axG",@progbits,_ZN12_GLOBAL__N_120softmax_warp_forwardIN3c108BFloat16ES2_fLi7ELb1ELb0ELi32EEEvPT0_PKT_iiiPKbib,comdat
	.globl	_ZN12_GLOBAL__N_120softmax_warp_forwardIN3c108BFloat16ES2_fLi7ELb1ELb0ELi32EEEvPT0_PKT_iiiPKbib ; -- Begin function _ZN12_GLOBAL__N_120softmax_warp_forwardIN3c108BFloat16ES2_fLi7ELb1ELb0ELi32EEEvPT0_PKT_iiiPKbib
	.p2align	8
	.type	_ZN12_GLOBAL__N_120softmax_warp_forwardIN3c108BFloat16ES2_fLi7ELb1ELb0ELi32EEEvPT0_PKT_iiiPKbib,@function
_ZN12_GLOBAL__N_120softmax_warp_forwardIN3c108BFloat16ES2_fLi7ELb1ELb0ELi32EEEvPT0_PKT_iiiPKbib: ; @_ZN12_GLOBAL__N_120softmax_warp_forwardIN3c108BFloat16ES2_fLi7ELb1ELb0ELi32EEEvPT0_PKT_iiiPKbib
; %bb.0:
	s_load_dword s0, s[4:5], 0x3c
	s_load_dwordx8 s[12:19], s[4:5], 0x0
	v_bfe_u32 v1, v0, 10, 10
	v_and_b32_e32 v12, 0x3ff, v0
	v_mov_b32_e32 v6, 0xff800000
	s_waitcnt lgkmcnt(0)
	s_lshr_b32 s0, s0, 16
	s_mul_i32 s6, s6, s0
	v_add_lshl_u32 v1, s6, v1, 1
	v_sub_u32_e32 v16, s16, v1
	v_mad_u64_u32 v[0:1], s[0:1], v1, s17, v[12:13]
	v_ashrrev_i32_e32 v1, 31, v0
	v_lshlrev_b64 v[8:9], 1, v[0:1]
	v_mov_b32_e32 v0, s15
	v_add_co_u32_e32 v10, vcc, s14, v8
	v_cmp_lt_i32_e64 s[6:7], 0, v16
	v_cmp_gt_i32_e64 s[4:5], s18, v12
	v_addc_co_u32_e32 v11, vcc, v0, v9, vcc
	s_and_b64 s[2:3], s[6:7], s[4:5]
	v_mov_b32_e32 v0, 0xff800000
	s_and_saveexec_b64 s[0:1], s[2:3]
	s_cbranch_execz .LBB146_2
; %bb.1:
	global_load_ushort v1, v[10:11], off
	s_waitcnt vmcnt(0)
	v_lshlrev_b32_e32 v6, 16, v1
.LBB146_2:
	s_or_b64 exec, exec, s[0:1]
	v_add_u32_e32 v1, 32, v12
	v_cmp_gt_i32_e32 vcc, s18, v1
	s_and_b64 s[2:3], s[6:7], vcc
	s_and_saveexec_b64 s[0:1], s[2:3]
	s_cbranch_execz .LBB146_4
; %bb.3:
	global_load_ushort v0, v[10:11], off offset:64
	s_waitcnt vmcnt(0)
	v_lshlrev_b32_e32 v0, 16, v0
.LBB146_4:
	s_or_b64 exec, exec, s[0:1]
	v_add_u32_e32 v1, 64, v12
	v_cmp_gt_i32_e64 s[0:1], s18, v1
	s_and_b64 s[8:9], s[6:7], s[0:1]
	v_mov_b32_e32 v2, 0xff800000
	v_mov_b32_e32 v4, 0xff800000
	s_and_saveexec_b64 s[2:3], s[8:9]
	s_cbranch_execz .LBB146_6
; %bb.5:
	global_load_ushort v1, v[10:11], off offset:128
	s_waitcnt vmcnt(0)
	v_lshlrev_b32_e32 v4, 16, v1
.LBB146_6:
	s_or_b64 exec, exec, s[2:3]
	v_add_u32_e32 v1, 0x60, v12
	v_cmp_gt_i32_e64 s[2:3], s18, v1
	s_and_b64 s[10:11], s[6:7], s[2:3]
	s_and_saveexec_b64 s[8:9], s[10:11]
	s_cbranch_execz .LBB146_8
; %bb.7:
	global_load_ushort v1, v[10:11], off offset:192
	s_waitcnt vmcnt(0)
	v_lshlrev_b32_e32 v2, 16, v1
.LBB146_8:
	s_or_b64 exec, exec, s[8:9]
	v_cmp_lt_i32_e64 s[8:9], 1, v16
	s_and_b64 s[10:11], s[8:9], s[4:5]
	v_mov_b32_e32 v1, 0xff800000
	v_mov_b32_e32 v7, 0xff800000
	s_and_saveexec_b64 s[14:15], s[10:11]
	s_cbranch_execz .LBB146_10
; %bb.9:
	s_mov_b32 s19, 0
	s_lshl_b64 s[10:11], s[18:19], 1
	v_mov_b32_e32 v3, s11
	v_add_co_u32_e64 v12, s[10:11], s10, v10
	v_addc_co_u32_e64 v13, s[10:11], v11, v3, s[10:11]
	global_load_ushort v3, v[12:13], off
	s_waitcnt vmcnt(0)
	v_lshlrev_b32_e32 v7, 16, v3
.LBB146_10:
	s_or_b64 exec, exec, s[14:15]
	s_and_b64 s[10:11], s[8:9], vcc
	s_and_saveexec_b64 s[14:15], s[10:11]
	s_cbranch_execz .LBB146_12
; %bb.11:
	s_mov_b32 s19, 0
	s_lshl_b64 s[10:11], s[18:19], 1
	v_mov_b32_e32 v1, s11
	v_add_co_u32_e64 v12, s[10:11], s10, v10
	v_addc_co_u32_e64 v13, s[10:11], v11, v1, s[10:11]
	global_load_ushort v1, v[12:13], off offset:64
	s_waitcnt vmcnt(0)
	v_lshlrev_b32_e32 v1, 16, v1
.LBB146_12:
	s_or_b64 exec, exec, s[14:15]
	s_and_b64 s[10:11], s[8:9], s[0:1]
	v_mov_b32_e32 v3, 0xff800000
	v_mov_b32_e32 v5, 0xff800000
	s_and_saveexec_b64 s[14:15], s[10:11]
	s_cbranch_execz .LBB146_14
; %bb.13:
	s_mov_b32 s19, 0
	s_lshl_b64 s[10:11], s[18:19], 1
	v_mov_b32_e32 v5, s11
	v_add_co_u32_e64 v12, s[10:11], s10, v10
	v_addc_co_u32_e64 v13, s[10:11], v11, v5, s[10:11]
	global_load_ushort v5, v[12:13], off offset:128
	s_waitcnt vmcnt(0)
	v_lshlrev_b32_e32 v5, 16, v5
.LBB146_14:
	s_or_b64 exec, exec, s[14:15]
	s_and_b64 s[8:9], s[8:9], s[2:3]
	s_and_saveexec_b64 s[10:11], s[8:9]
	s_cbranch_execz .LBB146_16
; %bb.15:
	s_mov_b32 s19, 0
	s_lshl_b64 s[8:9], s[18:19], 1
	v_mov_b32_e32 v3, s9
	v_add_co_u32_e64 v10, s[8:9], s8, v10
	v_addc_co_u32_e64 v11, s[8:9], v11, v3, s[8:9]
	global_load_ushort v3, v[10:11], off offset:192
	s_waitcnt vmcnt(0)
	v_lshlrev_b32_e32 v3, 16, v3
.LBB146_16:
	s_or_b64 exec, exec, s[10:11]
	v_mbcnt_lo_u32_b32 v12, -1, 0
	v_mbcnt_hi_u32_b32 v12, -1, v12
	v_cmp_gt_f32_e64 s[8:9], v6, v0
	v_and_b32_e32 v13, 0x60, v12
	v_cndmask_b32_e64 v10, v0, v6, s[8:9]
	v_cmp_gt_f32_e64 s[8:9], v7, v1
	v_add_u32_e32 v13, 32, v13
	v_xor_b32_e32 v14, 16, v12
	v_cndmask_b32_e64 v11, v1, v7, s[8:9]
	v_cmp_lt_i32_e64 s[8:9], v14, v13
	v_cndmask_b32_e64 v14, v12, v14, s[8:9]
	v_lshlrev_b32_e32 v17, 2, v14
	v_xor_b32_e32 v14, 8, v12
	v_cmp_lt_i32_e64 s[8:9], v14, v13
	v_cndmask_b32_e64 v14, v12, v14, s[8:9]
	v_lshlrev_b32_e32 v22, 2, v14
	v_xor_b32_e32 v14, 4, v12
	v_cmp_lt_i32_e64 s[8:9], v14, v13
	v_cndmask_b32_e64 v14, v12, v14, s[8:9]
	v_cmp_gt_f32_e64 s[8:9], v11, v5
	v_cndmask_b32_e64 v11, v5, v11, s[8:9]
	v_cmp_gt_f32_e64 s[8:9], v11, v3
	v_cndmask_b32_e64 v11, v3, v11, s[8:9]
	ds_bpermute_b32 v15, v17, v11
	v_cmp_gt_f32_e64 s[8:9], v10, v4
	v_cndmask_b32_e64 v10, v4, v10, s[8:9]
	v_cmp_gt_f32_e64 s[8:9], v10, v2
	v_cndmask_b32_e64 v10, v2, v10, s[8:9]
	ds_bpermute_b32 v18, v17, v10
	s_waitcnt lgkmcnt(1)
	v_cmp_lt_f32_e64 s[8:9], v11, v15
	v_cndmask_b32_e64 v11, v11, v15, s[8:9]
	v_lshlrev_b32_e32 v23, 2, v14
	v_xor_b32_e32 v14, 2, v12
	ds_bpermute_b32 v15, v22, v11
	v_cmp_lt_i32_e64 s[8:9], v14, v13
	v_cndmask_b32_e64 v14, v12, v14, s[8:9]
	s_waitcnt lgkmcnt(1)
	v_cmp_lt_f32_e64 s[8:9], v10, v18
	v_cndmask_b32_e64 v10, v10, v18, s[8:9]
	ds_bpermute_b32 v18, v22, v10
	s_waitcnt lgkmcnt(1)
	v_cmp_lt_f32_e64 s[8:9], v11, v15
	v_cndmask_b32_e64 v11, v11, v15, s[8:9]
	ds_bpermute_b32 v15, v23, v11
	v_lshlrev_b32_e32 v24, 2, v14
	s_waitcnt lgkmcnt(1)
	v_cmp_lt_f32_e64 s[8:9], v10, v18
	v_cndmask_b32_e64 v10, v10, v18, s[8:9]
	ds_bpermute_b32 v14, v23, v10
	s_waitcnt lgkmcnt(1)
	v_cmp_lt_f32_e64 s[8:9], v11, v15
	v_cndmask_b32_e64 v11, v11, v15, s[8:9]
	ds_bpermute_b32 v15, v24, v11
	s_mov_b32 s10, 0x3fb8aa3b
	s_waitcnt lgkmcnt(1)
	v_cmp_lt_f32_e64 s[8:9], v10, v14
	v_cndmask_b32_e64 v10, v10, v14, s[8:9]
	ds_bpermute_b32 v14, v24, v10
	s_waitcnt lgkmcnt(1)
	v_cmp_lt_f32_e64 s[8:9], v11, v15
	v_cndmask_b32_e64 v11, v11, v15, s[8:9]
	v_xor_b32_e32 v15, 1, v12
	v_cmp_lt_i32_e64 s[8:9], v15, v13
	v_cndmask_b32_e64 v12, v12, v15, s[8:9]
	v_lshlrev_b32_e32 v25, 2, v12
	s_waitcnt lgkmcnt(0)
	v_cmp_lt_f32_e64 s[8:9], v10, v14
	ds_bpermute_b32 v12, v25, v11
	v_cndmask_b32_e64 v10, v10, v14, s[8:9]
	ds_bpermute_b32 v13, v25, v10
	s_mov_b32 s11, 0xc2ce8ed0
	s_mov_b32 s14, 0x42b17218
	s_waitcnt lgkmcnt(1)
	v_cmp_lt_f32_e64 s[8:9], v11, v12
	v_cndmask_b32_e64 v11, v11, v12, s[8:9]
	s_waitcnt lgkmcnt(0)
	v_cmp_lt_f32_e64 s[8:9], v10, v13
	v_cndmask_b32_e64 v10, v10, v13, s[8:9]
	v_pk_add_f32 v[12:13], v[6:7], v[10:11] neg_lo:[0,1] neg_hi:[0,1]
	v_mul_f32_e32 v14, 0x3fb8aa3b, v13
	v_fma_f32 v15, v13, s10, -v14
	v_rndne_f32_e32 v18, v14
	v_fmac_f32_e32 v15, 0x32a5705f, v13
	v_sub_f32_e32 v14, v14, v18
	v_add_f32_e32 v14, v14, v15
	v_exp_f32_e32 v14, v14
	v_cvt_i32_f32_e32 v15, v18
	v_cmp_ngt_f32_e64 s[8:9], s11, v13
	v_mov_b32_e32 v26, 0x7f800000
	v_ldexp_f32 v14, v14, v15
	v_mul_f32_e32 v15, 0x3fb8aa3b, v12
	v_fma_f32 v18, v12, s10, -v15
	v_rndne_f32_e32 v19, v15
	v_fmac_f32_e32 v18, 0x32a5705f, v12
	v_sub_f32_e32 v15, v15, v19
	v_add_f32_e32 v15, v15, v18
	v_exp_f32_e32 v15, v15
	v_cvt_i32_f32_e32 v18, v19
	v_cndmask_b32_e64 v14, 0, v14, s[8:9]
	v_cmp_nlt_f32_e64 s[8:9], s14, v13
	v_cndmask_b32_e64 v13, v26, v14, s[8:9]
	v_ldexp_f32 v18, v15, v18
	v_pk_add_f32 v[14:15], v[0:1], v[10:11] neg_lo:[0,1] neg_hi:[0,1]
	v_mul_f32_e32 v19, 0x3fb8aa3b, v15
	v_fma_f32 v20, v15, s10, -v19
	v_rndne_f32_e32 v21, v19
	v_fmac_f32_e32 v20, 0x32a5705f, v15
	v_sub_f32_e32 v19, v19, v21
	v_add_f32_e32 v19, v19, v20
	v_exp_f32_e32 v19, v19
	v_cvt_i32_f32_e32 v20, v21
	v_cmp_ngt_f32_e64 s[8:9], s11, v12
	v_cndmask_b32_e64 v18, 0, v18, s[8:9]
	v_cmp_nlt_f32_e64 s[8:9], s14, v12
	v_cndmask_b32_e64 v12, v26, v18, s[8:9]
	v_ldexp_f32 v18, v19, v20
	v_mul_f32_e32 v19, 0x3fb8aa3b, v14
	v_fma_f32 v20, v14, s10, -v19
	v_rndne_f32_e32 v21, v19
	v_fmac_f32_e32 v20, 0x32a5705f, v14
	v_sub_f32_e32 v19, v19, v21
	v_add_f32_e32 v19, v19, v20
	v_exp_f32_e32 v19, v19
	v_cvt_i32_f32_e32 v20, v21
	v_cmp_ngt_f32_e64 s[8:9], s11, v15
	v_cndmask_b32_e64 v18, 0, v18, s[8:9]
	v_cmp_nlt_f32_e64 s[8:9], s14, v15
	v_cndmask_b32_e64 v15, v26, v18, s[8:9]
	v_ldexp_f32 v18, v19, v20
	v_cmp_ngt_f32_e64 s[8:9], s11, v14
	v_cndmask_b32_e64 v20, 0, v18, s[8:9]
	v_pk_add_f32 v[18:19], v[4:5], v[10:11] neg_lo:[0,1] neg_hi:[0,1]
	v_mul_f32_e32 v21, 0x3fb8aa3b, v19
	v_fma_f32 v27, v19, s10, -v21
	v_rndne_f32_e32 v28, v21
	v_fmac_f32_e32 v27, 0x32a5705f, v19
	v_sub_f32_e32 v21, v21, v28
	v_add_f32_e32 v21, v21, v27
	v_exp_f32_e32 v21, v21
	v_cvt_i32_f32_e32 v27, v28
	v_cmp_nlt_f32_e64 s[8:9], s14, v14
	v_cndmask_b32_e64 v14, v26, v20, s[8:9]
	v_pk_add_f32 v[12:13], v[12:13], v[14:15]
	v_mul_f32_e32 v15, 0x3fb8aa3b, v18
	v_ldexp_f32 v14, v21, v27
	v_fma_f32 v20, v18, s10, -v15
	v_rndne_f32_e32 v21, v15
	v_fmac_f32_e32 v20, 0x32a5705f, v18
	v_sub_f32_e32 v15, v15, v21
	v_add_f32_e32 v15, v15, v20
	v_exp_f32_e32 v20, v15
	v_cvt_i32_f32_e32 v21, v21
	v_cmp_ngt_f32_e64 s[8:9], s11, v19
	v_cndmask_b32_e64 v14, 0, v14, s[8:9]
	v_cmp_nlt_f32_e64 s[8:9], s14, v19
	v_cndmask_b32_e64 v15, v26, v14, s[8:9]
	v_ldexp_f32 v14, v20, v21
	v_pk_add_f32 v[20:21], v[2:3], v[10:11] neg_lo:[0,1] neg_hi:[0,1]
	v_mul_f32_e32 v19, 0x3fb8aa3b, v21
	v_fma_f32 v27, v21, s10, -v19
	v_rndne_f32_e32 v28, v19
	v_fmac_f32_e32 v27, 0x32a5705f, v21
	v_sub_f32_e32 v19, v19, v28
	v_add_f32_e32 v19, v19, v27
	v_cmp_ngt_f32_e64 s[8:9], s11, v18
	v_exp_f32_e32 v19, v19
	v_cvt_i32_f32_e32 v27, v28
	v_cndmask_b32_e64 v14, 0, v14, s[8:9]
	v_cmp_nlt_f32_e64 s[8:9], s14, v18
	v_cndmask_b32_e64 v14, v26, v14, s[8:9]
	v_pk_add_f32 v[12:13], v[12:13], v[14:15]
	v_mul_f32_e32 v15, 0x3fb8aa3b, v20
	v_ldexp_f32 v14, v19, v27
	v_fma_f32 v18, v20, s10, -v15
	v_rndne_f32_e32 v19, v15
	v_fmac_f32_e32 v18, 0x32a5705f, v20
	v_sub_f32_e32 v15, v15, v19
	v_add_f32_e32 v15, v15, v18
	v_exp_f32_e32 v18, v15
	v_cvt_i32_f32_e32 v19, v19
	v_cmp_ngt_f32_e64 s[8:9], s11, v21
	v_cndmask_b32_e64 v14, 0, v14, s[8:9]
	v_cmp_nlt_f32_e64 s[8:9], s14, v21
	v_cndmask_b32_e64 v15, v26, v14, s[8:9]
	v_ldexp_f32 v14, v18, v19
	v_cmp_ngt_f32_e64 s[8:9], s11, v20
	v_cndmask_b32_e64 v14, 0, v14, s[8:9]
	v_cmp_nlt_f32_e64 s[8:9], s14, v20
	v_cndmask_b32_e64 v14, v26, v14, s[8:9]
	v_pk_add_f32 v[12:13], v[12:13], v[14:15]
	ds_bpermute_b32 v14, v17, v12
	ds_bpermute_b32 v15, v17, v13
	s_waitcnt lgkmcnt(0)
	v_pk_add_f32 v[12:13], v[12:13], v[14:15]
	ds_bpermute_b32 v14, v22, v12
	ds_bpermute_b32 v15, v22, v13
	s_waitcnt lgkmcnt(0)
	v_pk_add_f32 v[12:13], v[12:13], v[14:15]
	ds_bpermute_b32 v14, v23, v12
	ds_bpermute_b32 v15, v23, v13
	s_waitcnt lgkmcnt(0)
	v_pk_add_f32 v[12:13], v[12:13], v[14:15]
	ds_bpermute_b32 v14, v24, v12
	ds_bpermute_b32 v15, v24, v13
	s_waitcnt lgkmcnt(0)
	v_pk_add_f32 v[12:13], v[12:13], v[14:15]
	ds_bpermute_b32 v14, v25, v12
	ds_bpermute_b32 v15, v25, v13
	s_and_saveexec_b64 s[8:9], s[6:7]
	s_cbranch_execz .LBB146_28
; %bb.17:
	v_mov_b32_e32 v17, s13
	v_add_co_u32_e64 v8, s[6:7], s12, v8
	v_addc_co_u32_e64 v9, s[6:7], v17, v9, s[6:7]
	s_waitcnt lgkmcnt(0)
	v_pk_add_f32 v[12:13], v[12:13], v[14:15]
	s_and_saveexec_b64 s[10:11], s[4:5]
	s_cbranch_execz .LBB146_22
; %bb.18:
	s_mov_b32 s6, 0x800000
	v_mov_b32_e32 v14, 0x4f800000
	v_cmp_gt_f32_e64 s[6:7], s6, v12
	v_cndmask_b32_e64 v14, 1.0, v14, s[6:7]
	v_mul_f32_e32 v12, v12, v14
	v_log_f32_e32 v12, v12
	s_mov_b32 s8, 0x3f317217
	v_sub_f32_e32 v6, v6, v10
	v_mul_f32_e32 v14, 0x3f317217, v12
	v_fma_f32 v15, v12, s8, -v14
	v_fmac_f32_e32 v15, 0x3377d1cf, v12
	s_mov_b32 s8, 0x7f800000
	v_add_f32_e32 v14, v14, v15
	v_cmp_lt_f32_e64 s[8:9], |v12|, s8
	v_cndmask_b32_e64 v12, v12, v14, s[8:9]
	v_mov_b32_e32 v14, 0x41b17218
	v_cndmask_b32_e64 v14, 0, v14, s[6:7]
	v_sub_f32_e32 v12, v12, v14
	v_sub_f32_e32 v14, v6, v12
	v_bfe_u32 v6, v14, 16, 1
	s_movk_i32 s8, 0x7fff
	v_add3_u32 v6, v14, v6, s8
	v_lshrrev_b32_e32 v15, 16, v6
	v_mov_b32_e32 v6, 0x7fc0
	v_cmp_o_f32_e64 s[6:7], v14, v14
	v_cndmask_b32_e64 v14, v6, v15, s[6:7]
	global_store_short v[8:9], v14, off
	s_and_b64 exec, exec, vcc
	s_cbranch_execz .LBB146_22
; %bb.19:
	v_sub_f32_e32 v0, v0, v10
	v_sub_f32_e32 v0, v0, v12
	v_bfe_u32 v14, v0, 16, 1
	v_add3_u32 v14, v0, v14, s8
	v_lshrrev_b32_e32 v14, 16, v14
	v_cmp_o_f32_e64 s[6:7], v0, v0
	v_cndmask_b32_e64 v0, v6, v14, s[6:7]
	global_store_short v[8:9], v0, off offset:64
	s_and_b64 exec, exec, s[0:1]
	s_cbranch_execz .LBB146_22
; %bb.20:
	v_sub_f32_e32 v0, v4, v10
	v_sub_f32_e32 v4, v0, v12
	v_bfe_u32 v0, v4, 16, 1
	v_add3_u32 v0, v4, v0, s8
	v_lshrrev_b32_e32 v6, 16, v0
	v_mov_b32_e32 v0, 0x7fc0
	v_cmp_o_f32_e64 s[6:7], v4, v4
	v_cndmask_b32_e64 v4, v0, v6, s[6:7]
	global_store_short v[8:9], v4, off offset:128
	s_and_b64 exec, exec, s[2:3]
	s_cbranch_execz .LBB146_22
; %bb.21:
	v_sub_f32_e32 v2, v2, v10
	v_sub_f32_e32 v2, v2, v12
	v_bfe_u32 v4, v2, 16, 1
	v_add3_u32 v4, v2, v4, s8
	v_lshrrev_b32_e32 v4, 16, v4
	v_cmp_o_f32_e64 s[6:7], v2, v2
	v_cndmask_b32_e64 v0, v0, v4, s[6:7]
	global_store_short v[8:9], v0, off offset:192
.LBB146_22:
	s_or_b64 exec, exec, s[10:11]
	v_cmp_ne_u32_e64 s[6:7], 1, v16
	s_and_b64 exec, exec, s[6:7]
	s_cbranch_execz .LBB146_28
; %bb.23:
	s_and_b64 exec, exec, s[4:5]
	s_cbranch_execz .LBB146_28
; %bb.24:
	s_mov_b32 s4, 0x800000
	v_mov_b32_e32 v0, 0x4f800000
	v_cmp_gt_f32_e64 s[4:5], s4, v13
	v_cndmask_b32_e64 v0, 1.0, v0, s[4:5]
	v_mul_f32_e32 v0, v13, v0
	v_log_f32_e32 v0, v0
	s_mov_b32 s6, 0x3f317217
	s_ashr_i32 s19, s18, 31
	v_mul_f32_e32 v2, 0x3f317217, v0
	v_fma_f32 v4, v0, s6, -v2
	v_fmac_f32_e32 v4, 0x3377d1cf, v0
	s_mov_b32 s6, 0x7f800000
	v_add_f32_e32 v2, v2, v4
	v_cmp_lt_f32_e64 s[6:7], |v0|, s6
	v_cndmask_b32_e64 v0, v0, v2, s[6:7]
	v_mov_b32_e32 v2, 0x41b17218
	v_cndmask_b32_e64 v2, 0, v2, s[4:5]
	v_sub_f32_e32 v0, v0, v2
	v_sub_f32_e32 v2, v7, v11
	;; [unrolled: 1-line block ×3, first 2 shown]
	v_bfe_u32 v2, v4, 16, 1
	s_movk_i32 s6, 0x7fff
	v_add3_u32 v2, v4, v2, s6
	v_lshrrev_b32_e32 v6, 16, v2
	v_mov_b32_e32 v2, 0x7fc0
	v_cmp_o_f32_e64 s[4:5], v4, v4
	v_cndmask_b32_e64 v4, v2, v6, s[4:5]
	s_lshl_b64 s[4:5], s[18:19], 1
	v_mov_b32_e32 v7, s5
	v_add_co_u32_e64 v6, s[4:5], s4, v8
	v_addc_co_u32_e64 v7, s[4:5], v9, v7, s[4:5]
	global_store_short v[6:7], v4, off
	s_and_b64 exec, exec, vcc
	s_cbranch_execz .LBB146_28
; %bb.25:
	v_sub_f32_e32 v1, v1, v11
	v_sub_f32_e32 v1, v1, v0
	v_bfe_u32 v4, v1, 16, 1
	v_add3_u32 v4, v1, v4, s6
	v_lshrrev_b32_e32 v4, 16, v4
	v_cmp_o_f32_e32 vcc, v1, v1
	v_cndmask_b32_e32 v1, v2, v4, vcc
	global_store_short v[6:7], v1, off offset:64
	s_and_b64 exec, exec, s[0:1]
	s_cbranch_execz .LBB146_28
; %bb.26:
	v_sub_f32_e32 v1, v5, v11
	v_sub_f32_e32 v2, v1, v0
	v_bfe_u32 v1, v2, 16, 1
	s_movk_i32 s0, 0x7fff
	v_add3_u32 v1, v2, v1, s0
	v_lshrrev_b32_e32 v4, 16, v1
	v_mov_b32_e32 v1, 0x7fc0
	v_cmp_o_f32_e32 vcc, v2, v2
	v_cndmask_b32_e32 v2, v1, v4, vcc
	global_store_short v[6:7], v2, off offset:128
	s_and_b64 exec, exec, s[2:3]
	s_cbranch_execz .LBB146_28
; %bb.27:
	v_sub_f32_e32 v2, v3, v11
	v_sub_f32_e32 v0, v2, v0
	v_bfe_u32 v2, v0, 16, 1
	v_add3_u32 v2, v0, v2, s0
	v_lshrrev_b32_e32 v2, 16, v2
	v_cmp_o_f32_e32 vcc, v0, v0
	v_cndmask_b32_e32 v0, v1, v2, vcc
	global_store_short v[6:7], v0, off offset:192
.LBB146_28:
	s_endpgm
	.section	.rodata,"a",@progbits
	.p2align	6, 0x0
	.amdhsa_kernel _ZN12_GLOBAL__N_120softmax_warp_forwardIN3c108BFloat16ES2_fLi7ELb1ELb0ELi32EEEvPT0_PKT_iiiPKbib
		.amdhsa_group_segment_fixed_size 0
		.amdhsa_private_segment_fixed_size 0
		.amdhsa_kernarg_size 304
		.amdhsa_user_sgpr_count 6
		.amdhsa_user_sgpr_private_segment_buffer 1
		.amdhsa_user_sgpr_dispatch_ptr 0
		.amdhsa_user_sgpr_queue_ptr 0
		.amdhsa_user_sgpr_kernarg_segment_ptr 1
		.amdhsa_user_sgpr_dispatch_id 0
		.amdhsa_user_sgpr_flat_scratch_init 0
		.amdhsa_user_sgpr_kernarg_preload_length 0
		.amdhsa_user_sgpr_kernarg_preload_offset 0
		.amdhsa_user_sgpr_private_segment_size 0
		.amdhsa_uses_dynamic_stack 0
		.amdhsa_system_sgpr_private_segment_wavefront_offset 0
		.amdhsa_system_sgpr_workgroup_id_x 1
		.amdhsa_system_sgpr_workgroup_id_y 0
		.amdhsa_system_sgpr_workgroup_id_z 0
		.amdhsa_system_sgpr_workgroup_info 0
		.amdhsa_system_vgpr_workitem_id 1
		.amdhsa_next_free_vgpr 29
		.amdhsa_next_free_sgpr 20
		.amdhsa_accum_offset 32
		.amdhsa_reserve_vcc 1
		.amdhsa_reserve_flat_scratch 0
		.amdhsa_float_round_mode_32 0
		.amdhsa_float_round_mode_16_64 0
		.amdhsa_float_denorm_mode_32 3
		.amdhsa_float_denorm_mode_16_64 3
		.amdhsa_dx10_clamp 1
		.amdhsa_ieee_mode 1
		.amdhsa_fp16_overflow 0
		.amdhsa_tg_split 0
		.amdhsa_exception_fp_ieee_invalid_op 0
		.amdhsa_exception_fp_denorm_src 0
		.amdhsa_exception_fp_ieee_div_zero 0
		.amdhsa_exception_fp_ieee_overflow 0
		.amdhsa_exception_fp_ieee_underflow 0
		.amdhsa_exception_fp_ieee_inexact 0
		.amdhsa_exception_int_div_zero 0
	.end_amdhsa_kernel
	.section	.text._ZN12_GLOBAL__N_120softmax_warp_forwardIN3c108BFloat16ES2_fLi7ELb1ELb0ELi32EEEvPT0_PKT_iiiPKbib,"axG",@progbits,_ZN12_GLOBAL__N_120softmax_warp_forwardIN3c108BFloat16ES2_fLi7ELb1ELb0ELi32EEEvPT0_PKT_iiiPKbib,comdat
.Lfunc_end146:
	.size	_ZN12_GLOBAL__N_120softmax_warp_forwardIN3c108BFloat16ES2_fLi7ELb1ELb0ELi32EEEvPT0_PKT_iiiPKbib, .Lfunc_end146-_ZN12_GLOBAL__N_120softmax_warp_forwardIN3c108BFloat16ES2_fLi7ELb1ELb0ELi32EEEvPT0_PKT_iiiPKbib
                                        ; -- End function
	.section	.AMDGPU.csdata,"",@progbits
; Kernel info:
; codeLenInByte = 2824
; NumSgprs: 24
; NumVgprs: 29
; NumAgprs: 0
; TotalNumVgprs: 29
; ScratchSize: 0
; MemoryBound: 0
; FloatMode: 240
; IeeeMode: 1
; LDSByteSize: 0 bytes/workgroup (compile time only)
; SGPRBlocks: 2
; VGPRBlocks: 3
; NumSGPRsForWavesPerEU: 24
; NumVGPRsForWavesPerEU: 29
; AccumOffset: 32
; Occupancy: 8
; WaveLimiterHint : 0
; COMPUTE_PGM_RSRC2:SCRATCH_EN: 0
; COMPUTE_PGM_RSRC2:USER_SGPR: 6
; COMPUTE_PGM_RSRC2:TRAP_HANDLER: 0
; COMPUTE_PGM_RSRC2:TGID_X_EN: 1
; COMPUTE_PGM_RSRC2:TGID_Y_EN: 0
; COMPUTE_PGM_RSRC2:TGID_Z_EN: 0
; COMPUTE_PGM_RSRC2:TIDIG_COMP_CNT: 1
; COMPUTE_PGM_RSRC3_GFX90A:ACCUM_OFFSET: 7
; COMPUTE_PGM_RSRC3_GFX90A:TG_SPLIT: 0
	.section	.text._ZN12_GLOBAL__N_120softmax_warp_forwardIN3c108BFloat16ES2_fLi8ELb1ELb0ELi64EEEvPT0_PKT_iiiPKbib,"axG",@progbits,_ZN12_GLOBAL__N_120softmax_warp_forwardIN3c108BFloat16ES2_fLi8ELb1ELb0ELi64EEEvPT0_PKT_iiiPKbib,comdat
	.globl	_ZN12_GLOBAL__N_120softmax_warp_forwardIN3c108BFloat16ES2_fLi8ELb1ELb0ELi64EEEvPT0_PKT_iiiPKbib ; -- Begin function _ZN12_GLOBAL__N_120softmax_warp_forwardIN3c108BFloat16ES2_fLi8ELb1ELb0ELi64EEEvPT0_PKT_iiiPKbib
	.p2align	8
	.type	_ZN12_GLOBAL__N_120softmax_warp_forwardIN3c108BFloat16ES2_fLi8ELb1ELb0ELi64EEEvPT0_PKT_iiiPKbib,@function
_ZN12_GLOBAL__N_120softmax_warp_forwardIN3c108BFloat16ES2_fLi8ELb1ELb0ELi64EEEvPT0_PKT_iiiPKbib: ; @_ZN12_GLOBAL__N_120softmax_warp_forwardIN3c108BFloat16ES2_fLi8ELb1ELb0ELi64EEEvPT0_PKT_iiiPKbib
; %bb.0:
	s_load_dword s0, s[4:5], 0x3c
	s_load_dwordx8 s[8:15], s[4:5], 0x0
	v_bfe_u32 v1, v0, 10, 10
	v_and_b32_e32 v4, 0x3ff, v0
	v_mov_b32_e32 v7, 0xff800000
	s_waitcnt lgkmcnt(0)
	s_lshr_b32 s0, s0, 16
	s_mul_i32 s6, s6, s0
	v_add_u32_e32 v1, s6, v1
	v_sub_u32_e32 v5, s12, v1
	v_mad_u64_u32 v[0:1], s[0:1], v1, s13, v[4:5]
	v_ashrrev_i32_e32 v1, 31, v0
	v_lshlrev_b64 v[0:1], 1, v[0:1]
	v_mov_b32_e32 v3, s11
	v_add_co_u32_e32 v2, vcc, s10, v0
	v_cmp_lt_i32_e64 s[6:7], 0, v5
	v_cmp_gt_i32_e64 s[4:5], s14, v4
	v_addc_co_u32_e32 v3, vcc, v3, v1, vcc
	s_and_b64 s[2:3], s[6:7], s[4:5]
	v_mov_b32_e32 v9, 0xff800000
	s_and_saveexec_b64 s[0:1], s[2:3]
	s_cbranch_execz .LBB147_2
; %bb.1:
	global_load_ushort v6, v[2:3], off
	s_waitcnt vmcnt(0)
	v_lshlrev_b32_e32 v9, 16, v6
.LBB147_2:
	s_or_b64 exec, exec, s[0:1]
	v_add_u32_e32 v6, 64, v4
	v_cmp_gt_i32_e32 vcc, s14, v6
	s_and_b64 s[2:3], s[6:7], vcc
	s_and_saveexec_b64 s[0:1], s[2:3]
	s_cbranch_execz .LBB147_4
; %bb.3:
	global_load_ushort v6, v[2:3], off offset:128
	s_waitcnt vmcnt(0)
	v_lshlrev_b32_e32 v7, 16, v6
.LBB147_4:
	s_or_b64 exec, exec, s[0:1]
	v_add_u32_e32 v6, 0x80, v4
	v_cmp_gt_i32_e64 s[0:1], s14, v6
	s_and_b64 s[10:11], s[6:7], s[0:1]
	v_mov_b32_e32 v6, 0xff800000
	v_mov_b32_e32 v8, 0xff800000
	s_and_saveexec_b64 s[2:3], s[10:11]
	s_cbranch_execz .LBB147_6
; %bb.5:
	global_load_ushort v8, v[2:3], off offset:256
	s_waitcnt vmcnt(0)
	v_lshlrev_b32_e32 v8, 16, v8
.LBB147_6:
	s_or_b64 exec, exec, s[2:3]
	v_add_u32_e32 v4, 0xc0, v4
	v_cmp_gt_i32_e64 s[2:3], s14, v4
	s_and_b64 s[10:11], s[6:7], s[2:3]
	s_and_saveexec_b64 s[6:7], s[10:11]
	s_cbranch_execz .LBB147_8
; %bb.7:
	global_load_ushort v2, v[2:3], off offset:384
	s_waitcnt vmcnt(0)
	v_lshlrev_b32_e32 v6, 16, v2
.LBB147_8:
	s_or_b64 exec, exec, s[6:7]
	v_cmp_gt_f32_e64 s[6:7], v9, v7
	v_cndmask_b32_e64 v2, v7, v9, s[6:7]
	v_mbcnt_lo_u32_b32 v3, -1, 0
	v_cmp_gt_f32_e64 s[6:7], v2, v8
	v_mbcnt_hi_u32_b32 v3, -1, v3
	v_cndmask_b32_e64 v2, v8, v2, s[6:7]
	v_and_b32_e32 v4, 64, v3
	v_cmp_gt_f32_e64 s[6:7], v2, v6
	v_add_u32_e32 v4, 64, v4
	v_xor_b32_e32 v10, 32, v3
	v_cndmask_b32_e64 v2, v6, v2, s[6:7]
	v_cmp_lt_i32_e64 s[6:7], v10, v4
	v_cndmask_b32_e64 v10, v3, v10, s[6:7]
	v_lshlrev_b32_e32 v10, 2, v10
	ds_bpermute_b32 v11, v10, v2
	s_mov_b32 s10, 0x3fb8aa3b
	s_mov_b32 s11, 0xc2ce8ed0
	;; [unrolled: 1-line block ×3, first 2 shown]
	s_waitcnt lgkmcnt(0)
	v_cmp_lt_f32_e64 s[6:7], v2, v11
	v_cndmask_b32_e64 v2, v2, v11, s[6:7]
	v_xor_b32_e32 v11, 16, v3
	v_cmp_lt_i32_e64 s[6:7], v11, v4
	v_cndmask_b32_e64 v11, v3, v11, s[6:7]
	v_lshlrev_b32_e32 v11, 2, v11
	ds_bpermute_b32 v12, v11, v2
	s_waitcnt lgkmcnt(0)
	v_cmp_lt_f32_e64 s[6:7], v2, v12
	v_cndmask_b32_e64 v2, v2, v12, s[6:7]
	v_xor_b32_e32 v12, 8, v3
	v_cmp_lt_i32_e64 s[6:7], v12, v4
	v_cndmask_b32_e64 v12, v3, v12, s[6:7]
	v_lshlrev_b32_e32 v12, 2, v12
	ds_bpermute_b32 v13, v12, v2
	;; [unrolled: 8-line block ×5, first 2 shown]
	s_waitcnt lgkmcnt(0)
	v_cmp_lt_f32_e64 s[6:7], v2, v3
	v_cndmask_b32_e64 v16, v2, v3, s[6:7]
	v_sub_f32_e32 v2, v9, v16
	v_mul_f32_e32 v3, 0x3fb8aa3b, v2
	v_fma_f32 v4, v2, s10, -v3
	v_rndne_f32_e32 v9, v3
	v_fmac_f32_e32 v4, 0x32a5705f, v2
	v_sub_f32_e32 v3, v3, v9
	v_add_f32_e32 v3, v3, v4
	v_exp_f32_e32 v3, v3
	v_cvt_i32_f32_e32 v4, v9
	v_cmp_ngt_f32_e64 s[6:7], s11, v2
	v_sub_f32_e32 v6, v6, v16
	v_ldexp_f32 v3, v3, v4
	v_cndmask_b32_e64 v4, 0, v3, s[6:7]
	v_sub_f32_e32 v3, v7, v16
	v_mul_f32_e32 v7, 0x3fb8aa3b, v3
	v_fma_f32 v9, v3, s10, -v7
	v_rndne_f32_e32 v17, v7
	v_fmac_f32_e32 v9, 0x32a5705f, v3
	v_sub_f32_e32 v7, v7, v17
	v_add_f32_e32 v7, v7, v9
	v_exp_f32_e32 v7, v7
	v_cvt_i32_f32_e32 v9, v17
	v_mov_b32_e32 v17, 0x7f800000
	v_cmp_nlt_f32_e64 s[6:7], s12, v2
	v_cndmask_b32_e64 v18, v17, v4, s[6:7]
	v_ldexp_f32 v4, v7, v9
	v_cmp_ngt_f32_e64 s[6:7], s11, v3
	v_cndmask_b32_e64 v7, 0, v4, s[6:7]
	v_sub_f32_e32 v4, v8, v16
	v_mul_f32_e32 v8, 0x3fb8aa3b, v4
	v_fma_f32 v9, v4, s10, -v8
	v_rndne_f32_e32 v19, v8
	v_fmac_f32_e32 v9, 0x32a5705f, v4
	v_sub_f32_e32 v8, v8, v19
	v_add_f32_e32 v8, v8, v9
	v_exp_f32_e32 v8, v8
	v_cvt_i32_f32_e32 v9, v19
	v_cmp_nlt_f32_e64 s[6:7], s12, v3
	v_cndmask_b32_e64 v7, v17, v7, s[6:7]
	v_add_f32_e32 v7, v18, v7
	v_ldexp_f32 v8, v8, v9
	v_mul_f32_e32 v9, 0x3fb8aa3b, v6
	v_fma_f32 v16, v6, s10, -v9
	v_rndne_f32_e32 v18, v9
	v_fmac_f32_e32 v16, 0x32a5705f, v6
	v_sub_f32_e32 v9, v9, v18
	v_add_f32_e32 v9, v9, v16
	v_exp_f32_e32 v9, v9
	v_cvt_i32_f32_e32 v16, v18
	v_cmp_ngt_f32_e64 s[6:7], s11, v4
	v_cndmask_b32_e64 v8, 0, v8, s[6:7]
	v_cmp_nlt_f32_e64 s[6:7], s12, v4
	v_cndmask_b32_e64 v8, v17, v8, s[6:7]
	v_add_f32_e32 v7, v7, v8
	v_ldexp_f32 v8, v9, v16
	v_cmp_ngt_f32_e64 s[6:7], s11, v6
	v_cndmask_b32_e64 v8, 0, v8, s[6:7]
	v_cmp_nlt_f32_e64 s[6:7], s12, v6
	v_cndmask_b32_e64 v8, v17, v8, s[6:7]
	v_add_f32_e32 v7, v7, v8
	ds_bpermute_b32 v8, v10, v7
	v_cmp_lt_i32_e64 s[6:7], 0, v5
	s_waitcnt lgkmcnt(0)
	v_add_f32_e32 v7, v7, v8
	ds_bpermute_b32 v8, v11, v7
	s_waitcnt lgkmcnt(0)
	v_add_f32_e32 v7, v7, v8
	ds_bpermute_b32 v8, v12, v7
	;; [unrolled: 3-line block ×5, first 2 shown]
	s_and_saveexec_b64 s[10:11], s[6:7]
	s_cbranch_execz .LBB147_14
; %bb.9:
	s_and_b64 exec, exec, s[4:5]
	s_cbranch_execz .LBB147_14
; %bb.10:
	s_waitcnt lgkmcnt(0)
	v_add_f32_e32 v5, v7, v8
	s_mov_b32 s4, 0x800000
	v_mov_b32_e32 v7, 0x4f800000
	v_cmp_gt_f32_e64 s[4:5], s4, v5
	v_cndmask_b32_e64 v7, 1.0, v7, s[4:5]
	v_mul_f32_e32 v5, v5, v7
	v_log_f32_e32 v5, v5
	s_mov_b32 s6, 0x3f317217
	v_mul_f32_e32 v7, 0x3f317217, v5
	v_fma_f32 v8, v5, s6, -v7
	v_fmac_f32_e32 v8, 0x3377d1cf, v5
	s_mov_b32 s6, 0x7f800000
	v_add_f32_e32 v7, v7, v8
	v_cmp_lt_f32_e64 s[6:7], |v5|, s6
	v_cndmask_b32_e64 v5, v5, v7, s[6:7]
	v_mov_b32_e32 v7, 0x41b17218
	v_cndmask_b32_e64 v7, 0, v7, s[4:5]
	v_sub_f32_e32 v5, v5, v7
	v_mov_b32_e32 v7, s9
	v_add_co_u32_e64 v0, s[4:5], s8, v0
	v_addc_co_u32_e64 v1, s[4:5], v7, v1, s[4:5]
	v_sub_f32_e32 v7, v2, v5
	v_bfe_u32 v2, v7, 16, 1
	s_movk_i32 s6, 0x7fff
	v_add3_u32 v2, v7, v2, s6
	v_lshrrev_b32_e32 v8, 16, v2
	v_mov_b32_e32 v2, 0x7fc0
	v_cmp_o_f32_e64 s[4:5], v7, v7
	v_cndmask_b32_e64 v7, v2, v8, s[4:5]
	global_store_short v[0:1], v7, off
	s_and_b64 exec, exec, vcc
	s_cbranch_execz .LBB147_14
; %bb.11:
	v_sub_f32_e32 v3, v3, v5
	v_bfe_u32 v7, v3, 16, 1
	v_add3_u32 v7, v3, v7, s6
	v_lshrrev_b32_e32 v7, 16, v7
	v_cmp_o_f32_e32 vcc, v3, v3
	v_cndmask_b32_e32 v2, v2, v7, vcc
	global_store_short v[0:1], v2, off offset:128
	s_and_b64 exec, exec, s[0:1]
	s_cbranch_execz .LBB147_14
; %bb.12:
	v_sub_f32_e32 v3, v4, v5
	v_bfe_u32 v2, v3, 16, 1
	s_movk_i32 s0, 0x7fff
	v_add3_u32 v2, v3, v2, s0
	v_lshrrev_b32_e32 v4, 16, v2
	v_mov_b32_e32 v2, 0x7fc0
	v_cmp_o_f32_e32 vcc, v3, v3
	v_cndmask_b32_e32 v3, v2, v4, vcc
	global_store_short v[0:1], v3, off offset:256
	s_and_b64 exec, exec, s[2:3]
	s_cbranch_execz .LBB147_14
; %bb.13:
	v_sub_f32_e32 v3, v6, v5
	v_bfe_u32 v4, v3, 16, 1
	v_add3_u32 v4, v3, v4, s0
	v_lshrrev_b32_e32 v4, 16, v4
	v_cmp_o_f32_e32 vcc, v3, v3
	v_cndmask_b32_e32 v2, v2, v4, vcc
	global_store_short v[0:1], v2, off offset:384
.LBB147_14:
	s_endpgm
	.section	.rodata,"a",@progbits
	.p2align	6, 0x0
	.amdhsa_kernel _ZN12_GLOBAL__N_120softmax_warp_forwardIN3c108BFloat16ES2_fLi8ELb1ELb0ELi64EEEvPT0_PKT_iiiPKbib
		.amdhsa_group_segment_fixed_size 0
		.amdhsa_private_segment_fixed_size 0
		.amdhsa_kernarg_size 304
		.amdhsa_user_sgpr_count 6
		.amdhsa_user_sgpr_private_segment_buffer 1
		.amdhsa_user_sgpr_dispatch_ptr 0
		.amdhsa_user_sgpr_queue_ptr 0
		.amdhsa_user_sgpr_kernarg_segment_ptr 1
		.amdhsa_user_sgpr_dispatch_id 0
		.amdhsa_user_sgpr_flat_scratch_init 0
		.amdhsa_user_sgpr_kernarg_preload_length 0
		.amdhsa_user_sgpr_kernarg_preload_offset 0
		.amdhsa_user_sgpr_private_segment_size 0
		.amdhsa_uses_dynamic_stack 0
		.amdhsa_system_sgpr_private_segment_wavefront_offset 0
		.amdhsa_system_sgpr_workgroup_id_x 1
		.amdhsa_system_sgpr_workgroup_id_y 0
		.amdhsa_system_sgpr_workgroup_id_z 0
		.amdhsa_system_sgpr_workgroup_info 0
		.amdhsa_system_vgpr_workitem_id 1
		.amdhsa_next_free_vgpr 20
		.amdhsa_next_free_sgpr 16
		.amdhsa_accum_offset 20
		.amdhsa_reserve_vcc 1
		.amdhsa_reserve_flat_scratch 0
		.amdhsa_float_round_mode_32 0
		.amdhsa_float_round_mode_16_64 0
		.amdhsa_float_denorm_mode_32 3
		.amdhsa_float_denorm_mode_16_64 3
		.amdhsa_dx10_clamp 1
		.amdhsa_ieee_mode 1
		.amdhsa_fp16_overflow 0
		.amdhsa_tg_split 0
		.amdhsa_exception_fp_ieee_invalid_op 0
		.amdhsa_exception_fp_denorm_src 0
		.amdhsa_exception_fp_ieee_div_zero 0
		.amdhsa_exception_fp_ieee_overflow 0
		.amdhsa_exception_fp_ieee_underflow 0
		.amdhsa_exception_fp_ieee_inexact 0
		.amdhsa_exception_int_div_zero 0
	.end_amdhsa_kernel
	.section	.text._ZN12_GLOBAL__N_120softmax_warp_forwardIN3c108BFloat16ES2_fLi8ELb1ELb0ELi64EEEvPT0_PKT_iiiPKbib,"axG",@progbits,_ZN12_GLOBAL__N_120softmax_warp_forwardIN3c108BFloat16ES2_fLi8ELb1ELb0ELi64EEEvPT0_PKT_iiiPKbib,comdat
.Lfunc_end147:
	.size	_ZN12_GLOBAL__N_120softmax_warp_forwardIN3c108BFloat16ES2_fLi8ELb1ELb0ELi64EEEvPT0_PKT_iiiPKbib, .Lfunc_end147-_ZN12_GLOBAL__N_120softmax_warp_forwardIN3c108BFloat16ES2_fLi8ELb1ELb0ELi64EEEvPT0_PKT_iiiPKbib
                                        ; -- End function
	.section	.AMDGPU.csdata,"",@progbits
; Kernel info:
; codeLenInByte = 1560
; NumSgprs: 20
; NumVgprs: 20
; NumAgprs: 0
; TotalNumVgprs: 20
; ScratchSize: 0
; MemoryBound: 0
; FloatMode: 240
; IeeeMode: 1
; LDSByteSize: 0 bytes/workgroup (compile time only)
; SGPRBlocks: 2
; VGPRBlocks: 2
; NumSGPRsForWavesPerEU: 20
; NumVGPRsForWavesPerEU: 20
; AccumOffset: 20
; Occupancy: 8
; WaveLimiterHint : 0
; COMPUTE_PGM_RSRC2:SCRATCH_EN: 0
; COMPUTE_PGM_RSRC2:USER_SGPR: 6
; COMPUTE_PGM_RSRC2:TRAP_HANDLER: 0
; COMPUTE_PGM_RSRC2:TGID_X_EN: 1
; COMPUTE_PGM_RSRC2:TGID_Y_EN: 0
; COMPUTE_PGM_RSRC2:TGID_Z_EN: 0
; COMPUTE_PGM_RSRC2:TIDIG_COMP_CNT: 1
; COMPUTE_PGM_RSRC3_GFX90A:ACCUM_OFFSET: 4
; COMPUTE_PGM_RSRC3_GFX90A:TG_SPLIT: 0
	.section	.text._ZN12_GLOBAL__N_120softmax_warp_forwardIN3c108BFloat16ES2_fLi8ELb1ELb0ELi32EEEvPT0_PKT_iiiPKbib,"axG",@progbits,_ZN12_GLOBAL__N_120softmax_warp_forwardIN3c108BFloat16ES2_fLi8ELb1ELb0ELi32EEEvPT0_PKT_iiiPKbib,comdat
	.globl	_ZN12_GLOBAL__N_120softmax_warp_forwardIN3c108BFloat16ES2_fLi8ELb1ELb0ELi32EEEvPT0_PKT_iiiPKbib ; -- Begin function _ZN12_GLOBAL__N_120softmax_warp_forwardIN3c108BFloat16ES2_fLi8ELb1ELb0ELi32EEEvPT0_PKT_iiiPKbib
	.p2align	8
	.type	_ZN12_GLOBAL__N_120softmax_warp_forwardIN3c108BFloat16ES2_fLi8ELb1ELb0ELi32EEEvPT0_PKT_iiiPKbib,@function
_ZN12_GLOBAL__N_120softmax_warp_forwardIN3c108BFloat16ES2_fLi8ELb1ELb0ELi32EEEvPT0_PKT_iiiPKbib: ; @_ZN12_GLOBAL__N_120softmax_warp_forwardIN3c108BFloat16ES2_fLi8ELb1ELb0ELi32EEEvPT0_PKT_iiiPKbib
; %bb.0:
	s_load_dword s0, s[4:5], 0x3c
	s_load_dwordx8 s[16:23], s[4:5], 0x0
	v_bfe_u32 v1, v0, 10, 10
	v_and_b32_e32 v4, 0x3ff, v0
	v_mov_b32_e32 v9, 0xff800000
	s_waitcnt lgkmcnt(0)
	s_lshr_b32 s0, s0, 16
	s_mul_i32 s6, s6, s0
	v_add_u32_e32 v1, s6, v1
	v_sub_u32_e32 v5, s20, v1
	v_mad_u64_u32 v[0:1], s[0:1], v1, s21, v[4:5]
	v_ashrrev_i32_e32 v1, 31, v0
	v_lshlrev_b64 v[0:1], 1, v[0:1]
	v_mov_b32_e32 v3, s19
	v_add_co_u32_e32 v2, vcc, s18, v0
	v_cmp_lt_i32_e64 s[14:15], 0, v5
	v_cmp_gt_i32_e64 s[12:13], s22, v4
	v_addc_co_u32_e32 v3, vcc, v3, v1, vcc
	s_and_b64 s[2:3], s[14:15], s[12:13]
	v_mov_b32_e32 v13, 0xff800000
	s_and_saveexec_b64 s[0:1], s[2:3]
	s_cbranch_execz .LBB148_2
; %bb.1:
	global_load_ushort v6, v[2:3], off
	s_waitcnt vmcnt(0)
	v_lshlrev_b32_e32 v13, 16, v6
.LBB148_2:
	s_or_b64 exec, exec, s[0:1]
	v_add_u32_e32 v6, 32, v4
	v_cmp_gt_i32_e32 vcc, s22, v6
	s_and_b64 s[2:3], s[14:15], vcc
	s_and_saveexec_b64 s[0:1], s[2:3]
	s_cbranch_execz .LBB148_4
; %bb.3:
	global_load_ushort v6, v[2:3], off offset:64
	s_waitcnt vmcnt(0)
	v_lshlrev_b32_e32 v9, 16, v6
.LBB148_4:
	s_or_b64 exec, exec, s[0:1]
	v_add_u32_e32 v6, 64, v4
	v_cmp_gt_i32_e64 s[0:1], s22, v6
	s_and_b64 s[4:5], s[14:15], s[0:1]
	v_mov_b32_e32 v8, 0xff800000
	v_mov_b32_e32 v12, 0xff800000
	s_and_saveexec_b64 s[2:3], s[4:5]
	s_cbranch_execz .LBB148_6
; %bb.5:
	global_load_ushort v6, v[2:3], off offset:128
	s_waitcnt vmcnt(0)
	v_lshlrev_b32_e32 v12, 16, v6
.LBB148_6:
	s_or_b64 exec, exec, s[2:3]
	v_add_u32_e32 v6, 0x60, v4
	v_cmp_gt_i32_e64 s[2:3], s22, v6
	s_and_b64 s[6:7], s[14:15], s[2:3]
	s_and_saveexec_b64 s[4:5], s[6:7]
	s_cbranch_execz .LBB148_8
; %bb.7:
	global_load_ushort v6, v[2:3], off offset:192
	s_waitcnt vmcnt(0)
	v_lshlrev_b32_e32 v8, 16, v6
.LBB148_8:
	s_or_b64 exec, exec, s[4:5]
	v_add_u32_e32 v6, 0x80, v4
	v_cmp_gt_i32_e64 s[4:5], s22, v6
	s_and_b64 s[8:9], s[14:15], s[4:5]
	v_mov_b32_e32 v7, 0xff800000
	v_mov_b32_e32 v11, 0xff800000
	s_and_saveexec_b64 s[6:7], s[8:9]
	s_cbranch_execz .LBB148_10
; %bb.9:
	global_load_ushort v6, v[2:3], off offset:256
	s_waitcnt vmcnt(0)
	v_lshlrev_b32_e32 v11, 16, v6
.LBB148_10:
	s_or_b64 exec, exec, s[6:7]
	v_add_u32_e32 v6, 0xa0, v4
	v_cmp_gt_i32_e64 s[6:7], s22, v6
	s_and_b64 s[10:11], s[14:15], s[6:7]
	;; [unrolled: 24-line block ×3, first 2 shown]
	s_and_saveexec_b64 s[14:15], s[18:19]
	s_cbranch_execz .LBB148_16
; %bb.15:
	global_load_ushort v2, v[2:3], off offset:448
	s_waitcnt vmcnt(0)
	v_lshlrev_b32_e32 v6, 16, v2
.LBB148_16:
	s_or_b64 exec, exec, s[14:15]
	v_cmp_gt_f32_e64 s[14:15], v13, v9
	v_cndmask_b32_e64 v2, v9, v13, s[14:15]
	v_cmp_gt_f32_e64 s[14:15], v2, v12
	v_cndmask_b32_e64 v2, v12, v2, s[14:15]
	;; [unrolled: 2-line block ×5, first 2 shown]
	v_mbcnt_lo_u32_b32 v3, -1, 0
	v_cmp_gt_f32_e64 s[14:15], v2, v10
	v_mbcnt_hi_u32_b32 v3, -1, v3
	v_cndmask_b32_e64 v2, v10, v2, s[14:15]
	v_and_b32_e32 v4, 0x60, v3
	v_cmp_gt_f32_e64 s[14:15], v2, v6
	v_add_u32_e32 v4, 32, v4
	v_xor_b32_e32 v14, 16, v3
	v_cndmask_b32_e64 v2, v6, v2, s[14:15]
	v_cmp_lt_i32_e64 s[14:15], v14, v4
	v_cndmask_b32_e64 v14, v3, v14, s[14:15]
	v_lshlrev_b32_e32 v14, 2, v14
	ds_bpermute_b32 v15, v14, v2
	s_mov_b32 s18, 0x3fb8aa3b
	s_mov_b32 s19, 0xc2ce8ed0
	;; [unrolled: 1-line block ×3, first 2 shown]
	s_waitcnt lgkmcnt(0)
	v_cmp_lt_f32_e64 s[14:15], v2, v15
	v_cndmask_b32_e64 v2, v2, v15, s[14:15]
	v_xor_b32_e32 v15, 8, v3
	v_cmp_lt_i32_e64 s[14:15], v15, v4
	v_cndmask_b32_e64 v15, v3, v15, s[14:15]
	v_lshlrev_b32_e32 v15, 2, v15
	ds_bpermute_b32 v16, v15, v2
	s_waitcnt lgkmcnt(0)
	v_cmp_lt_f32_e64 s[14:15], v2, v16
	v_cndmask_b32_e64 v2, v2, v16, s[14:15]
	v_xor_b32_e32 v16, 4, v3
	v_cmp_lt_i32_e64 s[14:15], v16, v4
	v_cndmask_b32_e64 v16, v3, v16, s[14:15]
	v_lshlrev_b32_e32 v16, 2, v16
	ds_bpermute_b32 v17, v16, v2
	;; [unrolled: 8-line block ×4, first 2 shown]
	s_waitcnt lgkmcnt(0)
	v_cmp_lt_f32_e64 s[14:15], v2, v3
	v_cndmask_b32_e64 v19, v2, v3, s[14:15]
	v_sub_f32_e32 v2, v13, v19
	v_mul_f32_e32 v3, 0x3fb8aa3b, v2
	v_fma_f32 v4, v2, s18, -v3
	v_rndne_f32_e32 v13, v3
	v_fmac_f32_e32 v4, 0x32a5705f, v2
	v_sub_f32_e32 v3, v3, v13
	v_add_f32_e32 v3, v3, v4
	v_exp_f32_e32 v3, v3
	v_cvt_i32_f32_e32 v4, v13
	v_cmp_ngt_f32_e64 s[14:15], s19, v2
	v_sub_f32_e32 v8, v8, v19
	v_sub_f32_e32 v7, v7, v19
	v_ldexp_f32 v3, v3, v4
	v_cndmask_b32_e64 v4, 0, v3, s[14:15]
	v_sub_f32_e32 v3, v9, v19
	v_mul_f32_e32 v9, 0x3fb8aa3b, v3
	v_fma_f32 v13, v3, s18, -v9
	v_rndne_f32_e32 v20, v9
	v_fmac_f32_e32 v13, 0x32a5705f, v3
	v_sub_f32_e32 v9, v9, v20
	v_add_f32_e32 v9, v9, v13
	v_exp_f32_e32 v9, v9
	v_cvt_i32_f32_e32 v13, v20
	v_mov_b32_e32 v20, 0x7f800000
	v_cmp_nlt_f32_e64 s[14:15], s20, v2
	v_cndmask_b32_e64 v21, v20, v4, s[14:15]
	v_ldexp_f32 v4, v9, v13
	v_cmp_ngt_f32_e64 s[14:15], s19, v3
	v_cndmask_b32_e64 v9, 0, v4, s[14:15]
	v_sub_f32_e32 v4, v12, v19
	v_mul_f32_e32 v12, 0x3fb8aa3b, v4
	v_fma_f32 v13, v4, s18, -v12
	v_rndne_f32_e32 v22, v12
	v_fmac_f32_e32 v13, 0x32a5705f, v4
	v_sub_f32_e32 v12, v12, v22
	v_add_f32_e32 v12, v12, v13
	v_exp_f32_e32 v12, v12
	v_cvt_i32_f32_e32 v13, v22
	v_cmp_nlt_f32_e64 s[14:15], s20, v3
	v_cndmask_b32_e64 v9, v20, v9, s[14:15]
	v_add_f32_e32 v9, v21, v9
	v_ldexp_f32 v12, v12, v13
	v_mul_f32_e32 v13, 0x3fb8aa3b, v8
	v_fma_f32 v21, v8, s18, -v13
	v_rndne_f32_e32 v22, v13
	v_fmac_f32_e32 v21, 0x32a5705f, v8
	v_sub_f32_e32 v13, v13, v22
	v_add_f32_e32 v13, v13, v21
	v_exp_f32_e32 v13, v13
	v_cvt_i32_f32_e32 v21, v22
	v_cmp_ngt_f32_e64 s[14:15], s19, v4
	v_cndmask_b32_e64 v12, 0, v12, s[14:15]
	v_cmp_nlt_f32_e64 s[14:15], s20, v4
	v_cndmask_b32_e64 v12, v20, v12, s[14:15]
	v_add_f32_e32 v12, v9, v12
	v_ldexp_f32 v9, v13, v21
	v_cmp_ngt_f32_e64 s[14:15], s19, v8
	v_cndmask_b32_e64 v13, 0, v9, s[14:15]
	v_sub_f32_e32 v9, v11, v19
	v_mul_f32_e32 v11, 0x3fb8aa3b, v9
	v_fma_f32 v21, v9, s18, -v11
	v_rndne_f32_e32 v22, v11
	v_fmac_f32_e32 v21, 0x32a5705f, v9
	v_sub_f32_e32 v11, v11, v22
	v_add_f32_e32 v11, v11, v21
	v_exp_f32_e32 v11, v11
	v_cvt_i32_f32_e32 v21, v22
	v_cmp_nlt_f32_e64 s[14:15], s20, v8
	v_cndmask_b32_e64 v13, v20, v13, s[14:15]
	v_add_f32_e32 v12, v12, v13
	v_mul_f32_e32 v13, 0x3fb8aa3b, v7
	v_ldexp_f32 v11, v11, v21
	v_fma_f32 v21, v7, s18, -v13
	v_rndne_f32_e32 v22, v13
	v_fmac_f32_e32 v21, 0x32a5705f, v7
	v_sub_f32_e32 v13, v13, v22
	v_add_f32_e32 v13, v13, v21
	v_exp_f32_e32 v13, v13
	v_cvt_i32_f32_e32 v21, v22
	v_cmp_ngt_f32_e64 s[14:15], s19, v9
	v_cndmask_b32_e64 v11, 0, v11, s[14:15]
	v_cmp_nlt_f32_e64 s[14:15], s20, v9
	v_cndmask_b32_e64 v11, v20, v11, s[14:15]
	v_sub_f32_e32 v10, v10, v19
	v_add_f32_e32 v11, v12, v11
	v_ldexp_f32 v12, v13, v21
	v_mul_f32_e32 v13, 0x3fb8aa3b, v10
	v_fma_f32 v21, v10, s18, -v13
	v_rndne_f32_e32 v22, v13
	v_fmac_f32_e32 v21, 0x32a5705f, v10
	v_sub_f32_e32 v13, v13, v22
	v_add_f32_e32 v13, v13, v21
	v_exp_f32_e32 v13, v13
	v_cvt_i32_f32_e32 v21, v22
	v_cmp_ngt_f32_e64 s[14:15], s19, v7
	v_cndmask_b32_e64 v12, 0, v12, s[14:15]
	v_cmp_nlt_f32_e64 s[14:15], s20, v7
	v_cndmask_b32_e64 v12, v20, v12, s[14:15]
	v_sub_f32_e32 v6, v6, v19
	v_add_f32_e32 v11, v11, v12
	v_ldexp_f32 v12, v13, v21
	v_mul_f32_e32 v13, 0x3fb8aa3b, v6
	v_fma_f32 v19, v6, s18, -v13
	v_rndne_f32_e32 v21, v13
	v_fmac_f32_e32 v19, 0x32a5705f, v6
	v_sub_f32_e32 v13, v13, v21
	v_add_f32_e32 v13, v13, v19
	v_exp_f32_e32 v13, v13
	v_cvt_i32_f32_e32 v19, v21
	v_cmp_ngt_f32_e64 s[14:15], s19, v10
	v_cndmask_b32_e64 v12, 0, v12, s[14:15]
	v_cmp_nlt_f32_e64 s[14:15], s20, v10
	v_cndmask_b32_e64 v12, v20, v12, s[14:15]
	v_add_f32_e32 v11, v11, v12
	v_ldexp_f32 v12, v13, v19
	v_cmp_ngt_f32_e64 s[14:15], s19, v6
	v_cndmask_b32_e64 v12, 0, v12, s[14:15]
	v_cmp_nlt_f32_e64 s[14:15], s20, v6
	v_cndmask_b32_e64 v12, v20, v12, s[14:15]
	v_add_f32_e32 v11, v11, v12
	ds_bpermute_b32 v12, v14, v11
	v_cmp_lt_i32_e64 s[14:15], 0, v5
	s_waitcnt lgkmcnt(0)
	v_add_f32_e32 v11, v11, v12
	ds_bpermute_b32 v12, v15, v11
	s_waitcnt lgkmcnt(0)
	v_add_f32_e32 v11, v11, v12
	ds_bpermute_b32 v12, v16, v11
	;; [unrolled: 3-line block ×4, first 2 shown]
	s_and_saveexec_b64 s[18:19], s[14:15]
	s_cbranch_execz .LBB148_26
; %bb.17:
	s_and_b64 exec, exec, s[12:13]
	s_cbranch_execz .LBB148_26
; %bb.18:
	s_waitcnt lgkmcnt(0)
	v_add_f32_e32 v5, v11, v12
	s_mov_b32 s12, 0x800000
	v_mov_b32_e32 v11, 0x4f800000
	v_cmp_gt_f32_e64 s[12:13], s12, v5
	v_cndmask_b32_e64 v11, 1.0, v11, s[12:13]
	v_mul_f32_e32 v5, v5, v11
	v_log_f32_e32 v5, v5
	s_mov_b32 s14, 0x3f317217
	v_mul_f32_e32 v11, 0x3f317217, v5
	v_fma_f32 v12, v5, s14, -v11
	v_fmac_f32_e32 v12, 0x3377d1cf, v5
	s_mov_b32 s14, 0x7f800000
	v_add_f32_e32 v11, v11, v12
	v_cmp_lt_f32_e64 s[14:15], |v5|, s14
	v_cndmask_b32_e64 v5, v5, v11, s[14:15]
	v_mov_b32_e32 v11, 0x41b17218
	v_cndmask_b32_e64 v11, 0, v11, s[12:13]
	v_sub_f32_e32 v5, v5, v11
	v_mov_b32_e32 v11, s17
	v_add_co_u32_e64 v0, s[12:13], s16, v0
	v_addc_co_u32_e64 v1, s[12:13], v11, v1, s[12:13]
	v_sub_f32_e32 v11, v2, v5
	v_bfe_u32 v2, v11, 16, 1
	s_movk_i32 s14, 0x7fff
	v_add3_u32 v2, v11, v2, s14
	v_lshrrev_b32_e32 v12, 16, v2
	v_mov_b32_e32 v2, 0x7fc0
	v_cmp_o_f32_e64 s[12:13], v11, v11
	v_cndmask_b32_e64 v11, v2, v12, s[12:13]
	global_store_short v[0:1], v11, off
	s_and_b64 exec, exec, vcc
	s_cbranch_execz .LBB148_26
; %bb.19:
	v_sub_f32_e32 v3, v3, v5
	v_bfe_u32 v11, v3, 16, 1
	v_add3_u32 v11, v3, v11, s14
	v_lshrrev_b32_e32 v11, 16, v11
	v_cmp_o_f32_e32 vcc, v3, v3
	v_cndmask_b32_e32 v2, v2, v11, vcc
	global_store_short v[0:1], v2, off offset:64
	s_and_b64 exec, exec, s[0:1]
	s_cbranch_execz .LBB148_26
; %bb.20:
	v_sub_f32_e32 v3, v4, v5
	v_bfe_u32 v2, v3, 16, 1
	s_movk_i32 s0, 0x7fff
	v_add3_u32 v2, v3, v2, s0
	v_lshrrev_b32_e32 v4, 16, v2
	v_mov_b32_e32 v2, 0x7fc0
	v_cmp_o_f32_e32 vcc, v3, v3
	v_cndmask_b32_e32 v3, v2, v4, vcc
	global_store_short v[0:1], v3, off offset:128
	s_and_b64 exec, exec, s[2:3]
	s_cbranch_execz .LBB148_26
; %bb.21:
	v_sub_f32_e32 v3, v8, v5
	v_bfe_u32 v4, v3, 16, 1
	v_add3_u32 v4, v3, v4, s0
	v_lshrrev_b32_e32 v4, 16, v4
	v_cmp_o_f32_e32 vcc, v3, v3
	v_cndmask_b32_e32 v2, v2, v4, vcc
	global_store_short v[0:1], v2, off offset:192
	s_and_b64 exec, exec, s[4:5]
	s_cbranch_execz .LBB148_26
; %bb.22:
	v_sub_f32_e32 v3, v9, v5
	v_bfe_u32 v2, v3, 16, 1
	v_add3_u32 v2, v3, v2, s0
	v_lshrrev_b32_e32 v4, 16, v2
	v_mov_b32_e32 v2, 0x7fc0
	v_cmp_o_f32_e32 vcc, v3, v3
	v_cndmask_b32_e32 v3, v2, v4, vcc
	global_store_short v[0:1], v3, off offset:256
	s_and_b64 exec, exec, s[6:7]
	s_cbranch_execz .LBB148_26
; %bb.23:
	v_sub_f32_e32 v3, v7, v5
	v_bfe_u32 v4, v3, 16, 1
	v_add3_u32 v4, v3, v4, s0
	v_lshrrev_b32_e32 v4, 16, v4
	v_cmp_o_f32_e32 vcc, v3, v3
	v_cndmask_b32_e32 v2, v2, v4, vcc
	global_store_short v[0:1], v2, off offset:320
	s_and_b64 exec, exec, s[8:9]
	s_cbranch_execz .LBB148_26
; %bb.24:
	v_sub_f32_e32 v3, v10, v5
	v_bfe_u32 v2, v3, 16, 1
	v_add3_u32 v2, v3, v2, s0
	v_lshrrev_b32_e32 v4, 16, v2
	v_mov_b32_e32 v2, 0x7fc0
	v_cmp_o_f32_e32 vcc, v3, v3
	v_cndmask_b32_e32 v3, v2, v4, vcc
	global_store_short v[0:1], v3, off offset:384
	s_and_b64 exec, exec, s[10:11]
	s_cbranch_execz .LBB148_26
; %bb.25:
	v_sub_f32_e32 v3, v6, v5
	v_bfe_u32 v4, v3, 16, 1
	v_add3_u32 v4, v3, v4, s0
	v_lshrrev_b32_e32 v4, 16, v4
	v_cmp_o_f32_e32 vcc, v3, v3
	v_cndmask_b32_e32 v2, v2, v4, vcc
	global_store_short v[0:1], v2, off offset:448
.LBB148_26:
	s_endpgm
	.section	.rodata,"a",@progbits
	.p2align	6, 0x0
	.amdhsa_kernel _ZN12_GLOBAL__N_120softmax_warp_forwardIN3c108BFloat16ES2_fLi8ELb1ELb0ELi32EEEvPT0_PKT_iiiPKbib
		.amdhsa_group_segment_fixed_size 0
		.amdhsa_private_segment_fixed_size 0
		.amdhsa_kernarg_size 304
		.amdhsa_user_sgpr_count 6
		.amdhsa_user_sgpr_private_segment_buffer 1
		.amdhsa_user_sgpr_dispatch_ptr 0
		.amdhsa_user_sgpr_queue_ptr 0
		.amdhsa_user_sgpr_kernarg_segment_ptr 1
		.amdhsa_user_sgpr_dispatch_id 0
		.amdhsa_user_sgpr_flat_scratch_init 0
		.amdhsa_user_sgpr_kernarg_preload_length 0
		.amdhsa_user_sgpr_kernarg_preload_offset 0
		.amdhsa_user_sgpr_private_segment_size 0
		.amdhsa_uses_dynamic_stack 0
		.amdhsa_system_sgpr_private_segment_wavefront_offset 0
		.amdhsa_system_sgpr_workgroup_id_x 1
		.amdhsa_system_sgpr_workgroup_id_y 0
		.amdhsa_system_sgpr_workgroup_id_z 0
		.amdhsa_system_sgpr_workgroup_info 0
		.amdhsa_system_vgpr_workitem_id 1
		.amdhsa_next_free_vgpr 23
		.amdhsa_next_free_sgpr 24
		.amdhsa_accum_offset 24
		.amdhsa_reserve_vcc 1
		.amdhsa_reserve_flat_scratch 0
		.amdhsa_float_round_mode_32 0
		.amdhsa_float_round_mode_16_64 0
		.amdhsa_float_denorm_mode_32 3
		.amdhsa_float_denorm_mode_16_64 3
		.amdhsa_dx10_clamp 1
		.amdhsa_ieee_mode 1
		.amdhsa_fp16_overflow 0
		.amdhsa_tg_split 0
		.amdhsa_exception_fp_ieee_invalid_op 0
		.amdhsa_exception_fp_denorm_src 0
		.amdhsa_exception_fp_ieee_div_zero 0
		.amdhsa_exception_fp_ieee_overflow 0
		.amdhsa_exception_fp_ieee_underflow 0
		.amdhsa_exception_fp_ieee_inexact 0
		.amdhsa_exception_int_div_zero 0
	.end_amdhsa_kernel
	.section	.text._ZN12_GLOBAL__N_120softmax_warp_forwardIN3c108BFloat16ES2_fLi8ELb1ELb0ELi32EEEvPT0_PKT_iiiPKbib,"axG",@progbits,_ZN12_GLOBAL__N_120softmax_warp_forwardIN3c108BFloat16ES2_fLi8ELb1ELb0ELi32EEEvPT0_PKT_iiiPKbib,comdat
.Lfunc_end148:
	.size	_ZN12_GLOBAL__N_120softmax_warp_forwardIN3c108BFloat16ES2_fLi8ELb1ELb0ELi32EEEvPT0_PKT_iiiPKbib, .Lfunc_end148-_ZN12_GLOBAL__N_120softmax_warp_forwardIN3c108BFloat16ES2_fLi8ELb1ELb0ELi32EEEvPT0_PKT_iiiPKbib
                                        ; -- End function
	.section	.AMDGPU.csdata,"",@progbits
; Kernel info:
; codeLenInByte = 2356
; NumSgprs: 28
; NumVgprs: 23
; NumAgprs: 0
; TotalNumVgprs: 23
; ScratchSize: 0
; MemoryBound: 0
; FloatMode: 240
; IeeeMode: 1
; LDSByteSize: 0 bytes/workgroup (compile time only)
; SGPRBlocks: 3
; VGPRBlocks: 2
; NumSGPRsForWavesPerEU: 28
; NumVGPRsForWavesPerEU: 23
; AccumOffset: 24
; Occupancy: 8
; WaveLimiterHint : 0
; COMPUTE_PGM_RSRC2:SCRATCH_EN: 0
; COMPUTE_PGM_RSRC2:USER_SGPR: 6
; COMPUTE_PGM_RSRC2:TRAP_HANDLER: 0
; COMPUTE_PGM_RSRC2:TGID_X_EN: 1
; COMPUTE_PGM_RSRC2:TGID_Y_EN: 0
; COMPUTE_PGM_RSRC2:TGID_Z_EN: 0
; COMPUTE_PGM_RSRC2:TIDIG_COMP_CNT: 1
; COMPUTE_PGM_RSRC3_GFX90A:ACCUM_OFFSET: 5
; COMPUTE_PGM_RSRC3_GFX90A:TG_SPLIT: 0
	.section	.text._ZN12_GLOBAL__N_120softmax_warp_forwardIN3c108BFloat16ES2_fLi9ELb1ELb0ELi64EEEvPT0_PKT_iiiPKbib,"axG",@progbits,_ZN12_GLOBAL__N_120softmax_warp_forwardIN3c108BFloat16ES2_fLi9ELb1ELb0ELi64EEEvPT0_PKT_iiiPKbib,comdat
	.globl	_ZN12_GLOBAL__N_120softmax_warp_forwardIN3c108BFloat16ES2_fLi9ELb1ELb0ELi64EEEvPT0_PKT_iiiPKbib ; -- Begin function _ZN12_GLOBAL__N_120softmax_warp_forwardIN3c108BFloat16ES2_fLi9ELb1ELb0ELi64EEEvPT0_PKT_iiiPKbib
	.p2align	8
	.type	_ZN12_GLOBAL__N_120softmax_warp_forwardIN3c108BFloat16ES2_fLi9ELb1ELb0ELi64EEEvPT0_PKT_iiiPKbib,@function
_ZN12_GLOBAL__N_120softmax_warp_forwardIN3c108BFloat16ES2_fLi9ELb1ELb0ELi64EEEvPT0_PKT_iiiPKbib: ; @_ZN12_GLOBAL__N_120softmax_warp_forwardIN3c108BFloat16ES2_fLi9ELb1ELb0ELi64EEEvPT0_PKT_iiiPKbib
; %bb.0:
	s_load_dword s0, s[4:5], 0x3c
	s_load_dwordx8 s[16:23], s[4:5], 0x0
	v_bfe_u32 v1, v0, 10, 10
	v_and_b32_e32 v4, 0x3ff, v0
	v_mov_b32_e32 v9, 0xff800000
	s_waitcnt lgkmcnt(0)
	s_lshr_b32 s0, s0, 16
	s_mul_i32 s6, s6, s0
	v_add_u32_e32 v1, s6, v1
	v_sub_u32_e32 v5, s20, v1
	v_mad_u64_u32 v[0:1], s[0:1], v1, s21, v[4:5]
	v_ashrrev_i32_e32 v1, 31, v0
	v_lshlrev_b64 v[0:1], 1, v[0:1]
	v_mov_b32_e32 v3, s19
	v_add_co_u32_e32 v2, vcc, s18, v0
	v_cmp_lt_i32_e64 s[14:15], 0, v5
	v_cmp_gt_i32_e64 s[12:13], s22, v4
	v_addc_co_u32_e32 v3, vcc, v3, v1, vcc
	s_and_b64 s[2:3], s[14:15], s[12:13]
	v_mov_b32_e32 v13, 0xff800000
	s_and_saveexec_b64 s[0:1], s[2:3]
	s_cbranch_execz .LBB149_2
; %bb.1:
	global_load_ushort v6, v[2:3], off
	s_waitcnt vmcnt(0)
	v_lshlrev_b32_e32 v13, 16, v6
.LBB149_2:
	s_or_b64 exec, exec, s[0:1]
	v_add_u32_e32 v6, 64, v4
	v_cmp_gt_i32_e32 vcc, s22, v6
	s_and_b64 s[2:3], s[14:15], vcc
	s_and_saveexec_b64 s[0:1], s[2:3]
	s_cbranch_execz .LBB149_4
; %bb.3:
	global_load_ushort v6, v[2:3], off offset:128
	s_waitcnt vmcnt(0)
	v_lshlrev_b32_e32 v9, 16, v6
.LBB149_4:
	s_or_b64 exec, exec, s[0:1]
	v_add_u32_e32 v6, 0x80, v4
	v_cmp_gt_i32_e64 s[0:1], s22, v6
	s_and_b64 s[4:5], s[14:15], s[0:1]
	v_mov_b32_e32 v8, 0xff800000
	v_mov_b32_e32 v12, 0xff800000
	s_and_saveexec_b64 s[2:3], s[4:5]
	s_cbranch_execz .LBB149_6
; %bb.5:
	global_load_ushort v6, v[2:3], off offset:256
	s_waitcnt vmcnt(0)
	v_lshlrev_b32_e32 v12, 16, v6
.LBB149_6:
	s_or_b64 exec, exec, s[2:3]
	v_add_u32_e32 v6, 0xc0, v4
	v_cmp_gt_i32_e64 s[2:3], s22, v6
	s_and_b64 s[6:7], s[14:15], s[2:3]
	s_and_saveexec_b64 s[4:5], s[6:7]
	s_cbranch_execz .LBB149_8
; %bb.7:
	global_load_ushort v6, v[2:3], off offset:384
	s_waitcnt vmcnt(0)
	v_lshlrev_b32_e32 v8, 16, v6
.LBB149_8:
	s_or_b64 exec, exec, s[4:5]
	v_add_u32_e32 v6, 0x100, v4
	v_cmp_gt_i32_e64 s[4:5], s22, v6
	s_and_b64 s[8:9], s[14:15], s[4:5]
	v_mov_b32_e32 v7, 0xff800000
	v_mov_b32_e32 v11, 0xff800000
	s_and_saveexec_b64 s[6:7], s[8:9]
	s_cbranch_execz .LBB149_10
; %bb.9:
	global_load_ushort v6, v[2:3], off offset:512
	s_waitcnt vmcnt(0)
	v_lshlrev_b32_e32 v11, 16, v6
.LBB149_10:
	s_or_b64 exec, exec, s[6:7]
	v_add_u32_e32 v6, 0x140, v4
	v_cmp_gt_i32_e64 s[6:7], s22, v6
	s_and_b64 s[10:11], s[14:15], s[6:7]
	;; [unrolled: 24-line block ×3, first 2 shown]
	s_and_saveexec_b64 s[14:15], s[18:19]
	s_cbranch_execz .LBB149_16
; %bb.15:
	global_load_ushort v2, v[2:3], off offset:896
	s_waitcnt vmcnt(0)
	v_lshlrev_b32_e32 v6, 16, v2
.LBB149_16:
	s_or_b64 exec, exec, s[14:15]
	v_cmp_gt_f32_e64 s[14:15], v13, v9
	v_cndmask_b32_e64 v2, v9, v13, s[14:15]
	v_cmp_gt_f32_e64 s[14:15], v2, v12
	v_cndmask_b32_e64 v2, v12, v2, s[14:15]
	;; [unrolled: 2-line block ×5, first 2 shown]
	v_mbcnt_lo_u32_b32 v3, -1, 0
	v_cmp_gt_f32_e64 s[14:15], v2, v10
	v_mbcnt_hi_u32_b32 v3, -1, v3
	v_cndmask_b32_e64 v2, v10, v2, s[14:15]
	v_and_b32_e32 v4, 64, v3
	v_cmp_gt_f32_e64 s[14:15], v2, v6
	v_add_u32_e32 v4, 64, v4
	v_xor_b32_e32 v14, 32, v3
	v_cndmask_b32_e64 v2, v6, v2, s[14:15]
	v_cmp_lt_i32_e64 s[14:15], v14, v4
	v_cndmask_b32_e64 v14, v3, v14, s[14:15]
	v_lshlrev_b32_e32 v14, 2, v14
	ds_bpermute_b32 v15, v14, v2
	s_mov_b32 s18, 0x3fb8aa3b
	s_mov_b32 s19, 0xc2ce8ed0
	;; [unrolled: 1-line block ×3, first 2 shown]
	s_waitcnt lgkmcnt(0)
	v_cmp_lt_f32_e64 s[14:15], v2, v15
	v_cndmask_b32_e64 v2, v2, v15, s[14:15]
	v_xor_b32_e32 v15, 16, v3
	v_cmp_lt_i32_e64 s[14:15], v15, v4
	v_cndmask_b32_e64 v15, v3, v15, s[14:15]
	v_lshlrev_b32_e32 v15, 2, v15
	ds_bpermute_b32 v16, v15, v2
	s_waitcnt lgkmcnt(0)
	v_cmp_lt_f32_e64 s[14:15], v2, v16
	v_cndmask_b32_e64 v2, v2, v16, s[14:15]
	v_xor_b32_e32 v16, 8, v3
	v_cmp_lt_i32_e64 s[14:15], v16, v4
	v_cndmask_b32_e64 v16, v3, v16, s[14:15]
	v_lshlrev_b32_e32 v16, 2, v16
	ds_bpermute_b32 v17, v16, v2
	;; [unrolled: 8-line block ×5, first 2 shown]
	s_waitcnt lgkmcnt(0)
	v_cmp_lt_f32_e64 s[14:15], v2, v3
	v_cndmask_b32_e64 v20, v2, v3, s[14:15]
	v_sub_f32_e32 v2, v13, v20
	v_mul_f32_e32 v3, 0x3fb8aa3b, v2
	v_fma_f32 v4, v2, s18, -v3
	v_rndne_f32_e32 v13, v3
	v_fmac_f32_e32 v4, 0x32a5705f, v2
	v_sub_f32_e32 v3, v3, v13
	v_add_f32_e32 v3, v3, v4
	v_exp_f32_e32 v3, v3
	v_cvt_i32_f32_e32 v4, v13
	v_cmp_ngt_f32_e64 s[14:15], s19, v2
	v_sub_f32_e32 v8, v8, v20
	v_sub_f32_e32 v7, v7, v20
	v_ldexp_f32 v3, v3, v4
	v_cndmask_b32_e64 v4, 0, v3, s[14:15]
	v_sub_f32_e32 v3, v9, v20
	v_mul_f32_e32 v9, 0x3fb8aa3b, v3
	v_fma_f32 v13, v3, s18, -v9
	v_rndne_f32_e32 v21, v9
	v_fmac_f32_e32 v13, 0x32a5705f, v3
	v_sub_f32_e32 v9, v9, v21
	v_add_f32_e32 v9, v9, v13
	v_exp_f32_e32 v9, v9
	v_cvt_i32_f32_e32 v13, v21
	v_mov_b32_e32 v21, 0x7f800000
	v_cmp_nlt_f32_e64 s[14:15], s20, v2
	v_cndmask_b32_e64 v22, v21, v4, s[14:15]
	v_ldexp_f32 v4, v9, v13
	v_cmp_ngt_f32_e64 s[14:15], s19, v3
	v_cndmask_b32_e64 v9, 0, v4, s[14:15]
	v_sub_f32_e32 v4, v12, v20
	v_mul_f32_e32 v12, 0x3fb8aa3b, v4
	v_fma_f32 v13, v4, s18, -v12
	v_rndne_f32_e32 v23, v12
	v_fmac_f32_e32 v13, 0x32a5705f, v4
	v_sub_f32_e32 v12, v12, v23
	v_add_f32_e32 v12, v12, v13
	v_exp_f32_e32 v12, v12
	v_cvt_i32_f32_e32 v13, v23
	v_cmp_nlt_f32_e64 s[14:15], s20, v3
	v_cndmask_b32_e64 v9, v21, v9, s[14:15]
	v_add_f32_e32 v9, v22, v9
	v_ldexp_f32 v12, v12, v13
	v_mul_f32_e32 v13, 0x3fb8aa3b, v8
	v_fma_f32 v22, v8, s18, -v13
	v_rndne_f32_e32 v23, v13
	v_fmac_f32_e32 v22, 0x32a5705f, v8
	v_sub_f32_e32 v13, v13, v23
	v_add_f32_e32 v13, v13, v22
	v_exp_f32_e32 v13, v13
	v_cvt_i32_f32_e32 v22, v23
	v_cmp_ngt_f32_e64 s[14:15], s19, v4
	v_cndmask_b32_e64 v12, 0, v12, s[14:15]
	v_cmp_nlt_f32_e64 s[14:15], s20, v4
	v_cndmask_b32_e64 v12, v21, v12, s[14:15]
	v_add_f32_e32 v12, v9, v12
	v_ldexp_f32 v9, v13, v22
	v_cmp_ngt_f32_e64 s[14:15], s19, v8
	v_cndmask_b32_e64 v13, 0, v9, s[14:15]
	v_sub_f32_e32 v9, v11, v20
	v_mul_f32_e32 v11, 0x3fb8aa3b, v9
	v_fma_f32 v22, v9, s18, -v11
	v_rndne_f32_e32 v23, v11
	v_fmac_f32_e32 v22, 0x32a5705f, v9
	v_sub_f32_e32 v11, v11, v23
	v_add_f32_e32 v11, v11, v22
	v_exp_f32_e32 v11, v11
	v_cvt_i32_f32_e32 v22, v23
	v_cmp_nlt_f32_e64 s[14:15], s20, v8
	v_cndmask_b32_e64 v13, v21, v13, s[14:15]
	v_add_f32_e32 v12, v12, v13
	v_mul_f32_e32 v13, 0x3fb8aa3b, v7
	v_ldexp_f32 v11, v11, v22
	v_fma_f32 v22, v7, s18, -v13
	v_rndne_f32_e32 v23, v13
	v_fmac_f32_e32 v22, 0x32a5705f, v7
	v_sub_f32_e32 v13, v13, v23
	v_add_f32_e32 v13, v13, v22
	v_exp_f32_e32 v13, v13
	v_cvt_i32_f32_e32 v22, v23
	v_cmp_ngt_f32_e64 s[14:15], s19, v9
	v_cndmask_b32_e64 v11, 0, v11, s[14:15]
	v_cmp_nlt_f32_e64 s[14:15], s20, v9
	v_cndmask_b32_e64 v11, v21, v11, s[14:15]
	v_sub_f32_e32 v10, v10, v20
	v_add_f32_e32 v11, v12, v11
	v_ldexp_f32 v12, v13, v22
	v_mul_f32_e32 v13, 0x3fb8aa3b, v10
	v_fma_f32 v22, v10, s18, -v13
	v_rndne_f32_e32 v23, v13
	v_fmac_f32_e32 v22, 0x32a5705f, v10
	v_sub_f32_e32 v13, v13, v23
	v_add_f32_e32 v13, v13, v22
	v_exp_f32_e32 v13, v13
	v_cvt_i32_f32_e32 v22, v23
	v_cmp_ngt_f32_e64 s[14:15], s19, v7
	v_cndmask_b32_e64 v12, 0, v12, s[14:15]
	v_cmp_nlt_f32_e64 s[14:15], s20, v7
	v_cndmask_b32_e64 v12, v21, v12, s[14:15]
	v_sub_f32_e32 v6, v6, v20
	v_add_f32_e32 v11, v11, v12
	v_ldexp_f32 v12, v13, v22
	v_mul_f32_e32 v13, 0x3fb8aa3b, v6
	v_fma_f32 v20, v6, s18, -v13
	v_rndne_f32_e32 v22, v13
	v_fmac_f32_e32 v20, 0x32a5705f, v6
	v_sub_f32_e32 v13, v13, v22
	v_add_f32_e32 v13, v13, v20
	v_exp_f32_e32 v13, v13
	v_cvt_i32_f32_e32 v20, v22
	v_cmp_ngt_f32_e64 s[14:15], s19, v10
	v_cndmask_b32_e64 v12, 0, v12, s[14:15]
	v_cmp_nlt_f32_e64 s[14:15], s20, v10
	v_cndmask_b32_e64 v12, v21, v12, s[14:15]
	v_add_f32_e32 v11, v11, v12
	v_ldexp_f32 v12, v13, v20
	v_cmp_ngt_f32_e64 s[14:15], s19, v6
	v_cndmask_b32_e64 v12, 0, v12, s[14:15]
	v_cmp_nlt_f32_e64 s[14:15], s20, v6
	v_cndmask_b32_e64 v12, v21, v12, s[14:15]
	v_add_f32_e32 v11, v11, v12
	ds_bpermute_b32 v12, v14, v11
	v_cmp_lt_i32_e64 s[14:15], 0, v5
	s_waitcnt lgkmcnt(0)
	v_add_f32_e32 v11, v11, v12
	ds_bpermute_b32 v12, v15, v11
	s_waitcnt lgkmcnt(0)
	v_add_f32_e32 v11, v11, v12
	ds_bpermute_b32 v12, v16, v11
	;; [unrolled: 3-line block ×5, first 2 shown]
	s_and_saveexec_b64 s[18:19], s[14:15]
	s_cbranch_execz .LBB149_26
; %bb.17:
	s_and_b64 exec, exec, s[12:13]
	s_cbranch_execz .LBB149_26
; %bb.18:
	s_waitcnt lgkmcnt(0)
	v_add_f32_e32 v5, v11, v12
	s_mov_b32 s12, 0x800000
	v_mov_b32_e32 v11, 0x4f800000
	v_cmp_gt_f32_e64 s[12:13], s12, v5
	v_cndmask_b32_e64 v11, 1.0, v11, s[12:13]
	v_mul_f32_e32 v5, v5, v11
	v_log_f32_e32 v5, v5
	s_mov_b32 s14, 0x3f317217
	v_mul_f32_e32 v11, 0x3f317217, v5
	v_fma_f32 v12, v5, s14, -v11
	v_fmac_f32_e32 v12, 0x3377d1cf, v5
	s_mov_b32 s14, 0x7f800000
	v_add_f32_e32 v11, v11, v12
	v_cmp_lt_f32_e64 s[14:15], |v5|, s14
	v_cndmask_b32_e64 v5, v5, v11, s[14:15]
	v_mov_b32_e32 v11, 0x41b17218
	v_cndmask_b32_e64 v11, 0, v11, s[12:13]
	v_sub_f32_e32 v5, v5, v11
	v_mov_b32_e32 v11, s17
	v_add_co_u32_e64 v0, s[12:13], s16, v0
	v_addc_co_u32_e64 v1, s[12:13], v11, v1, s[12:13]
	v_sub_f32_e32 v11, v2, v5
	v_bfe_u32 v2, v11, 16, 1
	s_movk_i32 s14, 0x7fff
	v_add3_u32 v2, v11, v2, s14
	v_lshrrev_b32_e32 v12, 16, v2
	v_mov_b32_e32 v2, 0x7fc0
	v_cmp_o_f32_e64 s[12:13], v11, v11
	v_cndmask_b32_e64 v11, v2, v12, s[12:13]
	global_store_short v[0:1], v11, off
	s_and_b64 exec, exec, vcc
	s_cbranch_execz .LBB149_26
; %bb.19:
	v_sub_f32_e32 v3, v3, v5
	v_bfe_u32 v11, v3, 16, 1
	v_add3_u32 v11, v3, v11, s14
	v_lshrrev_b32_e32 v11, 16, v11
	v_cmp_o_f32_e32 vcc, v3, v3
	v_cndmask_b32_e32 v2, v2, v11, vcc
	global_store_short v[0:1], v2, off offset:128
	s_and_b64 exec, exec, s[0:1]
	s_cbranch_execz .LBB149_26
; %bb.20:
	v_sub_f32_e32 v3, v4, v5
	v_bfe_u32 v2, v3, 16, 1
	s_movk_i32 s0, 0x7fff
	v_add3_u32 v2, v3, v2, s0
	v_lshrrev_b32_e32 v4, 16, v2
	v_mov_b32_e32 v2, 0x7fc0
	v_cmp_o_f32_e32 vcc, v3, v3
	v_cndmask_b32_e32 v3, v2, v4, vcc
	global_store_short v[0:1], v3, off offset:256
	s_and_b64 exec, exec, s[2:3]
	s_cbranch_execz .LBB149_26
; %bb.21:
	v_sub_f32_e32 v3, v8, v5
	v_bfe_u32 v4, v3, 16, 1
	v_add3_u32 v4, v3, v4, s0
	v_lshrrev_b32_e32 v4, 16, v4
	v_cmp_o_f32_e32 vcc, v3, v3
	v_cndmask_b32_e32 v2, v2, v4, vcc
	global_store_short v[0:1], v2, off offset:384
	s_and_b64 exec, exec, s[4:5]
	s_cbranch_execz .LBB149_26
; %bb.22:
	v_sub_f32_e32 v3, v9, v5
	v_bfe_u32 v2, v3, 16, 1
	v_add3_u32 v2, v3, v2, s0
	v_lshrrev_b32_e32 v4, 16, v2
	v_mov_b32_e32 v2, 0x7fc0
	v_cmp_o_f32_e32 vcc, v3, v3
	v_cndmask_b32_e32 v3, v2, v4, vcc
	global_store_short v[0:1], v3, off offset:512
	s_and_b64 exec, exec, s[6:7]
	s_cbranch_execz .LBB149_26
; %bb.23:
	v_sub_f32_e32 v3, v7, v5
	v_bfe_u32 v4, v3, 16, 1
	v_add3_u32 v4, v3, v4, s0
	v_lshrrev_b32_e32 v4, 16, v4
	v_cmp_o_f32_e32 vcc, v3, v3
	v_cndmask_b32_e32 v2, v2, v4, vcc
	global_store_short v[0:1], v2, off offset:640
	s_and_b64 exec, exec, s[8:9]
	s_cbranch_execz .LBB149_26
; %bb.24:
	v_sub_f32_e32 v3, v10, v5
	v_bfe_u32 v2, v3, 16, 1
	v_add3_u32 v2, v3, v2, s0
	v_lshrrev_b32_e32 v4, 16, v2
	v_mov_b32_e32 v2, 0x7fc0
	v_cmp_o_f32_e32 vcc, v3, v3
	v_cndmask_b32_e32 v3, v2, v4, vcc
	global_store_short v[0:1], v3, off offset:768
	s_and_b64 exec, exec, s[10:11]
	s_cbranch_execz .LBB149_26
; %bb.25:
	v_sub_f32_e32 v3, v6, v5
	v_bfe_u32 v4, v3, 16, 1
	v_add3_u32 v4, v3, v4, s0
	v_lshrrev_b32_e32 v4, 16, v4
	v_cmp_o_f32_e32 vcc, v3, v3
	v_cndmask_b32_e32 v2, v2, v4, vcc
	global_store_short v[0:1], v2, off offset:896
.LBB149_26:
	s_endpgm
	.section	.rodata,"a",@progbits
	.p2align	6, 0x0
	.amdhsa_kernel _ZN12_GLOBAL__N_120softmax_warp_forwardIN3c108BFloat16ES2_fLi9ELb1ELb0ELi64EEEvPT0_PKT_iiiPKbib
		.amdhsa_group_segment_fixed_size 0
		.amdhsa_private_segment_fixed_size 0
		.amdhsa_kernarg_size 304
		.amdhsa_user_sgpr_count 6
		.amdhsa_user_sgpr_private_segment_buffer 1
		.amdhsa_user_sgpr_dispatch_ptr 0
		.amdhsa_user_sgpr_queue_ptr 0
		.amdhsa_user_sgpr_kernarg_segment_ptr 1
		.amdhsa_user_sgpr_dispatch_id 0
		.amdhsa_user_sgpr_flat_scratch_init 0
		.amdhsa_user_sgpr_kernarg_preload_length 0
		.amdhsa_user_sgpr_kernarg_preload_offset 0
		.amdhsa_user_sgpr_private_segment_size 0
		.amdhsa_uses_dynamic_stack 0
		.amdhsa_system_sgpr_private_segment_wavefront_offset 0
		.amdhsa_system_sgpr_workgroup_id_x 1
		.amdhsa_system_sgpr_workgroup_id_y 0
		.amdhsa_system_sgpr_workgroup_id_z 0
		.amdhsa_system_sgpr_workgroup_info 0
		.amdhsa_system_vgpr_workitem_id 1
		.amdhsa_next_free_vgpr 24
		.amdhsa_next_free_sgpr 24
		.amdhsa_accum_offset 24
		.amdhsa_reserve_vcc 1
		.amdhsa_reserve_flat_scratch 0
		.amdhsa_float_round_mode_32 0
		.amdhsa_float_round_mode_16_64 0
		.amdhsa_float_denorm_mode_32 3
		.amdhsa_float_denorm_mode_16_64 3
		.amdhsa_dx10_clamp 1
		.amdhsa_ieee_mode 1
		.amdhsa_fp16_overflow 0
		.amdhsa_tg_split 0
		.amdhsa_exception_fp_ieee_invalid_op 0
		.amdhsa_exception_fp_denorm_src 0
		.amdhsa_exception_fp_ieee_div_zero 0
		.amdhsa_exception_fp_ieee_overflow 0
		.amdhsa_exception_fp_ieee_underflow 0
		.amdhsa_exception_fp_ieee_inexact 0
		.amdhsa_exception_int_div_zero 0
	.end_amdhsa_kernel
	.section	.text._ZN12_GLOBAL__N_120softmax_warp_forwardIN3c108BFloat16ES2_fLi9ELb1ELb0ELi64EEEvPT0_PKT_iiiPKbib,"axG",@progbits,_ZN12_GLOBAL__N_120softmax_warp_forwardIN3c108BFloat16ES2_fLi9ELb1ELb0ELi64EEEvPT0_PKT_iiiPKbib,comdat
.Lfunc_end149:
	.size	_ZN12_GLOBAL__N_120softmax_warp_forwardIN3c108BFloat16ES2_fLi9ELb1ELb0ELi64EEEvPT0_PKT_iiiPKbib, .Lfunc_end149-_ZN12_GLOBAL__N_120softmax_warp_forwardIN3c108BFloat16ES2_fLi9ELb1ELb0ELi64EEEvPT0_PKT_iiiPKbib
                                        ; -- End function
	.section	.AMDGPU.csdata,"",@progbits
; Kernel info:
; codeLenInByte = 2424
; NumSgprs: 28
; NumVgprs: 24
; NumAgprs: 0
; TotalNumVgprs: 24
; ScratchSize: 0
; MemoryBound: 0
; FloatMode: 240
; IeeeMode: 1
; LDSByteSize: 0 bytes/workgroup (compile time only)
; SGPRBlocks: 3
; VGPRBlocks: 2
; NumSGPRsForWavesPerEU: 28
; NumVGPRsForWavesPerEU: 24
; AccumOffset: 24
; Occupancy: 8
; WaveLimiterHint : 0
; COMPUTE_PGM_RSRC2:SCRATCH_EN: 0
; COMPUTE_PGM_RSRC2:USER_SGPR: 6
; COMPUTE_PGM_RSRC2:TRAP_HANDLER: 0
; COMPUTE_PGM_RSRC2:TGID_X_EN: 1
; COMPUTE_PGM_RSRC2:TGID_Y_EN: 0
; COMPUTE_PGM_RSRC2:TGID_Z_EN: 0
; COMPUTE_PGM_RSRC2:TIDIG_COMP_CNT: 1
; COMPUTE_PGM_RSRC3_GFX90A:ACCUM_OFFSET: 5
; COMPUTE_PGM_RSRC3_GFX90A:TG_SPLIT: 0
	.section	.text._ZN12_GLOBAL__N_120softmax_warp_forwardIN3c108BFloat16ES2_fLi9ELb1ELb0ELi32EEEvPT0_PKT_iiiPKbib,"axG",@progbits,_ZN12_GLOBAL__N_120softmax_warp_forwardIN3c108BFloat16ES2_fLi9ELb1ELb0ELi32EEEvPT0_PKT_iiiPKbib,comdat
	.globl	_ZN12_GLOBAL__N_120softmax_warp_forwardIN3c108BFloat16ES2_fLi9ELb1ELb0ELi32EEEvPT0_PKT_iiiPKbib ; -- Begin function _ZN12_GLOBAL__N_120softmax_warp_forwardIN3c108BFloat16ES2_fLi9ELb1ELb0ELi32EEEvPT0_PKT_iiiPKbib
	.p2align	8
	.type	_ZN12_GLOBAL__N_120softmax_warp_forwardIN3c108BFloat16ES2_fLi9ELb1ELb0ELi32EEEvPT0_PKT_iiiPKbib,@function
_ZN12_GLOBAL__N_120softmax_warp_forwardIN3c108BFloat16ES2_fLi9ELb1ELb0ELi32EEEvPT0_PKT_iiiPKbib: ; @_ZN12_GLOBAL__N_120softmax_warp_forwardIN3c108BFloat16ES2_fLi9ELb1ELb0ELi32EEEvPT0_PKT_iiiPKbib
; %bb.0:
	s_load_dword s0, s[4:5], 0x3c
	s_load_dwordx8 s[36:43], s[4:5], 0x0
	v_bfe_u32 v1, v0, 10, 10
	v_and_b32_e32 v4, 0x3ff, v0
	v_mov_b32_e32 v16, 0xff800000
	s_waitcnt lgkmcnt(0)
	s_lshr_b32 s0, s0, 16
	s_mul_i32 s6, s6, s0
	v_add_u32_e32 v1, s6, v1
	v_sub_u32_e32 v5, s40, v1
	v_mad_u64_u32 v[0:1], s[0:1], v1, s41, v[4:5]
	v_ashrrev_i32_e32 v1, 31, v0
	v_lshlrev_b64 v[0:1], 1, v[0:1]
	v_mov_b32_e32 v3, s39
	v_add_co_u32_e32 v2, vcc, s38, v0
	v_cmp_lt_i32_e64 s[30:31], 0, v5
	v_cmp_gt_i32_e64 s[24:25], s42, v4
	v_addc_co_u32_e32 v3, vcc, v3, v1, vcc
	s_and_b64 s[2:3], s[30:31], s[24:25]
	v_mov_b32_e32 v23, 0xff800000
	s_and_saveexec_b64 s[0:1], s[2:3]
	s_cbranch_execz .LBB150_2
; %bb.1:
	global_load_ushort v6, v[2:3], off
	s_waitcnt vmcnt(0)
	v_lshlrev_b32_e32 v23, 16, v6
.LBB150_2:
	s_or_b64 exec, exec, s[0:1]
	v_add_u32_e32 v6, 32, v4
	v_cmp_gt_i32_e32 vcc, s42, v6
	s_and_b64 s[2:3], s[30:31], vcc
	s_and_saveexec_b64 s[0:1], s[2:3]
	s_cbranch_execz .LBB150_4
; %bb.3:
	global_load_ushort v6, v[2:3], off offset:64
	s_waitcnt vmcnt(0)
	v_lshlrev_b32_e32 v16, 16, v6
.LBB150_4:
	s_or_b64 exec, exec, s[0:1]
	v_add_u32_e32 v6, 64, v4
	v_cmp_gt_i32_e64 s[0:1], s42, v6
	s_and_b64 s[4:5], s[30:31], s[0:1]
	v_mov_b32_e32 v14, 0xff800000
	v_mov_b32_e32 v21, 0xff800000
	s_and_saveexec_b64 s[2:3], s[4:5]
	s_cbranch_execz .LBB150_6
; %bb.5:
	global_load_ushort v6, v[2:3], off offset:128
	s_waitcnt vmcnt(0)
	v_lshlrev_b32_e32 v21, 16, v6
.LBB150_6:
	s_or_b64 exec, exec, s[2:3]
	v_add_u32_e32 v6, 0x60, v4
	v_cmp_gt_i32_e64 s[2:3], s42, v6
	s_and_b64 s[6:7], s[30:31], s[2:3]
	s_and_saveexec_b64 s[4:5], s[6:7]
	s_cbranch_execz .LBB150_8
; %bb.7:
	global_load_ushort v6, v[2:3], off offset:192
	s_waitcnt vmcnt(0)
	v_lshlrev_b32_e32 v14, 16, v6
.LBB150_8:
	s_or_b64 exec, exec, s[4:5]
	v_add_u32_e32 v6, 0x80, v4
	v_cmp_gt_i32_e64 s[4:5], s42, v6
	s_and_b64 s[8:9], s[30:31], s[4:5]
	v_mov_b32_e32 v12, 0xff800000
	v_mov_b32_e32 v19, 0xff800000
	s_and_saveexec_b64 s[6:7], s[8:9]
	s_cbranch_execz .LBB150_10
; %bb.9:
	global_load_ushort v6, v[2:3], off offset:256
	s_waitcnt vmcnt(0)
	v_lshlrev_b32_e32 v19, 16, v6
.LBB150_10:
	s_or_b64 exec, exec, s[6:7]
	v_add_u32_e32 v6, 0xa0, v4
	v_cmp_gt_i32_e64 s[6:7], s42, v6
	s_and_b64 s[10:11], s[30:31], s[6:7]
	s_and_saveexec_b64 s[8:9], s[10:11]
	s_cbranch_execz .LBB150_12
; %bb.11:
	global_load_ushort v6, v[2:3], off offset:320
	s_waitcnt vmcnt(0)
	v_lshlrev_b32_e32 v12, 16, v6
.LBB150_12:
	s_or_b64 exec, exec, s[8:9]
	v_add_u32_e32 v6, 0xc0, v4
	v_cmp_gt_i32_e64 s[8:9], s42, v6
	s_and_b64 s[12:13], s[30:31], s[8:9]
	v_mov_b32_e32 v10, 0xff800000
	v_mov_b32_e32 v18, 0xff800000
	s_and_saveexec_b64 s[10:11], s[12:13]
	s_cbranch_execz .LBB150_14
; %bb.13:
	global_load_ushort v6, v[2:3], off offset:384
	s_waitcnt vmcnt(0)
	v_lshlrev_b32_e32 v18, 16, v6
.LBB150_14:
	s_or_b64 exec, exec, s[10:11]
	v_add_u32_e32 v6, 0xe0, v4
	v_cmp_gt_i32_e64 s[10:11], s42, v6
	s_and_b64 s[14:15], s[30:31], s[10:11]
	s_and_saveexec_b64 s[12:13], s[14:15]
	s_cbranch_execz .LBB150_16
; %bb.15:
	global_load_ushort v6, v[2:3], off offset:448
	s_waitcnt vmcnt(0)
	v_lshlrev_b32_e32 v10, 16, v6
.LBB150_16:
	s_or_b64 exec, exec, s[12:13]
	v_add_u32_e32 v6, 0x100, v4
	v_cmp_gt_i32_e64 s[12:13], s42, v6
	s_and_b64 s[16:17], s[30:31], s[12:13]
	v_mov_b32_e32 v9, 0xff800000
	v_mov_b32_e32 v17, 0xff800000
	s_and_saveexec_b64 s[14:15], s[16:17]
	s_cbranch_execz .LBB150_18
; %bb.17:
	global_load_ushort v6, v[2:3], off offset:512
	s_waitcnt vmcnt(0)
	v_lshlrev_b32_e32 v17, 16, v6
.LBB150_18:
	s_or_b64 exec, exec, s[14:15]
	v_add_u32_e32 v6, 0x120, v4
	v_cmp_gt_i32_e64 s[14:15], s42, v6
	s_and_b64 s[18:19], s[30:31], s[14:15]
	s_and_saveexec_b64 s[16:17], s[18:19]
	s_cbranch_execz .LBB150_20
; %bb.19:
	global_load_ushort v6, v[2:3], off offset:576
	s_waitcnt vmcnt(0)
	v_lshlrev_b32_e32 v9, 16, v6
.LBB150_20:
	s_or_b64 exec, exec, s[16:17]
	v_add_u32_e32 v6, 0x140, v4
	v_cmp_gt_i32_e64 s[16:17], s42, v6
	s_and_b64 s[20:21], s[30:31], s[16:17]
	v_mov_b32_e32 v8, 0xff800000
	v_mov_b32_e32 v15, 0xff800000
	s_and_saveexec_b64 s[18:19], s[20:21]
	s_cbranch_execz .LBB150_22
; %bb.21:
	global_load_ushort v6, v[2:3], off offset:640
	s_waitcnt vmcnt(0)
	v_lshlrev_b32_e32 v15, 16, v6
.LBB150_22:
	s_or_b64 exec, exec, s[18:19]
	v_add_u32_e32 v6, 0x160, v4
	v_cmp_gt_i32_e64 s[18:19], s42, v6
	s_and_b64 s[22:23], s[30:31], s[18:19]
	s_and_saveexec_b64 s[20:21], s[22:23]
	s_cbranch_execz .LBB150_24
; %bb.23:
	global_load_ushort v6, v[2:3], off offset:704
	s_waitcnt vmcnt(0)
	v_lshlrev_b32_e32 v8, 16, v6
.LBB150_24:
	s_or_b64 exec, exec, s[20:21]
	v_add_u32_e32 v6, 0x180, v4
	v_cmp_gt_i32_e64 s[20:21], s42, v6
	s_and_b64 s[26:27], s[30:31], s[20:21]
	v_mov_b32_e32 v7, 0xff800000
	v_mov_b32_e32 v13, 0xff800000
	s_and_saveexec_b64 s[22:23], s[26:27]
	s_cbranch_execz .LBB150_26
; %bb.25:
	global_load_ushort v6, v[2:3], off offset:768
	s_waitcnt vmcnt(0)
	v_lshlrev_b32_e32 v13, 16, v6
.LBB150_26:
	s_or_b64 exec, exec, s[22:23]
	v_add_u32_e32 v6, 0x1a0, v4
	v_cmp_gt_i32_e64 s[22:23], s42, v6
	s_and_b64 s[28:29], s[30:31], s[22:23]
	s_and_saveexec_b64 s[26:27], s[28:29]
	s_cbranch_execz .LBB150_28
; %bb.27:
	global_load_ushort v6, v[2:3], off offset:832
	s_waitcnt vmcnt(0)
	v_lshlrev_b32_e32 v7, 16, v6
.LBB150_28:
	s_or_b64 exec, exec, s[26:27]
	v_add_u32_e32 v6, 0x1c0, v4
	v_cmp_gt_i32_e64 s[26:27], s42, v6
	s_and_b64 s[34:35], s[30:31], s[26:27]
	v_mov_b32_e32 v6, 0xff800000
	v_mov_b32_e32 v11, 0xff800000
	s_and_saveexec_b64 s[28:29], s[34:35]
	s_cbranch_execz .LBB150_30
; %bb.29:
	global_load_ushort v11, v[2:3], off offset:896
	s_waitcnt vmcnt(0)
	v_lshlrev_b32_e32 v11, 16, v11
.LBB150_30:
	s_or_b64 exec, exec, s[28:29]
	v_add_u32_e32 v4, 0x1e0, v4
	v_cmp_gt_i32_e64 s[28:29], s42, v4
	s_and_b64 s[34:35], s[30:31], s[28:29]
	s_and_saveexec_b64 s[30:31], s[34:35]
	s_cbranch_execz .LBB150_32
; %bb.31:
	global_load_ushort v2, v[2:3], off offset:960
	s_waitcnt vmcnt(0)
	v_lshlrev_b32_e32 v6, 16, v2
.LBB150_32:
	s_or_b64 exec, exec, s[30:31]
	v_cmp_gt_f32_e64 s[30:31], v23, v16
	v_cndmask_b32_e64 v2, v16, v23, s[30:31]
	v_cmp_gt_f32_e64 s[30:31], v2, v21
	v_cndmask_b32_e64 v2, v21, v2, s[30:31]
	;; [unrolled: 2-line block ×13, first 2 shown]
	v_mbcnt_lo_u32_b32 v3, -1, 0
	v_cmp_gt_f32_e64 s[30:31], v2, v11
	v_mbcnt_hi_u32_b32 v3, -1, v3
	v_cndmask_b32_e64 v2, v11, v2, s[30:31]
	v_and_b32_e32 v4, 0x60, v3
	v_cmp_gt_f32_e64 s[30:31], v2, v6
	v_add_u32_e32 v4, 32, v4
	v_xor_b32_e32 v20, 16, v3
	v_cndmask_b32_e64 v2, v6, v2, s[30:31]
	v_cmp_lt_i32_e64 s[30:31], v20, v4
	v_cndmask_b32_e64 v20, v3, v20, s[30:31]
	v_lshlrev_b32_e32 v20, 2, v20
	ds_bpermute_b32 v22, v20, v2
	s_mov_b32 s34, 0x3fb8aa3b
	s_mov_b32 s33, 0xc2ce8ed0
	;; [unrolled: 1-line block ×3, first 2 shown]
	s_waitcnt lgkmcnt(0)
	v_cmp_lt_f32_e64 s[30:31], v2, v22
	v_cndmask_b32_e64 v2, v2, v22, s[30:31]
	v_xor_b32_e32 v22, 8, v3
	v_cmp_lt_i32_e64 s[30:31], v22, v4
	v_cndmask_b32_e64 v22, v3, v22, s[30:31]
	v_lshlrev_b32_e32 v22, 2, v22
	ds_bpermute_b32 v24, v22, v2
	s_waitcnt lgkmcnt(0)
	v_cmp_lt_f32_e64 s[30:31], v2, v24
	v_cndmask_b32_e64 v2, v2, v24, s[30:31]
	v_xor_b32_e32 v24, 4, v3
	v_cmp_lt_i32_e64 s[30:31], v24, v4
	v_cndmask_b32_e64 v24, v3, v24, s[30:31]
	v_lshlrev_b32_e32 v24, 2, v24
	ds_bpermute_b32 v25, v24, v2
	;; [unrolled: 8-line block ×4, first 2 shown]
	s_waitcnt lgkmcnt(0)
	v_cmp_lt_f32_e64 s[30:31], v2, v3
	v_cndmask_b32_e64 v27, v2, v3, s[30:31]
	v_sub_f32_e32 v2, v23, v27
	v_mul_f32_e32 v3, 0x3fb8aa3b, v2
	v_fma_f32 v4, v2, s34, -v3
	v_rndne_f32_e32 v23, v3
	v_fmac_f32_e32 v4, 0x32a5705f, v2
	v_sub_f32_e32 v3, v3, v23
	v_add_f32_e32 v3, v3, v4
	v_exp_f32_e32 v3, v3
	v_cvt_i32_f32_e32 v4, v23
	v_cmp_ngt_f32_e64 s[30:31], s33, v2
	v_sub_f32_e32 v14, v14, v27
	v_sub_f32_e32 v12, v12, v27
	v_ldexp_f32 v3, v3, v4
	v_cndmask_b32_e64 v4, 0, v3, s[30:31]
	v_sub_f32_e32 v3, v16, v27
	v_mul_f32_e32 v16, 0x3fb8aa3b, v3
	v_fma_f32 v23, v3, s34, -v16
	v_rndne_f32_e32 v28, v16
	v_fmac_f32_e32 v23, 0x32a5705f, v3
	v_sub_f32_e32 v16, v16, v28
	v_add_f32_e32 v16, v16, v23
	v_exp_f32_e32 v16, v16
	v_cvt_i32_f32_e32 v28, v28
	v_mov_b32_e32 v23, 0x7f800000
	v_cmp_nlt_f32_e64 s[30:31], s35, v2
	v_cndmask_b32_e64 v29, v23, v4, s[30:31]
	v_ldexp_f32 v4, v16, v28
	v_cmp_ngt_f32_e64 s[30:31], s33, v3
	v_cndmask_b32_e64 v16, 0, v4, s[30:31]
	v_sub_f32_e32 v4, v21, v27
	v_mul_f32_e32 v21, 0x3fb8aa3b, v4
	v_fma_f32 v28, v4, s34, -v21
	v_rndne_f32_e32 v30, v21
	v_fmac_f32_e32 v28, 0x32a5705f, v4
	v_sub_f32_e32 v21, v21, v30
	v_add_f32_e32 v21, v21, v28
	v_exp_f32_e32 v21, v21
	v_cvt_i32_f32_e32 v28, v30
	v_cmp_nlt_f32_e64 s[30:31], s35, v3
	v_cndmask_b32_e64 v16, v23, v16, s[30:31]
	v_add_f32_e32 v16, v29, v16
	v_ldexp_f32 v21, v21, v28
	v_mul_f32_e32 v28, 0x3fb8aa3b, v14
	v_fma_f32 v29, v14, s34, -v28
	v_rndne_f32_e32 v30, v28
	v_fmac_f32_e32 v29, 0x32a5705f, v14
	v_sub_f32_e32 v28, v28, v30
	v_add_f32_e32 v28, v28, v29
	v_exp_f32_e32 v28, v28
	v_cvt_i32_f32_e32 v29, v30
	v_cmp_ngt_f32_e64 s[30:31], s33, v4
	v_cndmask_b32_e64 v21, 0, v21, s[30:31]
	v_cmp_nlt_f32_e64 s[30:31], s35, v4
	v_cndmask_b32_e64 v21, v23, v21, s[30:31]
	v_add_f32_e32 v21, v16, v21
	v_ldexp_f32 v16, v28, v29
	v_cmp_ngt_f32_e64 s[30:31], s33, v14
	v_cndmask_b32_e64 v28, 0, v16, s[30:31]
	v_sub_f32_e32 v16, v19, v27
	v_mul_f32_e32 v19, 0x3fb8aa3b, v16
	v_fma_f32 v29, v16, s34, -v19
	v_rndne_f32_e32 v30, v19
	v_fmac_f32_e32 v29, 0x32a5705f, v16
	v_sub_f32_e32 v19, v19, v30
	v_add_f32_e32 v19, v19, v29
	v_exp_f32_e32 v19, v19
	v_cvt_i32_f32_e32 v29, v30
	v_cmp_nlt_f32_e64 s[30:31], s35, v14
	v_cndmask_b32_e64 v28, v23, v28, s[30:31]
	v_add_f32_e32 v21, v21, v28
	v_mul_f32_e32 v28, 0x3fb8aa3b, v12
	v_ldexp_f32 v19, v19, v29
	v_fma_f32 v29, v12, s34, -v28
	v_rndne_f32_e32 v30, v28
	v_fmac_f32_e32 v29, 0x32a5705f, v12
	v_sub_f32_e32 v28, v28, v30
	v_add_f32_e32 v28, v28, v29
	v_exp_f32_e32 v28, v28
	v_cvt_i32_f32_e32 v29, v30
	v_cmp_ngt_f32_e64 s[30:31], s33, v16
	v_cndmask_b32_e64 v19, 0, v19, s[30:31]
	v_cmp_nlt_f32_e64 s[30:31], s35, v16
	v_cndmask_b32_e64 v19, v23, v19, s[30:31]
	v_sub_f32_e32 v18, v18, v27
	v_add_f32_e32 v19, v21, v19
	v_ldexp_f32 v21, v28, v29
	v_mul_f32_e32 v28, 0x3fb8aa3b, v18
	v_fma_f32 v29, v18, s34, -v28
	v_rndne_f32_e32 v30, v28
	v_fmac_f32_e32 v29, 0x32a5705f, v18
	v_sub_f32_e32 v28, v28, v30
	v_add_f32_e32 v28, v28, v29
	v_exp_f32_e32 v28, v28
	v_cvt_i32_f32_e32 v29, v30
	v_cmp_ngt_f32_e64 s[30:31], s33, v12
	v_cndmask_b32_e64 v21, 0, v21, s[30:31]
	v_cmp_nlt_f32_e64 s[30:31], s35, v12
	v_cndmask_b32_e64 v21, v23, v21, s[30:31]
	v_sub_f32_e32 v10, v10, v27
	v_add_f32_e32 v19, v19, v21
	v_ldexp_f32 v21, v28, v29
	v_mul_f32_e32 v28, 0x3fb8aa3b, v10
	v_fma_f32 v29, v10, s34, -v28
	v_rndne_f32_e32 v30, v28
	v_fmac_f32_e32 v29, 0x32a5705f, v10
	v_sub_f32_e32 v28, v28, v30
	v_add_f32_e32 v28, v28, v29
	v_exp_f32_e32 v28, v28
	v_cvt_i32_f32_e32 v29, v30
	v_cmp_ngt_f32_e64 s[30:31], s33, v18
	v_cndmask_b32_e64 v21, 0, v21, s[30:31]
	v_cmp_nlt_f32_e64 s[30:31], s35, v18
	v_cndmask_b32_e64 v21, v23, v21, s[30:31]
	v_sub_f32_e32 v17, v17, v27
	v_add_f32_e32 v19, v19, v21
	v_ldexp_f32 v21, v28, v29
	v_mul_f32_e32 v28, 0x3fb8aa3b, v17
	v_fma_f32 v29, v17, s34, -v28
	v_rndne_f32_e32 v30, v28
	v_fmac_f32_e32 v29, 0x32a5705f, v17
	v_sub_f32_e32 v28, v28, v30
	v_add_f32_e32 v28, v28, v29
	v_exp_f32_e32 v28, v28
	v_cvt_i32_f32_e32 v29, v30
	v_cmp_ngt_f32_e64 s[30:31], s33, v10
	v_cndmask_b32_e64 v21, 0, v21, s[30:31]
	v_cmp_nlt_f32_e64 s[30:31], s35, v10
	v_cndmask_b32_e64 v21, v23, v21, s[30:31]
	v_sub_f32_e32 v9, v9, v27
	v_add_f32_e32 v19, v19, v21
	v_ldexp_f32 v21, v28, v29
	v_mul_f32_e32 v28, 0x3fb8aa3b, v9
	v_fma_f32 v29, v9, s34, -v28
	v_rndne_f32_e32 v30, v28
	v_fmac_f32_e32 v29, 0x32a5705f, v9
	v_sub_f32_e32 v28, v28, v30
	v_add_f32_e32 v28, v28, v29
	v_exp_f32_e32 v28, v28
	v_cvt_i32_f32_e32 v29, v30
	v_cmp_ngt_f32_e64 s[30:31], s33, v17
	v_cndmask_b32_e64 v21, 0, v21, s[30:31]
	v_cmp_nlt_f32_e64 s[30:31], s35, v17
	v_cndmask_b32_e64 v21, v23, v21, s[30:31]
	v_sub_f32_e32 v15, v15, v27
	v_add_f32_e32 v19, v19, v21
	v_ldexp_f32 v21, v28, v29
	v_mul_f32_e32 v28, 0x3fb8aa3b, v15
	v_fma_f32 v29, v15, s34, -v28
	v_rndne_f32_e32 v30, v28
	v_fmac_f32_e32 v29, 0x32a5705f, v15
	v_sub_f32_e32 v28, v28, v30
	v_add_f32_e32 v28, v28, v29
	v_exp_f32_e32 v28, v28
	v_cvt_i32_f32_e32 v29, v30
	v_cmp_ngt_f32_e64 s[30:31], s33, v9
	v_cndmask_b32_e64 v21, 0, v21, s[30:31]
	v_cmp_nlt_f32_e64 s[30:31], s35, v9
	v_cndmask_b32_e64 v21, v23, v21, s[30:31]
	v_sub_f32_e32 v8, v8, v27
	v_add_f32_e32 v19, v19, v21
	v_ldexp_f32 v21, v28, v29
	v_mul_f32_e32 v28, 0x3fb8aa3b, v8
	v_fma_f32 v29, v8, s34, -v28
	v_rndne_f32_e32 v30, v28
	v_fmac_f32_e32 v29, 0x32a5705f, v8
	v_sub_f32_e32 v28, v28, v30
	v_add_f32_e32 v28, v28, v29
	v_exp_f32_e32 v28, v28
	v_cvt_i32_f32_e32 v29, v30
	v_cmp_ngt_f32_e64 s[30:31], s33, v15
	v_cndmask_b32_e64 v21, 0, v21, s[30:31]
	v_cmp_nlt_f32_e64 s[30:31], s35, v15
	v_cndmask_b32_e64 v21, v23, v21, s[30:31]
	v_sub_f32_e32 v13, v13, v27
	v_add_f32_e32 v19, v19, v21
	v_ldexp_f32 v21, v28, v29
	v_mul_f32_e32 v28, 0x3fb8aa3b, v13
	v_fma_f32 v29, v13, s34, -v28
	v_rndne_f32_e32 v30, v28
	v_fmac_f32_e32 v29, 0x32a5705f, v13
	v_sub_f32_e32 v28, v28, v30
	v_add_f32_e32 v28, v28, v29
	v_exp_f32_e32 v28, v28
	v_cvt_i32_f32_e32 v29, v30
	v_cmp_ngt_f32_e64 s[30:31], s33, v8
	v_cndmask_b32_e64 v21, 0, v21, s[30:31]
	v_cmp_nlt_f32_e64 s[30:31], s35, v8
	v_cndmask_b32_e64 v21, v23, v21, s[30:31]
	v_sub_f32_e32 v7, v7, v27
	v_add_f32_e32 v19, v19, v21
	v_ldexp_f32 v21, v28, v29
	v_mul_f32_e32 v28, 0x3fb8aa3b, v7
	v_fma_f32 v29, v7, s34, -v28
	v_rndne_f32_e32 v30, v28
	v_fmac_f32_e32 v29, 0x32a5705f, v7
	v_sub_f32_e32 v28, v28, v30
	v_add_f32_e32 v28, v28, v29
	v_exp_f32_e32 v28, v28
	v_cvt_i32_f32_e32 v29, v30
	v_cmp_ngt_f32_e64 s[30:31], s33, v13
	v_cndmask_b32_e64 v21, 0, v21, s[30:31]
	v_cmp_nlt_f32_e64 s[30:31], s35, v13
	v_cndmask_b32_e64 v21, v23, v21, s[30:31]
	v_sub_f32_e32 v11, v11, v27
	v_add_f32_e32 v19, v19, v21
	v_ldexp_f32 v21, v28, v29
	v_mul_f32_e32 v28, 0x3fb8aa3b, v11
	v_fma_f32 v29, v11, s34, -v28
	v_rndne_f32_e32 v30, v28
	v_fmac_f32_e32 v29, 0x32a5705f, v11
	v_sub_f32_e32 v28, v28, v30
	v_add_f32_e32 v28, v28, v29
	v_exp_f32_e32 v28, v28
	v_cvt_i32_f32_e32 v29, v30
	v_cmp_ngt_f32_e64 s[30:31], s33, v7
	v_cndmask_b32_e64 v21, 0, v21, s[30:31]
	v_cmp_nlt_f32_e64 s[30:31], s35, v7
	v_sub_f32_e32 v6, v6, v27
	v_cndmask_b32_e64 v21, v23, v21, s[30:31]
	v_mul_f32_e32 v27, 0x3fb8aa3b, v6
	v_add_f32_e32 v19, v19, v21
	v_ldexp_f32 v21, v28, v29
	v_fma_f32 v28, v6, s34, -v27
	v_rndne_f32_e32 v29, v27
	v_fmac_f32_e32 v28, 0x32a5705f, v6
	v_sub_f32_e32 v27, v27, v29
	v_add_f32_e32 v27, v27, v28
	v_exp_f32_e32 v27, v27
	v_cvt_i32_f32_e32 v28, v29
	v_cmp_ngt_f32_e64 s[30:31], s33, v11
	v_cndmask_b32_e64 v21, 0, v21, s[30:31]
	v_cmp_nlt_f32_e64 s[30:31], s35, v11
	v_cndmask_b32_e64 v21, v23, v21, s[30:31]
	v_add_f32_e32 v19, v19, v21
	v_ldexp_f32 v21, v27, v28
	v_cmp_ngt_f32_e64 s[30:31], s33, v6
	v_cndmask_b32_e64 v21, 0, v21, s[30:31]
	v_cmp_nlt_f32_e64 s[30:31], s35, v6
	v_cndmask_b32_e64 v21, v23, v21, s[30:31]
	v_add_f32_e32 v19, v19, v21
	ds_bpermute_b32 v20, v20, v19
	v_cmp_lt_i32_e64 s[30:31], 0, v5
	s_waitcnt lgkmcnt(0)
	v_add_f32_e32 v19, v19, v20
	ds_bpermute_b32 v20, v22, v19
	s_waitcnt lgkmcnt(0)
	v_add_f32_e32 v19, v19, v20
	ds_bpermute_b32 v20, v24, v19
	;; [unrolled: 3-line block ×4, first 2 shown]
	s_and_saveexec_b64 s[34:35], s[30:31]
	s_cbranch_execz .LBB150_50
; %bb.33:
	s_and_b64 exec, exec, s[24:25]
	s_cbranch_execz .LBB150_50
; %bb.34:
	s_waitcnt lgkmcnt(0)
	v_add_f32_e32 v5, v19, v20
	s_mov_b32 s24, 0x800000
	v_mov_b32_e32 v19, 0x4f800000
	v_cmp_gt_f32_e64 s[24:25], s24, v5
	v_cndmask_b32_e64 v19, 1.0, v19, s[24:25]
	v_mul_f32_e32 v5, v5, v19
	v_log_f32_e32 v5, v5
	s_mov_b32 s30, 0x3f317217
	v_mul_f32_e32 v19, 0x3f317217, v5
	v_fma_f32 v20, v5, s30, -v19
	v_fmac_f32_e32 v20, 0x3377d1cf, v5
	s_mov_b32 s30, 0x7f800000
	v_add_f32_e32 v19, v19, v20
	v_cmp_lt_f32_e64 s[30:31], |v5|, s30
	v_cndmask_b32_e64 v5, v5, v19, s[30:31]
	v_mov_b32_e32 v19, 0x41b17218
	v_cndmask_b32_e64 v19, 0, v19, s[24:25]
	v_sub_f32_e32 v5, v5, v19
	v_mov_b32_e32 v19, s37
	v_add_co_u32_e64 v0, s[24:25], s36, v0
	v_addc_co_u32_e64 v1, s[24:25], v19, v1, s[24:25]
	v_sub_f32_e32 v19, v2, v5
	v_bfe_u32 v2, v19, 16, 1
	s_movk_i32 s30, 0x7fff
	v_add3_u32 v2, v19, v2, s30
	v_lshrrev_b32_e32 v20, 16, v2
	v_mov_b32_e32 v2, 0x7fc0
	v_cmp_o_f32_e64 s[24:25], v19, v19
	v_cndmask_b32_e64 v19, v2, v20, s[24:25]
	global_store_short v[0:1], v19, off
	s_and_b64 exec, exec, vcc
	s_cbranch_execz .LBB150_50
; %bb.35:
	v_sub_f32_e32 v3, v3, v5
	v_bfe_u32 v19, v3, 16, 1
	v_add3_u32 v19, v3, v19, s30
	v_lshrrev_b32_e32 v19, 16, v19
	v_cmp_o_f32_e32 vcc, v3, v3
	v_cndmask_b32_e32 v2, v2, v19, vcc
	global_store_short v[0:1], v2, off offset:64
	s_and_b64 exec, exec, s[0:1]
	s_cbranch_execz .LBB150_50
; %bb.36:
	v_sub_f32_e32 v3, v4, v5
	v_bfe_u32 v2, v3, 16, 1
	s_movk_i32 s0, 0x7fff
	v_add3_u32 v2, v3, v2, s0
	v_lshrrev_b32_e32 v4, 16, v2
	v_mov_b32_e32 v2, 0x7fc0
	v_cmp_o_f32_e32 vcc, v3, v3
	v_cndmask_b32_e32 v3, v2, v4, vcc
	global_store_short v[0:1], v3, off offset:128
	s_and_b64 exec, exec, s[2:3]
	s_cbranch_execz .LBB150_50
; %bb.37:
	v_sub_f32_e32 v3, v14, v5
	v_bfe_u32 v4, v3, 16, 1
	v_add3_u32 v4, v3, v4, s0
	v_lshrrev_b32_e32 v4, 16, v4
	v_cmp_o_f32_e32 vcc, v3, v3
	v_cndmask_b32_e32 v2, v2, v4, vcc
	global_store_short v[0:1], v2, off offset:192
	s_and_b64 exec, exec, s[4:5]
	s_cbranch_execz .LBB150_50
; %bb.38:
	v_sub_f32_e32 v3, v16, v5
	v_bfe_u32 v2, v3, 16, 1
	v_add3_u32 v2, v3, v2, s0
	v_lshrrev_b32_e32 v4, 16, v2
	v_mov_b32_e32 v2, 0x7fc0
	v_cmp_o_f32_e32 vcc, v3, v3
	v_cndmask_b32_e32 v3, v2, v4, vcc
	global_store_short v[0:1], v3, off offset:256
	s_and_b64 exec, exec, s[6:7]
	s_cbranch_execz .LBB150_50
; %bb.39:
	v_sub_f32_e32 v3, v12, v5
	v_bfe_u32 v4, v3, 16, 1
	v_add3_u32 v4, v3, v4, s0
	v_lshrrev_b32_e32 v4, 16, v4
	v_cmp_o_f32_e32 vcc, v3, v3
	v_cndmask_b32_e32 v2, v2, v4, vcc
	global_store_short v[0:1], v2, off offset:320
	s_and_b64 exec, exec, s[8:9]
	s_cbranch_execz .LBB150_50
; %bb.40:
	v_sub_f32_e32 v3, v18, v5
	v_bfe_u32 v2, v3, 16, 1
	;; [unrolled: 21-line block ×6, first 2 shown]
	v_add3_u32 v2, v3, v2, s0
	v_lshrrev_b32_e32 v4, 16, v2
	v_mov_b32_e32 v2, 0x7fc0
	v_cmp_o_f32_e32 vcc, v3, v3
	v_cndmask_b32_e32 v3, v2, v4, vcc
	global_store_short v[0:1], v3, off offset:896
	s_and_b64 exec, exec, s[28:29]
	s_cbranch_execz .LBB150_50
; %bb.49:
	v_sub_f32_e32 v3, v6, v5
	v_bfe_u32 v4, v3, 16, 1
	v_add3_u32 v4, v3, v4, s0
	v_lshrrev_b32_e32 v4, 16, v4
	v_cmp_o_f32_e32 vcc, v3, v3
	v_cndmask_b32_e32 v2, v2, v4, vcc
	global_store_short v[0:1], v2, off offset:960
.LBB150_50:
	s_endpgm
	.section	.rodata,"a",@progbits
	.p2align	6, 0x0
	.amdhsa_kernel _ZN12_GLOBAL__N_120softmax_warp_forwardIN3c108BFloat16ES2_fLi9ELb1ELb0ELi32EEEvPT0_PKT_iiiPKbib
		.amdhsa_group_segment_fixed_size 0
		.amdhsa_private_segment_fixed_size 0
		.amdhsa_kernarg_size 304
		.amdhsa_user_sgpr_count 6
		.amdhsa_user_sgpr_private_segment_buffer 1
		.amdhsa_user_sgpr_dispatch_ptr 0
		.amdhsa_user_sgpr_queue_ptr 0
		.amdhsa_user_sgpr_kernarg_segment_ptr 1
		.amdhsa_user_sgpr_dispatch_id 0
		.amdhsa_user_sgpr_flat_scratch_init 0
		.amdhsa_user_sgpr_kernarg_preload_length 0
		.amdhsa_user_sgpr_kernarg_preload_offset 0
		.amdhsa_user_sgpr_private_segment_size 0
		.amdhsa_uses_dynamic_stack 0
		.amdhsa_system_sgpr_private_segment_wavefront_offset 0
		.amdhsa_system_sgpr_workgroup_id_x 1
		.amdhsa_system_sgpr_workgroup_id_y 0
		.amdhsa_system_sgpr_workgroup_id_z 0
		.amdhsa_system_sgpr_workgroup_info 0
		.amdhsa_system_vgpr_workitem_id 1
		.amdhsa_next_free_vgpr 31
		.amdhsa_next_free_sgpr 44
		.amdhsa_accum_offset 32
		.amdhsa_reserve_vcc 1
		.amdhsa_reserve_flat_scratch 0
		.amdhsa_float_round_mode_32 0
		.amdhsa_float_round_mode_16_64 0
		.amdhsa_float_denorm_mode_32 3
		.amdhsa_float_denorm_mode_16_64 3
		.amdhsa_dx10_clamp 1
		.amdhsa_ieee_mode 1
		.amdhsa_fp16_overflow 0
		.amdhsa_tg_split 0
		.amdhsa_exception_fp_ieee_invalid_op 0
		.amdhsa_exception_fp_denorm_src 0
		.amdhsa_exception_fp_ieee_div_zero 0
		.amdhsa_exception_fp_ieee_overflow 0
		.amdhsa_exception_fp_ieee_underflow 0
		.amdhsa_exception_fp_ieee_inexact 0
		.amdhsa_exception_int_div_zero 0
	.end_amdhsa_kernel
	.section	.text._ZN12_GLOBAL__N_120softmax_warp_forwardIN3c108BFloat16ES2_fLi9ELb1ELb0ELi32EEEvPT0_PKT_iiiPKbib,"axG",@progbits,_ZN12_GLOBAL__N_120softmax_warp_forwardIN3c108BFloat16ES2_fLi9ELb1ELb0ELi32EEEvPT0_PKT_iiiPKbib,comdat
.Lfunc_end150:
	.size	_ZN12_GLOBAL__N_120softmax_warp_forwardIN3c108BFloat16ES2_fLi9ELb1ELb0ELi32EEEvPT0_PKT_iiiPKbib, .Lfunc_end150-_ZN12_GLOBAL__N_120softmax_warp_forwardIN3c108BFloat16ES2_fLi9ELb1ELb0ELi32EEEvPT0_PKT_iiiPKbib
                                        ; -- End function
	.section	.AMDGPU.csdata,"",@progbits
; Kernel info:
; codeLenInByte = 4084
; NumSgprs: 48
; NumVgprs: 31
; NumAgprs: 0
; TotalNumVgprs: 31
; ScratchSize: 0
; MemoryBound: 0
; FloatMode: 240
; IeeeMode: 1
; LDSByteSize: 0 bytes/workgroup (compile time only)
; SGPRBlocks: 5
; VGPRBlocks: 3
; NumSGPRsForWavesPerEU: 48
; NumVGPRsForWavesPerEU: 31
; AccumOffset: 32
; Occupancy: 8
; WaveLimiterHint : 0
; COMPUTE_PGM_RSRC2:SCRATCH_EN: 0
; COMPUTE_PGM_RSRC2:USER_SGPR: 6
; COMPUTE_PGM_RSRC2:TRAP_HANDLER: 0
; COMPUTE_PGM_RSRC2:TGID_X_EN: 1
; COMPUTE_PGM_RSRC2:TGID_Y_EN: 0
; COMPUTE_PGM_RSRC2:TGID_Z_EN: 0
; COMPUTE_PGM_RSRC2:TIDIG_COMP_CNT: 1
; COMPUTE_PGM_RSRC3_GFX90A:ACCUM_OFFSET: 7
; COMPUTE_PGM_RSRC3_GFX90A:TG_SPLIT: 0
	.section	.text._ZN12_GLOBAL__N_120softmax_warp_forwardIN3c108BFloat16ES2_fLi10ELb1ELb0ELi64EEEvPT0_PKT_iiiPKbib,"axG",@progbits,_ZN12_GLOBAL__N_120softmax_warp_forwardIN3c108BFloat16ES2_fLi10ELb1ELb0ELi64EEEvPT0_PKT_iiiPKbib,comdat
	.globl	_ZN12_GLOBAL__N_120softmax_warp_forwardIN3c108BFloat16ES2_fLi10ELb1ELb0ELi64EEEvPT0_PKT_iiiPKbib ; -- Begin function _ZN12_GLOBAL__N_120softmax_warp_forwardIN3c108BFloat16ES2_fLi10ELb1ELb0ELi64EEEvPT0_PKT_iiiPKbib
	.p2align	8
	.type	_ZN12_GLOBAL__N_120softmax_warp_forwardIN3c108BFloat16ES2_fLi10ELb1ELb0ELi64EEEvPT0_PKT_iiiPKbib,@function
_ZN12_GLOBAL__N_120softmax_warp_forwardIN3c108BFloat16ES2_fLi10ELb1ELb0ELi64EEEvPT0_PKT_iiiPKbib: ; @_ZN12_GLOBAL__N_120softmax_warp_forwardIN3c108BFloat16ES2_fLi10ELb1ELb0ELi64EEEvPT0_PKT_iiiPKbib
; %bb.0:
	s_load_dword s0, s[4:5], 0x3c
	s_load_dwordx8 s[36:43], s[4:5], 0x0
	v_bfe_u32 v1, v0, 10, 10
	v_and_b32_e32 v4, 0x3ff, v0
	v_mov_b32_e32 v16, 0xff800000
	s_waitcnt lgkmcnt(0)
	s_lshr_b32 s0, s0, 16
	s_mul_i32 s6, s6, s0
	v_add_u32_e32 v1, s6, v1
	v_sub_u32_e32 v5, s40, v1
	v_mad_u64_u32 v[0:1], s[0:1], v1, s41, v[4:5]
	v_ashrrev_i32_e32 v1, 31, v0
	v_lshlrev_b64 v[0:1], 1, v[0:1]
	v_mov_b32_e32 v3, s39
	v_add_co_u32_e32 v2, vcc, s38, v0
	v_cmp_lt_i32_e64 s[30:31], 0, v5
	v_cmp_gt_i32_e64 s[24:25], s42, v4
	v_addc_co_u32_e32 v3, vcc, v3, v1, vcc
	s_and_b64 s[2:3], s[30:31], s[24:25]
	v_mov_b32_e32 v23, 0xff800000
	s_and_saveexec_b64 s[0:1], s[2:3]
	s_cbranch_execz .LBB151_2
; %bb.1:
	global_load_ushort v6, v[2:3], off
	s_waitcnt vmcnt(0)
	v_lshlrev_b32_e32 v23, 16, v6
.LBB151_2:
	s_or_b64 exec, exec, s[0:1]
	v_add_u32_e32 v6, 64, v4
	v_cmp_gt_i32_e32 vcc, s42, v6
	s_and_b64 s[2:3], s[30:31], vcc
	s_and_saveexec_b64 s[0:1], s[2:3]
	s_cbranch_execz .LBB151_4
; %bb.3:
	global_load_ushort v6, v[2:3], off offset:128
	s_waitcnt vmcnt(0)
	v_lshlrev_b32_e32 v16, 16, v6
.LBB151_4:
	s_or_b64 exec, exec, s[0:1]
	v_add_u32_e32 v6, 0x80, v4
	v_cmp_gt_i32_e64 s[0:1], s42, v6
	s_and_b64 s[4:5], s[30:31], s[0:1]
	v_mov_b32_e32 v14, 0xff800000
	v_mov_b32_e32 v21, 0xff800000
	s_and_saveexec_b64 s[2:3], s[4:5]
	s_cbranch_execz .LBB151_6
; %bb.5:
	global_load_ushort v6, v[2:3], off offset:256
	s_waitcnt vmcnt(0)
	v_lshlrev_b32_e32 v21, 16, v6
.LBB151_6:
	s_or_b64 exec, exec, s[2:3]
	v_add_u32_e32 v6, 0xc0, v4
	v_cmp_gt_i32_e64 s[2:3], s42, v6
	s_and_b64 s[6:7], s[30:31], s[2:3]
	s_and_saveexec_b64 s[4:5], s[6:7]
	s_cbranch_execz .LBB151_8
; %bb.7:
	global_load_ushort v6, v[2:3], off offset:384
	s_waitcnt vmcnt(0)
	v_lshlrev_b32_e32 v14, 16, v6
.LBB151_8:
	s_or_b64 exec, exec, s[4:5]
	v_add_u32_e32 v6, 0x100, v4
	v_cmp_gt_i32_e64 s[4:5], s42, v6
	s_and_b64 s[8:9], s[30:31], s[4:5]
	v_mov_b32_e32 v12, 0xff800000
	v_mov_b32_e32 v19, 0xff800000
	s_and_saveexec_b64 s[6:7], s[8:9]
	s_cbranch_execz .LBB151_10
; %bb.9:
	global_load_ushort v6, v[2:3], off offset:512
	s_waitcnt vmcnt(0)
	v_lshlrev_b32_e32 v19, 16, v6
.LBB151_10:
	s_or_b64 exec, exec, s[6:7]
	v_add_u32_e32 v6, 0x140, v4
	v_cmp_gt_i32_e64 s[6:7], s42, v6
	s_and_b64 s[10:11], s[30:31], s[6:7]
	;; [unrolled: 24-line block ×7, first 2 shown]
	s_and_saveexec_b64 s[30:31], s[34:35]
	s_cbranch_execz .LBB151_32
; %bb.31:
	global_load_ushort v2, v[2:3], off offset:1920
	s_waitcnt vmcnt(0)
	v_lshlrev_b32_e32 v6, 16, v2
.LBB151_32:
	s_or_b64 exec, exec, s[30:31]
	v_cmp_gt_f32_e64 s[30:31], v23, v16
	v_cndmask_b32_e64 v2, v16, v23, s[30:31]
	v_cmp_gt_f32_e64 s[30:31], v2, v21
	v_cndmask_b32_e64 v2, v21, v2, s[30:31]
	;; [unrolled: 2-line block ×13, first 2 shown]
	v_mbcnt_lo_u32_b32 v3, -1, 0
	v_cmp_gt_f32_e64 s[30:31], v2, v11
	v_mbcnt_hi_u32_b32 v3, -1, v3
	v_cndmask_b32_e64 v2, v11, v2, s[30:31]
	v_and_b32_e32 v4, 64, v3
	v_cmp_gt_f32_e64 s[30:31], v2, v6
	v_add_u32_e32 v4, 64, v4
	v_xor_b32_e32 v20, 32, v3
	v_cndmask_b32_e64 v2, v6, v2, s[30:31]
	v_cmp_lt_i32_e64 s[30:31], v20, v4
	v_cndmask_b32_e64 v20, v3, v20, s[30:31]
	v_lshlrev_b32_e32 v20, 2, v20
	ds_bpermute_b32 v22, v20, v2
	s_mov_b32 s34, 0x3fb8aa3b
	s_mov_b32 s33, 0xc2ce8ed0
	;; [unrolled: 1-line block ×3, first 2 shown]
	s_waitcnt lgkmcnt(0)
	v_cmp_lt_f32_e64 s[30:31], v2, v22
	v_cndmask_b32_e64 v2, v2, v22, s[30:31]
	v_xor_b32_e32 v22, 16, v3
	v_cmp_lt_i32_e64 s[30:31], v22, v4
	v_cndmask_b32_e64 v22, v3, v22, s[30:31]
	v_lshlrev_b32_e32 v22, 2, v22
	ds_bpermute_b32 v24, v22, v2
	s_waitcnt lgkmcnt(0)
	v_cmp_lt_f32_e64 s[30:31], v2, v24
	v_cndmask_b32_e64 v2, v2, v24, s[30:31]
	v_xor_b32_e32 v24, 8, v3
	v_cmp_lt_i32_e64 s[30:31], v24, v4
	v_cndmask_b32_e64 v24, v3, v24, s[30:31]
	v_lshlrev_b32_e32 v24, 2, v24
	ds_bpermute_b32 v25, v24, v2
	;; [unrolled: 8-line block ×5, first 2 shown]
	s_waitcnt lgkmcnt(0)
	v_cmp_lt_f32_e64 s[30:31], v2, v3
	v_cndmask_b32_e64 v28, v2, v3, s[30:31]
	v_sub_f32_e32 v2, v23, v28
	v_mul_f32_e32 v3, 0x3fb8aa3b, v2
	v_fma_f32 v4, v2, s34, -v3
	v_rndne_f32_e32 v23, v3
	v_fmac_f32_e32 v4, 0x32a5705f, v2
	v_sub_f32_e32 v3, v3, v23
	v_add_f32_e32 v3, v3, v4
	v_exp_f32_e32 v3, v3
	v_cvt_i32_f32_e32 v4, v23
	v_cmp_ngt_f32_e64 s[30:31], s33, v2
	v_sub_f32_e32 v14, v14, v28
	v_sub_f32_e32 v12, v12, v28
	v_ldexp_f32 v3, v3, v4
	v_cndmask_b32_e64 v4, 0, v3, s[30:31]
	v_sub_f32_e32 v3, v16, v28
	v_mul_f32_e32 v16, 0x3fb8aa3b, v3
	v_fma_f32 v23, v3, s34, -v16
	v_rndne_f32_e32 v29, v16
	v_fmac_f32_e32 v23, 0x32a5705f, v3
	v_sub_f32_e32 v16, v16, v29
	v_add_f32_e32 v16, v16, v23
	v_exp_f32_e32 v16, v16
	v_cvt_i32_f32_e32 v29, v29
	v_mov_b32_e32 v23, 0x7f800000
	v_cmp_nlt_f32_e64 s[30:31], s35, v2
	v_cndmask_b32_e64 v30, v23, v4, s[30:31]
	v_ldexp_f32 v4, v16, v29
	v_cmp_ngt_f32_e64 s[30:31], s33, v3
	v_cndmask_b32_e64 v16, 0, v4, s[30:31]
	v_sub_f32_e32 v4, v21, v28
	v_mul_f32_e32 v21, 0x3fb8aa3b, v4
	v_fma_f32 v29, v4, s34, -v21
	v_rndne_f32_e32 v31, v21
	v_fmac_f32_e32 v29, 0x32a5705f, v4
	v_sub_f32_e32 v21, v21, v31
	v_add_f32_e32 v21, v21, v29
	v_exp_f32_e32 v21, v21
	v_cvt_i32_f32_e32 v29, v31
	v_cmp_nlt_f32_e64 s[30:31], s35, v3
	v_cndmask_b32_e64 v16, v23, v16, s[30:31]
	v_add_f32_e32 v16, v30, v16
	v_ldexp_f32 v21, v21, v29
	v_mul_f32_e32 v29, 0x3fb8aa3b, v14
	v_fma_f32 v30, v14, s34, -v29
	v_rndne_f32_e32 v31, v29
	v_fmac_f32_e32 v30, 0x32a5705f, v14
	v_sub_f32_e32 v29, v29, v31
	v_add_f32_e32 v29, v29, v30
	v_exp_f32_e32 v29, v29
	v_cvt_i32_f32_e32 v30, v31
	v_cmp_ngt_f32_e64 s[30:31], s33, v4
	v_cndmask_b32_e64 v21, 0, v21, s[30:31]
	v_cmp_nlt_f32_e64 s[30:31], s35, v4
	v_cndmask_b32_e64 v21, v23, v21, s[30:31]
	v_add_f32_e32 v21, v16, v21
	v_ldexp_f32 v16, v29, v30
	v_cmp_ngt_f32_e64 s[30:31], s33, v14
	v_cndmask_b32_e64 v29, 0, v16, s[30:31]
	v_sub_f32_e32 v16, v19, v28
	v_mul_f32_e32 v19, 0x3fb8aa3b, v16
	v_fma_f32 v30, v16, s34, -v19
	v_rndne_f32_e32 v31, v19
	v_fmac_f32_e32 v30, 0x32a5705f, v16
	v_sub_f32_e32 v19, v19, v31
	v_add_f32_e32 v19, v19, v30
	v_exp_f32_e32 v19, v19
	v_cvt_i32_f32_e32 v30, v31
	v_cmp_nlt_f32_e64 s[30:31], s35, v14
	v_cndmask_b32_e64 v29, v23, v29, s[30:31]
	v_add_f32_e32 v21, v21, v29
	v_mul_f32_e32 v29, 0x3fb8aa3b, v12
	v_ldexp_f32 v19, v19, v30
	v_fma_f32 v30, v12, s34, -v29
	v_rndne_f32_e32 v31, v29
	v_fmac_f32_e32 v30, 0x32a5705f, v12
	v_sub_f32_e32 v29, v29, v31
	v_add_f32_e32 v29, v29, v30
	v_exp_f32_e32 v29, v29
	v_cvt_i32_f32_e32 v30, v31
	v_cmp_ngt_f32_e64 s[30:31], s33, v16
	v_cndmask_b32_e64 v19, 0, v19, s[30:31]
	v_cmp_nlt_f32_e64 s[30:31], s35, v16
	v_cndmask_b32_e64 v19, v23, v19, s[30:31]
	v_sub_f32_e32 v18, v18, v28
	v_add_f32_e32 v19, v21, v19
	v_ldexp_f32 v21, v29, v30
	v_mul_f32_e32 v29, 0x3fb8aa3b, v18
	v_fma_f32 v30, v18, s34, -v29
	v_rndne_f32_e32 v31, v29
	v_fmac_f32_e32 v30, 0x32a5705f, v18
	v_sub_f32_e32 v29, v29, v31
	v_add_f32_e32 v29, v29, v30
	v_exp_f32_e32 v29, v29
	v_cvt_i32_f32_e32 v30, v31
	v_cmp_ngt_f32_e64 s[30:31], s33, v12
	v_cndmask_b32_e64 v21, 0, v21, s[30:31]
	v_cmp_nlt_f32_e64 s[30:31], s35, v12
	v_cndmask_b32_e64 v21, v23, v21, s[30:31]
	v_sub_f32_e32 v10, v10, v28
	v_add_f32_e32 v19, v19, v21
	v_ldexp_f32 v21, v29, v30
	v_mul_f32_e32 v29, 0x3fb8aa3b, v10
	;; [unrolled: 15-line block ×9, first 2 shown]
	v_fma_f32 v30, v11, s34, -v29
	v_rndne_f32_e32 v31, v29
	v_fmac_f32_e32 v30, 0x32a5705f, v11
	v_sub_f32_e32 v29, v29, v31
	v_add_f32_e32 v29, v29, v30
	v_exp_f32_e32 v29, v29
	v_cvt_i32_f32_e32 v30, v31
	v_cmp_ngt_f32_e64 s[30:31], s33, v7
	v_cndmask_b32_e64 v21, 0, v21, s[30:31]
	v_cmp_nlt_f32_e64 s[30:31], s35, v7
	v_sub_f32_e32 v6, v6, v28
	v_cndmask_b32_e64 v21, v23, v21, s[30:31]
	v_mul_f32_e32 v28, 0x3fb8aa3b, v6
	v_add_f32_e32 v19, v19, v21
	v_ldexp_f32 v21, v29, v30
	v_fma_f32 v29, v6, s34, -v28
	v_rndne_f32_e32 v30, v28
	v_fmac_f32_e32 v29, 0x32a5705f, v6
	v_sub_f32_e32 v28, v28, v30
	v_add_f32_e32 v28, v28, v29
	v_exp_f32_e32 v28, v28
	v_cvt_i32_f32_e32 v29, v30
	v_cmp_ngt_f32_e64 s[30:31], s33, v11
	v_cndmask_b32_e64 v21, 0, v21, s[30:31]
	v_cmp_nlt_f32_e64 s[30:31], s35, v11
	v_cndmask_b32_e64 v21, v23, v21, s[30:31]
	v_add_f32_e32 v19, v19, v21
	v_ldexp_f32 v21, v28, v29
	v_cmp_ngt_f32_e64 s[30:31], s33, v6
	v_cndmask_b32_e64 v21, 0, v21, s[30:31]
	v_cmp_nlt_f32_e64 s[30:31], s35, v6
	v_cndmask_b32_e64 v21, v23, v21, s[30:31]
	v_add_f32_e32 v19, v19, v21
	ds_bpermute_b32 v20, v20, v19
	v_cmp_lt_i32_e64 s[30:31], 0, v5
	s_waitcnt lgkmcnt(0)
	v_add_f32_e32 v19, v19, v20
	ds_bpermute_b32 v20, v22, v19
	s_waitcnt lgkmcnt(0)
	v_add_f32_e32 v19, v19, v20
	ds_bpermute_b32 v20, v24, v19
	;; [unrolled: 3-line block ×5, first 2 shown]
	s_and_saveexec_b64 s[34:35], s[30:31]
	s_cbranch_execz .LBB151_50
; %bb.33:
	s_and_b64 exec, exec, s[24:25]
	s_cbranch_execz .LBB151_50
; %bb.34:
	s_waitcnt lgkmcnt(0)
	v_add_f32_e32 v5, v19, v20
	s_mov_b32 s24, 0x800000
	v_mov_b32_e32 v19, 0x4f800000
	v_cmp_gt_f32_e64 s[24:25], s24, v5
	v_cndmask_b32_e64 v19, 1.0, v19, s[24:25]
	v_mul_f32_e32 v5, v5, v19
	v_log_f32_e32 v5, v5
	s_mov_b32 s30, 0x3f317217
	v_mul_f32_e32 v19, 0x3f317217, v5
	v_fma_f32 v20, v5, s30, -v19
	v_fmac_f32_e32 v20, 0x3377d1cf, v5
	s_mov_b32 s30, 0x7f800000
	v_add_f32_e32 v19, v19, v20
	v_cmp_lt_f32_e64 s[30:31], |v5|, s30
	v_cndmask_b32_e64 v5, v5, v19, s[30:31]
	v_mov_b32_e32 v19, 0x41b17218
	v_cndmask_b32_e64 v19, 0, v19, s[24:25]
	v_sub_f32_e32 v5, v5, v19
	v_mov_b32_e32 v19, s37
	v_add_co_u32_e64 v0, s[24:25], s36, v0
	v_addc_co_u32_e64 v1, s[24:25], v19, v1, s[24:25]
	v_sub_f32_e32 v19, v2, v5
	v_bfe_u32 v2, v19, 16, 1
	s_movk_i32 s30, 0x7fff
	v_add3_u32 v2, v19, v2, s30
	v_lshrrev_b32_e32 v20, 16, v2
	v_mov_b32_e32 v2, 0x7fc0
	v_cmp_o_f32_e64 s[24:25], v19, v19
	v_cndmask_b32_e64 v19, v2, v20, s[24:25]
	global_store_short v[0:1], v19, off
	s_and_b64 exec, exec, vcc
	s_cbranch_execz .LBB151_50
; %bb.35:
	v_sub_f32_e32 v3, v3, v5
	v_bfe_u32 v19, v3, 16, 1
	v_add3_u32 v19, v3, v19, s30
	v_lshrrev_b32_e32 v19, 16, v19
	v_cmp_o_f32_e32 vcc, v3, v3
	v_cndmask_b32_e32 v2, v2, v19, vcc
	global_store_short v[0:1], v2, off offset:128
	s_and_b64 exec, exec, s[0:1]
	s_cbranch_execz .LBB151_50
; %bb.36:
	v_sub_f32_e32 v3, v4, v5
	v_bfe_u32 v2, v3, 16, 1
	s_movk_i32 s0, 0x7fff
	v_add3_u32 v2, v3, v2, s0
	v_lshrrev_b32_e32 v4, 16, v2
	v_mov_b32_e32 v2, 0x7fc0
	v_cmp_o_f32_e32 vcc, v3, v3
	v_cndmask_b32_e32 v3, v2, v4, vcc
	global_store_short v[0:1], v3, off offset:256
	s_and_b64 exec, exec, s[2:3]
	s_cbranch_execz .LBB151_50
; %bb.37:
	v_sub_f32_e32 v3, v14, v5
	v_bfe_u32 v4, v3, 16, 1
	v_add3_u32 v4, v3, v4, s0
	v_lshrrev_b32_e32 v4, 16, v4
	v_cmp_o_f32_e32 vcc, v3, v3
	v_cndmask_b32_e32 v2, v2, v4, vcc
	global_store_short v[0:1], v2, off offset:384
	s_and_b64 exec, exec, s[4:5]
	s_cbranch_execz .LBB151_50
; %bb.38:
	v_sub_f32_e32 v3, v16, v5
	v_bfe_u32 v2, v3, 16, 1
	v_add3_u32 v2, v3, v2, s0
	v_lshrrev_b32_e32 v4, 16, v2
	v_mov_b32_e32 v2, 0x7fc0
	v_cmp_o_f32_e32 vcc, v3, v3
	v_cndmask_b32_e32 v3, v2, v4, vcc
	global_store_short v[0:1], v3, off offset:512
	s_and_b64 exec, exec, s[6:7]
	s_cbranch_execz .LBB151_50
; %bb.39:
	v_sub_f32_e32 v3, v12, v5
	v_bfe_u32 v4, v3, 16, 1
	v_add3_u32 v4, v3, v4, s0
	v_lshrrev_b32_e32 v4, 16, v4
	v_cmp_o_f32_e32 vcc, v3, v3
	v_cndmask_b32_e32 v2, v2, v4, vcc
	global_store_short v[0:1], v2, off offset:640
	s_and_b64 exec, exec, s[8:9]
	s_cbranch_execz .LBB151_50
; %bb.40:
	v_sub_f32_e32 v3, v18, v5
	v_bfe_u32 v2, v3, 16, 1
	;; [unrolled: 21-line block ×6, first 2 shown]
	v_add3_u32 v2, v3, v2, s0
	v_lshrrev_b32_e32 v4, 16, v2
	v_mov_b32_e32 v2, 0x7fc0
	v_cmp_o_f32_e32 vcc, v3, v3
	v_cndmask_b32_e32 v3, v2, v4, vcc
	global_store_short v[0:1], v3, off offset:1792
	s_and_b64 exec, exec, s[28:29]
	s_cbranch_execz .LBB151_50
; %bb.49:
	v_sub_f32_e32 v3, v6, v5
	v_bfe_u32 v4, v3, 16, 1
	v_add3_u32 v4, v3, v4, s0
	v_lshrrev_b32_e32 v4, 16, v4
	v_cmp_o_f32_e32 vcc, v3, v3
	v_cndmask_b32_e32 v2, v2, v4, vcc
	global_store_short v[0:1], v2, off offset:1920
.LBB151_50:
	s_endpgm
	.section	.rodata,"a",@progbits
	.p2align	6, 0x0
	.amdhsa_kernel _ZN12_GLOBAL__N_120softmax_warp_forwardIN3c108BFloat16ES2_fLi10ELb1ELb0ELi64EEEvPT0_PKT_iiiPKbib
		.amdhsa_group_segment_fixed_size 0
		.amdhsa_private_segment_fixed_size 0
		.amdhsa_kernarg_size 304
		.amdhsa_user_sgpr_count 6
		.amdhsa_user_sgpr_private_segment_buffer 1
		.amdhsa_user_sgpr_dispatch_ptr 0
		.amdhsa_user_sgpr_queue_ptr 0
		.amdhsa_user_sgpr_kernarg_segment_ptr 1
		.amdhsa_user_sgpr_dispatch_id 0
		.amdhsa_user_sgpr_flat_scratch_init 0
		.amdhsa_user_sgpr_kernarg_preload_length 0
		.amdhsa_user_sgpr_kernarg_preload_offset 0
		.amdhsa_user_sgpr_private_segment_size 0
		.amdhsa_uses_dynamic_stack 0
		.amdhsa_system_sgpr_private_segment_wavefront_offset 0
		.amdhsa_system_sgpr_workgroup_id_x 1
		.amdhsa_system_sgpr_workgroup_id_y 0
		.amdhsa_system_sgpr_workgroup_id_z 0
		.amdhsa_system_sgpr_workgroup_info 0
		.amdhsa_system_vgpr_workitem_id 1
		.amdhsa_next_free_vgpr 32
		.amdhsa_next_free_sgpr 44
		.amdhsa_accum_offset 32
		.amdhsa_reserve_vcc 1
		.amdhsa_reserve_flat_scratch 0
		.amdhsa_float_round_mode_32 0
		.amdhsa_float_round_mode_16_64 0
		.amdhsa_float_denorm_mode_32 3
		.amdhsa_float_denorm_mode_16_64 3
		.amdhsa_dx10_clamp 1
		.amdhsa_ieee_mode 1
		.amdhsa_fp16_overflow 0
		.amdhsa_tg_split 0
		.amdhsa_exception_fp_ieee_invalid_op 0
		.amdhsa_exception_fp_denorm_src 0
		.amdhsa_exception_fp_ieee_div_zero 0
		.amdhsa_exception_fp_ieee_overflow 0
		.amdhsa_exception_fp_ieee_underflow 0
		.amdhsa_exception_fp_ieee_inexact 0
		.amdhsa_exception_int_div_zero 0
	.end_amdhsa_kernel
	.section	.text._ZN12_GLOBAL__N_120softmax_warp_forwardIN3c108BFloat16ES2_fLi10ELb1ELb0ELi64EEEvPT0_PKT_iiiPKbib,"axG",@progbits,_ZN12_GLOBAL__N_120softmax_warp_forwardIN3c108BFloat16ES2_fLi10ELb1ELb0ELi64EEEvPT0_PKT_iiiPKbib,comdat
.Lfunc_end151:
	.size	_ZN12_GLOBAL__N_120softmax_warp_forwardIN3c108BFloat16ES2_fLi10ELb1ELb0ELi64EEEvPT0_PKT_iiiPKbib, .Lfunc_end151-_ZN12_GLOBAL__N_120softmax_warp_forwardIN3c108BFloat16ES2_fLi10ELb1ELb0ELi64EEEvPT0_PKT_iiiPKbib
                                        ; -- End function
	.section	.AMDGPU.csdata,"",@progbits
; Kernel info:
; codeLenInByte = 4152
; NumSgprs: 48
; NumVgprs: 32
; NumAgprs: 0
; TotalNumVgprs: 32
; ScratchSize: 0
; MemoryBound: 0
; FloatMode: 240
; IeeeMode: 1
; LDSByteSize: 0 bytes/workgroup (compile time only)
; SGPRBlocks: 5
; VGPRBlocks: 3
; NumSGPRsForWavesPerEU: 48
; NumVGPRsForWavesPerEU: 32
; AccumOffset: 32
; Occupancy: 8
; WaveLimiterHint : 0
; COMPUTE_PGM_RSRC2:SCRATCH_EN: 0
; COMPUTE_PGM_RSRC2:USER_SGPR: 6
; COMPUTE_PGM_RSRC2:TRAP_HANDLER: 0
; COMPUTE_PGM_RSRC2:TGID_X_EN: 1
; COMPUTE_PGM_RSRC2:TGID_Y_EN: 0
; COMPUTE_PGM_RSRC2:TGID_Z_EN: 0
; COMPUTE_PGM_RSRC2:TIDIG_COMP_CNT: 1
; COMPUTE_PGM_RSRC3_GFX90A:ACCUM_OFFSET: 7
; COMPUTE_PGM_RSRC3_GFX90A:TG_SPLIT: 0
	.section	.text._ZN12_GLOBAL__N_120softmax_warp_forwardIN3c108BFloat16ES2_fLi10ELb1ELb0ELi32EEEvPT0_PKT_iiiPKbib,"axG",@progbits,_ZN12_GLOBAL__N_120softmax_warp_forwardIN3c108BFloat16ES2_fLi10ELb1ELb0ELi32EEEvPT0_PKT_iiiPKbib,comdat
	.globl	_ZN12_GLOBAL__N_120softmax_warp_forwardIN3c108BFloat16ES2_fLi10ELb1ELb0ELi32EEEvPT0_PKT_iiiPKbib ; -- Begin function _ZN12_GLOBAL__N_120softmax_warp_forwardIN3c108BFloat16ES2_fLi10ELb1ELb0ELi32EEEvPT0_PKT_iiiPKbib
	.p2align	8
	.type	_ZN12_GLOBAL__N_120softmax_warp_forwardIN3c108BFloat16ES2_fLi10ELb1ELb0ELi32EEEvPT0_PKT_iiiPKbib,@function
_ZN12_GLOBAL__N_120softmax_warp_forwardIN3c108BFloat16ES2_fLi10ELb1ELb0ELi32EEEvPT0_PKT_iiiPKbib: ; @_ZN12_GLOBAL__N_120softmax_warp_forwardIN3c108BFloat16ES2_fLi10ELb1ELb0ELi32EEEvPT0_PKT_iiiPKbib
; %bb.0:
	s_load_dword s0, s[4:5], 0x3c
	s_load_dwordx8 s[68:75], s[4:5], 0x0
	v_bfe_u32 v1, v0, 10, 10
	v_and_b32_e32 v4, 0x3ff, v0
	v_mov_b32_e32 v32, 0xff800000
	s_waitcnt lgkmcnt(0)
	s_lshr_b32 s0, s0, 16
	s_mul_i32 s6, s6, s0
	v_add_u32_e32 v1, s6, v1
	v_sub_u32_e32 v5, s72, v1
	v_mad_u64_u32 v[0:1], s[0:1], v1, s73, v[4:5]
	v_ashrrev_i32_e32 v1, 31, v0
	v_lshlrev_b64 v[0:1], 1, v[0:1]
	v_mov_b32_e32 v3, s71
	v_add_co_u32_e32 v2, vcc, s70, v0
	v_cmp_lt_i32_e64 s[64:65], 0, v5
	v_cmp_gt_i32_e64 s[24:25], s74, v4
	v_addc_co_u32_e32 v3, vcc, v3, v1, vcc
	s_and_b64 s[2:3], s[64:65], s[24:25]
	v_mov_b32_e32 v41, 0xff800000
	s_and_saveexec_b64 s[0:1], s[2:3]
	s_cbranch_execz .LBB152_2
; %bb.1:
	global_load_ushort v6, v[2:3], off
	s_waitcnt vmcnt(0)
	v_lshlrev_b32_e32 v41, 16, v6
.LBB152_2:
	s_or_b64 exec, exec, s[0:1]
	v_add_u32_e32 v6, 32, v4
	v_cmp_gt_i32_e32 vcc, s74, v6
	s_and_b64 s[2:3], s[64:65], vcc
	s_and_saveexec_b64 s[0:1], s[2:3]
	s_cbranch_execz .LBB152_4
; %bb.3:
	global_load_ushort v6, v[2:3], off offset:64
	s_waitcnt vmcnt(0)
	v_lshlrev_b32_e32 v32, 16, v6
.LBB152_4:
	s_or_b64 exec, exec, s[0:1]
	v_add_u32_e32 v6, 64, v4
	v_cmp_gt_i32_e64 s[0:1], s74, v6
	s_and_b64 s[4:5], s[64:65], s[0:1]
	v_mov_b32_e32 v30, 0xff800000
	v_mov_b32_e32 v39, 0xff800000
	s_and_saveexec_b64 s[2:3], s[4:5]
	s_cbranch_execz .LBB152_6
; %bb.5:
	global_load_ushort v6, v[2:3], off offset:128
	s_waitcnt vmcnt(0)
	v_lshlrev_b32_e32 v39, 16, v6
.LBB152_6:
	s_or_b64 exec, exec, s[2:3]
	v_add_u32_e32 v6, 0x60, v4
	v_cmp_gt_i32_e64 s[2:3], s74, v6
	s_and_b64 s[6:7], s[64:65], s[2:3]
	s_and_saveexec_b64 s[4:5], s[6:7]
	s_cbranch_execz .LBB152_8
; %bb.7:
	global_load_ushort v6, v[2:3], off offset:192
	s_waitcnt vmcnt(0)
	v_lshlrev_b32_e32 v30, 16, v6
.LBB152_8:
	s_or_b64 exec, exec, s[4:5]
	v_add_u32_e32 v6, 0x80, v4
	v_cmp_gt_i32_e64 s[4:5], s74, v6
	s_and_b64 s[8:9], s[64:65], s[4:5]
	v_mov_b32_e32 v28, 0xff800000
	v_mov_b32_e32 v37, 0xff800000
	s_and_saveexec_b64 s[6:7], s[8:9]
	s_cbranch_execz .LBB152_10
; %bb.9:
	global_load_ushort v6, v[2:3], off offset:256
	s_waitcnt vmcnt(0)
	v_lshlrev_b32_e32 v37, 16, v6
.LBB152_10:
	s_or_b64 exec, exec, s[6:7]
	v_add_u32_e32 v6, 0xa0, v4
	v_cmp_gt_i32_e64 s[6:7], s74, v6
	s_and_b64 s[10:11], s[64:65], s[6:7]
	;; [unrolled: 24-line block ×15, first 2 shown]
	s_and_saveexec_b64 s[64:65], s[66:67]
	s_cbranch_execz .LBB152_64
; %bb.63:
	global_load_ushort v2, v[2:3], off offset:1984
	s_waitcnt vmcnt(0)
	v_lshlrev_b32_e32 v6, 16, v2
.LBB152_64:
	s_or_b64 exec, exec, s[64:65]
	v_cmp_gt_f32_e64 s[64:65], v41, v32
	v_cndmask_b32_e64 v2, v32, v41, s[64:65]
	v_cmp_gt_f32_e64 s[64:65], v2, v39
	v_cndmask_b32_e64 v2, v39, v2, s[64:65]
	v_cmp_gt_f32_e64 s[64:65], v2, v30
	v_cndmask_b32_e64 v2, v30, v2, s[64:65]
	v_cmp_gt_f32_e64 s[64:65], v2, v37
	v_cndmask_b32_e64 v2, v37, v2, s[64:65]
	v_cmp_gt_f32_e64 s[64:65], v2, v28
	v_cndmask_b32_e64 v2, v28, v2, s[64:65]
	v_cmp_gt_f32_e64 s[64:65], v2, v35
	v_cndmask_b32_e64 v2, v35, v2, s[64:65]
	v_cmp_gt_f32_e64 s[64:65], v2, v26
	v_cndmask_b32_e64 v2, v26, v2, s[64:65]
	v_cmp_gt_f32_e64 s[64:65], v2, v33
	v_cndmask_b32_e64 v2, v33, v2, s[64:65]
	v_cmp_gt_f32_e64 s[64:65], v2, v24
	v_cndmask_b32_e64 v2, v24, v2, s[64:65]
	v_cmp_gt_f32_e64 s[64:65], v2, v31
	v_cndmask_b32_e64 v2, v31, v2, s[64:65]
	v_cmp_gt_f32_e64 s[64:65], v2, v22
	v_cndmask_b32_e64 v2, v22, v2, s[64:65]
	v_cmp_gt_f32_e64 s[64:65], v2, v29
	v_cndmask_b32_e64 v2, v29, v2, s[64:65]
	v_cmp_gt_f32_e64 s[64:65], v2, v20
	v_cndmask_b32_e64 v2, v20, v2, s[64:65]
	v_cmp_gt_f32_e64 s[64:65], v2, v27
	v_cndmask_b32_e64 v2, v27, v2, s[64:65]
	v_cmp_gt_f32_e64 s[64:65], v2, v18
	v_cndmask_b32_e64 v2, v18, v2, s[64:65]
	v_cmp_gt_f32_e64 s[64:65], v2, v25
	v_cndmask_b32_e64 v2, v25, v2, s[64:65]
	v_cmp_gt_f32_e64 s[64:65], v2, v16
	v_cndmask_b32_e64 v2, v16, v2, s[64:65]
	v_cmp_gt_f32_e64 s[64:65], v2, v23
	v_cndmask_b32_e64 v2, v23, v2, s[64:65]
	v_cmp_gt_f32_e64 s[64:65], v2, v14
	v_cndmask_b32_e64 v2, v14, v2, s[64:65]
	v_cmp_gt_f32_e64 s[64:65], v2, v21
	v_cndmask_b32_e64 v2, v21, v2, s[64:65]
	v_cmp_gt_f32_e64 s[64:65], v2, v12
	v_cndmask_b32_e64 v2, v12, v2, s[64:65]
	v_cmp_gt_f32_e64 s[64:65], v2, v19
	v_cndmask_b32_e64 v2, v19, v2, s[64:65]
	v_cmp_gt_f32_e64 s[64:65], v2, v10
	v_cndmask_b32_e64 v2, v10, v2, s[64:65]
	v_cmp_gt_f32_e64 s[64:65], v2, v17
	v_cndmask_b32_e64 v2, v17, v2, s[64:65]
	v_cmp_gt_f32_e64 s[64:65], v2, v9
	v_cndmask_b32_e64 v2, v9, v2, s[64:65]
	v_cmp_gt_f32_e64 s[64:65], v2, v15
	v_cndmask_b32_e64 v2, v15, v2, s[64:65]
	v_cmp_gt_f32_e64 s[64:65], v2, v8
	v_cndmask_b32_e64 v2, v8, v2, s[64:65]
	v_cmp_gt_f32_e64 s[64:65], v2, v13
	v_cndmask_b32_e64 v2, v13, v2, s[64:65]
	v_cmp_gt_f32_e64 s[64:65], v2, v7
	v_cndmask_b32_e64 v2, v7, v2, s[64:65]
	v_mbcnt_lo_u32_b32 v3, -1, 0
	v_cmp_gt_f32_e64 s[64:65], v2, v11
	v_mbcnt_hi_u32_b32 v3, -1, v3
	v_cndmask_b32_e64 v2, v11, v2, s[64:65]
	v_and_b32_e32 v4, 0x60, v3
	v_cmp_gt_f32_e64 s[64:65], v2, v6
	v_add_u32_e32 v4, 32, v4
	v_xor_b32_e32 v34, 16, v3
	v_cndmask_b32_e64 v2, v6, v2, s[64:65]
	v_cmp_lt_i32_e64 s[64:65], v34, v4
	v_cndmask_b32_e64 v34, v3, v34, s[64:65]
	v_lshlrev_b32_e32 v34, 2, v34
	ds_bpermute_b32 v36, v34, v2
	s_mov_b32 s66, 0x3fb8aa3b
	s_mov_b32 s33, 0xc2ce8ed0
	;; [unrolled: 1-line block ×3, first 2 shown]
	s_waitcnt lgkmcnt(0)
	v_cmp_lt_f32_e64 s[64:65], v2, v36
	v_cndmask_b32_e64 v2, v2, v36, s[64:65]
	v_xor_b32_e32 v36, 8, v3
	v_cmp_lt_i32_e64 s[64:65], v36, v4
	v_cndmask_b32_e64 v36, v3, v36, s[64:65]
	v_lshlrev_b32_e32 v36, 2, v36
	ds_bpermute_b32 v38, v36, v2
	s_waitcnt lgkmcnt(0)
	v_cmp_lt_f32_e64 s[64:65], v2, v38
	v_cndmask_b32_e64 v2, v2, v38, s[64:65]
	v_xor_b32_e32 v38, 4, v3
	v_cmp_lt_i32_e64 s[64:65], v38, v4
	v_cndmask_b32_e64 v38, v3, v38, s[64:65]
	v_lshlrev_b32_e32 v38, 2, v38
	ds_bpermute_b32 v40, v38, v2
	;; [unrolled: 8-line block ×4, first 2 shown]
	s_waitcnt lgkmcnt(0)
	v_cmp_lt_f32_e64 s[64:65], v2, v3
	v_cndmask_b32_e64 v43, v2, v3, s[64:65]
	v_sub_f32_e32 v2, v41, v43
	v_mul_f32_e32 v3, 0x3fb8aa3b, v2
	v_fma_f32 v4, v2, s66, -v3
	v_rndne_f32_e32 v41, v3
	v_fmac_f32_e32 v4, 0x32a5705f, v2
	v_sub_f32_e32 v3, v3, v41
	v_add_f32_e32 v3, v3, v4
	v_exp_f32_e32 v3, v3
	v_cvt_i32_f32_e32 v4, v41
	v_cmp_ngt_f32_e64 s[64:65], s33, v2
	v_sub_f32_e32 v30, v30, v43
	v_sub_f32_e32 v28, v28, v43
	v_ldexp_f32 v3, v3, v4
	v_cndmask_b32_e64 v4, 0, v3, s[64:65]
	v_sub_f32_e32 v3, v32, v43
	v_mul_f32_e32 v32, 0x3fb8aa3b, v3
	v_fma_f32 v41, v3, s66, -v32
	v_rndne_f32_e32 v44, v32
	v_fmac_f32_e32 v41, 0x32a5705f, v3
	v_sub_f32_e32 v32, v32, v44
	v_add_f32_e32 v32, v32, v41
	v_exp_f32_e32 v32, v32
	v_cvt_i32_f32_e32 v44, v44
	v_mov_b32_e32 v41, 0x7f800000
	v_cmp_nlt_f32_e64 s[64:65], s67, v2
	v_cndmask_b32_e64 v45, v41, v4, s[64:65]
	v_ldexp_f32 v4, v32, v44
	v_cmp_ngt_f32_e64 s[64:65], s33, v3
	v_cndmask_b32_e64 v32, 0, v4, s[64:65]
	v_sub_f32_e32 v4, v39, v43
	v_mul_f32_e32 v39, 0x3fb8aa3b, v4
	v_fma_f32 v44, v4, s66, -v39
	v_rndne_f32_e32 v46, v39
	v_fmac_f32_e32 v44, 0x32a5705f, v4
	v_sub_f32_e32 v39, v39, v46
	v_add_f32_e32 v39, v39, v44
	v_exp_f32_e32 v39, v39
	v_cvt_i32_f32_e32 v44, v46
	v_cmp_nlt_f32_e64 s[64:65], s67, v3
	v_cndmask_b32_e64 v32, v41, v32, s[64:65]
	v_add_f32_e32 v32, v45, v32
	v_ldexp_f32 v39, v39, v44
	v_mul_f32_e32 v44, 0x3fb8aa3b, v30
	v_fma_f32 v45, v30, s66, -v44
	v_rndne_f32_e32 v46, v44
	v_fmac_f32_e32 v45, 0x32a5705f, v30
	v_sub_f32_e32 v44, v44, v46
	v_add_f32_e32 v44, v44, v45
	v_exp_f32_e32 v44, v44
	v_cvt_i32_f32_e32 v45, v46
	v_cmp_ngt_f32_e64 s[64:65], s33, v4
	v_cndmask_b32_e64 v39, 0, v39, s[64:65]
	v_cmp_nlt_f32_e64 s[64:65], s67, v4
	v_cndmask_b32_e64 v39, v41, v39, s[64:65]
	v_add_f32_e32 v39, v32, v39
	v_ldexp_f32 v32, v44, v45
	v_cmp_ngt_f32_e64 s[64:65], s33, v30
	v_cndmask_b32_e64 v44, 0, v32, s[64:65]
	v_sub_f32_e32 v32, v37, v43
	v_mul_f32_e32 v37, 0x3fb8aa3b, v32
	v_fma_f32 v45, v32, s66, -v37
	v_rndne_f32_e32 v46, v37
	v_fmac_f32_e32 v45, 0x32a5705f, v32
	v_sub_f32_e32 v37, v37, v46
	v_add_f32_e32 v37, v37, v45
	v_exp_f32_e32 v37, v37
	v_cvt_i32_f32_e32 v45, v46
	v_cmp_nlt_f32_e64 s[64:65], s67, v30
	v_cndmask_b32_e64 v44, v41, v44, s[64:65]
	v_add_f32_e32 v39, v39, v44
	v_mul_f32_e32 v44, 0x3fb8aa3b, v28
	v_ldexp_f32 v37, v37, v45
	v_fma_f32 v45, v28, s66, -v44
	v_rndne_f32_e32 v46, v44
	v_fmac_f32_e32 v45, 0x32a5705f, v28
	v_sub_f32_e32 v44, v44, v46
	v_add_f32_e32 v44, v44, v45
	v_exp_f32_e32 v44, v44
	v_cvt_i32_f32_e32 v45, v46
	v_cmp_ngt_f32_e64 s[64:65], s33, v32
	v_cndmask_b32_e64 v37, 0, v37, s[64:65]
	v_cmp_nlt_f32_e64 s[64:65], s67, v32
	v_cndmask_b32_e64 v37, v41, v37, s[64:65]
	v_sub_f32_e32 v35, v35, v43
	v_add_f32_e32 v37, v39, v37
	v_ldexp_f32 v39, v44, v45
	v_mul_f32_e32 v44, 0x3fb8aa3b, v35
	v_fma_f32 v45, v35, s66, -v44
	v_rndne_f32_e32 v46, v44
	v_fmac_f32_e32 v45, 0x32a5705f, v35
	v_sub_f32_e32 v44, v44, v46
	v_add_f32_e32 v44, v44, v45
	v_exp_f32_e32 v44, v44
	v_cvt_i32_f32_e32 v45, v46
	v_cmp_ngt_f32_e64 s[64:65], s33, v28
	v_cndmask_b32_e64 v39, 0, v39, s[64:65]
	v_cmp_nlt_f32_e64 s[64:65], s67, v28
	v_cndmask_b32_e64 v39, v41, v39, s[64:65]
	v_sub_f32_e32 v26, v26, v43
	v_add_f32_e32 v37, v37, v39
	v_ldexp_f32 v39, v44, v45
	v_mul_f32_e32 v44, 0x3fb8aa3b, v26
	;; [unrolled: 15-line block ×25, first 2 shown]
	v_fma_f32 v45, v11, s66, -v44
	v_rndne_f32_e32 v46, v44
	v_fmac_f32_e32 v45, 0x32a5705f, v11
	v_sub_f32_e32 v44, v44, v46
	v_add_f32_e32 v44, v44, v45
	v_exp_f32_e32 v44, v44
	v_cvt_i32_f32_e32 v45, v46
	v_cmp_ngt_f32_e64 s[64:65], s33, v7
	v_cndmask_b32_e64 v39, 0, v39, s[64:65]
	v_cmp_nlt_f32_e64 s[64:65], s67, v7
	v_sub_f32_e32 v6, v6, v43
	v_cndmask_b32_e64 v39, v41, v39, s[64:65]
	v_mul_f32_e32 v43, 0x3fb8aa3b, v6
	v_add_f32_e32 v37, v37, v39
	v_ldexp_f32 v39, v44, v45
	v_fma_f32 v44, v6, s66, -v43
	v_rndne_f32_e32 v45, v43
	v_fmac_f32_e32 v44, 0x32a5705f, v6
	v_sub_f32_e32 v43, v43, v45
	v_add_f32_e32 v43, v43, v44
	v_exp_f32_e32 v43, v43
	v_cvt_i32_f32_e32 v44, v45
	v_cmp_ngt_f32_e64 s[64:65], s33, v11
	v_cndmask_b32_e64 v39, 0, v39, s[64:65]
	v_cmp_nlt_f32_e64 s[64:65], s67, v11
	v_cndmask_b32_e64 v39, v41, v39, s[64:65]
	v_add_f32_e32 v37, v37, v39
	v_ldexp_f32 v39, v43, v44
	v_cmp_ngt_f32_e64 s[64:65], s33, v6
	v_cndmask_b32_e64 v39, 0, v39, s[64:65]
	v_cmp_nlt_f32_e64 s[64:65], s67, v6
	v_cndmask_b32_e64 v39, v41, v39, s[64:65]
	v_add_f32_e32 v37, v37, v39
	ds_bpermute_b32 v34, v34, v37
	v_cmp_lt_i32_e64 s[64:65], 0, v5
	s_waitcnt lgkmcnt(0)
	v_add_f32_e32 v34, v37, v34
	ds_bpermute_b32 v36, v36, v34
	s_waitcnt lgkmcnt(0)
	v_add_f32_e32 v34, v34, v36
	ds_bpermute_b32 v36, v38, v34
	;; [unrolled: 3-line block ×4, first 2 shown]
	s_and_saveexec_b64 s[66:67], s[64:65]
	s_cbranch_execz .LBB152_98
; %bb.65:
	s_and_b64 exec, exec, s[24:25]
	s_cbranch_execz .LBB152_98
; %bb.66:
	s_waitcnt lgkmcnt(0)
	v_add_f32_e32 v5, v34, v36
	s_mov_b32 s24, 0x800000
	v_mov_b32_e32 v34, 0x4f800000
	v_cmp_gt_f32_e64 s[24:25], s24, v5
	v_cndmask_b32_e64 v34, 1.0, v34, s[24:25]
	v_mul_f32_e32 v5, v5, v34
	v_log_f32_e32 v5, v5
	s_mov_b32 s33, 0x3f317217
	v_mul_f32_e32 v34, 0x3f317217, v5
	v_fma_f32 v36, v5, s33, -v34
	v_fmac_f32_e32 v36, 0x3377d1cf, v5
	s_mov_b32 s33, 0x7f800000
	v_add_f32_e32 v34, v34, v36
	v_cmp_lt_f32_e64 s[64:65], |v5|, s33
	v_cndmask_b32_e64 v5, v5, v34, s[64:65]
	v_mov_b32_e32 v34, 0x41b17218
	v_cndmask_b32_e64 v34, 0, v34, s[24:25]
	v_sub_f32_e32 v5, v5, v34
	v_mov_b32_e32 v34, s69
	v_add_co_u32_e64 v0, s[24:25], s68, v0
	v_addc_co_u32_e64 v1, s[24:25], v34, v1, s[24:25]
	v_sub_f32_e32 v34, v2, v5
	v_bfe_u32 v2, v34, 16, 1
	s_movk_i32 s33, 0x7fff
	v_add3_u32 v2, v34, v2, s33
	v_lshrrev_b32_e32 v36, 16, v2
	v_mov_b32_e32 v2, 0x7fc0
	v_cmp_o_f32_e64 s[24:25], v34, v34
	v_cndmask_b32_e64 v34, v2, v36, s[24:25]
	global_store_short v[0:1], v34, off
	s_and_b64 exec, exec, vcc
	s_cbranch_execz .LBB152_98
; %bb.67:
	v_sub_f32_e32 v3, v3, v5
	v_bfe_u32 v34, v3, 16, 1
	v_add3_u32 v34, v3, v34, s33
	v_lshrrev_b32_e32 v34, 16, v34
	v_cmp_o_f32_e32 vcc, v3, v3
	v_cndmask_b32_e32 v2, v2, v34, vcc
	global_store_short v[0:1], v2, off offset:64
	s_and_b64 exec, exec, s[0:1]
	s_cbranch_execz .LBB152_98
; %bb.68:
	v_sub_f32_e32 v3, v4, v5
	v_bfe_u32 v2, v3, 16, 1
	s_movk_i32 s0, 0x7fff
	v_add3_u32 v2, v3, v2, s0
	v_lshrrev_b32_e32 v4, 16, v2
	v_mov_b32_e32 v2, 0x7fc0
	v_cmp_o_f32_e32 vcc, v3, v3
	v_cndmask_b32_e32 v3, v2, v4, vcc
	global_store_short v[0:1], v3, off offset:128
	s_and_b64 exec, exec, s[2:3]
	s_cbranch_execz .LBB152_98
; %bb.69:
	v_sub_f32_e32 v3, v30, v5
	v_bfe_u32 v4, v3, 16, 1
	v_add3_u32 v4, v3, v4, s0
	v_lshrrev_b32_e32 v4, 16, v4
	v_cmp_o_f32_e32 vcc, v3, v3
	v_cndmask_b32_e32 v2, v2, v4, vcc
	global_store_short v[0:1], v2, off offset:192
	s_and_b64 exec, exec, s[4:5]
	s_cbranch_execz .LBB152_98
; %bb.70:
	v_sub_f32_e32 v3, v32, v5
	v_bfe_u32 v2, v3, 16, 1
	v_add3_u32 v2, v3, v2, s0
	v_lshrrev_b32_e32 v4, 16, v2
	v_mov_b32_e32 v2, 0x7fc0
	v_cmp_o_f32_e32 vcc, v3, v3
	v_cndmask_b32_e32 v3, v2, v4, vcc
	global_store_short v[0:1], v3, off offset:256
	s_and_b64 exec, exec, s[6:7]
	s_cbranch_execz .LBB152_98
; %bb.71:
	v_sub_f32_e32 v3, v28, v5
	v_bfe_u32 v4, v3, 16, 1
	v_add3_u32 v4, v3, v4, s0
	v_lshrrev_b32_e32 v4, 16, v4
	v_cmp_o_f32_e32 vcc, v3, v3
	v_cndmask_b32_e32 v2, v2, v4, vcc
	global_store_short v[0:1], v2, off offset:320
	s_and_b64 exec, exec, s[8:9]
	s_cbranch_execz .LBB152_98
; %bb.72:
	v_sub_f32_e32 v3, v35, v5
	v_bfe_u32 v2, v3, 16, 1
	;; [unrolled: 21-line block ×14, first 2 shown]
	v_add3_u32 v2, v3, v2, s0
	v_lshrrev_b32_e32 v4, 16, v2
	v_mov_b32_e32 v2, 0x7fc0
	v_cmp_o_f32_e32 vcc, v3, v3
	v_cndmask_b32_e32 v3, v2, v4, vcc
	global_store_short v[0:1], v3, off offset:1920
	s_and_b64 exec, exec, s[62:63]
	s_cbranch_execz .LBB152_98
; %bb.97:
	v_sub_f32_e32 v3, v6, v5
	v_bfe_u32 v4, v3, 16, 1
	v_add3_u32 v4, v3, v4, s0
	v_lshrrev_b32_e32 v4, 16, v4
	v_cmp_o_f32_e32 vcc, v3, v3
	v_cndmask_b32_e32 v2, v2, v4, vcc
	global_store_short v[0:1], v2, off offset:1984
.LBB152_98:
	s_endpgm
	.section	.rodata,"a",@progbits
	.p2align	6, 0x0
	.amdhsa_kernel _ZN12_GLOBAL__N_120softmax_warp_forwardIN3c108BFloat16ES2_fLi10ELb1ELb0ELi32EEEvPT0_PKT_iiiPKbib
		.amdhsa_group_segment_fixed_size 0
		.amdhsa_private_segment_fixed_size 0
		.amdhsa_kernarg_size 304
		.amdhsa_user_sgpr_count 6
		.amdhsa_user_sgpr_private_segment_buffer 1
		.amdhsa_user_sgpr_dispatch_ptr 0
		.amdhsa_user_sgpr_queue_ptr 0
		.amdhsa_user_sgpr_kernarg_segment_ptr 1
		.amdhsa_user_sgpr_dispatch_id 0
		.amdhsa_user_sgpr_flat_scratch_init 0
		.amdhsa_user_sgpr_kernarg_preload_length 0
		.amdhsa_user_sgpr_kernarg_preload_offset 0
		.amdhsa_user_sgpr_private_segment_size 0
		.amdhsa_uses_dynamic_stack 0
		.amdhsa_system_sgpr_private_segment_wavefront_offset 0
		.amdhsa_system_sgpr_workgroup_id_x 1
		.amdhsa_system_sgpr_workgroup_id_y 0
		.amdhsa_system_sgpr_workgroup_id_z 0
		.amdhsa_system_sgpr_workgroup_info 0
		.amdhsa_system_vgpr_workitem_id 1
		.amdhsa_next_free_vgpr 47
		.amdhsa_next_free_sgpr 76
		.amdhsa_accum_offset 48
		.amdhsa_reserve_vcc 1
		.amdhsa_reserve_flat_scratch 0
		.amdhsa_float_round_mode_32 0
		.amdhsa_float_round_mode_16_64 0
		.amdhsa_float_denorm_mode_32 3
		.amdhsa_float_denorm_mode_16_64 3
		.amdhsa_dx10_clamp 1
		.amdhsa_ieee_mode 1
		.amdhsa_fp16_overflow 0
		.amdhsa_tg_split 0
		.amdhsa_exception_fp_ieee_invalid_op 0
		.amdhsa_exception_fp_denorm_src 0
		.amdhsa_exception_fp_ieee_div_zero 0
		.amdhsa_exception_fp_ieee_overflow 0
		.amdhsa_exception_fp_ieee_underflow 0
		.amdhsa_exception_fp_ieee_inexact 0
		.amdhsa_exception_int_div_zero 0
	.end_amdhsa_kernel
	.section	.text._ZN12_GLOBAL__N_120softmax_warp_forwardIN3c108BFloat16ES2_fLi10ELb1ELb0ELi32EEEvPT0_PKT_iiiPKbib,"axG",@progbits,_ZN12_GLOBAL__N_120softmax_warp_forwardIN3c108BFloat16ES2_fLi10ELb1ELb0ELi32EEEvPT0_PKT_iiiPKbib,comdat
.Lfunc_end152:
	.size	_ZN12_GLOBAL__N_120softmax_warp_forwardIN3c108BFloat16ES2_fLi10ELb1ELb0ELi32EEEvPT0_PKT_iiiPKbib, .Lfunc_end152-_ZN12_GLOBAL__N_120softmax_warp_forwardIN3c108BFloat16ES2_fLi10ELb1ELb0ELi32EEEvPT0_PKT_iiiPKbib
                                        ; -- End function
	.section	.AMDGPU.csdata,"",@progbits
; Kernel info:
; codeLenInByte = 7540
; NumSgprs: 80
; NumVgprs: 47
; NumAgprs: 0
; TotalNumVgprs: 47
; ScratchSize: 0
; MemoryBound: 0
; FloatMode: 240
; IeeeMode: 1
; LDSByteSize: 0 bytes/workgroup (compile time only)
; SGPRBlocks: 9
; VGPRBlocks: 5
; NumSGPRsForWavesPerEU: 80
; NumVGPRsForWavesPerEU: 47
; AccumOffset: 48
; Occupancy: 8
; WaveLimiterHint : 0
; COMPUTE_PGM_RSRC2:SCRATCH_EN: 0
; COMPUTE_PGM_RSRC2:USER_SGPR: 6
; COMPUTE_PGM_RSRC2:TRAP_HANDLER: 0
; COMPUTE_PGM_RSRC2:TGID_X_EN: 1
; COMPUTE_PGM_RSRC2:TGID_Y_EN: 0
; COMPUTE_PGM_RSRC2:TGID_Z_EN: 0
; COMPUTE_PGM_RSRC2:TIDIG_COMP_CNT: 1
; COMPUTE_PGM_RSRC3_GFX90A:ACCUM_OFFSET: 11
; COMPUTE_PGM_RSRC3_GFX90A:TG_SPLIT: 0
	.section	.text._ZN12_GLOBAL__N_120softmax_warp_forwardIN3c108BFloat16ES2_fLi11ELb1ELb0ELi64EEEvPT0_PKT_iiiPKbib,"axG",@progbits,_ZN12_GLOBAL__N_120softmax_warp_forwardIN3c108BFloat16ES2_fLi11ELb1ELb0ELi64EEEvPT0_PKT_iiiPKbib,comdat
	.globl	_ZN12_GLOBAL__N_120softmax_warp_forwardIN3c108BFloat16ES2_fLi11ELb1ELb0ELi64EEEvPT0_PKT_iiiPKbib ; -- Begin function _ZN12_GLOBAL__N_120softmax_warp_forwardIN3c108BFloat16ES2_fLi11ELb1ELb0ELi64EEEvPT0_PKT_iiiPKbib
	.p2align	8
	.type	_ZN12_GLOBAL__N_120softmax_warp_forwardIN3c108BFloat16ES2_fLi11ELb1ELb0ELi64EEEvPT0_PKT_iiiPKbib,@function
_ZN12_GLOBAL__N_120softmax_warp_forwardIN3c108BFloat16ES2_fLi11ELb1ELb0ELi64EEEvPT0_PKT_iiiPKbib: ; @_ZN12_GLOBAL__N_120softmax_warp_forwardIN3c108BFloat16ES2_fLi11ELb1ELb0ELi64EEEvPT0_PKT_iiiPKbib
; %bb.0:
	s_load_dword s0, s[4:5], 0x3c
	s_load_dwordx8 s[68:75], s[4:5], 0x0
	v_bfe_u32 v1, v0, 10, 10
	v_and_b32_e32 v4, 0x3ff, v0
	v_mov_b32_e32 v32, 0xff800000
	s_waitcnt lgkmcnt(0)
	s_lshr_b32 s0, s0, 16
	s_mul_i32 s6, s6, s0
	v_add_u32_e32 v1, s6, v1
	v_sub_u32_e32 v5, s72, v1
	v_mad_u64_u32 v[0:1], s[0:1], v1, s73, v[4:5]
	v_ashrrev_i32_e32 v1, 31, v0
	v_lshlrev_b64 v[0:1], 1, v[0:1]
	v_mov_b32_e32 v3, s71
	v_add_co_u32_e32 v2, vcc, s70, v0
	v_cmp_lt_i32_e64 s[64:65], 0, v5
	v_cmp_gt_i32_e64 s[24:25], s74, v4
	v_addc_co_u32_e32 v3, vcc, v3, v1, vcc
	s_and_b64 s[2:3], s[64:65], s[24:25]
	v_mov_b32_e32 v41, 0xff800000
	s_and_saveexec_b64 s[0:1], s[2:3]
	s_cbranch_execz .LBB153_2
; %bb.1:
	global_load_ushort v6, v[2:3], off
	s_waitcnt vmcnt(0)
	v_lshlrev_b32_e32 v41, 16, v6
.LBB153_2:
	s_or_b64 exec, exec, s[0:1]
	v_add_u32_e32 v6, 64, v4
	v_cmp_gt_i32_e32 vcc, s74, v6
	s_and_b64 s[2:3], s[64:65], vcc
	s_and_saveexec_b64 s[0:1], s[2:3]
	s_cbranch_execz .LBB153_4
; %bb.3:
	global_load_ushort v6, v[2:3], off offset:128
	s_waitcnt vmcnt(0)
	v_lshlrev_b32_e32 v32, 16, v6
.LBB153_4:
	s_or_b64 exec, exec, s[0:1]
	v_add_u32_e32 v6, 0x80, v4
	v_cmp_gt_i32_e64 s[0:1], s74, v6
	s_and_b64 s[4:5], s[64:65], s[0:1]
	v_mov_b32_e32 v30, 0xff800000
	v_mov_b32_e32 v39, 0xff800000
	s_and_saveexec_b64 s[2:3], s[4:5]
	s_cbranch_execz .LBB153_6
; %bb.5:
	global_load_ushort v6, v[2:3], off offset:256
	s_waitcnt vmcnt(0)
	v_lshlrev_b32_e32 v39, 16, v6
.LBB153_6:
	s_or_b64 exec, exec, s[2:3]
	v_add_u32_e32 v6, 0xc0, v4
	v_cmp_gt_i32_e64 s[2:3], s74, v6
	s_and_b64 s[6:7], s[64:65], s[2:3]
	s_and_saveexec_b64 s[4:5], s[6:7]
	s_cbranch_execz .LBB153_8
; %bb.7:
	global_load_ushort v6, v[2:3], off offset:384
	s_waitcnt vmcnt(0)
	v_lshlrev_b32_e32 v30, 16, v6
.LBB153_8:
	s_or_b64 exec, exec, s[4:5]
	v_add_u32_e32 v6, 0x100, v4
	v_cmp_gt_i32_e64 s[4:5], s74, v6
	s_and_b64 s[8:9], s[64:65], s[4:5]
	v_mov_b32_e32 v28, 0xff800000
	v_mov_b32_e32 v37, 0xff800000
	s_and_saveexec_b64 s[6:7], s[8:9]
	s_cbranch_execz .LBB153_10
; %bb.9:
	global_load_ushort v6, v[2:3], off offset:512
	s_waitcnt vmcnt(0)
	v_lshlrev_b32_e32 v37, 16, v6
.LBB153_10:
	s_or_b64 exec, exec, s[6:7]
	v_add_u32_e32 v6, 0x140, v4
	v_cmp_gt_i32_e64 s[6:7], s74, v6
	s_and_b64 s[10:11], s[64:65], s[6:7]
	s_and_saveexec_b64 s[8:9], s[10:11]
	s_cbranch_execz .LBB153_12
; %bb.11:
	global_load_ushort v6, v[2:3], off offset:640
	s_waitcnt vmcnt(0)
	v_lshlrev_b32_e32 v28, 16, v6
.LBB153_12:
	s_or_b64 exec, exec, s[8:9]
	v_add_u32_e32 v6, 0x180, v4
	v_cmp_gt_i32_e64 s[8:9], s74, v6
	s_and_b64 s[12:13], s[64:65], s[8:9]
	v_mov_b32_e32 v26, 0xff800000
	v_mov_b32_e32 v35, 0xff800000
	s_and_saveexec_b64 s[10:11], s[12:13]
	s_cbranch_execz .LBB153_14
; %bb.13:
	global_load_ushort v6, v[2:3], off offset:768
	s_waitcnt vmcnt(0)
	v_lshlrev_b32_e32 v35, 16, v6
.LBB153_14:
	s_or_b64 exec, exec, s[10:11]
	v_add_u32_e32 v6, 0x1c0, v4
	v_cmp_gt_i32_e64 s[10:11], s74, v6
	s_and_b64 s[14:15], s[64:65], s[10:11]
	s_and_saveexec_b64 s[12:13], s[14:15]
	s_cbranch_execz .LBB153_16
; %bb.15:
	global_load_ushort v6, v[2:3], off offset:896
	s_waitcnt vmcnt(0)
	v_lshlrev_b32_e32 v26, 16, v6
.LBB153_16:
	s_or_b64 exec, exec, s[12:13]
	v_add_u32_e32 v6, 0x200, v4
	v_cmp_gt_i32_e64 s[12:13], s74, v6
	s_and_b64 s[16:17], s[64:65], s[12:13]
	v_mov_b32_e32 v24, 0xff800000
	v_mov_b32_e32 v33, 0xff800000
	s_and_saveexec_b64 s[14:15], s[16:17]
	s_cbranch_execz .LBB153_18
; %bb.17:
	global_load_ushort v6, v[2:3], off offset:1024
	s_waitcnt vmcnt(0)
	v_lshlrev_b32_e32 v33, 16, v6
.LBB153_18:
	s_or_b64 exec, exec, s[14:15]
	v_add_u32_e32 v6, 0x240, v4
	v_cmp_gt_i32_e64 s[14:15], s74, v6
	s_and_b64 s[18:19], s[64:65], s[14:15]
	s_and_saveexec_b64 s[16:17], s[18:19]
	s_cbranch_execz .LBB153_20
; %bb.19:
	global_load_ushort v6, v[2:3], off offset:1152
	s_waitcnt vmcnt(0)
	v_lshlrev_b32_e32 v24, 16, v6
.LBB153_20:
	s_or_b64 exec, exec, s[16:17]
	v_add_u32_e32 v6, 0x280, v4
	v_cmp_gt_i32_e64 s[16:17], s74, v6
	s_and_b64 s[20:21], s[64:65], s[16:17]
	v_mov_b32_e32 v22, 0xff800000
	v_mov_b32_e32 v31, 0xff800000
	s_and_saveexec_b64 s[18:19], s[20:21]
	s_cbranch_execz .LBB153_22
; %bb.21:
	global_load_ushort v6, v[2:3], off offset:1280
	s_waitcnt vmcnt(0)
	v_lshlrev_b32_e32 v31, 16, v6
.LBB153_22:
	s_or_b64 exec, exec, s[18:19]
	v_add_u32_e32 v6, 0x2c0, v4
	v_cmp_gt_i32_e64 s[18:19], s74, v6
	s_and_b64 s[22:23], s[64:65], s[18:19]
	s_and_saveexec_b64 s[20:21], s[22:23]
	s_cbranch_execz .LBB153_24
; %bb.23:
	global_load_ushort v6, v[2:3], off offset:1408
	s_waitcnt vmcnt(0)
	v_lshlrev_b32_e32 v22, 16, v6
.LBB153_24:
	s_or_b64 exec, exec, s[20:21]
	v_add_u32_e32 v6, 0x300, v4
	v_cmp_gt_i32_e64 s[20:21], s74, v6
	s_and_b64 s[26:27], s[64:65], s[20:21]
	v_mov_b32_e32 v20, 0xff800000
	v_mov_b32_e32 v29, 0xff800000
	s_and_saveexec_b64 s[22:23], s[26:27]
	s_cbranch_execz .LBB153_26
; %bb.25:
	global_load_ushort v6, v[2:3], off offset:1536
	s_waitcnt vmcnt(0)
	v_lshlrev_b32_e32 v29, 16, v6
.LBB153_26:
	s_or_b64 exec, exec, s[22:23]
	v_add_u32_e32 v6, 0x340, v4
	v_cmp_gt_i32_e64 s[22:23], s74, v6
	s_and_b64 s[28:29], s[64:65], s[22:23]
	s_and_saveexec_b64 s[26:27], s[28:29]
	s_cbranch_execz .LBB153_28
; %bb.27:
	global_load_ushort v6, v[2:3], off offset:1664
	s_waitcnt vmcnt(0)
	v_lshlrev_b32_e32 v20, 16, v6
.LBB153_28:
	s_or_b64 exec, exec, s[26:27]
	v_add_u32_e32 v6, 0x380, v4
	v_cmp_gt_i32_e64 s[26:27], s74, v6
	s_and_b64 s[30:31], s[64:65], s[26:27]
	v_mov_b32_e32 v18, 0xff800000
	v_mov_b32_e32 v27, 0xff800000
	s_and_saveexec_b64 s[28:29], s[30:31]
	s_cbranch_execz .LBB153_30
; %bb.29:
	global_load_ushort v6, v[2:3], off offset:1792
	s_waitcnt vmcnt(0)
	v_lshlrev_b32_e32 v27, 16, v6
.LBB153_30:
	s_or_b64 exec, exec, s[28:29]
	v_add_u32_e32 v6, 0x3c0, v4
	v_cmp_gt_i32_e64 s[28:29], s74, v6
	s_and_b64 s[34:35], s[64:65], s[28:29]
	s_and_saveexec_b64 s[30:31], s[34:35]
	s_cbranch_execz .LBB153_32
; %bb.31:
	global_load_ushort v6, v[2:3], off offset:1920
	s_waitcnt vmcnt(0)
	v_lshlrev_b32_e32 v18, 16, v6
.LBB153_32:
	s_or_b64 exec, exec, s[30:31]
	v_or_b32_e32 v6, 0x400, v4
	v_cmp_gt_i32_e64 s[30:31], s74, v6
	s_and_b64 s[36:37], s[64:65], s[30:31]
	v_mov_b32_e32 v16, 0xff800000
	v_mov_b32_e32 v25, 0xff800000
	s_and_saveexec_b64 s[34:35], s[36:37]
	s_cbranch_execz .LBB153_34
; %bb.33:
	global_load_ushort v6, v[2:3], off offset:2048
	s_waitcnt vmcnt(0)
	v_lshlrev_b32_e32 v25, 16, v6
.LBB153_34:
	s_or_b64 exec, exec, s[34:35]
	v_add_u32_e32 v6, 0x440, v4
	v_cmp_gt_i32_e64 s[34:35], s74, v6
	s_and_b64 s[38:39], s[64:65], s[34:35]
	s_and_saveexec_b64 s[36:37], s[38:39]
	s_cbranch_execz .LBB153_36
; %bb.35:
	global_load_ushort v6, v[2:3], off offset:2176
	s_waitcnt vmcnt(0)
	v_lshlrev_b32_e32 v16, 16, v6
.LBB153_36:
	s_or_b64 exec, exec, s[36:37]
	v_add_u32_e32 v6, 0x480, v4
	v_cmp_gt_i32_e64 s[36:37], s74, v6
	s_and_b64 s[40:41], s[64:65], s[36:37]
	v_mov_b32_e32 v14, 0xff800000
	v_mov_b32_e32 v23, 0xff800000
	s_and_saveexec_b64 s[38:39], s[40:41]
	s_cbranch_execz .LBB153_38
; %bb.37:
	global_load_ushort v6, v[2:3], off offset:2304
	s_waitcnt vmcnt(0)
	v_lshlrev_b32_e32 v23, 16, v6
.LBB153_38:
	s_or_b64 exec, exec, s[38:39]
	v_add_u32_e32 v6, 0x4c0, v4
	v_cmp_gt_i32_e64 s[38:39], s74, v6
	s_and_b64 s[42:43], s[64:65], s[38:39]
	s_and_saveexec_b64 s[40:41], s[42:43]
	s_cbranch_execz .LBB153_40
; %bb.39:
	global_load_ushort v6, v[2:3], off offset:2432
	s_waitcnt vmcnt(0)
	v_lshlrev_b32_e32 v14, 16, v6
.LBB153_40:
	s_or_b64 exec, exec, s[40:41]
	v_add_u32_e32 v6, 0x500, v4
	;; [unrolled: 24-line block ×7, first 2 shown]
	v_cmp_gt_i32_e64 s[60:61], s74, v6
	s_and_b64 s[66:67], s[64:65], s[60:61]
	v_mov_b32_e32 v6, 0xff800000
	v_mov_b32_e32 v11, 0xff800000
	s_and_saveexec_b64 s[62:63], s[66:67]
	s_cbranch_execz .LBB153_62
; %bb.61:
	global_load_ushort v11, v[2:3], off offset:3840
	s_waitcnt vmcnt(0)
	v_lshlrev_b32_e32 v11, 16, v11
.LBB153_62:
	s_or_b64 exec, exec, s[62:63]
	v_add_u32_e32 v4, 0x7c0, v4
	v_cmp_gt_i32_e64 s[62:63], s74, v4
	s_and_b64 s[66:67], s[64:65], s[62:63]
	s_and_saveexec_b64 s[64:65], s[66:67]
	s_cbranch_execz .LBB153_64
; %bb.63:
	global_load_ushort v2, v[2:3], off offset:3968
	s_waitcnt vmcnt(0)
	v_lshlrev_b32_e32 v6, 16, v2
.LBB153_64:
	s_or_b64 exec, exec, s[64:65]
	v_cmp_gt_f32_e64 s[64:65], v41, v32
	v_cndmask_b32_e64 v2, v32, v41, s[64:65]
	v_cmp_gt_f32_e64 s[64:65], v2, v39
	v_cndmask_b32_e64 v2, v39, v2, s[64:65]
	;; [unrolled: 2-line block ×29, first 2 shown]
	v_mbcnt_lo_u32_b32 v3, -1, 0
	v_cmp_gt_f32_e64 s[64:65], v2, v11
	v_mbcnt_hi_u32_b32 v3, -1, v3
	v_cndmask_b32_e64 v2, v11, v2, s[64:65]
	v_and_b32_e32 v4, 64, v3
	v_cmp_gt_f32_e64 s[64:65], v2, v6
	v_add_u32_e32 v4, 64, v4
	v_xor_b32_e32 v34, 32, v3
	v_cndmask_b32_e64 v2, v6, v2, s[64:65]
	v_cmp_lt_i32_e64 s[64:65], v34, v4
	v_cndmask_b32_e64 v34, v3, v34, s[64:65]
	v_lshlrev_b32_e32 v34, 2, v34
	ds_bpermute_b32 v36, v34, v2
	s_mov_b32 s66, 0x3fb8aa3b
	s_mov_b32 s33, 0xc2ce8ed0
	;; [unrolled: 1-line block ×3, first 2 shown]
	s_waitcnt lgkmcnt(0)
	v_cmp_lt_f32_e64 s[64:65], v2, v36
	v_cndmask_b32_e64 v2, v2, v36, s[64:65]
	v_xor_b32_e32 v36, 16, v3
	v_cmp_lt_i32_e64 s[64:65], v36, v4
	v_cndmask_b32_e64 v36, v3, v36, s[64:65]
	v_lshlrev_b32_e32 v36, 2, v36
	ds_bpermute_b32 v38, v36, v2
	s_waitcnt lgkmcnt(0)
	v_cmp_lt_f32_e64 s[64:65], v2, v38
	v_cndmask_b32_e64 v2, v2, v38, s[64:65]
	v_xor_b32_e32 v38, 8, v3
	v_cmp_lt_i32_e64 s[64:65], v38, v4
	v_cndmask_b32_e64 v38, v3, v38, s[64:65]
	v_lshlrev_b32_e32 v38, 2, v38
	ds_bpermute_b32 v40, v38, v2
	;; [unrolled: 8-line block ×5, first 2 shown]
	s_waitcnt lgkmcnt(0)
	v_cmp_lt_f32_e64 s[64:65], v2, v3
	v_cndmask_b32_e64 v44, v2, v3, s[64:65]
	v_sub_f32_e32 v2, v41, v44
	v_mul_f32_e32 v3, 0x3fb8aa3b, v2
	v_fma_f32 v4, v2, s66, -v3
	v_rndne_f32_e32 v41, v3
	v_fmac_f32_e32 v4, 0x32a5705f, v2
	v_sub_f32_e32 v3, v3, v41
	v_add_f32_e32 v3, v3, v4
	v_exp_f32_e32 v3, v3
	v_cvt_i32_f32_e32 v4, v41
	v_cmp_ngt_f32_e64 s[64:65], s33, v2
	v_sub_f32_e32 v30, v30, v44
	v_sub_f32_e32 v28, v28, v44
	v_ldexp_f32 v3, v3, v4
	v_cndmask_b32_e64 v4, 0, v3, s[64:65]
	v_sub_f32_e32 v3, v32, v44
	v_mul_f32_e32 v32, 0x3fb8aa3b, v3
	v_fma_f32 v41, v3, s66, -v32
	v_rndne_f32_e32 v45, v32
	v_fmac_f32_e32 v41, 0x32a5705f, v3
	v_sub_f32_e32 v32, v32, v45
	v_add_f32_e32 v32, v32, v41
	v_exp_f32_e32 v32, v32
	v_cvt_i32_f32_e32 v45, v45
	v_mov_b32_e32 v41, 0x7f800000
	v_cmp_nlt_f32_e64 s[64:65], s67, v2
	v_cndmask_b32_e64 v46, v41, v4, s[64:65]
	v_ldexp_f32 v4, v32, v45
	v_cmp_ngt_f32_e64 s[64:65], s33, v3
	v_cndmask_b32_e64 v32, 0, v4, s[64:65]
	v_sub_f32_e32 v4, v39, v44
	v_mul_f32_e32 v39, 0x3fb8aa3b, v4
	v_fma_f32 v45, v4, s66, -v39
	v_rndne_f32_e32 v47, v39
	v_fmac_f32_e32 v45, 0x32a5705f, v4
	v_sub_f32_e32 v39, v39, v47
	v_add_f32_e32 v39, v39, v45
	v_exp_f32_e32 v39, v39
	v_cvt_i32_f32_e32 v45, v47
	v_cmp_nlt_f32_e64 s[64:65], s67, v3
	v_cndmask_b32_e64 v32, v41, v32, s[64:65]
	v_add_f32_e32 v32, v46, v32
	v_ldexp_f32 v39, v39, v45
	v_mul_f32_e32 v45, 0x3fb8aa3b, v30
	v_fma_f32 v46, v30, s66, -v45
	v_rndne_f32_e32 v47, v45
	v_fmac_f32_e32 v46, 0x32a5705f, v30
	v_sub_f32_e32 v45, v45, v47
	v_add_f32_e32 v45, v45, v46
	v_exp_f32_e32 v45, v45
	v_cvt_i32_f32_e32 v46, v47
	v_cmp_ngt_f32_e64 s[64:65], s33, v4
	v_cndmask_b32_e64 v39, 0, v39, s[64:65]
	v_cmp_nlt_f32_e64 s[64:65], s67, v4
	v_cndmask_b32_e64 v39, v41, v39, s[64:65]
	v_add_f32_e32 v39, v32, v39
	v_ldexp_f32 v32, v45, v46
	v_cmp_ngt_f32_e64 s[64:65], s33, v30
	v_cndmask_b32_e64 v45, 0, v32, s[64:65]
	v_sub_f32_e32 v32, v37, v44
	v_mul_f32_e32 v37, 0x3fb8aa3b, v32
	v_fma_f32 v46, v32, s66, -v37
	v_rndne_f32_e32 v47, v37
	v_fmac_f32_e32 v46, 0x32a5705f, v32
	v_sub_f32_e32 v37, v37, v47
	v_add_f32_e32 v37, v37, v46
	v_exp_f32_e32 v37, v37
	v_cvt_i32_f32_e32 v46, v47
	v_cmp_nlt_f32_e64 s[64:65], s67, v30
	v_cndmask_b32_e64 v45, v41, v45, s[64:65]
	v_add_f32_e32 v39, v39, v45
	v_mul_f32_e32 v45, 0x3fb8aa3b, v28
	v_ldexp_f32 v37, v37, v46
	v_fma_f32 v46, v28, s66, -v45
	v_rndne_f32_e32 v47, v45
	v_fmac_f32_e32 v46, 0x32a5705f, v28
	v_sub_f32_e32 v45, v45, v47
	v_add_f32_e32 v45, v45, v46
	v_exp_f32_e32 v45, v45
	v_cvt_i32_f32_e32 v46, v47
	v_cmp_ngt_f32_e64 s[64:65], s33, v32
	v_cndmask_b32_e64 v37, 0, v37, s[64:65]
	v_cmp_nlt_f32_e64 s[64:65], s67, v32
	v_cndmask_b32_e64 v37, v41, v37, s[64:65]
	v_sub_f32_e32 v35, v35, v44
	v_add_f32_e32 v37, v39, v37
	v_ldexp_f32 v39, v45, v46
	v_mul_f32_e32 v45, 0x3fb8aa3b, v35
	v_fma_f32 v46, v35, s66, -v45
	v_rndne_f32_e32 v47, v45
	v_fmac_f32_e32 v46, 0x32a5705f, v35
	v_sub_f32_e32 v45, v45, v47
	v_add_f32_e32 v45, v45, v46
	v_exp_f32_e32 v45, v45
	v_cvt_i32_f32_e32 v46, v47
	v_cmp_ngt_f32_e64 s[64:65], s33, v28
	v_cndmask_b32_e64 v39, 0, v39, s[64:65]
	v_cmp_nlt_f32_e64 s[64:65], s67, v28
	v_cndmask_b32_e64 v39, v41, v39, s[64:65]
	v_sub_f32_e32 v26, v26, v44
	v_add_f32_e32 v37, v37, v39
	v_ldexp_f32 v39, v45, v46
	v_mul_f32_e32 v45, 0x3fb8aa3b, v26
	;; [unrolled: 15-line block ×25, first 2 shown]
	v_fma_f32 v46, v11, s66, -v45
	v_rndne_f32_e32 v47, v45
	v_fmac_f32_e32 v46, 0x32a5705f, v11
	v_sub_f32_e32 v45, v45, v47
	v_add_f32_e32 v45, v45, v46
	v_exp_f32_e32 v45, v45
	v_cvt_i32_f32_e32 v46, v47
	v_cmp_ngt_f32_e64 s[64:65], s33, v7
	v_cndmask_b32_e64 v39, 0, v39, s[64:65]
	v_cmp_nlt_f32_e64 s[64:65], s67, v7
	v_sub_f32_e32 v6, v6, v44
	v_cndmask_b32_e64 v39, v41, v39, s[64:65]
	v_mul_f32_e32 v44, 0x3fb8aa3b, v6
	v_add_f32_e32 v37, v37, v39
	v_ldexp_f32 v39, v45, v46
	v_fma_f32 v45, v6, s66, -v44
	v_rndne_f32_e32 v46, v44
	v_fmac_f32_e32 v45, 0x32a5705f, v6
	v_sub_f32_e32 v44, v44, v46
	v_add_f32_e32 v44, v44, v45
	v_exp_f32_e32 v44, v44
	v_cvt_i32_f32_e32 v45, v46
	v_cmp_ngt_f32_e64 s[64:65], s33, v11
	v_cndmask_b32_e64 v39, 0, v39, s[64:65]
	v_cmp_nlt_f32_e64 s[64:65], s67, v11
	v_cndmask_b32_e64 v39, v41, v39, s[64:65]
	v_add_f32_e32 v37, v37, v39
	v_ldexp_f32 v39, v44, v45
	v_cmp_ngt_f32_e64 s[64:65], s33, v6
	v_cndmask_b32_e64 v39, 0, v39, s[64:65]
	v_cmp_nlt_f32_e64 s[64:65], s67, v6
	v_cndmask_b32_e64 v39, v41, v39, s[64:65]
	v_add_f32_e32 v37, v37, v39
	ds_bpermute_b32 v34, v34, v37
	v_cmp_lt_i32_e64 s[64:65], 0, v5
	s_waitcnt lgkmcnt(0)
	v_add_f32_e32 v34, v37, v34
	ds_bpermute_b32 v36, v36, v34
	s_waitcnt lgkmcnt(0)
	v_add_f32_e32 v34, v34, v36
	ds_bpermute_b32 v36, v38, v34
	;; [unrolled: 3-line block ×5, first 2 shown]
	s_and_saveexec_b64 s[66:67], s[64:65]
	s_cbranch_execz .LBB153_98
; %bb.65:
	s_and_b64 exec, exec, s[24:25]
	s_cbranch_execz .LBB153_98
; %bb.66:
	s_waitcnt lgkmcnt(0)
	v_add_f32_e32 v5, v34, v36
	s_mov_b32 s24, 0x800000
	v_mov_b32_e32 v34, 0x4f800000
	v_cmp_gt_f32_e64 s[24:25], s24, v5
	v_cndmask_b32_e64 v34, 1.0, v34, s[24:25]
	v_mul_f32_e32 v5, v5, v34
	v_log_f32_e32 v5, v5
	s_mov_b32 s33, 0x3f317217
	v_mul_f32_e32 v34, 0x3f317217, v5
	v_fma_f32 v36, v5, s33, -v34
	v_fmac_f32_e32 v36, 0x3377d1cf, v5
	s_mov_b32 s33, 0x7f800000
	v_add_f32_e32 v34, v34, v36
	v_cmp_lt_f32_e64 s[64:65], |v5|, s33
	v_cndmask_b32_e64 v5, v5, v34, s[64:65]
	v_mov_b32_e32 v34, 0x41b17218
	v_cndmask_b32_e64 v34, 0, v34, s[24:25]
	v_sub_f32_e32 v5, v5, v34
	v_mov_b32_e32 v34, s69
	v_add_co_u32_e64 v0, s[24:25], s68, v0
	v_addc_co_u32_e64 v1, s[24:25], v34, v1, s[24:25]
	v_sub_f32_e32 v34, v2, v5
	v_bfe_u32 v2, v34, 16, 1
	s_movk_i32 s33, 0x7fff
	v_add3_u32 v2, v34, v2, s33
	v_lshrrev_b32_e32 v36, 16, v2
	v_mov_b32_e32 v2, 0x7fc0
	v_cmp_o_f32_e64 s[24:25], v34, v34
	v_cndmask_b32_e64 v34, v2, v36, s[24:25]
	global_store_short v[0:1], v34, off
	s_and_b64 exec, exec, vcc
	s_cbranch_execz .LBB153_98
; %bb.67:
	v_sub_f32_e32 v3, v3, v5
	v_bfe_u32 v34, v3, 16, 1
	v_add3_u32 v34, v3, v34, s33
	v_lshrrev_b32_e32 v34, 16, v34
	v_cmp_o_f32_e32 vcc, v3, v3
	v_cndmask_b32_e32 v2, v2, v34, vcc
	global_store_short v[0:1], v2, off offset:128
	s_and_b64 exec, exec, s[0:1]
	s_cbranch_execz .LBB153_98
; %bb.68:
	v_sub_f32_e32 v3, v4, v5
	v_bfe_u32 v2, v3, 16, 1
	s_movk_i32 s0, 0x7fff
	v_add3_u32 v2, v3, v2, s0
	v_lshrrev_b32_e32 v4, 16, v2
	v_mov_b32_e32 v2, 0x7fc0
	v_cmp_o_f32_e32 vcc, v3, v3
	v_cndmask_b32_e32 v3, v2, v4, vcc
	global_store_short v[0:1], v3, off offset:256
	s_and_b64 exec, exec, s[2:3]
	s_cbranch_execz .LBB153_98
; %bb.69:
	v_sub_f32_e32 v3, v30, v5
	v_bfe_u32 v4, v3, 16, 1
	v_add3_u32 v4, v3, v4, s0
	v_lshrrev_b32_e32 v4, 16, v4
	v_cmp_o_f32_e32 vcc, v3, v3
	v_cndmask_b32_e32 v2, v2, v4, vcc
	global_store_short v[0:1], v2, off offset:384
	s_and_b64 exec, exec, s[4:5]
	s_cbranch_execz .LBB153_98
; %bb.70:
	v_sub_f32_e32 v3, v32, v5
	v_bfe_u32 v2, v3, 16, 1
	v_add3_u32 v2, v3, v2, s0
	v_lshrrev_b32_e32 v4, 16, v2
	v_mov_b32_e32 v2, 0x7fc0
	v_cmp_o_f32_e32 vcc, v3, v3
	v_cndmask_b32_e32 v3, v2, v4, vcc
	global_store_short v[0:1], v3, off offset:512
	s_and_b64 exec, exec, s[6:7]
	s_cbranch_execz .LBB153_98
; %bb.71:
	v_sub_f32_e32 v3, v28, v5
	v_bfe_u32 v4, v3, 16, 1
	v_add3_u32 v4, v3, v4, s0
	v_lshrrev_b32_e32 v4, 16, v4
	v_cmp_o_f32_e32 vcc, v3, v3
	v_cndmask_b32_e32 v2, v2, v4, vcc
	global_store_short v[0:1], v2, off offset:640
	s_and_b64 exec, exec, s[8:9]
	s_cbranch_execz .LBB153_98
; %bb.72:
	v_sub_f32_e32 v3, v35, v5
	v_bfe_u32 v2, v3, 16, 1
	;; [unrolled: 21-line block ×14, first 2 shown]
	v_add3_u32 v2, v3, v2, s0
	v_lshrrev_b32_e32 v4, 16, v2
	v_mov_b32_e32 v2, 0x7fc0
	v_cmp_o_f32_e32 vcc, v3, v3
	v_cndmask_b32_e32 v3, v2, v4, vcc
	global_store_short v[0:1], v3, off offset:3840
	s_and_b64 exec, exec, s[62:63]
	s_cbranch_execz .LBB153_98
; %bb.97:
	v_sub_f32_e32 v3, v6, v5
	v_bfe_u32 v4, v3, 16, 1
	v_add3_u32 v4, v3, v4, s0
	v_lshrrev_b32_e32 v4, 16, v4
	v_cmp_o_f32_e32 vcc, v3, v3
	v_cndmask_b32_e32 v2, v2, v4, vcc
	global_store_short v[0:1], v2, off offset:3968
.LBB153_98:
	s_endpgm
	.section	.rodata,"a",@progbits
	.p2align	6, 0x0
	.amdhsa_kernel _ZN12_GLOBAL__N_120softmax_warp_forwardIN3c108BFloat16ES2_fLi11ELb1ELb0ELi64EEEvPT0_PKT_iiiPKbib
		.amdhsa_group_segment_fixed_size 0
		.amdhsa_private_segment_fixed_size 0
		.amdhsa_kernarg_size 304
		.amdhsa_user_sgpr_count 6
		.amdhsa_user_sgpr_private_segment_buffer 1
		.amdhsa_user_sgpr_dispatch_ptr 0
		.amdhsa_user_sgpr_queue_ptr 0
		.amdhsa_user_sgpr_kernarg_segment_ptr 1
		.amdhsa_user_sgpr_dispatch_id 0
		.amdhsa_user_sgpr_flat_scratch_init 0
		.amdhsa_user_sgpr_kernarg_preload_length 0
		.amdhsa_user_sgpr_kernarg_preload_offset 0
		.amdhsa_user_sgpr_private_segment_size 0
		.amdhsa_uses_dynamic_stack 0
		.amdhsa_system_sgpr_private_segment_wavefront_offset 0
		.amdhsa_system_sgpr_workgroup_id_x 1
		.amdhsa_system_sgpr_workgroup_id_y 0
		.amdhsa_system_sgpr_workgroup_id_z 0
		.amdhsa_system_sgpr_workgroup_info 0
		.amdhsa_system_vgpr_workitem_id 1
		.amdhsa_next_free_vgpr 48
		.amdhsa_next_free_sgpr 76
		.amdhsa_accum_offset 48
		.amdhsa_reserve_vcc 1
		.amdhsa_reserve_flat_scratch 0
		.amdhsa_float_round_mode_32 0
		.amdhsa_float_round_mode_16_64 0
		.amdhsa_float_denorm_mode_32 3
		.amdhsa_float_denorm_mode_16_64 3
		.amdhsa_dx10_clamp 1
		.amdhsa_ieee_mode 1
		.amdhsa_fp16_overflow 0
		.amdhsa_tg_split 0
		.amdhsa_exception_fp_ieee_invalid_op 0
		.amdhsa_exception_fp_denorm_src 0
		.amdhsa_exception_fp_ieee_div_zero 0
		.amdhsa_exception_fp_ieee_overflow 0
		.amdhsa_exception_fp_ieee_underflow 0
		.amdhsa_exception_fp_ieee_inexact 0
		.amdhsa_exception_int_div_zero 0
	.end_amdhsa_kernel
	.section	.text._ZN12_GLOBAL__N_120softmax_warp_forwardIN3c108BFloat16ES2_fLi11ELb1ELb0ELi64EEEvPT0_PKT_iiiPKbib,"axG",@progbits,_ZN12_GLOBAL__N_120softmax_warp_forwardIN3c108BFloat16ES2_fLi11ELb1ELb0ELi64EEEvPT0_PKT_iiiPKbib,comdat
.Lfunc_end153:
	.size	_ZN12_GLOBAL__N_120softmax_warp_forwardIN3c108BFloat16ES2_fLi11ELb1ELb0ELi64EEEvPT0_PKT_iiiPKbib, .Lfunc_end153-_ZN12_GLOBAL__N_120softmax_warp_forwardIN3c108BFloat16ES2_fLi11ELb1ELb0ELi64EEEvPT0_PKT_iiiPKbib
                                        ; -- End function
	.section	.AMDGPU.csdata,"",@progbits
; Kernel info:
; codeLenInByte = 7608
; NumSgprs: 80
; NumVgprs: 48
; NumAgprs: 0
; TotalNumVgprs: 48
; ScratchSize: 0
; MemoryBound: 0
; FloatMode: 240
; IeeeMode: 1
; LDSByteSize: 0 bytes/workgroup (compile time only)
; SGPRBlocks: 9
; VGPRBlocks: 5
; NumSGPRsForWavesPerEU: 80
; NumVGPRsForWavesPerEU: 48
; AccumOffset: 48
; Occupancy: 8
; WaveLimiterHint : 0
; COMPUTE_PGM_RSRC2:SCRATCH_EN: 0
; COMPUTE_PGM_RSRC2:USER_SGPR: 6
; COMPUTE_PGM_RSRC2:TRAP_HANDLER: 0
; COMPUTE_PGM_RSRC2:TGID_X_EN: 1
; COMPUTE_PGM_RSRC2:TGID_Y_EN: 0
; COMPUTE_PGM_RSRC2:TGID_Z_EN: 0
; COMPUTE_PGM_RSRC2:TIDIG_COMP_CNT: 1
; COMPUTE_PGM_RSRC3_GFX90A:ACCUM_OFFSET: 11
; COMPUTE_PGM_RSRC3_GFX90A:TG_SPLIT: 0
	.section	.text._ZN12_GLOBAL__N_120softmax_warp_forwardIN3c108BFloat16ES2_fLi11ELb1ELb0ELi32EEEvPT0_PKT_iiiPKbib,"axG",@progbits,_ZN12_GLOBAL__N_120softmax_warp_forwardIN3c108BFloat16ES2_fLi11ELb1ELb0ELi32EEEvPT0_PKT_iiiPKbib,comdat
	.globl	_ZN12_GLOBAL__N_120softmax_warp_forwardIN3c108BFloat16ES2_fLi11ELb1ELb0ELi32EEEvPT0_PKT_iiiPKbib ; -- Begin function _ZN12_GLOBAL__N_120softmax_warp_forwardIN3c108BFloat16ES2_fLi11ELb1ELb0ELi32EEEvPT0_PKT_iiiPKbib
	.p2align	8
	.type	_ZN12_GLOBAL__N_120softmax_warp_forwardIN3c108BFloat16ES2_fLi11ELb1ELb0ELi32EEEvPT0_PKT_iiiPKbib,@function
_ZN12_GLOBAL__N_120softmax_warp_forwardIN3c108BFloat16ES2_fLi11ELb1ELb0ELi32EEEvPT0_PKT_iiiPKbib: ; @_ZN12_GLOBAL__N_120softmax_warp_forwardIN3c108BFloat16ES2_fLi11ELb1ELb0ELi32EEEvPT0_PKT_iiiPKbib
; %bb.0:
	s_load_dword s0, s[4:5], 0x3c
	s_load_dwordx8 s[44:51], s[4:5], 0x0
	v_bfe_u32 v1, v0, 10, 10
	v_and_b32_e32 v4, 0x3ff, v0
	v_mov_b32_e32 v42, 0xff800000
	s_waitcnt lgkmcnt(0)
	s_lshr_b32 s0, s0, 16
	s_mul_i32 s6, s6, s0
	v_add_u32_e32 v1, s6, v1
	v_sub_u32_e32 v5, s48, v1
	v_mad_u64_u32 v[0:1], s[0:1], v1, s49, v[4:5]
	v_ashrrev_i32_e32 v1, 31, v0
	v_lshlrev_b64 v[0:1], 1, v[0:1]
	v_mov_b32_e32 v3, s47
	v_add_co_u32_e32 v2, vcc, s46, v0
	v_addc_co_u32_e32 v3, vcc, v3, v1, vcc
	v_cmp_lt_i32_e32 vcc, 0, v5
	v_cmp_gt_i32_e64 s[24:25], s50, v4
	s_and_b64 s[2:3], vcc, s[24:25]
	v_mov_b32_e32 v75, 0xff800000
	s_and_saveexec_b64 s[0:1], s[2:3]
	s_cbranch_execz .LBB154_2
; %bb.1:
	global_load_ushort v6, v[2:3], off
	s_waitcnt vmcnt(0)
	v_lshlrev_b32_e32 v75, 16, v6
.LBB154_2:
	s_or_b64 exec, exec, s[0:1]
	v_add_u32_e32 v6, 32, v4
	v_cmp_gt_i32_e64 s[42:43], s50, v6
	s_and_b64 s[2:3], vcc, s[42:43]
	s_and_saveexec_b64 s[0:1], s[2:3]
	s_cbranch_execz .LBB154_4
; %bb.3:
	global_load_ushort v6, v[2:3], off offset:64
	s_waitcnt vmcnt(0)
	v_lshlrev_b32_e32 v42, 16, v6
.LBB154_4:
	s_or_b64 exec, exec, s[0:1]
	v_add_u32_e32 v6, 64, v4
	v_cmp_gt_i32_e64 s[0:1], s50, v6
	s_and_b64 s[4:5], vcc, s[0:1]
	v_mov_b32_e32 v38, 0xff800000
	v_mov_b32_e32 v73, 0xff800000
	s_and_saveexec_b64 s[2:3], s[4:5]
	s_cbranch_execz .LBB154_6
; %bb.5:
	global_load_ushort v6, v[2:3], off offset:128
	s_waitcnt vmcnt(0)
	v_lshlrev_b32_e32 v73, 16, v6
.LBB154_6:
	s_or_b64 exec, exec, s[2:3]
	v_add_u32_e32 v6, 0x60, v4
	v_cmp_gt_i32_e64 s[2:3], s50, v6
	s_and_b64 s[6:7], vcc, s[2:3]
	s_and_saveexec_b64 s[4:5], s[6:7]
	s_cbranch_execz .LBB154_8
; %bb.7:
	global_load_ushort v6, v[2:3], off offset:192
	s_waitcnt vmcnt(0)
	v_lshlrev_b32_e32 v38, 16, v6
.LBB154_8:
	s_or_b64 exec, exec, s[4:5]
	v_add_u32_e32 v6, 0x80, v4
	v_cmp_gt_i32_e64 s[4:5], s50, v6
                                        ; implicit-def: $vgpr79 : SGPR spill to VGPR lane
	v_mov_b32_e32 v44, 0xff800000
	v_writelane_b32 v79, s4, 0
	s_and_b64 s[6:7], vcc, s[4:5]
	v_mov_b32_e32 v74, 0xff800000
	v_writelane_b32 v79, s5, 1
	s_and_saveexec_b64 s[4:5], s[6:7]
	s_cbranch_execz .LBB154_10
; %bb.9:
	global_load_ushort v6, v[2:3], off offset:256
	s_waitcnt vmcnt(0)
	v_lshlrev_b32_e32 v74, 16, v6
.LBB154_10:
	s_or_b64 exec, exec, s[4:5]
	v_add_u32_e32 v6, 0xa0, v4
	v_cmp_gt_i32_e64 s[4:5], s50, v6
	v_writelane_b32 v79, s4, 2
	s_and_b64 s[6:7], vcc, s[4:5]
	v_writelane_b32 v79, s5, 3
	s_and_saveexec_b64 s[4:5], s[6:7]
	s_cbranch_execz .LBB154_12
; %bb.11:
	global_load_ushort v6, v[2:3], off offset:320
	s_waitcnt vmcnt(0)
	v_lshlrev_b32_e32 v44, 16, v6
.LBB154_12:
	s_or_b64 exec, exec, s[4:5]
	v_add_u32_e32 v6, 0xc0, v4
	v_cmp_gt_i32_e64 s[4:5], s50, v6
	v_writelane_b32 v79, s4, 4
	s_and_b64 s[6:7], vcc, s[4:5]
	v_mov_b32_e32 v50, 0xff800000
	v_mov_b32_e32 v48, 0xff800000
	v_writelane_b32 v79, s5, 5
	s_and_saveexec_b64 s[4:5], s[6:7]
	s_cbranch_execz .LBB154_14
; %bb.13:
	global_load_ushort v6, v[2:3], off offset:384
	s_waitcnt vmcnt(0)
	v_lshlrev_b32_e32 v48, 16, v6
.LBB154_14:
	s_or_b64 exec, exec, s[4:5]
	v_add_u32_e32 v6, 0xe0, v4
	v_cmp_gt_i32_e64 s[4:5], s50, v6
	v_writelane_b32 v79, s4, 6
	s_and_b64 s[6:7], vcc, s[4:5]
	v_writelane_b32 v79, s5, 7
	s_and_saveexec_b64 s[4:5], s[6:7]
	s_cbranch_execz .LBB154_16
; %bb.15:
	global_load_ushort v6, v[2:3], off offset:448
	s_waitcnt vmcnt(0)
	v_lshlrev_b32_e32 v50, 16, v6
.LBB154_16:
	s_or_b64 exec, exec, s[4:5]
	v_add_u32_e32 v6, 0x100, v4
	v_cmp_gt_i32_e64 s[4:5], s50, v6
	v_writelane_b32 v79, s4, 8
	s_and_b64 s[6:7], vcc, s[4:5]
	v_mov_b32_e32 v54, 0xff800000
	;; [unrolled: 28-line block ×9, first 2 shown]
	v_mov_b32_e32 v69, 0xff800000
	v_writelane_b32 v79, s5, 37
	s_and_saveexec_b64 s[4:5], s[6:7]
	s_cbranch_execz .LBB154_46
; %bb.45:
	global_load_ushort v6, v[2:3], off offset:1408
	s_waitcnt vmcnt(0)
	v_lshlrev_b32_e32 v69, 16, v6
.LBB154_46:
	s_or_b64 exec, exec, s[4:5]
	v_add_u32_e32 v6, 0x2e0, v4
	v_cmp_gt_i32_e64 s[48:49], s50, v6
	s_and_b64 s[6:7], vcc, s[48:49]
	s_and_saveexec_b64 s[4:5], s[6:7]
	s_cbranch_execz .LBB154_48
; %bb.47:
	global_load_ushort v6, v[2:3], off offset:1472
	s_waitcnt vmcnt(0)
	v_lshlrev_b32_e32 v56, 16, v6
.LBB154_48:
	s_or_b64 exec, exec, s[4:5]
	v_add_u32_e32 v6, 0x300, v4
	v_cmp_gt_i32_e64 s[4:5], s50, v6
	v_writelane_b32 v79, s4, 38
	s_and_b64 s[6:7], vcc, s[4:5]
	v_mov_b32_e32 v53, 0xff800000
	v_mov_b32_e32 v66, 0xff800000
	v_writelane_b32 v79, s5, 39
	s_and_saveexec_b64 s[4:5], s[6:7]
	s_cbranch_execz .LBB154_50
; %bb.49:
	global_load_ushort v6, v[2:3], off offset:1536
	s_waitcnt vmcnt(0)
	v_lshlrev_b32_e32 v66, 16, v6
.LBB154_50:
	s_or_b64 exec, exec, s[4:5]
	v_add_u32_e32 v6, 0x320, v4
	v_cmp_gt_i32_e64 s[4:5], s50, v6
	s_and_b64 s[8:9], vcc, s[4:5]
	s_and_saveexec_b64 s[6:7], s[8:9]
	s_cbranch_execz .LBB154_52
; %bb.51:
	global_load_ushort v6, v[2:3], off offset:1600
	s_waitcnt vmcnt(0)
	v_lshlrev_b32_e32 v53, 16, v6
.LBB154_52:
	s_or_b64 exec, exec, s[6:7]
	v_add_u32_e32 v6, 0x340, v4
	v_cmp_gt_i32_e64 s[52:53], s50, v6
	s_and_b64 s[8:9], vcc, s[52:53]
	v_mov_b32_e32 v49, 0xff800000
	v_mov_b32_e32 v60, 0xff800000
	s_and_saveexec_b64 s[6:7], s[8:9]
	s_cbranch_execz .LBB154_54
; %bb.53:
	global_load_ushort v6, v[2:3], off offset:1664
	s_waitcnt vmcnt(0)
	v_lshlrev_b32_e32 v60, 16, v6
.LBB154_54:
	s_or_b64 exec, exec, s[6:7]
	v_add_u32_e32 v6, 0x360, v4
	v_cmp_gt_i32_e64 s[54:55], s50, v6
	s_and_b64 s[8:9], vcc, s[54:55]
	s_and_saveexec_b64 s[6:7], s[8:9]
	s_cbranch_execz .LBB154_56
; %bb.55:
	global_load_ushort v6, v[2:3], off offset:1728
	s_waitcnt vmcnt(0)
	v_lshlrev_b32_e32 v49, 16, v6
.LBB154_56:
	s_or_b64 exec, exec, s[6:7]
	v_add_u32_e32 v6, 0x380, v4
	v_cmp_gt_i32_e64 s[56:57], s50, v6
	s_and_b64 s[8:9], vcc, s[56:57]
	v_mov_b32_e32 v43, 0xff800000
	v_mov_b32_e32 v55, 0xff800000
	;; [unrolled: 24-line block ×3, first 2 shown]
	s_and_saveexec_b64 s[6:7], s[8:9]
	s_cbranch_execz .LBB154_62
; %bb.61:
	global_load_ushort v6, v[2:3], off offset:1920
	s_waitcnt vmcnt(0)
	v_lshlrev_b32_e32 v51, 16, v6
.LBB154_62:
	s_or_b64 exec, exec, s[6:7]
	v_add_u32_e32 v6, 0x3e0, v4
	v_cmp_gt_i32_e64 s[62:63], s50, v6
	s_and_b64 s[8:9], vcc, s[62:63]
	s_and_saveexec_b64 s[6:7], s[8:9]
	s_cbranch_execz .LBB154_64
; %bb.63:
	global_load_ushort v6, v[2:3], off offset:1984
	s_waitcnt vmcnt(0)
	v_lshlrev_b32_e32 v37, 16, v6
.LBB154_64:
	s_or_b64 exec, exec, s[6:7]
	v_or_b32_e32 v6, 0x400, v4
	v_cmp_gt_i32_e64 s[64:65], s50, v6
	s_and_b64 s[8:9], vcc, s[64:65]
	v_mov_b32_e32 v34, 0xff800000
	v_mov_b32_e32 v46, 0xff800000
	s_and_saveexec_b64 s[6:7], s[8:9]
	s_cbranch_execz .LBB154_66
; %bb.65:
	global_load_ushort v6, v[2:3], off offset:2048
	s_waitcnt vmcnt(0)
	v_lshlrev_b32_e32 v46, 16, v6
.LBB154_66:
	s_or_b64 exec, exec, s[6:7]
	v_add_u32_e32 v6, 0x420, v4
	v_cmp_gt_i32_e64 s[66:67], s50, v6
	s_and_b64 s[8:9], vcc, s[66:67]
	s_and_saveexec_b64 s[6:7], s[8:9]
	s_cbranch_execz .LBB154_68
; %bb.67:
	global_load_ushort v6, v[2:3], off offset:2112
	s_waitcnt vmcnt(0)
	v_lshlrev_b32_e32 v34, 16, v6
.LBB154_68:
	s_or_b64 exec, exec, s[6:7]
	v_add_u32_e32 v6, 0x440, v4
	v_cmp_gt_i32_e64 s[68:69], s50, v6
	s_and_b64 s[8:9], vcc, s[68:69]
	v_mov_b32_e32 v32, 0xff800000
	v_mov_b32_e32 v40, 0xff800000
	s_and_saveexec_b64 s[6:7], s[8:9]
	s_cbranch_execz .LBB154_70
; %bb.69:
	global_load_ushort v6, v[2:3], off offset:2176
	s_waitcnt vmcnt(0)
	v_lshlrev_b32_e32 v40, 16, v6
.LBB154_70:
	s_or_b64 exec, exec, s[6:7]
	v_add_u32_e32 v6, 0x460, v4
	v_cmp_gt_i32_e64 s[70:71], s50, v6
	s_and_b64 s[8:9], vcc, s[70:71]
	s_and_saveexec_b64 s[6:7], s[8:9]
	s_cbranch_execz .LBB154_72
; %bb.71:
	global_load_ushort v6, v[2:3], off offset:2240
	s_waitcnt vmcnt(0)
	v_lshlrev_b32_e32 v32, 16, v6
.LBB154_72:
	s_or_b64 exec, exec, s[6:7]
	v_add_u32_e32 v6, 0x480, v4
	v_cmp_gt_i32_e64 s[72:73], s50, v6
	s_and_b64 s[8:9], vcc, s[72:73]
	v_mov_b32_e32 v30, 0xff800000
	v_mov_b32_e32 v35, 0xff800000
	s_and_saveexec_b64 s[6:7], s[8:9]
	s_cbranch_execz .LBB154_74
; %bb.73:
	global_load_ushort v6, v[2:3], off offset:2304
	s_waitcnt vmcnt(0)
	v_lshlrev_b32_e32 v35, 16, v6
.LBB154_74:
	s_or_b64 exec, exec, s[6:7]
	v_add_u32_e32 v6, 0x4a0, v4
	v_cmp_gt_i32_e64 s[74:75], s50, v6
	s_and_b64 s[8:9], vcc, s[74:75]
	s_and_saveexec_b64 s[6:7], s[8:9]
	s_cbranch_execz .LBB154_76
; %bb.75:
	global_load_ushort v6, v[2:3], off offset:2368
	s_waitcnt vmcnt(0)
	v_lshlrev_b32_e32 v30, 16, v6
.LBB154_76:
	s_or_b64 exec, exec, s[6:7]
	v_add_u32_e32 v6, 0x4c0, v4
	v_cmp_gt_i32_e64 s[76:77], s50, v6
	s_and_b64 s[8:9], vcc, s[76:77]
	v_mov_b32_e32 v28, 0xff800000
	v_mov_b32_e32 v33, 0xff800000
	s_and_saveexec_b64 s[6:7], s[8:9]
	s_cbranch_execz .LBB154_78
; %bb.77:
	global_load_ushort v6, v[2:3], off offset:2432
	s_waitcnt vmcnt(0)
	v_lshlrev_b32_e32 v33, 16, v6
.LBB154_78:
	s_or_b64 exec, exec, s[6:7]
	v_add_u32_e32 v6, 0x4e0, v4
	v_cmp_gt_i32_e64 s[78:79], s50, v6
	s_and_b64 s[8:9], vcc, s[78:79]
	s_and_saveexec_b64 s[6:7], s[8:9]
	s_cbranch_execz .LBB154_80
; %bb.79:
	global_load_ushort v6, v[2:3], off offset:2496
	s_waitcnt vmcnt(0)
	v_lshlrev_b32_e32 v28, 16, v6
.LBB154_80:
	s_or_b64 exec, exec, s[6:7]
	v_add_u32_e32 v6, 0x500, v4
	v_cmp_gt_i32_e64 s[80:81], s50, v6
	s_and_b64 s[8:9], vcc, s[80:81]
	v_mov_b32_e32 v26, 0xff800000
	v_mov_b32_e32 v31, 0xff800000
	s_and_saveexec_b64 s[6:7], s[8:9]
	s_cbranch_execz .LBB154_82
; %bb.81:
	global_load_ushort v6, v[2:3], off offset:2560
	s_waitcnt vmcnt(0)
	v_lshlrev_b32_e32 v31, 16, v6
.LBB154_82:
	s_or_b64 exec, exec, s[6:7]
	v_add_u32_e32 v6, 0x520, v4
	v_cmp_gt_i32_e64 s[82:83], s50, v6
	s_and_b64 s[8:9], vcc, s[82:83]
	s_and_saveexec_b64 s[6:7], s[8:9]
	s_cbranch_execz .LBB154_84
; %bb.83:
	global_load_ushort v6, v[2:3], off offset:2624
	s_waitcnt vmcnt(0)
	v_lshlrev_b32_e32 v26, 16, v6
.LBB154_84:
	s_or_b64 exec, exec, s[6:7]
	v_add_u32_e32 v6, 0x540, v4
	v_cmp_gt_i32_e64 s[84:85], s50, v6
	s_and_b64 s[8:9], vcc, s[84:85]
	v_mov_b32_e32 v24, 0xff800000
	v_mov_b32_e32 v29, 0xff800000
	s_and_saveexec_b64 s[6:7], s[8:9]
	s_cbranch_execz .LBB154_86
; %bb.85:
	global_load_ushort v6, v[2:3], off offset:2688
	s_waitcnt vmcnt(0)
	v_lshlrev_b32_e32 v29, 16, v6
.LBB154_86:
	s_or_b64 exec, exec, s[6:7]
	v_add_u32_e32 v6, 0x560, v4
	v_cmp_gt_i32_e64 s[86:87], s50, v6
	s_and_b64 s[8:9], vcc, s[86:87]
	s_and_saveexec_b64 s[6:7], s[8:9]
	s_cbranch_execz .LBB154_88
; %bb.87:
	global_load_ushort v6, v[2:3], off offset:2752
	s_waitcnt vmcnt(0)
	v_lshlrev_b32_e32 v24, 16, v6
.LBB154_88:
	s_or_b64 exec, exec, s[6:7]
	v_add_u32_e32 v6, 0x580, v4
	v_cmp_gt_i32_e64 s[88:89], s50, v6
	s_and_b64 s[8:9], vcc, s[88:89]
	v_mov_b32_e32 v22, 0xff800000
	v_mov_b32_e32 v27, 0xff800000
	s_and_saveexec_b64 s[6:7], s[8:9]
	s_cbranch_execz .LBB154_90
; %bb.89:
	global_load_ushort v6, v[2:3], off offset:2816
	s_waitcnt vmcnt(0)
	v_lshlrev_b32_e32 v27, 16, v6
.LBB154_90:
	s_or_b64 exec, exec, s[6:7]
	v_add_u32_e32 v6, 0x5a0, v4
	v_cmp_gt_i32_e64 s[90:91], s50, v6
	s_and_b64 s[8:9], vcc, s[90:91]
	s_and_saveexec_b64 s[6:7], s[8:9]
	s_cbranch_execz .LBB154_92
; %bb.91:
	global_load_ushort v6, v[2:3], off offset:2880
	s_waitcnt vmcnt(0)
	v_lshlrev_b32_e32 v22, 16, v6
.LBB154_92:
	s_or_b64 exec, exec, s[6:7]
	v_add_u32_e32 v6, 0x5c0, v4
	v_cmp_gt_i32_e64 s[92:93], s50, v6
	s_and_b64 s[8:9], vcc, s[92:93]
	v_mov_b32_e32 v20, 0xff800000
	v_mov_b32_e32 v25, 0xff800000
	s_and_saveexec_b64 s[6:7], s[8:9]
	s_cbranch_execz .LBB154_94
; %bb.93:
	global_load_ushort v6, v[2:3], off offset:2944
	s_waitcnt vmcnt(0)
	v_lshlrev_b32_e32 v25, 16, v6
.LBB154_94:
	s_or_b64 exec, exec, s[6:7]
	v_add_u32_e32 v6, 0x5e0, v4
	v_cmp_gt_i32_e64 s[94:95], s50, v6
	s_and_b64 s[8:9], vcc, s[94:95]
	s_and_saveexec_b64 s[6:7], s[8:9]
	s_cbranch_execz .LBB154_96
; %bb.95:
	global_load_ushort v6, v[2:3], off offset:3008
	s_waitcnt vmcnt(0)
	v_lshlrev_b32_e32 v20, 16, v6
.LBB154_96:
	s_or_b64 exec, exec, s[6:7]
	v_add_u32_e32 v6, 0x600, v4
	v_cmp_gt_i32_e64 s[10:11], s50, v6
	s_and_b64 s[8:9], vcc, s[10:11]
	v_mov_b32_e32 v18, 0xff800000
	v_mov_b32_e32 v23, 0xff800000
	s_and_saveexec_b64 s[6:7], s[8:9]
	s_cbranch_execz .LBB154_98
; %bb.97:
	global_load_ushort v6, v[2:3], off offset:3072
	s_waitcnt vmcnt(0)
	v_lshlrev_b32_e32 v23, 16, v6
.LBB154_98:
	s_or_b64 exec, exec, s[6:7]
	v_add_u32_e32 v6, 0x620, v4
	v_cmp_gt_i32_e64 s[14:15], s50, v6
	s_and_b64 s[8:9], vcc, s[14:15]
	s_and_saveexec_b64 s[6:7], s[8:9]
	s_cbranch_execz .LBB154_100
; %bb.99:
	global_load_ushort v6, v[2:3], off offset:3136
	s_waitcnt vmcnt(0)
	v_lshlrev_b32_e32 v18, 16, v6
.LBB154_100:
	s_or_b64 exec, exec, s[6:7]
	v_add_u32_e32 v6, 0x640, v4
	v_cmp_gt_i32_e64 s[12:13], s50, v6
	s_and_b64 s[8:9], vcc, s[12:13]
	v_mov_b32_e32 v16, 0xff800000
	v_mov_b32_e32 v21, 0xff800000
	s_and_saveexec_b64 s[6:7], s[8:9]
	s_cbranch_execz .LBB154_102
; %bb.101:
	global_load_ushort v6, v[2:3], off offset:3200
	s_waitcnt vmcnt(0)
	v_lshlrev_b32_e32 v21, 16, v6
.LBB154_102:
	s_or_b64 exec, exec, s[6:7]
	v_add_u32_e32 v6, 0x660, v4
	v_cmp_gt_i32_e64 s[16:17], s50, v6
	s_and_b64 s[8:9], vcc, s[16:17]
	s_and_saveexec_b64 s[6:7], s[8:9]
	s_cbranch_execz .LBB154_104
; %bb.103:
	global_load_ushort v6, v[2:3], off offset:3264
	s_waitcnt vmcnt(0)
	v_lshlrev_b32_e32 v16, 16, v6
.LBB154_104:
	s_or_b64 exec, exec, s[6:7]
	v_add_u32_e32 v6, 0x680, v4
	v_cmp_gt_i32_e64 s[18:19], s50, v6
	s_and_b64 s[8:9], vcc, s[18:19]
	v_mov_b32_e32 v14, 0xff800000
	v_mov_b32_e32 v19, 0xff800000
	s_and_saveexec_b64 s[6:7], s[8:9]
	s_cbranch_execz .LBB154_106
; %bb.105:
	global_load_ushort v6, v[2:3], off offset:3328
	s_waitcnt vmcnt(0)
	v_lshlrev_b32_e32 v19, 16, v6
.LBB154_106:
	s_or_b64 exec, exec, s[6:7]
	v_add_u32_e32 v6, 0x6a0, v4
	v_cmp_gt_i32_e64 s[8:9], s50, v6
	s_and_b64 s[20:21], vcc, s[8:9]
	s_and_saveexec_b64 s[6:7], s[20:21]
	s_cbranch_execz .LBB154_108
; %bb.107:
	global_load_ushort v6, v[2:3], off offset:3392
	s_waitcnt vmcnt(0)
	v_lshlrev_b32_e32 v14, 16, v6
.LBB154_108:
	s_or_b64 exec, exec, s[6:7]
	v_add_u32_e32 v6, 0x6c0, v4
	v_cmp_gt_i32_e64 s[20:21], s50, v6
	s_and_b64 s[22:23], vcc, s[20:21]
	v_mov_b32_e32 v12, 0xff800000
	v_mov_b32_e32 v17, 0xff800000
	s_and_saveexec_b64 s[6:7], s[22:23]
	s_cbranch_execz .LBB154_110
; %bb.109:
	global_load_ushort v6, v[2:3], off offset:3456
	s_waitcnt vmcnt(0)
	v_lshlrev_b32_e32 v17, 16, v6
.LBB154_110:
	s_or_b64 exec, exec, s[6:7]
	v_add_u32_e32 v6, 0x6e0, v4
	v_cmp_gt_i32_e64 s[22:23], s50, v6
	s_and_b64 s[26:27], vcc, s[22:23]
	s_and_saveexec_b64 s[6:7], s[26:27]
	s_cbranch_execz .LBB154_112
; %bb.111:
	global_load_ushort v6, v[2:3], off offset:3520
	s_waitcnt vmcnt(0)
	v_lshlrev_b32_e32 v12, 16, v6
.LBB154_112:
	s_or_b64 exec, exec, s[6:7]
	v_add_u32_e32 v6, 0x700, v4
	v_cmp_gt_i32_e64 s[26:27], s50, v6
	s_and_b64 s[28:29], vcc, s[26:27]
	v_mov_b32_e32 v10, 0xff800000
	v_mov_b32_e32 v15, 0xff800000
	s_and_saveexec_b64 s[6:7], s[28:29]
	s_cbranch_execz .LBB154_114
; %bb.113:
	global_load_ushort v6, v[2:3], off offset:3584
	s_waitcnt vmcnt(0)
	v_lshlrev_b32_e32 v15, 16, v6
.LBB154_114:
	s_or_b64 exec, exec, s[6:7]
	v_add_u32_e32 v6, 0x720, v4
	v_cmp_gt_i32_e64 s[28:29], s50, v6
	s_and_b64 s[30:31], vcc, s[28:29]
	s_and_saveexec_b64 s[6:7], s[30:31]
	s_cbranch_execz .LBB154_116
; %bb.115:
	global_load_ushort v6, v[2:3], off offset:3648
	s_waitcnt vmcnt(0)
	v_lshlrev_b32_e32 v10, 16, v6
.LBB154_116:
	s_or_b64 exec, exec, s[6:7]
	v_add_u32_e32 v6, 0x740, v4
	v_cmp_gt_i32_e64 s[6:7], s50, v6
	s_and_b64 s[34:35], vcc, s[6:7]
	v_mov_b32_e32 v8, 0xff800000
	v_mov_b32_e32 v13, 0xff800000
	s_and_saveexec_b64 s[30:31], s[34:35]
	s_cbranch_execz .LBB154_118
; %bb.117:
	global_load_ushort v6, v[2:3], off offset:3712
	s_waitcnt vmcnt(0)
	v_lshlrev_b32_e32 v13, 16, v6
.LBB154_118:
	s_or_b64 exec, exec, s[30:31]
	v_add_u32_e32 v6, 0x760, v4
	v_cmp_gt_i32_e64 s[30:31], s50, v6
	s_and_b64 s[36:37], vcc, s[30:31]
	s_and_saveexec_b64 s[34:35], s[36:37]
	s_cbranch_execz .LBB154_120
; %bb.119:
	global_load_ushort v6, v[2:3], off offset:3776
	s_waitcnt vmcnt(0)
	v_lshlrev_b32_e32 v8, 16, v6
.LBB154_120:
	s_or_b64 exec, exec, s[34:35]
	v_add_u32_e32 v6, 0x780, v4
	v_cmp_gt_i32_e64 s[34:35], s50, v6
	s_and_b64 s[38:39], vcc, s[34:35]
	v_mov_b32_e32 v7, 0xff800000
	v_mov_b32_e32 v11, 0xff800000
	s_and_saveexec_b64 s[36:37], s[38:39]
	s_cbranch_execz .LBB154_122
; %bb.121:
	global_load_ushort v6, v[2:3], off offset:3840
	s_waitcnt vmcnt(0)
	v_lshlrev_b32_e32 v11, 16, v6
.LBB154_122:
	s_or_b64 exec, exec, s[36:37]
	v_add_u32_e32 v6, 0x7a0, v4
	v_cmp_gt_i32_e64 s[36:37], s50, v6
	s_and_b64 s[40:41], vcc, s[36:37]
	s_and_saveexec_b64 s[38:39], s[40:41]
	s_cbranch_execz .LBB154_124
; %bb.123:
	global_load_ushort v6, v[2:3], off offset:3904
	s_waitcnt vmcnt(0)
	v_lshlrev_b32_e32 v7, 16, v6
.LBB154_124:
	s_or_b64 exec, exec, s[38:39]
	v_add_u32_e32 v6, 0x7c0, v4
	v_cmp_gt_i32_e64 s[38:39], s50, v6
	s_and_b64 s[46:47], vcc, s[38:39]
	v_mov_b32_e32 v6, 0xff800000
	v_mov_b32_e32 v9, 0xff800000
	s_and_saveexec_b64 s[40:41], s[46:47]
	s_cbranch_execz .LBB154_126
; %bb.125:
	global_load_ushort v9, v[2:3], off offset:3968
	s_waitcnt vmcnt(0)
	v_lshlrev_b32_e32 v9, 16, v9
.LBB154_126:
	s_or_b64 exec, exec, s[40:41]
	v_add_u32_e32 v4, 0x7e0, v4
	v_cmp_gt_i32_e64 s[40:41], s50, v4
	s_and_b64 s[46:47], vcc, s[40:41]
	s_and_saveexec_b64 s[50:51], s[46:47]
	s_cbranch_execz .LBB154_128
; %bb.127:
	global_load_ushort v2, v[2:3], off offset:4032
	s_waitcnt vmcnt(0)
	v_lshlrev_b32_e32 v6, 16, v2
.LBB154_128:
	s_or_b64 exec, exec, s[50:51]
	v_cmp_gt_f32_e32 vcc, v75, v42
	v_cndmask_b32_e32 v2, v42, v75, vcc
	v_cmp_gt_f32_e32 vcc, v2, v73
	v_cndmask_b32_e32 v2, v73, v2, vcc
	;; [unrolled: 2-line block ×61, first 2 shown]
	v_mbcnt_lo_u32_b32 v3, -1, 0
	v_cmp_gt_f32_e32 vcc, v2, v9
	v_mbcnt_hi_u32_b32 v3, -1, v3
	v_cndmask_b32_e32 v2, v9, v2, vcc
	v_and_b32_e32 v4, 0x60, v3
	v_cmp_gt_f32_e32 vcc, v2, v6
	v_add_u32_e32 v4, 32, v4
	v_xor_b32_e32 v36, 16, v3
	v_cndmask_b32_e32 v2, v6, v2, vcc
	v_cmp_lt_i32_e32 vcc, v36, v4
	v_cndmask_b32_e32 v36, v3, v36, vcc
	v_lshlrev_b32_e32 v36, 2, v36
	ds_bpermute_b32 v39, v36, v2
	s_mov_b32 s33, 0x3fb8aa3b
	s_mov_b32 s50, 0xc2ce8ed0
	;; [unrolled: 1-line block ×3, first 2 shown]
	s_waitcnt lgkmcnt(0)
	v_cmp_lt_f32_e32 vcc, v2, v39
	v_cndmask_b32_e32 v2, v2, v39, vcc
	v_xor_b32_e32 v39, 8, v3
	v_cmp_lt_i32_e32 vcc, v39, v4
	v_cndmask_b32_e32 v39, v3, v39, vcc
	v_lshlrev_b32_e32 v39, 2, v39
	ds_bpermute_b32 v41, v39, v2
	s_waitcnt lgkmcnt(0)
	v_cmp_lt_f32_e32 vcc, v2, v41
	v_cndmask_b32_e32 v2, v2, v41, vcc
	v_xor_b32_e32 v41, 4, v3
	v_cmp_lt_i32_e32 vcc, v41, v4
	v_cndmask_b32_e32 v41, v3, v41, vcc
	v_lshlrev_b32_e32 v41, 2, v41
	ds_bpermute_b32 v45, v41, v2
	;; [unrolled: 8-line block ×4, first 2 shown]
	s_waitcnt lgkmcnt(0)
	v_cmp_lt_f32_e32 vcc, v2, v3
	v_cndmask_b32_e32 v64, v2, v3, vcc
	v_sub_f32_e32 v2, v75, v64
	v_mul_f32_e32 v3, 0x3fb8aa3b, v2
	v_fma_f32 v4, v2, s33, -v3
	v_rndne_f32_e32 v75, v3
	v_fmac_f32_e32 v4, 0x32a5705f, v2
	v_sub_f32_e32 v3, v3, v75
	v_add_f32_e32 v3, v3, v4
	v_exp_f32_e32 v4, v3
	v_sub_f32_e32 v3, v42, v64
	v_mul_f32_e32 v42, 0x3fb8aa3b, v3
	v_cvt_i32_f32_e32 v75, v75
	v_fma_f32 v76, v3, s33, -v42
	v_rndne_f32_e32 v77, v42
	v_fmac_f32_e32 v76, 0x32a5705f, v3
	v_sub_f32_e32 v42, v42, v77
	v_add_f32_e32 v42, v42, v76
	v_exp_f32_e32 v42, v42
	v_cvt_i32_f32_e32 v76, v77
	v_ldexp_f32 v4, v4, v75
	v_cmp_ngt_f32_e32 vcc, s50, v2
	v_cndmask_b32_e32 v75, 0, v4, vcc
	v_sub_f32_e32 v4, v73, v64
	v_mul_f32_e32 v73, 0x3fb8aa3b, v4
	v_ldexp_f32 v42, v42, v76
	v_fma_f32 v76, v4, s33, -v73
	v_rndne_f32_e32 v77, v73
	v_fmac_f32_e32 v76, 0x32a5705f, v4
	v_sub_f32_e32 v73, v73, v77
	v_add_f32_e32 v76, v73, v76
	v_mov_b32_e32 v73, 0x7f800000
	v_cmp_nlt_f32_e32 vcc, s51, v2
	v_exp_f32_e32 v76, v76
	v_cvt_i32_f32_e32 v77, v77
	v_cndmask_b32_e32 v75, v73, v75, vcc
	v_cmp_ngt_f32_e32 vcc, s50, v3
	v_cndmask_b32_e32 v42, 0, v42, vcc
	v_cmp_nlt_f32_e32 vcc, s51, v3
	v_cndmask_b32_e32 v42, v73, v42, vcc
	v_sub_f32_e32 v38, v38, v64
	v_add_f32_e32 v42, v75, v42
	v_ldexp_f32 v75, v76, v77
	v_mul_f32_e32 v76, 0x3fb8aa3b, v38
	v_fma_f32 v77, v38, s33, -v76
	v_rndne_f32_e32 v78, v76
	v_fmac_f32_e32 v77, 0x32a5705f, v38
	v_sub_f32_e32 v76, v76, v78
	v_add_f32_e32 v76, v76, v77
	v_cmp_ngt_f32_e32 vcc, s50, v4
	v_cndmask_b32_e32 v75, 0, v75, vcc
	v_exp_f32_e32 v76, v76
	v_cvt_i32_f32_e32 v77, v78
	v_cmp_nlt_f32_e32 vcc, s51, v4
	v_cndmask_b32_e32 v75, v73, v75, vcc
	v_add_f32_e32 v75, v42, v75
	v_sub_f32_e32 v42, v74, v64
	v_mul_f32_e32 v74, 0x3fb8aa3b, v42
	v_ldexp_f32 v76, v76, v77
	v_fma_f32 v77, v42, s33, -v74
	v_rndne_f32_e32 v78, v74
	v_fmac_f32_e32 v77, 0x32a5705f, v42
	v_sub_f32_e32 v74, v74, v78
	v_add_f32_e32 v74, v74, v77
	v_cmp_ngt_f32_e32 vcc, s50, v38
	v_exp_f32_e32 v74, v74
	v_cvt_i32_f32_e32 v77, v78
	v_cndmask_b32_e32 v76, 0, v76, vcc
	v_cmp_nlt_f32_e32 vcc, s51, v38
	v_cndmask_b32_e32 v76, v73, v76, vcc
	v_sub_f32_e32 v44, v44, v64
	v_add_f32_e32 v75, v75, v76
	v_mul_f32_e32 v76, 0x3fb8aa3b, v44
	v_ldexp_f32 v74, v74, v77
	v_fma_f32 v77, v44, s33, -v76
	v_rndne_f32_e32 v78, v76
	v_fmac_f32_e32 v77, 0x32a5705f, v44
	v_sub_f32_e32 v76, v76, v78
	v_add_f32_e32 v76, v76, v77
	v_exp_f32_e32 v76, v76
	v_cvt_i32_f32_e32 v77, v78
	v_cmp_ngt_f32_e32 vcc, s50, v42
	v_cndmask_b32_e32 v74, 0, v74, vcc
	v_cmp_nlt_f32_e32 vcc, s51, v42
	v_cndmask_b32_e32 v74, v73, v74, vcc
	v_sub_f32_e32 v48, v48, v64
	v_add_f32_e32 v74, v75, v74
	v_ldexp_f32 v75, v76, v77
	v_mul_f32_e32 v76, 0x3fb8aa3b, v48
	v_fma_f32 v77, v48, s33, -v76
	v_rndne_f32_e32 v78, v76
	v_fmac_f32_e32 v77, 0x32a5705f, v48
	v_sub_f32_e32 v76, v76, v78
	v_add_f32_e32 v76, v76, v77
	v_exp_f32_e32 v76, v76
	v_cvt_i32_f32_e32 v77, v78
	v_cmp_ngt_f32_e32 vcc, s50, v44
	v_cndmask_b32_e32 v75, 0, v75, vcc
	v_cmp_nlt_f32_e32 vcc, s51, v44
	v_cndmask_b32_e32 v75, v73, v75, vcc
	v_sub_f32_e32 v50, v50, v64
	v_add_f32_e32 v74, v74, v75
	v_ldexp_f32 v75, v76, v77
	v_mul_f32_e32 v76, 0x3fb8aa3b, v50
	;; [unrolled: 15-line block ×57, first 2 shown]
	v_fma_f32 v77, v9, s33, -v76
	v_rndne_f32_e32 v78, v76
	v_fmac_f32_e32 v77, 0x32a5705f, v9
	v_sub_f32_e32 v76, v76, v78
	v_add_f32_e32 v76, v76, v77
	v_exp_f32_e32 v76, v76
	v_cvt_i32_f32_e32 v77, v78
	v_cmp_ngt_f32_e32 vcc, s50, v7
	v_cndmask_b32_e32 v75, 0, v75, vcc
	v_cmp_nlt_f32_e32 vcc, s51, v7
	v_sub_f32_e32 v6, v6, v64
	v_cndmask_b32_e32 v75, v73, v75, vcc
	v_mul_f32_e32 v64, 0x3fb8aa3b, v6
	v_add_f32_e32 v74, v74, v75
	v_ldexp_f32 v75, v76, v77
	v_fma_f32 v76, v6, s33, -v64
	v_rndne_f32_e32 v77, v64
	v_fmac_f32_e32 v76, 0x32a5705f, v6
	v_sub_f32_e32 v64, v64, v77
	v_add_f32_e32 v64, v64, v76
	v_exp_f32_e32 v64, v64
	v_cvt_i32_f32_e32 v76, v77
	v_cmp_ngt_f32_e32 vcc, s50, v9
	v_cndmask_b32_e32 v75, 0, v75, vcc
	v_cmp_nlt_f32_e32 vcc, s51, v9
	v_cndmask_b32_e32 v75, v73, v75, vcc
	v_ldexp_f32 v64, v64, v76
	v_cmp_ngt_f32_e32 vcc, s50, v6
	v_cndmask_b32_e32 v64, 0, v64, vcc
	v_cmp_nlt_f32_e32 vcc, s51, v6
	v_add_f32_e32 v74, v74, v75
	v_cndmask_b32_e32 v64, v73, v64, vcc
	v_add_f32_e32 v64, v74, v64
	ds_bpermute_b32 v36, v36, v64
	v_cmp_lt_i32_e32 vcc, 0, v5
	s_waitcnt lgkmcnt(0)
	v_add_f32_e32 v36, v64, v36
	ds_bpermute_b32 v39, v39, v36
	s_waitcnt lgkmcnt(0)
	v_add_f32_e32 v36, v36, v39
	ds_bpermute_b32 v39, v41, v36
	;; [unrolled: 3-line block ×4, first 2 shown]
	s_and_saveexec_b64 s[46:47], vcc
	s_cbranch_execz .LBB154_194
; %bb.129:
	s_and_b64 exec, exec, s[24:25]
	s_cbranch_execz .LBB154_194
; %bb.130:
	s_waitcnt lgkmcnt(0)
	v_add_f32_e32 v5, v36, v39
	s_mov_b32 s24, 0x800000
	v_mov_b32_e32 v36, 0x4f800000
	v_cmp_gt_f32_e32 vcc, s24, v5
	v_cndmask_b32_e32 v36, 1.0, v36, vcc
	v_mul_f32_e32 v5, v5, v36
	v_log_f32_e32 v5, v5
	s_mov_b32 s24, 0x3f317217
	v_mul_f32_e32 v36, 0x3f317217, v5
	v_fma_f32 v39, v5, s24, -v36
	v_fmac_f32_e32 v39, 0x3377d1cf, v5
	s_mov_b32 s24, 0x7f800000
	v_add_f32_e32 v36, v36, v39
	v_cmp_lt_f32_e64 s[24:25], |v5|, s24
	v_cndmask_b32_e64 v5, v5, v36, s[24:25]
	v_mov_b32_e32 v36, 0x41b17218
	v_cndmask_b32_e32 v36, 0, v36, vcc
	v_sub_f32_e32 v5, v5, v36
	v_mov_b32_e32 v36, s45
	v_add_co_u32_e32 v0, vcc, s44, v0
	v_addc_co_u32_e32 v1, vcc, v36, v1, vcc
	v_sub_f32_e32 v36, v2, v5
	v_bfe_u32 v2, v36, 16, 1
	s_movk_i32 s24, 0x7fff
	v_add3_u32 v2, v36, v2, s24
	v_lshrrev_b32_e32 v39, 16, v2
	v_mov_b32_e32 v2, 0x7fc0
	v_cmp_o_f32_e32 vcc, v36, v36
	v_cndmask_b32_e32 v36, v2, v39, vcc
	global_store_short v[0:1], v36, off
	s_and_b64 exec, exec, s[42:43]
	s_cbranch_execz .LBB154_194
; %bb.131:
	v_sub_f32_e32 v3, v3, v5
	v_bfe_u32 v36, v3, 16, 1
	v_add3_u32 v36, v3, v36, s24
	v_lshrrev_b32_e32 v36, 16, v36
	v_cmp_o_f32_e32 vcc, v3, v3
	v_cndmask_b32_e32 v2, v2, v36, vcc
	global_store_short v[0:1], v2, off offset:64
	s_and_b64 exec, exec, s[0:1]
	s_cbranch_execz .LBB154_194
; %bb.132:
	v_sub_f32_e32 v3, v4, v5
	v_bfe_u32 v2, v3, 16, 1
	s_movk_i32 s0, 0x7fff
	v_add3_u32 v2, v3, v2, s0
	v_lshrrev_b32_e32 v4, 16, v2
	v_mov_b32_e32 v2, 0x7fc0
	v_cmp_o_f32_e32 vcc, v3, v3
	v_cndmask_b32_e32 v3, v2, v4, vcc
	global_store_short v[0:1], v3, off offset:128
	s_and_b64 exec, exec, s[2:3]
	s_cbranch_execz .LBB154_194
; %bb.133:
	v_sub_f32_e32 v3, v38, v5
	v_bfe_u32 v4, v3, 16, 1
	v_add3_u32 v4, v3, v4, s0
	v_lshrrev_b32_e32 v4, 16, v4
	v_cmp_o_f32_e32 vcc, v3, v3
	v_readlane_b32 s0, v79, 0
	v_cndmask_b32_e32 v2, v2, v4, vcc
	v_readlane_b32 s1, v79, 1
	global_store_short v[0:1], v2, off offset:192
	s_and_b64 exec, exec, s[0:1]
	s_cbranch_execz .LBB154_194
; %bb.134:
	v_sub_f32_e32 v3, v42, v5
	v_bfe_u32 v2, v3, 16, 1
	s_movk_i32 s0, 0x7fff
	v_add3_u32 v2, v3, v2, s0
	v_lshrrev_b32_e32 v4, 16, v2
	v_mov_b32_e32 v2, 0x7fc0
	v_cmp_o_f32_e32 vcc, v3, v3
	v_readlane_b32 s2, v79, 2
	v_cndmask_b32_e32 v3, v2, v4, vcc
	v_readlane_b32 s3, v79, 3
	global_store_short v[0:1], v3, off offset:256
	s_and_b64 exec, exec, s[2:3]
	s_cbranch_execz .LBB154_194
; %bb.135:
	v_sub_f32_e32 v3, v44, v5
	v_bfe_u32 v4, v3, 16, 1
	v_add3_u32 v4, v3, v4, s0
	v_lshrrev_b32_e32 v4, 16, v4
	v_cmp_o_f32_e32 vcc, v3, v3
	v_readlane_b32 s0, v79, 4
	v_cndmask_b32_e32 v2, v2, v4, vcc
	v_readlane_b32 s1, v79, 5
	global_store_short v[0:1], v2, off offset:320
	s_and_b64 exec, exec, s[0:1]
	s_cbranch_execz .LBB154_194
; %bb.136:
	v_sub_f32_e32 v3, v48, v5
	v_bfe_u32 v2, v3, 16, 1
	s_movk_i32 s0, 0x7fff
	v_add3_u32 v2, v3, v2, s0
	v_lshrrev_b32_e32 v4, 16, v2
	v_mov_b32_e32 v2, 0x7fc0
	v_cmp_o_f32_e32 vcc, v3, v3
	v_readlane_b32 s2, v79, 6
	v_cndmask_b32_e32 v3, v2, v4, vcc
	v_readlane_b32 s3, v79, 7
	;; [unrolled: 26-line block ×9, first 2 shown]
	global_store_short v[0:1], v3, off offset:1280
	s_and_b64 exec, exec, s[2:3]
	s_cbranch_execz .LBB154_194
; %bb.151:
	v_sub_f32_e32 v3, v59, v5
	v_bfe_u32 v4, v3, 16, 1
	v_add3_u32 v4, v3, v4, s0
	v_lshrrev_b32_e32 v4, 16, v4
	v_cmp_o_f32_e32 vcc, v3, v3
	v_readlane_b32 s0, v79, 36
	v_cndmask_b32_e32 v2, v2, v4, vcc
	v_readlane_b32 s1, v79, 37
	global_store_short v[0:1], v2, off offset:1344
	s_and_b64 exec, exec, s[0:1]
	s_cbranch_execz .LBB154_194
; %bb.152:
	v_sub_f32_e32 v3, v69, v5
	v_bfe_u32 v2, v3, 16, 1
	s_movk_i32 s0, 0x7fff
	v_add3_u32 v2, v3, v2, s0
	v_lshrrev_b32_e32 v4, 16, v2
	v_mov_b32_e32 v2, 0x7fc0
	v_cmp_o_f32_e32 vcc, v3, v3
	v_cndmask_b32_e32 v3, v2, v4, vcc
	global_store_short v[0:1], v3, off offset:1408
	s_and_b64 exec, exec, s[48:49]
	s_cbranch_execz .LBB154_194
; %bb.153:
	v_sub_f32_e32 v3, v56, v5
	v_bfe_u32 v4, v3, 16, 1
	v_add3_u32 v4, v3, v4, s0
	v_lshrrev_b32_e32 v4, 16, v4
	v_cmp_o_f32_e32 vcc, v3, v3
	v_readlane_b32 s0, v79, 38
	v_cndmask_b32_e32 v2, v2, v4, vcc
	v_readlane_b32 s1, v79, 39
	global_store_short v[0:1], v2, off offset:1472
	s_and_b64 exec, exec, s[0:1]
	s_cbranch_execz .LBB154_194
; %bb.154:
	v_sub_f32_e32 v3, v66, v5
	v_bfe_u32 v2, v3, 16, 1
	s_movk_i32 s0, 0x7fff
	v_add3_u32 v2, v3, v2, s0
	v_lshrrev_b32_e32 v4, 16, v2
	v_mov_b32_e32 v2, 0x7fc0
	v_cmp_o_f32_e32 vcc, v3, v3
	v_cndmask_b32_e32 v3, v2, v4, vcc
	global_store_short v[0:1], v3, off offset:1536
	s_and_b64 exec, exec, s[4:5]
	s_cbranch_execz .LBB154_194
; %bb.155:
	v_sub_f32_e32 v3, v53, v5
	v_bfe_u32 v4, v3, 16, 1
	v_add3_u32 v4, v3, v4, s0
	v_lshrrev_b32_e32 v4, 16, v4
	v_cmp_o_f32_e32 vcc, v3, v3
	v_cndmask_b32_e32 v2, v2, v4, vcc
	global_store_short v[0:1], v2, off offset:1600
	s_and_b64 exec, exec, s[52:53]
	s_cbranch_execz .LBB154_194
; %bb.156:
	v_sub_f32_e32 v3, v60, v5
	v_bfe_u32 v2, v3, 16, 1
	v_add3_u32 v2, v3, v2, s0
	v_lshrrev_b32_e32 v4, 16, v2
	v_mov_b32_e32 v2, 0x7fc0
	v_cmp_o_f32_e32 vcc, v3, v3
	v_cndmask_b32_e32 v3, v2, v4, vcc
	global_store_short v[0:1], v3, off offset:1664
	s_and_b64 exec, exec, s[54:55]
	s_cbranch_execz .LBB154_194
; %bb.157:
	v_sub_f32_e32 v3, v49, v5
	v_bfe_u32 v4, v3, 16, 1
	v_add3_u32 v4, v3, v4, s0
	v_lshrrev_b32_e32 v4, 16, v4
	v_cmp_o_f32_e32 vcc, v3, v3
	v_cndmask_b32_e32 v2, v2, v4, vcc
	global_store_short v[0:1], v2, off offset:1728
	s_and_b64 exec, exec, s[56:57]
	s_cbranch_execz .LBB154_194
; %bb.158:
	v_sub_f32_e32 v3, v55, v5
	v_bfe_u32 v2, v3, 16, 1
	;; [unrolled: 21-line block ×19, first 2 shown]
	v_add3_u32 v2, v3, v2, s0
	v_lshrrev_b32_e32 v4, 16, v2
	v_mov_b32_e32 v2, 0x7fc0
	v_cmp_o_f32_e32 vcc, v3, v3
	v_cndmask_b32_e32 v3, v2, v4, vcc
	global_store_short v[0:1], v3, off offset:3968
	s_and_b64 exec, exec, s[40:41]
	s_cbranch_execz .LBB154_194
; %bb.193:
	v_sub_f32_e32 v3, v6, v5
	v_bfe_u32 v4, v3, 16, 1
	v_add3_u32 v4, v3, v4, s0
	v_lshrrev_b32_e32 v4, 16, v4
	v_cmp_o_f32_e32 vcc, v3, v3
	v_cndmask_b32_e32 v2, v2, v4, vcc
	global_store_short v[0:1], v2, off offset:4032
.LBB154_194:
	s_endpgm
	.section	.rodata,"a",@progbits
	.p2align	6, 0x0
	.amdhsa_kernel _ZN12_GLOBAL__N_120softmax_warp_forwardIN3c108BFloat16ES2_fLi11ELb1ELb0ELi32EEEvPT0_PKT_iiiPKbib
		.amdhsa_group_segment_fixed_size 0
		.amdhsa_private_segment_fixed_size 0
		.amdhsa_kernarg_size 304
		.amdhsa_user_sgpr_count 6
		.amdhsa_user_sgpr_private_segment_buffer 1
		.amdhsa_user_sgpr_dispatch_ptr 0
		.amdhsa_user_sgpr_queue_ptr 0
		.amdhsa_user_sgpr_kernarg_segment_ptr 1
		.amdhsa_user_sgpr_dispatch_id 0
		.amdhsa_user_sgpr_flat_scratch_init 0
		.amdhsa_user_sgpr_kernarg_preload_length 0
		.amdhsa_user_sgpr_kernarg_preload_offset 0
		.amdhsa_user_sgpr_private_segment_size 0
		.amdhsa_uses_dynamic_stack 0
		.amdhsa_system_sgpr_private_segment_wavefront_offset 0
		.amdhsa_system_sgpr_workgroup_id_x 1
		.amdhsa_system_sgpr_workgroup_id_y 0
		.amdhsa_system_sgpr_workgroup_id_z 0
		.amdhsa_system_sgpr_workgroup_info 0
		.amdhsa_system_vgpr_workitem_id 1
		.amdhsa_next_free_vgpr 80
		.amdhsa_next_free_sgpr 96
		.amdhsa_accum_offset 80
		.amdhsa_reserve_vcc 1
		.amdhsa_reserve_flat_scratch 0
		.amdhsa_float_round_mode_32 0
		.amdhsa_float_round_mode_16_64 0
		.amdhsa_float_denorm_mode_32 3
		.amdhsa_float_denorm_mode_16_64 3
		.amdhsa_dx10_clamp 1
		.amdhsa_ieee_mode 1
		.amdhsa_fp16_overflow 0
		.amdhsa_tg_split 0
		.amdhsa_exception_fp_ieee_invalid_op 0
		.amdhsa_exception_fp_denorm_src 0
		.amdhsa_exception_fp_ieee_div_zero 0
		.amdhsa_exception_fp_ieee_overflow 0
		.amdhsa_exception_fp_ieee_underflow 0
		.amdhsa_exception_fp_ieee_inexact 0
		.amdhsa_exception_int_div_zero 0
	.end_amdhsa_kernel
	.section	.text._ZN12_GLOBAL__N_120softmax_warp_forwardIN3c108BFloat16ES2_fLi11ELb1ELb0ELi32EEEvPT0_PKT_iiiPKbib,"axG",@progbits,_ZN12_GLOBAL__N_120softmax_warp_forwardIN3c108BFloat16ES2_fLi11ELb1ELb0ELi32EEEvPT0_PKT_iiiPKbib,comdat
.Lfunc_end154:
	.size	_ZN12_GLOBAL__N_120softmax_warp_forwardIN3c108BFloat16ES2_fLi11ELb1ELb0ELi32EEEvPT0_PKT_iiiPKbib, .Lfunc_end154-_ZN12_GLOBAL__N_120softmax_warp_forwardIN3c108BFloat16ES2_fLi11ELb1ELb0ELi32EEEvPT0_PKT_iiiPKbib
                                        ; -- End function
	.section	.AMDGPU.csdata,"",@progbits
; Kernel info:
; codeLenInByte = 13496
; NumSgprs: 100
; NumVgprs: 80
; NumAgprs: 0
; TotalNumVgprs: 80
; ScratchSize: 0
; MemoryBound: 0
; FloatMode: 240
; IeeeMode: 1
; LDSByteSize: 0 bytes/workgroup (compile time only)
; SGPRBlocks: 12
; VGPRBlocks: 9
; NumSGPRsForWavesPerEU: 100
; NumVGPRsForWavesPerEU: 80
; AccumOffset: 80
; Occupancy: 6
; WaveLimiterHint : 0
; COMPUTE_PGM_RSRC2:SCRATCH_EN: 0
; COMPUTE_PGM_RSRC2:USER_SGPR: 6
; COMPUTE_PGM_RSRC2:TRAP_HANDLER: 0
; COMPUTE_PGM_RSRC2:TGID_X_EN: 1
; COMPUTE_PGM_RSRC2:TGID_Y_EN: 0
; COMPUTE_PGM_RSRC2:TGID_Z_EN: 0
; COMPUTE_PGM_RSRC2:TIDIG_COMP_CNT: 1
; COMPUTE_PGM_RSRC3_GFX90A:ACCUM_OFFSET: 19
; COMPUTE_PGM_RSRC3_GFX90A:TG_SPLIT: 0
	.section	.text._ZN2at6native12_GLOBAL__N_122cunn_SoftMaxForwardRegIN3c108BFloat16EfS4_NS1_25LogSoftMaxForwardEpilogueElLi1EEEvPT1_PKT_T3_,"axG",@progbits,_ZN2at6native12_GLOBAL__N_122cunn_SoftMaxForwardRegIN3c108BFloat16EfS4_NS1_25LogSoftMaxForwardEpilogueElLi1EEEvPT1_PKT_T3_,comdat
	.globl	_ZN2at6native12_GLOBAL__N_122cunn_SoftMaxForwardRegIN3c108BFloat16EfS4_NS1_25LogSoftMaxForwardEpilogueElLi1EEEvPT1_PKT_T3_ ; -- Begin function _ZN2at6native12_GLOBAL__N_122cunn_SoftMaxForwardRegIN3c108BFloat16EfS4_NS1_25LogSoftMaxForwardEpilogueElLi1EEEvPT1_PKT_T3_
	.p2align	8
	.type	_ZN2at6native12_GLOBAL__N_122cunn_SoftMaxForwardRegIN3c108BFloat16EfS4_NS1_25LogSoftMaxForwardEpilogueElLi1EEEvPT1_PKT_T3_,@function
_ZN2at6native12_GLOBAL__N_122cunn_SoftMaxForwardRegIN3c108BFloat16EfS4_NS1_25LogSoftMaxForwardEpilogueElLi1EEEvPT1_PKT_T3_: ; @_ZN2at6native12_GLOBAL__N_122cunn_SoftMaxForwardRegIN3c108BFloat16EfS4_NS1_25LogSoftMaxForwardEpilogueElLi1EEEvPT1_PKT_T3_
; %bb.0:
	s_load_dwordx2 s[0:1], s[4:5], 0x10
	s_load_dwordx4 s[12:15], s[4:5], 0x0
	v_mov_b32_e32 v1, 0
	v_mov_b32_e32 v4, 0xff7fffff
	v_lshlrev_b32_e32 v2, 1, v0
	s_waitcnt lgkmcnt(0)
	s_mul_i32 s2, s6, s1
	s_mul_hi_u32 s3, s6, s0
	s_add_i32 s11, s3, s2
	s_mul_i32 s10, s6, s0
	v_cmp_gt_i64_e32 vcc, s[0:1], v[0:1]
	s_and_saveexec_b64 s[0:1], vcc
	s_cbranch_execz .LBB155_2
; %bb.1:
	s_lshl_b64 s[2:3], s[10:11], 1
	s_add_u32 s2, s14, s2
	s_addc_u32 s3, s15, s3
	global_load_ushort v1, v2, s[2:3]
	s_waitcnt vmcnt(0)
	v_lshlrev_b32_e32 v1, 16, v1
	v_max_f32_e32 v3, v1, v1
	v_max_f32_e32 v4, 0xff7fffff, v3
.LBB155_2:
	s_or_b64 exec, exec, s[0:1]
	v_mbcnt_lo_u32_b32 v3, -1, 0
	v_mbcnt_hi_u32_b32 v8, -1, v3
	v_and_b32_e32 v9, 63, v8
	v_cmp_gt_u32_e64 s[0:1], 32, v9
	v_cndmask_b32_e64 v3, 0, 1, s[0:1]
	v_lshlrev_b32_e32 v3, 5, v3
	v_add_lshl_u32 v3, v3, v8, 2
	ds_bpermute_b32 v5, v3, v4
	v_cmp_gt_u32_e64 s[0:1], 48, v9
	v_cndmask_b32_e64 v6, 0, 1, s[0:1]
	s_waitcnt lgkmcnt(0)
	s_barrier
	v_cmp_lt_f32_e64 s[0:1], v4, v5
	v_cndmask_b32_e64 v5, v4, v5, s[0:1]
	v_lshlrev_b32_e32 v4, 4, v6
	v_add_lshl_u32 v4, v4, v8, 2
	ds_bpermute_b32 v6, v4, v5
	s_waitcnt lgkmcnt(0)
	v_cmp_lt_f32_e64 s[0:1], v5, v6
	v_cndmask_b32_e64 v6, v5, v6, s[0:1]
	v_cmp_gt_u32_e64 s[0:1], 56, v9
	v_cndmask_b32_e64 v5, 0, 1, s[0:1]
	v_lshlrev_b32_e32 v5, 3, v5
	v_add_lshl_u32 v5, v5, v8, 2
	ds_bpermute_b32 v7, v5, v6
	s_waitcnt lgkmcnt(0)
	v_cmp_lt_f32_e64 s[0:1], v6, v7
	v_cndmask_b32_e64 v7, v6, v7, s[0:1]
	v_cmp_gt_u32_e64 s[0:1], 60, v9
	v_cndmask_b32_e64 v6, 0, 1, s[0:1]
	v_lshlrev_b32_e32 v6, 2, v6
	v_add_lshl_u32 v6, v6, v8, 2
	ds_bpermute_b32 v10, v6, v7
	s_waitcnt lgkmcnt(0)
	v_cmp_lt_f32_e64 s[0:1], v7, v10
	v_cndmask_b32_e64 v11, v7, v10, s[0:1]
	v_cmp_gt_u32_e64 s[0:1], 62, v9
	v_cndmask_b32_e64 v7, 0, 1, s[0:1]
	v_lshlrev_b32_e32 v7, 1, v7
	v_add_lshl_u32 v7, v7, v8, 2
	ds_bpermute_b32 v12, v7, v11
	v_and_b32_e32 v10, 63, v0
	s_waitcnt lgkmcnt(0)
	v_cmp_lt_f32_e64 s[0:1], v11, v12
	v_cndmask_b32_e64 v11, v11, v12, s[0:1]
	v_cmp_ne_u32_e64 s[0:1], 63, v9
	v_addc_co_u32_e64 v8, s[0:1], 0, v8, s[0:1]
	v_lshlrev_b32_e32 v8, 2, v8
	ds_bpermute_b32 v12, v8, v11
	v_cmp_eq_u32_e64 s[0:1], 0, v10
	v_lshrrev_b32_e32 v9, 4, v0
	s_and_saveexec_b64 s[2:3], s[0:1]
	s_xor_b64 s[6:7], exec, s[2:3]
	s_cbranch_execz .LBB155_4
; %bb.3:
	s_waitcnt lgkmcnt(0)
	v_cmp_lt_f32_e64 s[2:3], v11, v12
	v_add_u32_e32 v13, 0, v9
	v_cndmask_b32_e64 v11, v11, v12, s[2:3]
	ds_write_b32 v13, v11
.LBB155_4:
	s_or_b64 exec, exec, s[6:7]
	s_waitcnt lgkmcnt(0)
	s_barrier
	s_load_dword s2, s[4:5], 0x24
	v_mov_b32_e32 v11, 0xff7fffff
	v_lshl_add_u32 v10, v10, 2, 0
	s_waitcnt lgkmcnt(0)
	s_bfe_u32 s2, s2, 0xa0006
	v_cmp_gt_u32_e64 s[2:3], s2, v0
	s_and_saveexec_b64 s[4:5], s[2:3]
	s_cbranch_execnz .LBB155_17
; %bb.5:
	s_or_b64 exec, exec, s[4:5]
	v_cmp_gt_u32_e64 s[4:5], 64, v0
	s_and_saveexec_b64 s[8:9], s[4:5]
	s_cbranch_execnz .LBB155_18
.LBB155_6:
	s_or_b64 exec, exec, s[8:9]
	v_cmp_eq_u32_e64 s[6:7], 0, v0
	s_and_saveexec_b64 s[8:9], s[6:7]
	s_cbranch_execz .LBB155_8
.LBB155_7:
	v_mov_b32_e32 v0, 0
	s_waitcnt lgkmcnt(0)
	ds_write_b32 v0, v11
.LBB155_8:
	s_or_b64 exec, exec, s[8:9]
	s_waitcnt lgkmcnt(0)
	v_mov_b32_e32 v11, 0
	s_barrier
	ds_read_b32 v0, v11
	s_mov_b32 s8, 0x3fb8aa3b
	s_waitcnt lgkmcnt(0)
	s_barrier
	v_sub_f32_e32 v0, v1, v0
	v_mul_f32_e32 v1, 0x3fb8aa3b, v0
	v_fma_f32 v12, v0, s8, -v1
	v_rndne_f32_e32 v13, v1
	v_fmac_f32_e32 v12, 0x32a5705f, v0
	v_sub_f32_e32 v1, v1, v13
	v_add_f32_e32 v1, v1, v12
	v_cvt_i32_f32_e32 v12, v13
	v_exp_f32_e32 v1, v1
	s_mov_b32 s8, 0xc2ce8ed0
	v_cmp_ngt_f32_e64 s[8:9], s8, v0
	v_ldexp_f32 v1, v1, v12
	v_cndmask_b32_e64 v1, 0, v1, s[8:9]
	s_mov_b32 s8, 0x42b17218
	v_mov_b32_e32 v12, 0x7f800000
	v_cmp_nlt_f32_e64 s[8:9], s8, v0
	v_cndmask_b32_e64 v1, v12, v1, s[8:9]
	v_cndmask_b32_e32 v1, 0, v1, vcc
	ds_bpermute_b32 v12, v3, v1
	s_waitcnt lgkmcnt(0)
	v_add_f32_e32 v1, v1, v12
	ds_bpermute_b32 v12, v4, v1
	s_waitcnt lgkmcnt(0)
	v_add_f32_e32 v1, v1, v12
	;; [unrolled: 3-line block ×5, first 2 shown]
	ds_bpermute_b32 v12, v8, v1
	s_and_saveexec_b64 s[8:9], s[0:1]
	s_cbranch_execz .LBB155_10
; %bb.9:
	v_add_u32_e32 v9, 0, v9
	s_waitcnt lgkmcnt(0)
	v_add_f32_e32 v1, v1, v12
	ds_write_b32 v9, v1
.LBB155_10:
	s_or_b64 exec, exec, s[8:9]
	s_waitcnt lgkmcnt(0)
	s_barrier
	s_and_saveexec_b64 s[0:1], s[2:3]
	s_cbranch_execnz .LBB155_19
; %bb.11:
	s_or_b64 exec, exec, s[0:1]
	s_and_saveexec_b64 s[0:1], s[4:5]
	s_cbranch_execnz .LBB155_20
.LBB155_12:
	s_or_b64 exec, exec, s[0:1]
	s_and_saveexec_b64 s[0:1], s[6:7]
	s_cbranch_execz .LBB155_14
.LBB155_13:
	v_mov_b32_e32 v1, 0
	s_waitcnt lgkmcnt(0)
	ds_write_b32 v1, v11
.LBB155_14:
	s_or_b64 exec, exec, s[0:1]
	s_waitcnt lgkmcnt(0)
	s_barrier
	s_and_saveexec_b64 s[0:1], vcc
	s_cbranch_execz .LBB155_16
; %bb.15:
	v_mov_b32_e32 v1, 0
	ds_read_b32 v1, v1
	s_mov_b32 s2, 0x800000
	v_mov_b32_e32 v3, 0x4f800000
	s_mov_b32 s4, 0x3f317217
	s_lshl_b64 s[0:1], s[10:11], 1
	s_waitcnt lgkmcnt(0)
	v_cmp_gt_f32_e32 vcc, s2, v1
	v_cndmask_b32_e32 v3, 1.0, v3, vcc
	v_mul_f32_e32 v1, v1, v3
	v_log_f32_e32 v1, v1
	s_add_u32 s2, s12, s0
	s_mov_b32 s0, 0x7f800000
	s_addc_u32 s3, s13, s1
	v_mul_f32_e32 v3, 0x3f317217, v1
	v_fma_f32 v4, v1, s4, -v3
	v_fmac_f32_e32 v4, 0x3377d1cf, v1
	v_add_f32_e32 v3, v3, v4
	v_cmp_lt_f32_e64 s[0:1], |v1|, s0
	v_cndmask_b32_e64 v1, v1, v3, s[0:1]
	v_mov_b32_e32 v3, 0x41b17218
	v_cndmask_b32_e32 v3, 0, v3, vcc
	v_sub_f32_e32 v1, v1, v3
	v_sub_f32_e32 v0, v0, v1
	v_bfe_u32 v1, v0, 16, 1
	s_movk_i32 s0, 0x7fff
	v_add3_u32 v1, v0, v1, s0
	v_lshrrev_b32_e32 v1, 16, v1
	v_mov_b32_e32 v3, 0x7fc0
	v_cmp_o_f32_e32 vcc, v0, v0
	v_cndmask_b32_e32 v0, v3, v1, vcc
	global_store_short v2, v0, s[2:3]
.LBB155_16:
	s_endpgm
.LBB155_17:
	ds_read_b32 v11, v10
	s_or_b64 exec, exec, s[4:5]
	v_cmp_gt_u32_e64 s[4:5], 64, v0
	s_and_saveexec_b64 s[8:9], s[4:5]
	s_cbranch_execz .LBB155_6
.LBB155_18:
	s_waitcnt lgkmcnt(0)
	ds_bpermute_b32 v12, v3, v11
	s_waitcnt lgkmcnt(0)
	v_cmp_lt_f32_e64 s[6:7], v11, v12
	v_cndmask_b32_e64 v11, v11, v12, s[6:7]
	ds_bpermute_b32 v12, v4, v11
	s_waitcnt lgkmcnt(0)
	v_cmp_lt_f32_e64 s[6:7], v11, v12
	v_cndmask_b32_e64 v11, v11, v12, s[6:7]
	;; [unrolled: 4-line block ×6, first 2 shown]
	s_or_b64 exec, exec, s[8:9]
	v_cmp_eq_u32_e64 s[6:7], 0, v0
	s_and_saveexec_b64 s[8:9], s[6:7]
	s_cbranch_execnz .LBB155_7
	s_branch .LBB155_8
.LBB155_19:
	ds_read_b32 v11, v10
	s_or_b64 exec, exec, s[0:1]
	s_and_saveexec_b64 s[0:1], s[4:5]
	s_cbranch_execz .LBB155_12
.LBB155_20:
	s_waitcnt lgkmcnt(0)
	ds_bpermute_b32 v1, v3, v11
	s_waitcnt lgkmcnt(0)
	v_add_f32_e32 v1, v11, v1
	ds_bpermute_b32 v3, v4, v1
	s_waitcnt lgkmcnt(0)
	v_add_f32_e32 v1, v1, v3
	ds_bpermute_b32 v3, v5, v1
	s_waitcnt lgkmcnt(0)
	v_add_f32_e32 v1, v1, v3
	ds_bpermute_b32 v3, v6, v1
	s_waitcnt lgkmcnt(0)
	v_add_f32_e32 v1, v1, v3
	ds_bpermute_b32 v3, v7, v1
	s_waitcnt lgkmcnt(0)
	v_add_f32_e32 v1, v1, v3
	ds_bpermute_b32 v3, v8, v1
	s_waitcnt lgkmcnt(0)
	v_add_f32_e32 v11, v1, v3
	s_or_b64 exec, exec, s[0:1]
	s_and_saveexec_b64 s[0:1], s[6:7]
	s_cbranch_execnz .LBB155_13
	s_branch .LBB155_14
	.section	.rodata,"a",@progbits
	.p2align	6, 0x0
	.amdhsa_kernel _ZN2at6native12_GLOBAL__N_122cunn_SoftMaxForwardRegIN3c108BFloat16EfS4_NS1_25LogSoftMaxForwardEpilogueElLi1EEEvPT1_PKT_T3_
		.amdhsa_group_segment_fixed_size 0
		.amdhsa_private_segment_fixed_size 0
		.amdhsa_kernarg_size 280
		.amdhsa_user_sgpr_count 6
		.amdhsa_user_sgpr_private_segment_buffer 1
		.amdhsa_user_sgpr_dispatch_ptr 0
		.amdhsa_user_sgpr_queue_ptr 0
		.amdhsa_user_sgpr_kernarg_segment_ptr 1
		.amdhsa_user_sgpr_dispatch_id 0
		.amdhsa_user_sgpr_flat_scratch_init 0
		.amdhsa_user_sgpr_kernarg_preload_length 0
		.amdhsa_user_sgpr_kernarg_preload_offset 0
		.amdhsa_user_sgpr_private_segment_size 0
		.amdhsa_uses_dynamic_stack 0
		.amdhsa_system_sgpr_private_segment_wavefront_offset 0
		.amdhsa_system_sgpr_workgroup_id_x 1
		.amdhsa_system_sgpr_workgroup_id_y 0
		.amdhsa_system_sgpr_workgroup_id_z 0
		.amdhsa_system_sgpr_workgroup_info 0
		.amdhsa_system_vgpr_workitem_id 0
		.amdhsa_next_free_vgpr 14
		.amdhsa_next_free_sgpr 16
		.amdhsa_accum_offset 16
		.amdhsa_reserve_vcc 1
		.amdhsa_reserve_flat_scratch 0
		.amdhsa_float_round_mode_32 0
		.amdhsa_float_round_mode_16_64 0
		.amdhsa_float_denorm_mode_32 3
		.amdhsa_float_denorm_mode_16_64 3
		.amdhsa_dx10_clamp 1
		.amdhsa_ieee_mode 1
		.amdhsa_fp16_overflow 0
		.amdhsa_tg_split 0
		.amdhsa_exception_fp_ieee_invalid_op 0
		.amdhsa_exception_fp_denorm_src 0
		.amdhsa_exception_fp_ieee_div_zero 0
		.amdhsa_exception_fp_ieee_overflow 0
		.amdhsa_exception_fp_ieee_underflow 0
		.amdhsa_exception_fp_ieee_inexact 0
		.amdhsa_exception_int_div_zero 0
	.end_amdhsa_kernel
	.section	.text._ZN2at6native12_GLOBAL__N_122cunn_SoftMaxForwardRegIN3c108BFloat16EfS4_NS1_25LogSoftMaxForwardEpilogueElLi1EEEvPT1_PKT_T3_,"axG",@progbits,_ZN2at6native12_GLOBAL__N_122cunn_SoftMaxForwardRegIN3c108BFloat16EfS4_NS1_25LogSoftMaxForwardEpilogueElLi1EEEvPT1_PKT_T3_,comdat
.Lfunc_end155:
	.size	_ZN2at6native12_GLOBAL__N_122cunn_SoftMaxForwardRegIN3c108BFloat16EfS4_NS1_25LogSoftMaxForwardEpilogueElLi1EEEvPT1_PKT_T3_, .Lfunc_end155-_ZN2at6native12_GLOBAL__N_122cunn_SoftMaxForwardRegIN3c108BFloat16EfS4_NS1_25LogSoftMaxForwardEpilogueElLi1EEEvPT1_PKT_T3_
                                        ; -- End function
	.section	.AMDGPU.csdata,"",@progbits
; Kernel info:
; codeLenInByte = 1524
; NumSgprs: 20
; NumVgprs: 14
; NumAgprs: 0
; TotalNumVgprs: 14
; ScratchSize: 0
; MemoryBound: 0
; FloatMode: 240
; IeeeMode: 1
; LDSByteSize: 0 bytes/workgroup (compile time only)
; SGPRBlocks: 2
; VGPRBlocks: 1
; NumSGPRsForWavesPerEU: 20
; NumVGPRsForWavesPerEU: 14
; AccumOffset: 16
; Occupancy: 8
; WaveLimiterHint : 0
; COMPUTE_PGM_RSRC2:SCRATCH_EN: 0
; COMPUTE_PGM_RSRC2:USER_SGPR: 6
; COMPUTE_PGM_RSRC2:TRAP_HANDLER: 0
; COMPUTE_PGM_RSRC2:TGID_X_EN: 1
; COMPUTE_PGM_RSRC2:TGID_Y_EN: 0
; COMPUTE_PGM_RSRC2:TGID_Z_EN: 0
; COMPUTE_PGM_RSRC2:TIDIG_COMP_CNT: 0
; COMPUTE_PGM_RSRC3_GFX90A:ACCUM_OFFSET: 3
; COMPUTE_PGM_RSRC3_GFX90A:TG_SPLIT: 0
	.section	.text._ZN2at6native12_GLOBAL__N_122cunn_SoftMaxForwardRegIN3c108BFloat16EfS4_NS1_25LogSoftMaxForwardEpilogueElLi2EEEvPT1_PKT_T3_,"axG",@progbits,_ZN2at6native12_GLOBAL__N_122cunn_SoftMaxForwardRegIN3c108BFloat16EfS4_NS1_25LogSoftMaxForwardEpilogueElLi2EEEvPT1_PKT_T3_,comdat
	.globl	_ZN2at6native12_GLOBAL__N_122cunn_SoftMaxForwardRegIN3c108BFloat16EfS4_NS1_25LogSoftMaxForwardEpilogueElLi2EEEvPT1_PKT_T3_ ; -- Begin function _ZN2at6native12_GLOBAL__N_122cunn_SoftMaxForwardRegIN3c108BFloat16EfS4_NS1_25LogSoftMaxForwardEpilogueElLi2EEEvPT1_PKT_T3_
	.p2align	8
	.type	_ZN2at6native12_GLOBAL__N_122cunn_SoftMaxForwardRegIN3c108BFloat16EfS4_NS1_25LogSoftMaxForwardEpilogueElLi2EEEvPT1_PKT_T3_,@function
_ZN2at6native12_GLOBAL__N_122cunn_SoftMaxForwardRegIN3c108BFloat16EfS4_NS1_25LogSoftMaxForwardEpilogueElLi2EEEvPT1_PKT_T3_: ; @_ZN2at6native12_GLOBAL__N_122cunn_SoftMaxForwardRegIN3c108BFloat16EfS4_NS1_25LogSoftMaxForwardEpilogueElLi2EEEvPT1_PKT_T3_
; %bb.0:
	s_load_dwordx2 s[0:1], s[4:5], 0x10
	s_load_dwordx4 s[12:15], s[4:5], 0x0
	s_load_dword s7, s[4:5], 0x24
	v_mov_b32_e32 v1, 0
	v_mov_b32_e32 v5, 0xff7fffff
	s_waitcnt lgkmcnt(0)
	s_mul_i32 s2, s6, s1
	s_mul_hi_u32 s3, s6, s0
	s_add_i32 s3, s3, s2
	s_mul_i32 s2, s6, s0
	s_lshl_b64 s[16:17], s[2:3], 1
	s_add_u32 s2, s14, s16
	s_addc_u32 s3, s15, s17
	v_cmp_gt_i64_e32 vcc, s[0:1], v[0:1]
	v_lshlrev_b32_e32 v2, 1, v0
	v_mov_b32_e32 v10, v1
	s_and_saveexec_b64 s[4:5], vcc
	s_cbranch_execz .LBB156_2
; %bb.1:
	global_load_ushort v3, v2, s[2:3]
	s_waitcnt vmcnt(0)
	v_lshlrev_b32_e32 v10, 16, v3
	v_max_f32_e32 v3, v10, v10
	v_max_f32_e32 v5, 0xff7fffff, v3
.LBB156_2:
	s_or_b64 exec, exec, s[4:5]
	s_and_b32 s8, 0xffff, s7
	v_add_u32_e32 v6, s8, v0
	v_mov_b32_e32 v7, v1
	v_cmp_gt_i64_e64 s[0:1], s[0:1], v[6:7]
	v_lshlrev_b32_e32 v3, 1, v6
	s_and_saveexec_b64 s[4:5], s[0:1]
	s_cbranch_execz .LBB156_4
; %bb.3:
	global_load_ushort v1, v3, s[2:3]
	v_max_f32_e32 v5, v5, v5
	s_waitcnt vmcnt(0)
	v_lshlrev_b32_e32 v1, 16, v1
	v_max_f32_e32 v4, v1, v1
	v_max_f32_e32 v5, v5, v4
.LBB156_4:
	s_or_b64 exec, exec, s[4:5]
	v_mbcnt_lo_u32_b32 v4, -1, 0
	v_mbcnt_hi_u32_b32 v9, -1, v4
	v_and_b32_e32 v11, 63, v9
	v_cmp_gt_u32_e64 s[2:3], 32, v11
	v_cndmask_b32_e64 v4, 0, 1, s[2:3]
	v_lshlrev_b32_e32 v4, 5, v4
	v_add_lshl_u32 v4, v4, v9, 2
	ds_bpermute_b32 v6, v4, v5
	v_cmp_gt_u32_e64 s[2:3], 48, v11
	v_cndmask_b32_e64 v7, 0, 1, s[2:3]
	s_waitcnt lgkmcnt(0)
	s_barrier
	v_cmp_lt_f32_e64 s[2:3], v5, v6
	v_cndmask_b32_e64 v6, v5, v6, s[2:3]
	v_lshlrev_b32_e32 v5, 4, v7
	v_add_lshl_u32 v5, v5, v9, 2
	ds_bpermute_b32 v7, v5, v6
	s_waitcnt lgkmcnt(0)
	v_cmp_lt_f32_e64 s[2:3], v6, v7
	v_cndmask_b32_e64 v7, v6, v7, s[2:3]
	v_cmp_gt_u32_e64 s[2:3], 56, v11
	v_cndmask_b32_e64 v6, 0, 1, s[2:3]
	v_lshlrev_b32_e32 v6, 3, v6
	v_add_lshl_u32 v6, v6, v9, 2
	ds_bpermute_b32 v8, v6, v7
	s_waitcnt lgkmcnt(0)
	v_cmp_lt_f32_e64 s[2:3], v7, v8
	v_cndmask_b32_e64 v8, v7, v8, s[2:3]
	v_cmp_gt_u32_e64 s[2:3], 60, v11
	;; [unrolled: 8-line block ×3, first 2 shown]
	v_cndmask_b32_e64 v8, 0, 1, s[2:3]
	v_lshlrev_b32_e32 v8, 1, v8
	v_add_lshl_u32 v8, v8, v9, 2
	ds_bpermute_b32 v14, v8, v13
	v_and_b32_e32 v12, 63, v0
	s_waitcnt lgkmcnt(0)
	v_cmp_lt_f32_e64 s[2:3], v13, v14
	v_cndmask_b32_e64 v13, v13, v14, s[2:3]
	v_cmp_ne_u32_e64 s[2:3], 63, v11
	v_addc_co_u32_e64 v9, s[2:3], 0, v9, s[2:3]
	v_lshlrev_b32_e32 v9, 2, v9
	ds_bpermute_b32 v14, v9, v13
	v_cmp_eq_u32_e64 s[2:3], 0, v12
	v_lshrrev_b32_e32 v11, 4, v0
	s_and_saveexec_b64 s[4:5], s[2:3]
	s_xor_b64 s[6:7], exec, s[4:5]
	s_cbranch_execz .LBB156_6
; %bb.5:
	s_waitcnt lgkmcnt(0)
	v_cmp_lt_f32_e64 s[4:5], v13, v14
	v_add_u32_e32 v15, 0, v11
	v_cndmask_b32_e64 v13, v13, v14, s[4:5]
	ds_write_b32 v15, v13
.LBB156_6:
	s_or_b64 exec, exec, s[6:7]
	s_lshr_b32 s4, s8, 6
	v_cmp_gt_u32_e64 s[4:5], s4, v0
	v_mov_b32_e32 v13, 0xff7fffff
	v_lshl_add_u32 v12, v12, 2, 0
	s_waitcnt lgkmcnt(0)
	s_barrier
	s_and_saveexec_b64 s[6:7], s[4:5]
	s_cbranch_execnz .LBB156_19
; %bb.7:
	s_or_b64 exec, exec, s[6:7]
	v_cmp_gt_u32_e64 s[6:7], 64, v0
	s_and_saveexec_b64 s[10:11], s[6:7]
	s_cbranch_execnz .LBB156_20
.LBB156_8:
	s_or_b64 exec, exec, s[10:11]
	v_cmp_eq_u32_e64 s[8:9], 0, v0
	s_and_saveexec_b64 s[10:11], s[8:9]
	s_cbranch_execz .LBB156_10
.LBB156_9:
	v_mov_b32_e32 v0, 0
	s_waitcnt lgkmcnt(0)
	ds_write_b32 v0, v13
.LBB156_10:
	s_or_b64 exec, exec, s[10:11]
	s_waitcnt lgkmcnt(0)
	v_mov_b32_e32 v13, 0
	s_barrier
	ds_read_b32 v14, v13
	s_mov_b32 s14, 0x3fb8aa3b
	s_mov_b32 s15, 0xc2ce8ed0
	;; [unrolled: 1-line block ×3, first 2 shown]
	s_waitcnt lgkmcnt(0)
	v_sub_f32_e32 v0, v10, v14
	v_mul_f32_e32 v10, 0x3fb8aa3b, v0
	v_fma_f32 v15, v0, s14, -v10
	v_rndne_f32_e32 v16, v10
	v_sub_f32_e32 v1, v1, v14
	v_fmac_f32_e32 v15, 0x32a5705f, v0
	v_sub_f32_e32 v10, v10, v16
	v_mul_f32_e32 v14, 0x3fb8aa3b, v1
	v_add_f32_e32 v10, v10, v15
	v_cvt_i32_f32_e32 v15, v16
	v_fma_f32 v16, v1, s14, -v14
	v_rndne_f32_e32 v17, v14
	v_exp_f32_e32 v10, v10
	v_fmac_f32_e32 v16, 0x32a5705f, v1
	v_sub_f32_e32 v14, v14, v17
	v_add_f32_e32 v14, v14, v16
	v_exp_f32_e32 v14, v14
	v_cvt_i32_f32_e32 v16, v17
	v_ldexp_f32 v10, v10, v15
	v_cmp_ngt_f32_e64 s[10:11], s15, v0
	v_cndmask_b32_e64 v10, 0, v10, s[10:11]
	v_mov_b32_e32 v15, 0x7f800000
	v_cmp_nlt_f32_e64 s[10:11], s18, v0
	v_cndmask_b32_e64 v10, v15, v10, s[10:11]
	v_ldexp_f32 v14, v14, v16
	v_cmp_ngt_f32_e64 s[10:11], s15, v1
	v_cndmask_b32_e64 v14, 0, v14, s[10:11]
	v_cmp_nlt_f32_e64 s[10:11], s18, v1
	v_cndmask_b32_e32 v10, 0, v10, vcc
	v_cndmask_b32_e64 v14, v15, v14, s[10:11]
	v_add_f32_e32 v14, v10, v14
	v_cndmask_b32_e64 v10, v10, v14, s[0:1]
	ds_bpermute_b32 v14, v4, v10
	s_barrier
	s_waitcnt lgkmcnt(0)
	v_add_f32_e32 v10, v10, v14
	ds_bpermute_b32 v14, v5, v10
	s_waitcnt lgkmcnt(0)
	v_add_f32_e32 v10, v10, v14
	ds_bpermute_b32 v14, v6, v10
	;; [unrolled: 3-line block ×5, first 2 shown]
	s_and_saveexec_b64 s[10:11], s[2:3]
	s_cbranch_execz .LBB156_12
; %bb.11:
	v_add_u32_e32 v11, 0, v11
	s_waitcnt lgkmcnt(0)
	v_add_f32_e32 v10, v10, v14
	ds_write_b32 v11, v10
.LBB156_12:
	s_or_b64 exec, exec, s[10:11]
	s_waitcnt lgkmcnt(0)
	s_barrier
	s_and_saveexec_b64 s[2:3], s[4:5]
	s_cbranch_execnz .LBB156_21
; %bb.13:
	s_or_b64 exec, exec, s[2:3]
	s_and_saveexec_b64 s[2:3], s[6:7]
	s_cbranch_execnz .LBB156_22
.LBB156_14:
	s_or_b64 exec, exec, s[2:3]
	s_and_saveexec_b64 s[2:3], s[8:9]
	s_cbranch_execz .LBB156_16
.LBB156_15:
	v_mov_b32_e32 v4, 0
	s_waitcnt lgkmcnt(0)
	ds_write_b32 v4, v13
.LBB156_16:
	s_or_b64 exec, exec, s[2:3]
	v_mov_b32_e32 v4, 0
	s_waitcnt lgkmcnt(0)
	s_barrier
	ds_read_b32 v4, v4
	s_mov_b32 s2, 0x800000
	v_mov_b32_e32 v5, 0x4f800000
	s_mov_b32 s4, 0x3f317217
	s_add_u32 s6, s12, s16
	s_waitcnt lgkmcnt(0)
	v_cmp_gt_f32_e64 s[2:3], s2, v4
	v_cndmask_b32_e64 v5, 1.0, v5, s[2:3]
	v_mul_f32_e32 v4, v4, v5
	v_log_f32_e32 v4, v4
	s_addc_u32 s7, s13, s17
	v_mul_f32_e32 v5, 0x3f317217, v4
	v_fma_f32 v6, v4, s4, -v5
	v_fmac_f32_e32 v6, 0x3377d1cf, v4
	s_mov_b32 s4, 0x7f800000
	v_add_f32_e32 v5, v5, v6
	v_cmp_lt_f32_e64 s[4:5], |v4|, s4
	v_cndmask_b32_e64 v4, v4, v5, s[4:5]
	v_mov_b32_e32 v5, 0x41b17218
	v_cndmask_b32_e64 v5, 0, v5, s[2:3]
	v_sub_f32_e32 v4, v4, v5
	s_and_saveexec_b64 s[2:3], vcc
	s_cbranch_execnz .LBB156_23
; %bb.17:
	s_or_b64 exec, exec, s[2:3]
	s_and_saveexec_b64 s[2:3], s[0:1]
	s_cbranch_execnz .LBB156_24
.LBB156_18:
	s_endpgm
.LBB156_19:
	ds_read_b32 v13, v12
	s_or_b64 exec, exec, s[6:7]
	v_cmp_gt_u32_e64 s[6:7], 64, v0
	s_and_saveexec_b64 s[10:11], s[6:7]
	s_cbranch_execz .LBB156_8
.LBB156_20:
	s_waitcnt lgkmcnt(0)
	ds_bpermute_b32 v14, v4, v13
	s_waitcnt lgkmcnt(0)
	v_cmp_lt_f32_e64 s[8:9], v13, v14
	v_cndmask_b32_e64 v13, v13, v14, s[8:9]
	ds_bpermute_b32 v14, v5, v13
	s_waitcnt lgkmcnt(0)
	v_cmp_lt_f32_e64 s[8:9], v13, v14
	v_cndmask_b32_e64 v13, v13, v14, s[8:9]
	ds_bpermute_b32 v14, v6, v13
	s_waitcnt lgkmcnt(0)
	v_cmp_lt_f32_e64 s[8:9], v13, v14
	v_cndmask_b32_e64 v13, v13, v14, s[8:9]
	ds_bpermute_b32 v14, v7, v13
	s_waitcnt lgkmcnt(0)
	v_cmp_lt_f32_e64 s[8:9], v13, v14
	v_cndmask_b32_e64 v13, v13, v14, s[8:9]
	ds_bpermute_b32 v14, v8, v13
	s_waitcnt lgkmcnt(0)
	v_cmp_lt_f32_e64 s[8:9], v13, v14
	v_cndmask_b32_e64 v13, v13, v14, s[8:9]
	ds_bpermute_b32 v14, v9, v13
	s_waitcnt lgkmcnt(0)
	v_cmp_lt_f32_e64 s[8:9], v13, v14
	v_cndmask_b32_e64 v13, v13, v14, s[8:9]
	s_or_b64 exec, exec, s[10:11]
	v_cmp_eq_u32_e64 s[8:9], 0, v0
	s_and_saveexec_b64 s[10:11], s[8:9]
	s_cbranch_execnz .LBB156_9
	s_branch .LBB156_10
.LBB156_21:
	ds_read_b32 v13, v12
	s_or_b64 exec, exec, s[2:3]
	s_and_saveexec_b64 s[2:3], s[6:7]
	s_cbranch_execz .LBB156_14
.LBB156_22:
	s_waitcnt lgkmcnt(0)
	ds_bpermute_b32 v4, v4, v13
	s_waitcnt lgkmcnt(0)
	v_add_f32_e32 v4, v13, v4
	ds_bpermute_b32 v5, v5, v4
	s_waitcnt lgkmcnt(0)
	v_add_f32_e32 v4, v4, v5
	;; [unrolled: 3-line block ×6, first 2 shown]
	s_or_b64 exec, exec, s[2:3]
	s_and_saveexec_b64 s[2:3], s[8:9]
	s_cbranch_execnz .LBB156_15
	s_branch .LBB156_16
.LBB156_23:
	v_sub_f32_e32 v0, v0, v4
	v_bfe_u32 v5, v0, 16, 1
	s_movk_i32 s4, 0x7fff
	v_add3_u32 v5, v0, v5, s4
	v_lshrrev_b32_e32 v5, 16, v5
	v_mov_b32_e32 v6, 0x7fc0
	v_cmp_o_f32_e32 vcc, v0, v0
	v_cndmask_b32_e32 v0, v6, v5, vcc
	global_store_short v2, v0, s[6:7]
	s_or_b64 exec, exec, s[2:3]
	s_and_saveexec_b64 s[2:3], s[0:1]
	s_cbranch_execz .LBB156_18
.LBB156_24:
	v_sub_f32_e32 v0, v1, v4
	v_bfe_u32 v1, v0, 16, 1
	s_movk_i32 s0, 0x7fff
	v_add3_u32 v1, v0, v1, s0
	v_lshrrev_b32_e32 v1, 16, v1
	v_mov_b32_e32 v2, 0x7fc0
	v_cmp_o_f32_e32 vcc, v0, v0
	v_cndmask_b32_e32 v0, v2, v1, vcc
	global_store_short v3, v0, s[6:7]
	s_endpgm
	.section	.rodata,"a",@progbits
	.p2align	6, 0x0
	.amdhsa_kernel _ZN2at6native12_GLOBAL__N_122cunn_SoftMaxForwardRegIN3c108BFloat16EfS4_NS1_25LogSoftMaxForwardEpilogueElLi2EEEvPT1_PKT_T3_
		.amdhsa_group_segment_fixed_size 0
		.amdhsa_private_segment_fixed_size 0
		.amdhsa_kernarg_size 280
		.amdhsa_user_sgpr_count 6
		.amdhsa_user_sgpr_private_segment_buffer 1
		.amdhsa_user_sgpr_dispatch_ptr 0
		.amdhsa_user_sgpr_queue_ptr 0
		.amdhsa_user_sgpr_kernarg_segment_ptr 1
		.amdhsa_user_sgpr_dispatch_id 0
		.amdhsa_user_sgpr_flat_scratch_init 0
		.amdhsa_user_sgpr_kernarg_preload_length 0
		.amdhsa_user_sgpr_kernarg_preload_offset 0
		.amdhsa_user_sgpr_private_segment_size 0
		.amdhsa_uses_dynamic_stack 0
		.amdhsa_system_sgpr_private_segment_wavefront_offset 0
		.amdhsa_system_sgpr_workgroup_id_x 1
		.amdhsa_system_sgpr_workgroup_id_y 0
		.amdhsa_system_sgpr_workgroup_id_z 0
		.amdhsa_system_sgpr_workgroup_info 0
		.amdhsa_system_vgpr_workitem_id 0
		.amdhsa_next_free_vgpr 18
		.amdhsa_next_free_sgpr 19
		.amdhsa_accum_offset 20
		.amdhsa_reserve_vcc 1
		.amdhsa_reserve_flat_scratch 0
		.amdhsa_float_round_mode_32 0
		.amdhsa_float_round_mode_16_64 0
		.amdhsa_float_denorm_mode_32 3
		.amdhsa_float_denorm_mode_16_64 3
		.amdhsa_dx10_clamp 1
		.amdhsa_ieee_mode 1
		.amdhsa_fp16_overflow 0
		.amdhsa_tg_split 0
		.amdhsa_exception_fp_ieee_invalid_op 0
		.amdhsa_exception_fp_denorm_src 0
		.amdhsa_exception_fp_ieee_div_zero 0
		.amdhsa_exception_fp_ieee_overflow 0
		.amdhsa_exception_fp_ieee_underflow 0
		.amdhsa_exception_fp_ieee_inexact 0
		.amdhsa_exception_int_div_zero 0
	.end_amdhsa_kernel
	.section	.text._ZN2at6native12_GLOBAL__N_122cunn_SoftMaxForwardRegIN3c108BFloat16EfS4_NS1_25LogSoftMaxForwardEpilogueElLi2EEEvPT1_PKT_T3_,"axG",@progbits,_ZN2at6native12_GLOBAL__N_122cunn_SoftMaxForwardRegIN3c108BFloat16EfS4_NS1_25LogSoftMaxForwardEpilogueElLi2EEEvPT1_PKT_T3_,comdat
.Lfunc_end156:
	.size	_ZN2at6native12_GLOBAL__N_122cunn_SoftMaxForwardRegIN3c108BFloat16EfS4_NS1_25LogSoftMaxForwardEpilogueElLi2EEEvPT1_PKT_T3_, .Lfunc_end156-_ZN2at6native12_GLOBAL__N_122cunn_SoftMaxForwardRegIN3c108BFloat16EfS4_NS1_25LogSoftMaxForwardEpilogueElLi2EEEvPT1_PKT_T3_
                                        ; -- End function
	.section	.AMDGPU.csdata,"",@progbits
; Kernel info:
; codeLenInByte = 1776
; NumSgprs: 23
; NumVgprs: 18
; NumAgprs: 0
; TotalNumVgprs: 18
; ScratchSize: 0
; MemoryBound: 0
; FloatMode: 240
; IeeeMode: 1
; LDSByteSize: 0 bytes/workgroup (compile time only)
; SGPRBlocks: 2
; VGPRBlocks: 2
; NumSGPRsForWavesPerEU: 23
; NumVGPRsForWavesPerEU: 18
; AccumOffset: 20
; Occupancy: 8
; WaveLimiterHint : 0
; COMPUTE_PGM_RSRC2:SCRATCH_EN: 0
; COMPUTE_PGM_RSRC2:USER_SGPR: 6
; COMPUTE_PGM_RSRC2:TRAP_HANDLER: 0
; COMPUTE_PGM_RSRC2:TGID_X_EN: 1
; COMPUTE_PGM_RSRC2:TGID_Y_EN: 0
; COMPUTE_PGM_RSRC2:TGID_Z_EN: 0
; COMPUTE_PGM_RSRC2:TIDIG_COMP_CNT: 0
; COMPUTE_PGM_RSRC3_GFX90A:ACCUM_OFFSET: 4
; COMPUTE_PGM_RSRC3_GFX90A:TG_SPLIT: 0
	.section	.text._ZN2at6native12_GLOBAL__N_122cunn_SoftMaxForwardRegIN3c108BFloat16EfS4_NS1_25LogSoftMaxForwardEpilogueElLi3EEEvPT1_PKT_T3_,"axG",@progbits,_ZN2at6native12_GLOBAL__N_122cunn_SoftMaxForwardRegIN3c108BFloat16EfS4_NS1_25LogSoftMaxForwardEpilogueElLi3EEEvPT1_PKT_T3_,comdat
	.globl	_ZN2at6native12_GLOBAL__N_122cunn_SoftMaxForwardRegIN3c108BFloat16EfS4_NS1_25LogSoftMaxForwardEpilogueElLi3EEEvPT1_PKT_T3_ ; -- Begin function _ZN2at6native12_GLOBAL__N_122cunn_SoftMaxForwardRegIN3c108BFloat16EfS4_NS1_25LogSoftMaxForwardEpilogueElLi3EEEvPT1_PKT_T3_
	.p2align	8
	.type	_ZN2at6native12_GLOBAL__N_122cunn_SoftMaxForwardRegIN3c108BFloat16EfS4_NS1_25LogSoftMaxForwardEpilogueElLi3EEEvPT1_PKT_T3_,@function
_ZN2at6native12_GLOBAL__N_122cunn_SoftMaxForwardRegIN3c108BFloat16EfS4_NS1_25LogSoftMaxForwardEpilogueElLi3EEEvPT1_PKT_T3_: ; @_ZN2at6native12_GLOBAL__N_122cunn_SoftMaxForwardRegIN3c108BFloat16EfS4_NS1_25LogSoftMaxForwardEpilogueElLi3EEEvPT1_PKT_T3_
; %bb.0:
	s_load_dwordx2 s[2:3], s[4:5], 0x10
	s_load_dwordx4 s[16:19], s[4:5], 0x0
	s_load_dword s7, s[4:5], 0x24
	v_mov_b32_e32 v3, 0
	v_mov_b32_e32 v1, v3
	s_waitcnt lgkmcnt(0)
	s_mul_i32 s0, s6, s3
	s_mul_hi_u32 s1, s6, s2
	s_add_i32 s1, s1, s0
	s_mul_i32 s0, s6, s2
	s_lshl_b64 s[14:15], s[0:1], 1
	s_add_u32 s4, s18, s14
	s_addc_u32 s5, s19, s15
	v_cmp_gt_i64_e32 vcc, s[2:3], v[0:1]
	v_mov_b32_e32 v7, 0xff7fffff
	v_lshlrev_b32_e32 v1, 1, v0
	v_mov_b32_e32 v12, 0
	s_and_saveexec_b64 s[0:1], vcc
	s_cbranch_execz .LBB157_2
; %bb.1:
	global_load_ushort v2, v1, s[4:5]
	s_waitcnt vmcnt(0)
	v_lshlrev_b32_e32 v12, 16, v2
	v_max_f32_e32 v2, v12, v12
	v_max_f32_e32 v7, 0xff7fffff, v2
.LBB157_2:
	s_or_b64 exec, exec, s[0:1]
	s_and_b32 s10, 0xffff, s7
	v_add_u32_e32 v2, s10, v0
	v_cmp_gt_i64_e64 s[0:1], s[2:3], v[2:3]
	v_lshlrev_b32_e32 v6, 1, v2
	s_and_saveexec_b64 s[6:7], s[0:1]
	s_cbranch_execz .LBB157_4
; %bb.3:
	global_load_ushort v3, v6, s[4:5]
	v_max_f32_e32 v5, v7, v7
	s_waitcnt vmcnt(0)
	v_lshlrev_b32_e32 v3, 16, v3
	v_max_f32_e32 v4, v3, v3
	v_max_f32_e32 v7, v5, v4
.LBB157_4:
	s_or_b64 exec, exec, s[6:7]
	v_add_u32_e32 v4, s10, v2
	v_mov_b32_e32 v5, 0
	v_cmp_gt_i64_e64 s[2:3], s[2:3], v[4:5]
	v_lshlrev_b32_e32 v2, 1, v4
	s_and_saveexec_b64 s[6:7], s[2:3]
	s_cbranch_execz .LBB157_6
; %bb.5:
	global_load_ushort v4, v2, s[4:5]
	v_max_f32_e32 v7, v7, v7
	s_waitcnt vmcnt(0)
	v_lshlrev_b32_e32 v5, 16, v4
	v_max_f32_e32 v4, v5, v5
	v_max_f32_e32 v7, v7, v4
.LBB157_6:
	s_or_b64 exec, exec, s[6:7]
	v_mbcnt_lo_u32_b32 v4, -1, 0
	v_mbcnt_hi_u32_b32 v11, -1, v4
	v_and_b32_e32 v13, 63, v11
	v_cmp_gt_u32_e64 s[4:5], 32, v13
	v_cndmask_b32_e64 v4, 0, 1, s[4:5]
	v_lshlrev_b32_e32 v4, 5, v4
	v_add_lshl_u32 v4, v4, v11, 2
	ds_bpermute_b32 v8, v4, v7
	v_cmp_gt_u32_e64 s[4:5], 48, v13
	v_cndmask_b32_e64 v9, 0, 1, s[4:5]
	s_waitcnt lgkmcnt(0)
	s_barrier
	v_cmp_lt_f32_e64 s[4:5], v7, v8
	v_cndmask_b32_e64 v8, v7, v8, s[4:5]
	v_lshlrev_b32_e32 v7, 4, v9
	v_add_lshl_u32 v7, v7, v11, 2
	ds_bpermute_b32 v9, v7, v8
	s_waitcnt lgkmcnt(0)
	v_cmp_lt_f32_e64 s[4:5], v8, v9
	v_cndmask_b32_e64 v9, v8, v9, s[4:5]
	v_cmp_gt_u32_e64 s[4:5], 56, v13
	v_cndmask_b32_e64 v8, 0, 1, s[4:5]
	v_lshlrev_b32_e32 v8, 3, v8
	v_add_lshl_u32 v8, v8, v11, 2
	ds_bpermute_b32 v10, v8, v9
	s_waitcnt lgkmcnt(0)
	v_cmp_lt_f32_e64 s[4:5], v9, v10
	v_cndmask_b32_e64 v10, v9, v10, s[4:5]
	v_cmp_gt_u32_e64 s[4:5], 60, v13
	;; [unrolled: 8-line block ×3, first 2 shown]
	v_cndmask_b32_e64 v10, 0, 1, s[4:5]
	v_lshlrev_b32_e32 v10, 1, v10
	v_add_lshl_u32 v10, v10, v11, 2
	ds_bpermute_b32 v16, v10, v15
	v_and_b32_e32 v14, 63, v0
	s_waitcnt lgkmcnt(0)
	v_cmp_lt_f32_e64 s[4:5], v15, v16
	v_cndmask_b32_e64 v15, v15, v16, s[4:5]
	v_cmp_ne_u32_e64 s[4:5], 63, v13
	v_addc_co_u32_e64 v11, s[4:5], 0, v11, s[4:5]
	v_lshlrev_b32_e32 v11, 2, v11
	ds_bpermute_b32 v16, v11, v15
	v_cmp_eq_u32_e64 s[4:5], 0, v14
	v_lshrrev_b32_e32 v13, 4, v0
	s_and_saveexec_b64 s[6:7], s[4:5]
	s_xor_b64 s[8:9], exec, s[6:7]
	s_cbranch_execz .LBB157_8
; %bb.7:
	s_waitcnt lgkmcnt(0)
	v_cmp_lt_f32_e64 s[6:7], v15, v16
	v_add_u32_e32 v17, 0, v13
	v_cndmask_b32_e64 v15, v15, v16, s[6:7]
	ds_write_b32 v17, v15
.LBB157_8:
	s_or_b64 exec, exec, s[8:9]
	s_lshr_b32 s6, s10, 6
	v_cmp_gt_u32_e64 s[6:7], s6, v0
	v_mov_b32_e32 v15, 0xff7fffff
	v_lshl_add_u32 v14, v14, 2, 0
	s_waitcnt lgkmcnt(0)
	s_barrier
	s_and_saveexec_b64 s[8:9], s[6:7]
	s_cbranch_execnz .LBB157_22
; %bb.9:
	s_or_b64 exec, exec, s[8:9]
	v_cmp_gt_u32_e64 s[8:9], 64, v0
	s_and_saveexec_b64 s[12:13], s[8:9]
	s_cbranch_execnz .LBB157_23
.LBB157_10:
	s_or_b64 exec, exec, s[12:13]
	v_cmp_eq_u32_e64 s[10:11], 0, v0
	s_and_saveexec_b64 s[12:13], s[10:11]
	s_cbranch_execz .LBB157_12
.LBB157_11:
	v_mov_b32_e32 v0, 0
	s_waitcnt lgkmcnt(0)
	ds_write_b32 v0, v15
.LBB157_12:
	s_or_b64 exec, exec, s[12:13]
	s_waitcnt lgkmcnt(0)
	v_mov_b32_e32 v15, 0
	s_barrier
	ds_read_b32 v16, v15
	s_mov_b32 s18, 0x3fb8aa3b
	s_mov_b32 s19, 0xc2ce8ed0
	;; [unrolled: 1-line block ×3, first 2 shown]
	s_waitcnt lgkmcnt(0)
	v_sub_f32_e32 v0, v12, v16
	v_mul_f32_e32 v12, 0x3fb8aa3b, v0
	v_fma_f32 v17, v0, s18, -v12
	v_rndne_f32_e32 v18, v12
	v_fmac_f32_e32 v17, 0x32a5705f, v0
	v_sub_f32_e32 v12, v12, v18
	v_sub_f32_e32 v3, v3, v16
	v_add_f32_e32 v12, v12, v17
	v_cvt_i32_f32_e32 v17, v18
	v_mul_f32_e32 v18, 0x3fb8aa3b, v3
	v_fma_f32 v19, v3, s18, -v18
	v_rndne_f32_e32 v20, v18
	v_fmac_f32_e32 v19, 0x32a5705f, v3
	v_sub_f32_e32 v18, v18, v20
	v_add_f32_e32 v18, v18, v19
	v_exp_f32_e32 v18, v18
	v_cvt_i32_f32_e32 v19, v20
	v_sub_f32_e32 v5, v5, v16
	v_exp_f32_e32 v12, v12
	v_mul_f32_e32 v16, 0x3fb8aa3b, v5
	v_ldexp_f32 v18, v18, v19
	v_fma_f32 v19, v5, s18, -v16
	v_rndne_f32_e32 v20, v16
	v_fmac_f32_e32 v19, 0x32a5705f, v5
	v_sub_f32_e32 v16, v16, v20
	v_add_f32_e32 v16, v16, v19
	v_ldexp_f32 v12, v12, v17
	v_cmp_ngt_f32_e64 s[12:13], s19, v0
	v_exp_f32_e32 v16, v16
	v_cvt_i32_f32_e32 v19, v20
	v_cndmask_b32_e64 v12, 0, v12, s[12:13]
	v_mov_b32_e32 v17, 0x7f800000
	v_cmp_nlt_f32_e64 s[12:13], s20, v0
	v_cndmask_b32_e64 v12, v17, v12, s[12:13]
	v_cmp_ngt_f32_e64 s[12:13], s19, v3
	v_cndmask_b32_e64 v18, 0, v18, s[12:13]
	v_cmp_nlt_f32_e64 s[12:13], s20, v3
	v_cndmask_b32_e32 v12, 0, v12, vcc
	v_cndmask_b32_e64 v18, v17, v18, s[12:13]
	v_ldexp_f32 v16, v16, v19
	v_cmp_ngt_f32_e64 s[12:13], s19, v5
	v_add_f32_e32 v18, v12, v18
	v_cndmask_b32_e64 v16, 0, v16, s[12:13]
	v_cmp_nlt_f32_e64 s[12:13], s20, v5
	v_cndmask_b32_e64 v12, v12, v18, s[0:1]
	v_cndmask_b32_e64 v16, v17, v16, s[12:13]
	v_add_f32_e32 v16, v12, v16
	v_cndmask_b32_e64 v12, v12, v16, s[2:3]
	ds_bpermute_b32 v16, v4, v12
	s_barrier
	s_waitcnt lgkmcnt(0)
	v_add_f32_e32 v12, v12, v16
	ds_bpermute_b32 v16, v7, v12
	s_waitcnt lgkmcnt(0)
	v_add_f32_e32 v12, v12, v16
	ds_bpermute_b32 v16, v8, v12
	;; [unrolled: 3-line block ×5, first 2 shown]
	s_and_saveexec_b64 s[12:13], s[4:5]
	s_cbranch_execz .LBB157_14
; %bb.13:
	v_add_u32_e32 v13, 0, v13
	s_waitcnt lgkmcnt(0)
	v_add_f32_e32 v12, v12, v16
	ds_write_b32 v13, v12
.LBB157_14:
	s_or_b64 exec, exec, s[12:13]
	s_waitcnt lgkmcnt(0)
	s_barrier
	s_and_saveexec_b64 s[4:5], s[6:7]
	s_cbranch_execnz .LBB157_24
; %bb.15:
	s_or_b64 exec, exec, s[4:5]
	s_and_saveexec_b64 s[4:5], s[8:9]
	s_cbranch_execnz .LBB157_25
.LBB157_16:
	s_or_b64 exec, exec, s[4:5]
	s_and_saveexec_b64 s[4:5], s[10:11]
	s_cbranch_execz .LBB157_18
.LBB157_17:
	v_mov_b32_e32 v4, 0
	s_waitcnt lgkmcnt(0)
	ds_write_b32 v4, v15
.LBB157_18:
	s_or_b64 exec, exec, s[4:5]
	v_mov_b32_e32 v4, 0
	s_waitcnt lgkmcnt(0)
	s_barrier
	ds_read_b32 v4, v4
	s_mov_b32 s4, 0x800000
	v_mov_b32_e32 v7, 0x4f800000
	s_mov_b32 s6, 0x3f317217
	s_add_u32 s8, s16, s14
	s_waitcnt lgkmcnt(0)
	v_cmp_gt_f32_e64 s[4:5], s4, v4
	v_cndmask_b32_e64 v7, 1.0, v7, s[4:5]
	v_mul_f32_e32 v4, v4, v7
	v_log_f32_e32 v4, v4
	s_addc_u32 s9, s17, s15
	v_mul_f32_e32 v7, 0x3f317217, v4
	v_fma_f32 v8, v4, s6, -v7
	v_fmac_f32_e32 v8, 0x3377d1cf, v4
	s_mov_b32 s6, 0x7f800000
	v_add_f32_e32 v7, v7, v8
	v_cmp_lt_f32_e64 s[6:7], |v4|, s6
	v_cndmask_b32_e64 v4, v4, v7, s[6:7]
	v_mov_b32_e32 v7, 0x41b17218
	v_cndmask_b32_e64 v7, 0, v7, s[4:5]
	v_sub_f32_e32 v4, v4, v7
	s_and_saveexec_b64 s[4:5], vcc
	s_cbranch_execnz .LBB157_26
; %bb.19:
	s_or_b64 exec, exec, s[4:5]
	s_and_saveexec_b64 s[4:5], s[0:1]
	s_cbranch_execnz .LBB157_27
.LBB157_20:
	s_or_b64 exec, exec, s[4:5]
	s_and_saveexec_b64 s[0:1], s[2:3]
	s_cbranch_execnz .LBB157_28
.LBB157_21:
	s_endpgm
.LBB157_22:
	ds_read_b32 v15, v14
	s_or_b64 exec, exec, s[8:9]
	v_cmp_gt_u32_e64 s[8:9], 64, v0
	s_and_saveexec_b64 s[12:13], s[8:9]
	s_cbranch_execz .LBB157_10
.LBB157_23:
	s_waitcnt lgkmcnt(0)
	ds_bpermute_b32 v16, v4, v15
	s_waitcnt lgkmcnt(0)
	v_cmp_lt_f32_e64 s[10:11], v15, v16
	v_cndmask_b32_e64 v15, v15, v16, s[10:11]
	ds_bpermute_b32 v16, v7, v15
	s_waitcnt lgkmcnt(0)
	v_cmp_lt_f32_e64 s[10:11], v15, v16
	v_cndmask_b32_e64 v15, v15, v16, s[10:11]
	;; [unrolled: 4-line block ×6, first 2 shown]
	s_or_b64 exec, exec, s[12:13]
	v_cmp_eq_u32_e64 s[10:11], 0, v0
	s_and_saveexec_b64 s[12:13], s[10:11]
	s_cbranch_execnz .LBB157_11
	s_branch .LBB157_12
.LBB157_24:
	ds_read_b32 v15, v14
	s_or_b64 exec, exec, s[4:5]
	s_and_saveexec_b64 s[4:5], s[8:9]
	s_cbranch_execz .LBB157_16
.LBB157_25:
	s_waitcnt lgkmcnt(0)
	ds_bpermute_b32 v4, v4, v15
	s_waitcnt lgkmcnt(0)
	v_add_f32_e32 v4, v15, v4
	ds_bpermute_b32 v7, v7, v4
	s_waitcnt lgkmcnt(0)
	v_add_f32_e32 v4, v4, v7
	;; [unrolled: 3-line block ×6, first 2 shown]
	s_or_b64 exec, exec, s[4:5]
	s_and_saveexec_b64 s[4:5], s[10:11]
	s_cbranch_execnz .LBB157_17
	s_branch .LBB157_18
.LBB157_26:
	v_sub_f32_e32 v0, v0, v4
	v_bfe_u32 v7, v0, 16, 1
	s_movk_i32 s6, 0x7fff
	v_add3_u32 v7, v0, v7, s6
	v_lshrrev_b32_e32 v7, 16, v7
	v_mov_b32_e32 v8, 0x7fc0
	v_cmp_o_f32_e32 vcc, v0, v0
	v_cndmask_b32_e32 v0, v8, v7, vcc
	global_store_short v1, v0, s[8:9]
	s_or_b64 exec, exec, s[4:5]
	s_and_saveexec_b64 s[4:5], s[0:1]
	s_cbranch_execz .LBB157_20
.LBB157_27:
	v_sub_f32_e32 v0, v3, v4
	v_bfe_u32 v1, v0, 16, 1
	s_movk_i32 s0, 0x7fff
	v_add3_u32 v1, v0, v1, s0
	v_lshrrev_b32_e32 v1, 16, v1
	v_mov_b32_e32 v3, 0x7fc0
	v_cmp_o_f32_e32 vcc, v0, v0
	v_cndmask_b32_e32 v0, v3, v1, vcc
	global_store_short v6, v0, s[8:9]
	s_or_b64 exec, exec, s[4:5]
	s_and_saveexec_b64 s[0:1], s[2:3]
	s_cbranch_execz .LBB157_21
.LBB157_28:
	v_sub_f32_e32 v0, v5, v4
	v_bfe_u32 v1, v0, 16, 1
	s_movk_i32 s0, 0x7fff
	v_add3_u32 v1, v0, v1, s0
	v_lshrrev_b32_e32 v1, 16, v1
	v_mov_b32_e32 v3, 0x7fc0
	v_cmp_o_f32_e32 vcc, v0, v0
	v_cndmask_b32_e32 v0, v3, v1, vcc
	global_store_short v2, v0, s[8:9]
	s_endpgm
	.section	.rodata,"a",@progbits
	.p2align	6, 0x0
	.amdhsa_kernel _ZN2at6native12_GLOBAL__N_122cunn_SoftMaxForwardRegIN3c108BFloat16EfS4_NS1_25LogSoftMaxForwardEpilogueElLi3EEEvPT1_PKT_T3_
		.amdhsa_group_segment_fixed_size 0
		.amdhsa_private_segment_fixed_size 0
		.amdhsa_kernarg_size 280
		.amdhsa_user_sgpr_count 6
		.amdhsa_user_sgpr_private_segment_buffer 1
		.amdhsa_user_sgpr_dispatch_ptr 0
		.amdhsa_user_sgpr_queue_ptr 0
		.amdhsa_user_sgpr_kernarg_segment_ptr 1
		.amdhsa_user_sgpr_dispatch_id 0
		.amdhsa_user_sgpr_flat_scratch_init 0
		.amdhsa_user_sgpr_kernarg_preload_length 0
		.amdhsa_user_sgpr_kernarg_preload_offset 0
		.amdhsa_user_sgpr_private_segment_size 0
		.amdhsa_uses_dynamic_stack 0
		.amdhsa_system_sgpr_private_segment_wavefront_offset 0
		.amdhsa_system_sgpr_workgroup_id_x 1
		.amdhsa_system_sgpr_workgroup_id_y 0
		.amdhsa_system_sgpr_workgroup_id_z 0
		.amdhsa_system_sgpr_workgroup_info 0
		.amdhsa_system_vgpr_workitem_id 0
		.amdhsa_next_free_vgpr 21
		.amdhsa_next_free_sgpr 21
		.amdhsa_accum_offset 24
		.amdhsa_reserve_vcc 1
		.amdhsa_reserve_flat_scratch 0
		.amdhsa_float_round_mode_32 0
		.amdhsa_float_round_mode_16_64 0
		.amdhsa_float_denorm_mode_32 3
		.amdhsa_float_denorm_mode_16_64 3
		.amdhsa_dx10_clamp 1
		.amdhsa_ieee_mode 1
		.amdhsa_fp16_overflow 0
		.amdhsa_tg_split 0
		.amdhsa_exception_fp_ieee_invalid_op 0
		.amdhsa_exception_fp_denorm_src 0
		.amdhsa_exception_fp_ieee_div_zero 0
		.amdhsa_exception_fp_ieee_overflow 0
		.amdhsa_exception_fp_ieee_underflow 0
		.amdhsa_exception_fp_ieee_inexact 0
		.amdhsa_exception_int_div_zero 0
	.end_amdhsa_kernel
	.section	.text._ZN2at6native12_GLOBAL__N_122cunn_SoftMaxForwardRegIN3c108BFloat16EfS4_NS1_25LogSoftMaxForwardEpilogueElLi3EEEvPT1_PKT_T3_,"axG",@progbits,_ZN2at6native12_GLOBAL__N_122cunn_SoftMaxForwardRegIN3c108BFloat16EfS4_NS1_25LogSoftMaxForwardEpilogueElLi3EEEvPT1_PKT_T3_,comdat
.Lfunc_end157:
	.size	_ZN2at6native12_GLOBAL__N_122cunn_SoftMaxForwardRegIN3c108BFloat16EfS4_NS1_25LogSoftMaxForwardEpilogueElLi3EEEvPT1_PKT_T3_, .Lfunc_end157-_ZN2at6native12_GLOBAL__N_122cunn_SoftMaxForwardRegIN3c108BFloat16EfS4_NS1_25LogSoftMaxForwardEpilogueElLi3EEEvPT1_PKT_T3_
                                        ; -- End function
	.section	.AMDGPU.csdata,"",@progbits
; Kernel info:
; codeLenInByte = 2012
; NumSgprs: 25
; NumVgprs: 21
; NumAgprs: 0
; TotalNumVgprs: 21
; ScratchSize: 0
; MemoryBound: 0
; FloatMode: 240
; IeeeMode: 1
; LDSByteSize: 0 bytes/workgroup (compile time only)
; SGPRBlocks: 3
; VGPRBlocks: 2
; NumSGPRsForWavesPerEU: 25
; NumVGPRsForWavesPerEU: 21
; AccumOffset: 24
; Occupancy: 8
; WaveLimiterHint : 0
; COMPUTE_PGM_RSRC2:SCRATCH_EN: 0
; COMPUTE_PGM_RSRC2:USER_SGPR: 6
; COMPUTE_PGM_RSRC2:TRAP_HANDLER: 0
; COMPUTE_PGM_RSRC2:TGID_X_EN: 1
; COMPUTE_PGM_RSRC2:TGID_Y_EN: 0
; COMPUTE_PGM_RSRC2:TGID_Z_EN: 0
; COMPUTE_PGM_RSRC2:TIDIG_COMP_CNT: 0
; COMPUTE_PGM_RSRC3_GFX90A:ACCUM_OFFSET: 5
; COMPUTE_PGM_RSRC3_GFX90A:TG_SPLIT: 0
	.section	.text._ZN2at6native12_GLOBAL__N_122cunn_SoftMaxForwardRegIN3c108BFloat16EfS4_NS1_25LogSoftMaxForwardEpilogueElLi4EEEvPT1_PKT_T3_,"axG",@progbits,_ZN2at6native12_GLOBAL__N_122cunn_SoftMaxForwardRegIN3c108BFloat16EfS4_NS1_25LogSoftMaxForwardEpilogueElLi4EEEvPT1_PKT_T3_,comdat
	.globl	_ZN2at6native12_GLOBAL__N_122cunn_SoftMaxForwardRegIN3c108BFloat16EfS4_NS1_25LogSoftMaxForwardEpilogueElLi4EEEvPT1_PKT_T3_ ; -- Begin function _ZN2at6native12_GLOBAL__N_122cunn_SoftMaxForwardRegIN3c108BFloat16EfS4_NS1_25LogSoftMaxForwardEpilogueElLi4EEEvPT1_PKT_T3_
	.p2align	8
	.type	_ZN2at6native12_GLOBAL__N_122cunn_SoftMaxForwardRegIN3c108BFloat16EfS4_NS1_25LogSoftMaxForwardEpilogueElLi4EEEvPT1_PKT_T3_,@function
_ZN2at6native12_GLOBAL__N_122cunn_SoftMaxForwardRegIN3c108BFloat16EfS4_NS1_25LogSoftMaxForwardEpilogueElLi4EEEvPT1_PKT_T3_: ; @_ZN2at6native12_GLOBAL__N_122cunn_SoftMaxForwardRegIN3c108BFloat16EfS4_NS1_25LogSoftMaxForwardEpilogueElLi4EEEvPT1_PKT_T3_
; %bb.0:
	s_load_dwordx2 s[8:9], s[4:5], 0x10
	s_load_dwordx4 s[16:19], s[4:5], 0x0
	s_load_dword s2, s[4:5], 0x24
	v_mov_b32_e32 v3, 0
	v_mov_b32_e32 v1, v3
	s_waitcnt lgkmcnt(0)
	s_mul_i32 s0, s6, s9
	s_mul_hi_u32 s1, s6, s8
	s_add_i32 s1, s1, s0
	s_mul_i32 s0, s6, s8
	s_lshl_b64 s[20:21], s[0:1], 1
	s_add_u32 s6, s18, s20
	s_addc_u32 s7, s19, s21
	v_cmp_gt_i64_e32 vcc, s[8:9], v[0:1]
	v_mov_b32_e32 v6, 0xff7fffff
	v_lshlrev_b32_e32 v1, 1, v0
                                        ; implicit-def: $vgpr16
	s_and_saveexec_b64 s[0:1], vcc
	s_cbranch_execz .LBB158_2
; %bb.1:
	global_load_ushort v16, v1, s[6:7]
	s_waitcnt vmcnt(0)
	v_lshlrev_b32_e32 v2, 16, v16
	v_max_f32_e32 v2, v2, v2
	v_max_f32_e32 v6, 0xff7fffff, v2
.LBB158_2:
	s_or_b64 exec, exec, s[0:1]
	s_and_b32 s12, 0xffff, s2
	v_add_u32_e32 v2, s12, v0
	v_cmp_gt_i64_e64 s[0:1], s[8:9], v[2:3]
	v_lshlrev_b32_e32 v4, 1, v2
                                        ; implicit-def: $vgpr13
	s_and_saveexec_b64 s[2:3], s[0:1]
	s_cbranch_execz .LBB158_4
; %bb.3:
	global_load_ushort v13, v4, s[6:7]
	v_max_f32_e32 v5, v6, v6
	s_waitcnt vmcnt(0)
	v_lshlrev_b32_e32 v3, 16, v13
	v_max_f32_e32 v3, v3, v3
	v_max_f32_e32 v6, v5, v3
.LBB158_4:
	s_or_b64 exec, exec, s[2:3]
	v_add_u32_e32 v2, s12, v2
	v_mov_b32_e32 v3, 0
	v_cmp_gt_i64_e64 s[2:3], s[8:9], v[2:3]
	v_lshlrev_b32_e32 v5, 1, v2
                                        ; implicit-def: $vgpr12
	s_and_saveexec_b64 s[4:5], s[2:3]
	s_cbranch_execz .LBB158_6
; %bb.5:
	global_load_ushort v12, v5, s[6:7]
	v_max_f32_e32 v6, v6, v6
	s_waitcnt vmcnt(0)
	v_lshlrev_b32_e32 v7, 16, v12
	v_max_f32_e32 v7, v7, v7
	v_max_f32_e32 v6, v6, v7
.LBB158_6:
	s_or_b64 exec, exec, s[4:5]
	v_add_u32_e32 v2, s12, v2
	v_cmp_gt_i64_e64 s[4:5], s[8:9], v[2:3]
	v_lshlrev_b32_e32 v2, 1, v2
                                        ; implicit-def: $vgpr11
	s_and_saveexec_b64 s[8:9], s[4:5]
	s_cbranch_execz .LBB158_8
; %bb.7:
	global_load_ushort v11, v2, s[6:7]
	v_max_f32_e32 v6, v6, v6
	s_waitcnt vmcnt(0)
	v_lshlrev_b32_e32 v3, 16, v11
	v_max_f32_e32 v3, v3, v3
	v_max_f32_e32 v6, v6, v3
.LBB158_8:
	s_or_b64 exec, exec, s[8:9]
	v_mbcnt_lo_u32_b32 v3, -1, 0
	v_mbcnt_hi_u32_b32 v10, -1, v3
	v_and_b32_e32 v14, 63, v10
	v_cmp_gt_u32_e64 s[6:7], 32, v14
	v_cndmask_b32_e64 v3, 0, 1, s[6:7]
	v_lshlrev_b32_e32 v3, 5, v3
	v_add_lshl_u32 v3, v3, v10, 2
	ds_bpermute_b32 v7, v3, v6
	v_cmp_gt_u32_e64 s[6:7], 48, v14
	v_cndmask_b32_e64 v8, 0, 1, s[6:7]
	s_waitcnt lgkmcnt(0)
	s_barrier
	v_cmp_lt_f32_e64 s[6:7], v6, v7
	v_cndmask_b32_e64 v7, v6, v7, s[6:7]
	v_lshlrev_b32_e32 v6, 4, v8
	v_add_lshl_u32 v6, v6, v10, 2
	ds_bpermute_b32 v8, v6, v7
	s_waitcnt lgkmcnt(0)
	v_cmp_lt_f32_e64 s[6:7], v7, v8
	v_cndmask_b32_e64 v8, v7, v8, s[6:7]
	v_cmp_gt_u32_e64 s[6:7], 56, v14
	v_cndmask_b32_e64 v7, 0, 1, s[6:7]
	v_lshlrev_b32_e32 v7, 3, v7
	v_add_lshl_u32 v7, v7, v10, 2
	ds_bpermute_b32 v9, v7, v8
	s_waitcnt lgkmcnt(0)
	v_cmp_lt_f32_e64 s[6:7], v8, v9
	v_cndmask_b32_e64 v9, v8, v9, s[6:7]
	v_cmp_gt_u32_e64 s[6:7], 60, v14
	;; [unrolled: 8-line block ×3, first 2 shown]
	v_cndmask_b32_e64 v9, 0, 1, s[6:7]
	v_lshlrev_b32_e32 v9, 1, v9
	v_add_lshl_u32 v9, v9, v10, 2
	ds_bpermute_b32 v18, v9, v17
	v_and_b32_e32 v15, 63, v0
	s_waitcnt lgkmcnt(0)
	v_cmp_lt_f32_e64 s[6:7], v17, v18
	v_cndmask_b32_e64 v17, v17, v18, s[6:7]
	v_cmp_ne_u32_e64 s[6:7], 63, v14
	v_addc_co_u32_e64 v10, s[6:7], 0, v10, s[6:7]
	v_lshlrev_b32_e32 v10, 2, v10
	ds_bpermute_b32 v18, v10, v17
	v_cmp_eq_u32_e64 s[6:7], 0, v15
	v_lshrrev_b32_e32 v14, 4, v0
	s_and_saveexec_b64 s[8:9], s[6:7]
	s_xor_b64 s[10:11], exec, s[8:9]
	s_cbranch_execz .LBB158_10
; %bb.9:
	s_waitcnt lgkmcnt(0)
	v_cmp_lt_f32_e64 s[8:9], v17, v18
	v_add_u32_e32 v19, 0, v14
	v_cndmask_b32_e64 v17, v17, v18, s[8:9]
	ds_write_b32 v19, v17
.LBB158_10:
	s_or_b64 exec, exec, s[10:11]
	s_lshr_b32 s8, s12, 6
	v_cmp_gt_u32_e64 s[8:9], s8, v0
	v_mov_b32_e32 v17, 0xff7fffff
	v_lshl_add_u32 v15, v15, 2, 0
	s_waitcnt lgkmcnt(0)
	s_barrier
	s_and_saveexec_b64 s[10:11], s[8:9]
	s_cbranch_execnz .LBB158_33
; %bb.11:
	s_or_b64 exec, exec, s[10:11]
	v_cmp_gt_u32_e64 s[10:11], 64, v0
	s_and_saveexec_b64 s[14:15], s[10:11]
	s_cbranch_execnz .LBB158_34
.LBB158_12:
	s_or_b64 exec, exec, s[14:15]
	v_cmp_eq_u32_e64 s[12:13], 0, v0
	s_and_saveexec_b64 s[14:15], s[12:13]
	s_cbranch_execz .LBB158_14
.LBB158_13:
	v_mov_b32_e32 v0, 0
	s_waitcnt lgkmcnt(0)
	ds_write_b32 v0, v17
.LBB158_14:
	s_or_b64 exec, exec, s[14:15]
	s_waitcnt lgkmcnt(0)
	v_mov_b32_e32 v17, 0
	s_barrier
	ds_read_b32 v18, v17
	v_lshlrev_b32_e32 v0, 16, v16
	s_waitcnt lgkmcnt(0)
	v_sub_f32_e32 v0, v0, v18
	s_and_saveexec_b64 s[18:19], vcc
	s_cbranch_execz .LBB158_16
; %bb.15:
	s_mov_b32 s14, 0x3fb8aa3b
	v_mul_f32_e32 v16, 0x3fb8aa3b, v0
	v_fma_f32 v17, v0, s14, -v16
	v_rndne_f32_e32 v19, v16
	v_fmac_f32_e32 v17, 0x32a5705f, v0
	v_sub_f32_e32 v16, v16, v19
	v_add_f32_e32 v16, v16, v17
	v_exp_f32_e32 v16, v16
	v_cvt_i32_f32_e32 v17, v19
	s_mov_b32 s14, 0xc2ce8ed0
	v_cmp_ngt_f32_e64 s[14:15], s14, v0
	v_ldexp_f32 v16, v16, v17
	v_cndmask_b32_e64 v16, 0, v16, s[14:15]
	s_mov_b32 s14, 0x42b17218
	v_mov_b32_e32 v17, 0x7f800000
	v_cmp_nlt_f32_e64 s[14:15], s14, v0
	v_cndmask_b32_e64 v17, v17, v16, s[14:15]
.LBB158_16:
	s_or_b64 exec, exec, s[18:19]
	v_lshlrev_b32_e32 v13, 16, v13
	v_sub_f32_e32 v13, v13, v18
	s_and_saveexec_b64 s[18:19], s[0:1]
	s_cbranch_execz .LBB158_18
; %bb.17:
	s_mov_b32 s14, 0x3fb8aa3b
	v_mul_f32_e32 v16, 0x3fb8aa3b, v13
	v_fma_f32 v19, v13, s14, -v16
	v_rndne_f32_e32 v20, v16
	v_fmac_f32_e32 v19, 0x32a5705f, v13
	v_sub_f32_e32 v16, v16, v20
	v_add_f32_e32 v16, v16, v19
	v_exp_f32_e32 v16, v16
	v_cvt_i32_f32_e32 v19, v20
	s_mov_b32 s14, 0xc2ce8ed0
	v_cmp_ngt_f32_e64 s[14:15], s14, v13
	v_ldexp_f32 v16, v16, v19
	v_cndmask_b32_e64 v16, 0, v16, s[14:15]
	s_mov_b32 s14, 0x42b17218
	v_mov_b32_e32 v19, 0x7f800000
	v_cmp_nlt_f32_e64 s[14:15], s14, v13
	v_cndmask_b32_e64 v16, v19, v16, s[14:15]
	v_add_f32_e32 v17, v17, v16
.LBB158_18:
	s_or_b64 exec, exec, s[18:19]
	v_lshlrev_b32_e32 v12, 16, v12
	v_sub_f32_e32 v12, v12, v18
	s_and_saveexec_b64 s[18:19], s[2:3]
	s_cbranch_execz .LBB158_20
; %bb.19:
	s_mov_b32 s14, 0x3fb8aa3b
	v_mul_f32_e32 v16, 0x3fb8aa3b, v12
	v_fma_f32 v19, v12, s14, -v16
	v_rndne_f32_e32 v20, v16
	v_fmac_f32_e32 v19, 0x32a5705f, v12
	v_sub_f32_e32 v16, v16, v20
	v_add_f32_e32 v16, v16, v19
	v_exp_f32_e32 v16, v16
	v_cvt_i32_f32_e32 v19, v20
	s_mov_b32 s14, 0xc2ce8ed0
	v_cmp_ngt_f32_e64 s[14:15], s14, v12
	v_ldexp_f32 v16, v16, v19
	v_cndmask_b32_e64 v16, 0, v16, s[14:15]
	s_mov_b32 s14, 0x42b17218
	v_mov_b32_e32 v19, 0x7f800000
	v_cmp_nlt_f32_e64 s[14:15], s14, v12
	v_cndmask_b32_e64 v16, v19, v16, s[14:15]
	v_add_f32_e32 v17, v17, v16
.LBB158_20:
	;; [unrolled: 25-line block ×3, first 2 shown]
	s_or_b64 exec, exec, s[18:19]
	ds_bpermute_b32 v16, v3, v17
	s_waitcnt lgkmcnt(0)
	s_barrier
	v_add_f32_e32 v16, v17, v16
	ds_bpermute_b32 v17, v6, v16
	s_waitcnt lgkmcnt(0)
	v_add_f32_e32 v16, v16, v17
	ds_bpermute_b32 v17, v7, v16
	s_waitcnt lgkmcnt(0)
	v_add_f32_e32 v16, v16, v17
	ds_bpermute_b32 v17, v8, v16
	s_waitcnt lgkmcnt(0)
	v_add_f32_e32 v16, v16, v17
	ds_bpermute_b32 v17, v9, v16
	s_waitcnt lgkmcnt(0)
	v_add_f32_e32 v16, v16, v17
	ds_bpermute_b32 v17, v10, v16
	s_and_saveexec_b64 s[14:15], s[6:7]
	s_xor_b64 s[6:7], exec, s[14:15]
	s_cbranch_execz .LBB158_24
; %bb.23:
	v_add_u32_e32 v14, 0, v14
	s_waitcnt lgkmcnt(0)
	v_add_f32_e32 v16, v16, v17
	ds_write_b32 v14, v16
.LBB158_24:
	s_or_b64 exec, exec, s[6:7]
	v_mov_b32_e32 v14, 0
	s_waitcnt lgkmcnt(0)
	s_barrier
	s_and_saveexec_b64 s[6:7], s[8:9]
	s_cbranch_execnz .LBB158_35
; %bb.25:
	s_or_b64 exec, exec, s[6:7]
	s_and_saveexec_b64 s[6:7], s[10:11]
	s_cbranch_execnz .LBB158_36
.LBB158_26:
	s_or_b64 exec, exec, s[6:7]
	s_and_saveexec_b64 s[6:7], s[12:13]
	s_cbranch_execz .LBB158_28
.LBB158_27:
	v_mov_b32_e32 v3, 0
	s_waitcnt lgkmcnt(0)
	ds_write_b32 v3, v14
.LBB158_28:
	s_or_b64 exec, exec, s[6:7]
	v_mov_b32_e32 v3, 0
	s_waitcnt lgkmcnt(0)
	s_barrier
	ds_read_b32 v3, v3
	s_mov_b32 s6, 0x800000
	v_mov_b32_e32 v6, 0x4f800000
	s_mov_b32 s8, 0x3f317217
	s_add_u32 s10, s16, s20
	s_waitcnt lgkmcnt(0)
	v_cmp_gt_f32_e64 s[6:7], s6, v3
	v_cndmask_b32_e64 v6, 1.0, v6, s[6:7]
	v_mul_f32_e32 v3, v3, v6
	v_log_f32_e32 v3, v3
	s_addc_u32 s11, s17, s21
	v_mul_f32_e32 v6, 0x3f317217, v3
	v_fma_f32 v7, v3, s8, -v6
	v_fmac_f32_e32 v7, 0x3377d1cf, v3
	s_mov_b32 s8, 0x7f800000
	v_add_f32_e32 v6, v6, v7
	v_cmp_lt_f32_e64 s[8:9], |v3|, s8
	v_cndmask_b32_e64 v3, v3, v6, s[8:9]
	v_mov_b32_e32 v6, 0x41b17218
	v_cndmask_b32_e64 v6, 0, v6, s[6:7]
	v_sub_f32_e32 v3, v3, v6
	s_and_saveexec_b64 s[6:7], vcc
	s_cbranch_execnz .LBB158_37
; %bb.29:
	s_or_b64 exec, exec, s[6:7]
	s_and_saveexec_b64 s[6:7], s[0:1]
	s_cbranch_execnz .LBB158_38
.LBB158_30:
	s_or_b64 exec, exec, s[6:7]
	s_and_saveexec_b64 s[0:1], s[2:3]
	s_cbranch_execnz .LBB158_39
.LBB158_31:
	s_or_b64 exec, exec, s[0:1]
	s_and_saveexec_b64 s[0:1], s[4:5]
	s_cbranch_execnz .LBB158_40
.LBB158_32:
	s_endpgm
.LBB158_33:
	ds_read_b32 v17, v15
	s_or_b64 exec, exec, s[10:11]
	v_cmp_gt_u32_e64 s[10:11], 64, v0
	s_and_saveexec_b64 s[14:15], s[10:11]
	s_cbranch_execz .LBB158_12
.LBB158_34:
	s_waitcnt lgkmcnt(0)
	ds_bpermute_b32 v18, v3, v17
	s_waitcnt lgkmcnt(0)
	v_cmp_lt_f32_e64 s[12:13], v17, v18
	v_cndmask_b32_e64 v17, v17, v18, s[12:13]
	ds_bpermute_b32 v18, v6, v17
	s_waitcnt lgkmcnt(0)
	v_cmp_lt_f32_e64 s[12:13], v17, v18
	v_cndmask_b32_e64 v17, v17, v18, s[12:13]
	;; [unrolled: 4-line block ×6, first 2 shown]
	s_or_b64 exec, exec, s[14:15]
	v_cmp_eq_u32_e64 s[12:13], 0, v0
	s_and_saveexec_b64 s[14:15], s[12:13]
	s_cbranch_execnz .LBB158_13
	s_branch .LBB158_14
.LBB158_35:
	ds_read_b32 v14, v15
	s_or_b64 exec, exec, s[6:7]
	s_and_saveexec_b64 s[6:7], s[10:11]
	s_cbranch_execz .LBB158_26
.LBB158_36:
	s_waitcnt lgkmcnt(0)
	ds_bpermute_b32 v3, v3, v14
	s_waitcnt lgkmcnt(0)
	v_add_f32_e32 v3, v14, v3
	ds_bpermute_b32 v6, v6, v3
	s_waitcnt lgkmcnt(0)
	v_add_f32_e32 v3, v3, v6
	;; [unrolled: 3-line block ×6, first 2 shown]
	s_or_b64 exec, exec, s[6:7]
	s_and_saveexec_b64 s[6:7], s[12:13]
	s_cbranch_execnz .LBB158_27
	s_branch .LBB158_28
.LBB158_37:
	v_sub_f32_e32 v0, v0, v3
	v_bfe_u32 v6, v0, 16, 1
	s_movk_i32 s8, 0x7fff
	v_add3_u32 v6, v0, v6, s8
	v_lshrrev_b32_e32 v6, 16, v6
	v_mov_b32_e32 v7, 0x7fc0
	v_cmp_o_f32_e32 vcc, v0, v0
	v_cndmask_b32_e32 v0, v7, v6, vcc
	global_store_short v1, v0, s[10:11]
	s_or_b64 exec, exec, s[6:7]
	s_and_saveexec_b64 s[6:7], s[0:1]
	s_cbranch_execz .LBB158_30
.LBB158_38:
	v_sub_f32_e32 v0, v13, v3
	v_bfe_u32 v1, v0, 16, 1
	s_movk_i32 s0, 0x7fff
	v_add3_u32 v1, v0, v1, s0
	v_lshrrev_b32_e32 v1, 16, v1
	v_mov_b32_e32 v6, 0x7fc0
	v_cmp_o_f32_e32 vcc, v0, v0
	v_cndmask_b32_e32 v0, v6, v1, vcc
	global_store_short v4, v0, s[10:11]
	s_or_b64 exec, exec, s[6:7]
	s_and_saveexec_b64 s[0:1], s[2:3]
	s_cbranch_execz .LBB158_31
.LBB158_39:
	v_sub_f32_e32 v0, v12, v3
	v_bfe_u32 v1, v0, 16, 1
	s_movk_i32 s2, 0x7fff
	v_add3_u32 v1, v0, v1, s2
	v_lshrrev_b32_e32 v1, 16, v1
	v_mov_b32_e32 v4, 0x7fc0
	v_cmp_o_f32_e32 vcc, v0, v0
	v_cndmask_b32_e32 v0, v4, v1, vcc
	global_store_short v5, v0, s[10:11]
	s_or_b64 exec, exec, s[0:1]
	s_and_saveexec_b64 s[0:1], s[4:5]
	s_cbranch_execz .LBB158_32
.LBB158_40:
	v_sub_f32_e32 v0, v11, v3
	v_bfe_u32 v1, v0, 16, 1
	s_movk_i32 s0, 0x7fff
	v_add3_u32 v1, v0, v1, s0
	v_lshrrev_b32_e32 v1, 16, v1
	v_mov_b32_e32 v3, 0x7fc0
	v_cmp_o_f32_e32 vcc, v0, v0
	v_cndmask_b32_e32 v0, v3, v1, vcc
	global_store_short v2, v0, s[10:11]
	s_endpgm
	.section	.rodata,"a",@progbits
	.p2align	6, 0x0
	.amdhsa_kernel _ZN2at6native12_GLOBAL__N_122cunn_SoftMaxForwardRegIN3c108BFloat16EfS4_NS1_25LogSoftMaxForwardEpilogueElLi4EEEvPT1_PKT_T3_
		.amdhsa_group_segment_fixed_size 0
		.amdhsa_private_segment_fixed_size 0
		.amdhsa_kernarg_size 280
		.amdhsa_user_sgpr_count 6
		.amdhsa_user_sgpr_private_segment_buffer 1
		.amdhsa_user_sgpr_dispatch_ptr 0
		.amdhsa_user_sgpr_queue_ptr 0
		.amdhsa_user_sgpr_kernarg_segment_ptr 1
		.amdhsa_user_sgpr_dispatch_id 0
		.amdhsa_user_sgpr_flat_scratch_init 0
		.amdhsa_user_sgpr_kernarg_preload_length 0
		.amdhsa_user_sgpr_kernarg_preload_offset 0
		.amdhsa_user_sgpr_private_segment_size 0
		.amdhsa_uses_dynamic_stack 0
		.amdhsa_system_sgpr_private_segment_wavefront_offset 0
		.amdhsa_system_sgpr_workgroup_id_x 1
		.amdhsa_system_sgpr_workgroup_id_y 0
		.amdhsa_system_sgpr_workgroup_id_z 0
		.amdhsa_system_sgpr_workgroup_info 0
		.amdhsa_system_vgpr_workitem_id 0
		.amdhsa_next_free_vgpr 21
		.amdhsa_next_free_sgpr 22
		.amdhsa_accum_offset 24
		.amdhsa_reserve_vcc 1
		.amdhsa_reserve_flat_scratch 0
		.amdhsa_float_round_mode_32 0
		.amdhsa_float_round_mode_16_64 0
		.amdhsa_float_denorm_mode_32 3
		.amdhsa_float_denorm_mode_16_64 3
		.amdhsa_dx10_clamp 1
		.amdhsa_ieee_mode 1
		.amdhsa_fp16_overflow 0
		.amdhsa_tg_split 0
		.amdhsa_exception_fp_ieee_invalid_op 0
		.amdhsa_exception_fp_denorm_src 0
		.amdhsa_exception_fp_ieee_div_zero 0
		.amdhsa_exception_fp_ieee_overflow 0
		.amdhsa_exception_fp_ieee_underflow 0
		.amdhsa_exception_fp_ieee_inexact 0
		.amdhsa_exception_int_div_zero 0
	.end_amdhsa_kernel
	.section	.text._ZN2at6native12_GLOBAL__N_122cunn_SoftMaxForwardRegIN3c108BFloat16EfS4_NS1_25LogSoftMaxForwardEpilogueElLi4EEEvPT1_PKT_T3_,"axG",@progbits,_ZN2at6native12_GLOBAL__N_122cunn_SoftMaxForwardRegIN3c108BFloat16EfS4_NS1_25LogSoftMaxForwardEpilogueElLi4EEEvPT1_PKT_T3_,comdat
.Lfunc_end158:
	.size	_ZN2at6native12_GLOBAL__N_122cunn_SoftMaxForwardRegIN3c108BFloat16EfS4_NS1_25LogSoftMaxForwardEpilogueElLi4EEEvPT1_PKT_T3_, .Lfunc_end158-_ZN2at6native12_GLOBAL__N_122cunn_SoftMaxForwardRegIN3c108BFloat16EfS4_NS1_25LogSoftMaxForwardEpilogueElLi4EEEvPT1_PKT_T3_
                                        ; -- End function
	.section	.AMDGPU.csdata,"",@progbits
; Kernel info:
; codeLenInByte = 2380
; NumSgprs: 26
; NumVgprs: 21
; NumAgprs: 0
; TotalNumVgprs: 21
; ScratchSize: 0
; MemoryBound: 0
; FloatMode: 240
; IeeeMode: 1
; LDSByteSize: 0 bytes/workgroup (compile time only)
; SGPRBlocks: 3
; VGPRBlocks: 2
; NumSGPRsForWavesPerEU: 26
; NumVGPRsForWavesPerEU: 21
; AccumOffset: 24
; Occupancy: 8
; WaveLimiterHint : 0
; COMPUTE_PGM_RSRC2:SCRATCH_EN: 0
; COMPUTE_PGM_RSRC2:USER_SGPR: 6
; COMPUTE_PGM_RSRC2:TRAP_HANDLER: 0
; COMPUTE_PGM_RSRC2:TGID_X_EN: 1
; COMPUTE_PGM_RSRC2:TGID_Y_EN: 0
; COMPUTE_PGM_RSRC2:TGID_Z_EN: 0
; COMPUTE_PGM_RSRC2:TIDIG_COMP_CNT: 0
; COMPUTE_PGM_RSRC3_GFX90A:ACCUM_OFFSET: 5
; COMPUTE_PGM_RSRC3_GFX90A:TG_SPLIT: 0
	.section	.text._ZN2at6native12_GLOBAL__N_122cunn_SoftMaxForwardRegIN3c108BFloat16EfS4_NS1_25LogSoftMaxForwardEpilogueElLi5EEEvPT1_PKT_T3_,"axG",@progbits,_ZN2at6native12_GLOBAL__N_122cunn_SoftMaxForwardRegIN3c108BFloat16EfS4_NS1_25LogSoftMaxForwardEpilogueElLi5EEEvPT1_PKT_T3_,comdat
	.globl	_ZN2at6native12_GLOBAL__N_122cunn_SoftMaxForwardRegIN3c108BFloat16EfS4_NS1_25LogSoftMaxForwardEpilogueElLi5EEEvPT1_PKT_T3_ ; -- Begin function _ZN2at6native12_GLOBAL__N_122cunn_SoftMaxForwardRegIN3c108BFloat16EfS4_NS1_25LogSoftMaxForwardEpilogueElLi5EEEvPT1_PKT_T3_
	.p2align	8
	.type	_ZN2at6native12_GLOBAL__N_122cunn_SoftMaxForwardRegIN3c108BFloat16EfS4_NS1_25LogSoftMaxForwardEpilogueElLi5EEEvPT1_PKT_T3_,@function
_ZN2at6native12_GLOBAL__N_122cunn_SoftMaxForwardRegIN3c108BFloat16EfS4_NS1_25LogSoftMaxForwardEpilogueElLi5EEEvPT1_PKT_T3_: ; @_ZN2at6native12_GLOBAL__N_122cunn_SoftMaxForwardRegIN3c108BFloat16EfS4_NS1_25LogSoftMaxForwardEpilogueElLi5EEEvPT1_PKT_T3_
; %bb.0:
	s_load_dwordx2 s[8:9], s[4:5], 0x10
	s_load_dwordx4 s[20:23], s[4:5], 0x0
	s_load_dword s2, s[4:5], 0x24
	v_mov_b32_e32 v3, 0
	v_mov_b32_e32 v1, v3
	s_waitcnt lgkmcnt(0)
	s_mul_i32 s0, s6, s9
	s_mul_hi_u32 s1, s6, s8
	s_add_i32 s1, s1, s0
	s_mul_i32 s0, s6, s8
	s_lshl_b64 s[18:19], s[0:1], 1
	s_add_u32 s10, s22, s18
	s_addc_u32 s11, s23, s19
	v_cmp_gt_i64_e32 vcc, s[8:9], v[0:1]
	v_mov_b32_e32 v7, 0xff7fffff
	v_lshlrev_b32_e32 v1, 1, v0
                                        ; implicit-def: $vgpr18
	s_and_saveexec_b64 s[0:1], vcc
	s_cbranch_execz .LBB159_2
; %bb.1:
	global_load_ushort v18, v1, s[10:11]
	s_waitcnt vmcnt(0)
	v_lshlrev_b32_e32 v2, 16, v18
	v_max_f32_e32 v2, v2, v2
	v_max_f32_e32 v7, 0xff7fffff, v2
.LBB159_2:
	s_or_b64 exec, exec, s[0:1]
	s_and_b32 s14, 0xffff, s2
	v_add_u32_e32 v2, s14, v0
	v_cmp_gt_i64_e64 s[0:1], s[8:9], v[2:3]
	v_lshlrev_b32_e32 v4, 1, v2
                                        ; implicit-def: $vgpr16
	s_and_saveexec_b64 s[2:3], s[0:1]
	s_cbranch_execz .LBB159_4
; %bb.3:
	global_load_ushort v16, v4, s[10:11]
	v_max_f32_e32 v5, v7, v7
	s_waitcnt vmcnt(0)
	v_lshlrev_b32_e32 v3, 16, v16
	v_max_f32_e32 v3, v3, v3
	v_max_f32_e32 v7, v5, v3
.LBB159_4:
	s_or_b64 exec, exec, s[2:3]
	v_add_u32_e32 v2, s14, v2
	v_mov_b32_e32 v3, 0
	v_cmp_gt_i64_e64 s[2:3], s[8:9], v[2:3]
	v_lshlrev_b32_e32 v5, 1, v2
                                        ; implicit-def: $vgpr14
	s_and_saveexec_b64 s[4:5], s[2:3]
	s_cbranch_execz .LBB159_6
; %bb.5:
	global_load_ushort v14, v5, s[10:11]
	v_max_f32_e32 v7, v7, v7
	s_waitcnt vmcnt(0)
	v_lshlrev_b32_e32 v6, 16, v14
	v_max_f32_e32 v6, v6, v6
	v_max_f32_e32 v7, v7, v6
.LBB159_6:
	s_or_b64 exec, exec, s[4:5]
	v_add_u32_e32 v2, s14, v2
	v_cmp_gt_i64_e64 s[4:5], s[8:9], v[2:3]
	v_lshlrev_b32_e32 v3, 1, v2
                                        ; implicit-def: $vgpr13
	s_and_saveexec_b64 s[6:7], s[4:5]
	s_cbranch_execz .LBB159_8
; %bb.7:
	global_load_ushort v13, v3, s[10:11]
	v_max_f32_e32 v7, v7, v7
	s_waitcnt vmcnt(0)
	v_lshlrev_b32_e32 v6, 16, v13
	v_max_f32_e32 v6, v6, v6
	v_max_f32_e32 v7, v7, v6
.LBB159_8:
	s_or_b64 exec, exec, s[6:7]
	v_add_u32_e32 v8, s14, v2
	v_mov_b32_e32 v9, 0
	v_cmp_gt_i64_e64 s[6:7], s[8:9], v[8:9]
	v_lshlrev_b32_e32 v2, 1, v8
                                        ; implicit-def: $vgpr12
	s_and_saveexec_b64 s[8:9], s[6:7]
	s_cbranch_execz .LBB159_10
; %bb.9:
	global_load_ushort v12, v2, s[10:11]
	v_max_f32_e32 v7, v7, v7
	s_waitcnt vmcnt(0)
	v_lshlrev_b32_e32 v6, 16, v12
	v_max_f32_e32 v6, v6, v6
	v_max_f32_e32 v7, v7, v6
.LBB159_10:
	s_or_b64 exec, exec, s[8:9]
	v_mbcnt_lo_u32_b32 v6, -1, 0
	v_mbcnt_hi_u32_b32 v11, -1, v6
	v_and_b32_e32 v15, 63, v11
	v_cmp_gt_u32_e64 s[8:9], 32, v15
	v_cndmask_b32_e64 v6, 0, 1, s[8:9]
	v_lshlrev_b32_e32 v6, 5, v6
	v_add_lshl_u32 v6, v6, v11, 2
	ds_bpermute_b32 v8, v6, v7
	v_cmp_gt_u32_e64 s[8:9], 48, v15
	v_cndmask_b32_e64 v9, 0, 1, s[8:9]
	s_waitcnt lgkmcnt(0)
	s_barrier
	v_cmp_lt_f32_e64 s[8:9], v7, v8
	v_cndmask_b32_e64 v8, v7, v8, s[8:9]
	v_lshlrev_b32_e32 v7, 4, v9
	v_add_lshl_u32 v7, v7, v11, 2
	ds_bpermute_b32 v9, v7, v8
	s_waitcnt lgkmcnt(0)
	v_cmp_lt_f32_e64 s[8:9], v8, v9
	v_cndmask_b32_e64 v9, v8, v9, s[8:9]
	v_cmp_gt_u32_e64 s[8:9], 56, v15
	v_cndmask_b32_e64 v8, 0, 1, s[8:9]
	v_lshlrev_b32_e32 v8, 3, v8
	v_add_lshl_u32 v8, v8, v11, 2
	ds_bpermute_b32 v10, v8, v9
	s_waitcnt lgkmcnt(0)
	v_cmp_lt_f32_e64 s[8:9], v9, v10
	v_cndmask_b32_e64 v10, v9, v10, s[8:9]
	v_cmp_gt_u32_e64 s[8:9], 60, v15
	v_cndmask_b32_e64 v9, 0, 1, s[8:9]
	v_lshlrev_b32_e32 v9, 2, v9
	v_add_lshl_u32 v9, v9, v11, 2
	ds_bpermute_b32 v17, v9, v10
	s_waitcnt lgkmcnt(0)
	v_cmp_lt_f32_e64 s[8:9], v10, v17
	v_cndmask_b32_e64 v19, v10, v17, s[8:9]
	v_cmp_gt_u32_e64 s[8:9], 62, v15
	v_cndmask_b32_e64 v10, 0, 1, s[8:9]
	v_lshlrev_b32_e32 v10, 1, v10
	v_add_lshl_u32 v10, v10, v11, 2
	ds_bpermute_b32 v20, v10, v19
	v_and_b32_e32 v17, 63, v0
	s_waitcnt lgkmcnt(0)
	v_cmp_lt_f32_e64 s[8:9], v19, v20
	v_cndmask_b32_e64 v19, v19, v20, s[8:9]
	v_cmp_ne_u32_e64 s[8:9], 63, v15
	v_addc_co_u32_e64 v11, s[8:9], 0, v11, s[8:9]
	v_lshlrev_b32_e32 v11, 2, v11
	ds_bpermute_b32 v20, v11, v19
	v_cmp_eq_u32_e64 s[8:9], 0, v17
	v_lshrrev_b32_e32 v15, 4, v0
	s_and_saveexec_b64 s[10:11], s[8:9]
	s_xor_b64 s[12:13], exec, s[10:11]
	s_cbranch_execz .LBB159_12
; %bb.11:
	s_waitcnt lgkmcnt(0)
	v_cmp_lt_f32_e64 s[10:11], v19, v20
	v_add_u32_e32 v21, 0, v15
	v_cndmask_b32_e64 v19, v19, v20, s[10:11]
	ds_write_b32 v21, v19
.LBB159_12:
	s_or_b64 exec, exec, s[12:13]
	s_lshr_b32 s10, s14, 6
	v_cmp_gt_u32_e64 s[10:11], s10, v0
	v_mov_b32_e32 v19, 0xff7fffff
	v_lshl_add_u32 v17, v17, 2, 0
	s_waitcnt lgkmcnt(0)
	s_barrier
	s_and_saveexec_b64 s[12:13], s[10:11]
	s_cbranch_execnz .LBB159_38
; %bb.13:
	s_or_b64 exec, exec, s[12:13]
	v_cmp_gt_u32_e64 s[12:13], 64, v0
	s_and_saveexec_b64 s[16:17], s[12:13]
	s_cbranch_execnz .LBB159_39
.LBB159_14:
	s_or_b64 exec, exec, s[16:17]
	v_cmp_eq_u32_e64 s[14:15], 0, v0
	s_and_saveexec_b64 s[16:17], s[14:15]
	s_cbranch_execz .LBB159_16
.LBB159_15:
	v_mov_b32_e32 v0, 0
	s_waitcnt lgkmcnt(0)
	ds_write_b32 v0, v19
.LBB159_16:
	s_or_b64 exec, exec, s[16:17]
	s_waitcnt lgkmcnt(0)
	v_mov_b32_e32 v19, 0
	s_barrier
	ds_read_b32 v20, v19
	v_lshlrev_b32_e32 v0, 16, v18
	s_waitcnt lgkmcnt(0)
	v_sub_f32_e32 v0, v0, v20
	s_and_saveexec_b64 s[22:23], vcc
	s_cbranch_execz .LBB159_18
; %bb.17:
	s_mov_b32 s16, 0x3fb8aa3b
	v_mul_f32_e32 v18, 0x3fb8aa3b, v0
	v_fma_f32 v19, v0, s16, -v18
	v_rndne_f32_e32 v21, v18
	v_fmac_f32_e32 v19, 0x32a5705f, v0
	v_sub_f32_e32 v18, v18, v21
	v_add_f32_e32 v18, v18, v19
	v_exp_f32_e32 v18, v18
	v_cvt_i32_f32_e32 v19, v21
	s_mov_b32 s16, 0xc2ce8ed0
	v_cmp_ngt_f32_e64 s[16:17], s16, v0
	v_ldexp_f32 v18, v18, v19
	v_cndmask_b32_e64 v18, 0, v18, s[16:17]
	s_mov_b32 s16, 0x42b17218
	v_mov_b32_e32 v19, 0x7f800000
	v_cmp_nlt_f32_e64 s[16:17], s16, v0
	v_cndmask_b32_e64 v19, v19, v18, s[16:17]
.LBB159_18:
	s_or_b64 exec, exec, s[22:23]
	v_lshlrev_b32_e32 v16, 16, v16
	v_sub_f32_e32 v16, v16, v20
	s_and_saveexec_b64 s[22:23], s[0:1]
	s_cbranch_execz .LBB159_20
; %bb.19:
	s_mov_b32 s16, 0x3fb8aa3b
	v_mul_f32_e32 v18, 0x3fb8aa3b, v16
	v_fma_f32 v21, v16, s16, -v18
	v_rndne_f32_e32 v22, v18
	v_fmac_f32_e32 v21, 0x32a5705f, v16
	v_sub_f32_e32 v18, v18, v22
	v_add_f32_e32 v18, v18, v21
	v_exp_f32_e32 v18, v18
	v_cvt_i32_f32_e32 v21, v22
	s_mov_b32 s16, 0xc2ce8ed0
	v_cmp_ngt_f32_e64 s[16:17], s16, v16
	v_ldexp_f32 v18, v18, v21
	v_cndmask_b32_e64 v18, 0, v18, s[16:17]
	s_mov_b32 s16, 0x42b17218
	v_mov_b32_e32 v21, 0x7f800000
	v_cmp_nlt_f32_e64 s[16:17], s16, v16
	v_cndmask_b32_e64 v18, v21, v18, s[16:17]
	v_add_f32_e32 v19, v19, v18
.LBB159_20:
	s_or_b64 exec, exec, s[22:23]
	v_lshlrev_b32_e32 v14, 16, v14
	v_sub_f32_e32 v14, v14, v20
	s_and_saveexec_b64 s[22:23], s[2:3]
	s_cbranch_execz .LBB159_22
; %bb.21:
	s_mov_b32 s16, 0x3fb8aa3b
	v_mul_f32_e32 v18, 0x3fb8aa3b, v14
	v_fma_f32 v21, v14, s16, -v18
	v_rndne_f32_e32 v22, v18
	v_fmac_f32_e32 v21, 0x32a5705f, v14
	v_sub_f32_e32 v18, v18, v22
	v_add_f32_e32 v18, v18, v21
	v_exp_f32_e32 v18, v18
	v_cvt_i32_f32_e32 v21, v22
	s_mov_b32 s16, 0xc2ce8ed0
	v_cmp_ngt_f32_e64 s[16:17], s16, v14
	v_ldexp_f32 v18, v18, v21
	v_cndmask_b32_e64 v18, 0, v18, s[16:17]
	s_mov_b32 s16, 0x42b17218
	v_mov_b32_e32 v21, 0x7f800000
	v_cmp_nlt_f32_e64 s[16:17], s16, v14
	v_cndmask_b32_e64 v18, v21, v18, s[16:17]
	v_add_f32_e32 v19, v19, v18
.LBB159_22:
	;; [unrolled: 25-line block ×4, first 2 shown]
	s_or_b64 exec, exec, s[22:23]
	ds_bpermute_b32 v18, v6, v19
	s_waitcnt lgkmcnt(0)
	s_barrier
	v_add_f32_e32 v18, v19, v18
	ds_bpermute_b32 v19, v7, v18
	s_waitcnt lgkmcnt(0)
	v_add_f32_e32 v18, v18, v19
	ds_bpermute_b32 v19, v8, v18
	s_waitcnt lgkmcnt(0)
	;; [unrolled: 3-line block ×4, first 2 shown]
	v_add_f32_e32 v18, v18, v19
	ds_bpermute_b32 v19, v11, v18
	s_and_saveexec_b64 s[16:17], s[8:9]
	s_xor_b64 s[8:9], exec, s[16:17]
	s_cbranch_execz .LBB159_28
; %bb.27:
	v_add_u32_e32 v15, 0, v15
	s_waitcnt lgkmcnt(0)
	v_add_f32_e32 v18, v18, v19
	ds_write_b32 v15, v18
.LBB159_28:
	s_or_b64 exec, exec, s[8:9]
	v_mov_b32_e32 v15, 0
	s_waitcnt lgkmcnt(0)
	s_barrier
	s_and_saveexec_b64 s[8:9], s[10:11]
	s_cbranch_execnz .LBB159_40
; %bb.29:
	s_or_b64 exec, exec, s[8:9]
	s_and_saveexec_b64 s[8:9], s[12:13]
	s_cbranch_execnz .LBB159_41
.LBB159_30:
	s_or_b64 exec, exec, s[8:9]
	s_and_saveexec_b64 s[8:9], s[14:15]
	s_cbranch_execz .LBB159_32
.LBB159_31:
	v_mov_b32_e32 v6, 0
	s_waitcnt lgkmcnt(0)
	ds_write_b32 v6, v15
.LBB159_32:
	s_or_b64 exec, exec, s[8:9]
	v_mov_b32_e32 v6, 0
	s_waitcnt lgkmcnt(0)
	s_barrier
	ds_read_b32 v6, v6
	s_mov_b32 s8, 0x800000
	v_mov_b32_e32 v7, 0x4f800000
	s_mov_b32 s10, 0x3f317217
	s_add_u32 s12, s20, s18
	s_waitcnt lgkmcnt(0)
	v_cmp_gt_f32_e64 s[8:9], s8, v6
	v_cndmask_b32_e64 v7, 1.0, v7, s[8:9]
	v_mul_f32_e32 v6, v6, v7
	v_log_f32_e32 v6, v6
	s_addc_u32 s13, s21, s19
	v_mul_f32_e32 v7, 0x3f317217, v6
	v_fma_f32 v8, v6, s10, -v7
	v_fmac_f32_e32 v8, 0x3377d1cf, v6
	s_mov_b32 s10, 0x7f800000
	v_add_f32_e32 v7, v7, v8
	v_cmp_lt_f32_e64 s[10:11], |v6|, s10
	v_cndmask_b32_e64 v6, v6, v7, s[10:11]
	v_mov_b32_e32 v7, 0x41b17218
	v_cndmask_b32_e64 v7, 0, v7, s[8:9]
	v_sub_f32_e32 v6, v6, v7
	s_and_saveexec_b64 s[8:9], vcc
	s_cbranch_execnz .LBB159_42
; %bb.33:
	s_or_b64 exec, exec, s[8:9]
	s_and_saveexec_b64 s[8:9], s[0:1]
	s_cbranch_execnz .LBB159_43
.LBB159_34:
	s_or_b64 exec, exec, s[8:9]
	s_and_saveexec_b64 s[0:1], s[2:3]
	s_cbranch_execnz .LBB159_44
.LBB159_35:
	s_or_b64 exec, exec, s[0:1]
	s_and_saveexec_b64 s[0:1], s[4:5]
	s_cbranch_execnz .LBB159_45
.LBB159_36:
	s_or_b64 exec, exec, s[0:1]
	s_and_saveexec_b64 s[0:1], s[6:7]
	s_cbranch_execnz .LBB159_46
.LBB159_37:
	s_endpgm
.LBB159_38:
	ds_read_b32 v19, v17
	s_or_b64 exec, exec, s[12:13]
	v_cmp_gt_u32_e64 s[12:13], 64, v0
	s_and_saveexec_b64 s[16:17], s[12:13]
	s_cbranch_execz .LBB159_14
.LBB159_39:
	s_waitcnt lgkmcnt(0)
	ds_bpermute_b32 v20, v6, v19
	s_waitcnt lgkmcnt(0)
	v_cmp_lt_f32_e64 s[14:15], v19, v20
	v_cndmask_b32_e64 v19, v19, v20, s[14:15]
	ds_bpermute_b32 v20, v7, v19
	s_waitcnt lgkmcnt(0)
	v_cmp_lt_f32_e64 s[14:15], v19, v20
	v_cndmask_b32_e64 v19, v19, v20, s[14:15]
	;; [unrolled: 4-line block ×6, first 2 shown]
	s_or_b64 exec, exec, s[16:17]
	v_cmp_eq_u32_e64 s[14:15], 0, v0
	s_and_saveexec_b64 s[16:17], s[14:15]
	s_cbranch_execnz .LBB159_15
	s_branch .LBB159_16
.LBB159_40:
	ds_read_b32 v15, v17
	s_or_b64 exec, exec, s[8:9]
	s_and_saveexec_b64 s[8:9], s[12:13]
	s_cbranch_execz .LBB159_30
.LBB159_41:
	s_waitcnt lgkmcnt(0)
	ds_bpermute_b32 v6, v6, v15
	s_waitcnt lgkmcnt(0)
	v_add_f32_e32 v6, v15, v6
	ds_bpermute_b32 v7, v7, v6
	s_waitcnt lgkmcnt(0)
	v_add_f32_e32 v6, v6, v7
	;; [unrolled: 3-line block ×6, first 2 shown]
	s_or_b64 exec, exec, s[8:9]
	s_and_saveexec_b64 s[8:9], s[14:15]
	s_cbranch_execnz .LBB159_31
	s_branch .LBB159_32
.LBB159_42:
	v_sub_f32_e32 v0, v0, v6
	v_bfe_u32 v7, v0, 16, 1
	s_movk_i32 s10, 0x7fff
	v_add3_u32 v7, v0, v7, s10
	v_lshrrev_b32_e32 v7, 16, v7
	v_mov_b32_e32 v8, 0x7fc0
	v_cmp_o_f32_e32 vcc, v0, v0
	v_cndmask_b32_e32 v0, v8, v7, vcc
	global_store_short v1, v0, s[12:13]
	s_or_b64 exec, exec, s[8:9]
	s_and_saveexec_b64 s[8:9], s[0:1]
	s_cbranch_execz .LBB159_34
.LBB159_43:
	v_sub_f32_e32 v0, v16, v6
	v_bfe_u32 v1, v0, 16, 1
	s_movk_i32 s0, 0x7fff
	v_add3_u32 v1, v0, v1, s0
	v_lshrrev_b32_e32 v1, 16, v1
	v_mov_b32_e32 v7, 0x7fc0
	v_cmp_o_f32_e32 vcc, v0, v0
	v_cndmask_b32_e32 v0, v7, v1, vcc
	global_store_short v4, v0, s[12:13]
	s_or_b64 exec, exec, s[8:9]
	s_and_saveexec_b64 s[0:1], s[2:3]
	s_cbranch_execz .LBB159_35
.LBB159_44:
	v_sub_f32_e32 v0, v14, v6
	v_bfe_u32 v1, v0, 16, 1
	s_movk_i32 s2, 0x7fff
	v_add3_u32 v1, v0, v1, s2
	v_lshrrev_b32_e32 v1, 16, v1
	v_mov_b32_e32 v4, 0x7fc0
	v_cmp_o_f32_e32 vcc, v0, v0
	v_cndmask_b32_e32 v0, v4, v1, vcc
	global_store_short v5, v0, s[12:13]
	s_or_b64 exec, exec, s[0:1]
	s_and_saveexec_b64 s[0:1], s[4:5]
	s_cbranch_execz .LBB159_36
.LBB159_45:
	v_sub_f32_e32 v0, v13, v6
	v_bfe_u32 v1, v0, 16, 1
	s_movk_i32 s2, 0x7fff
	v_add3_u32 v1, v0, v1, s2
	v_lshrrev_b32_e32 v1, 16, v1
	v_mov_b32_e32 v4, 0x7fc0
	v_cmp_o_f32_e32 vcc, v0, v0
	v_cndmask_b32_e32 v0, v4, v1, vcc
	global_store_short v3, v0, s[12:13]
	s_or_b64 exec, exec, s[0:1]
	s_and_saveexec_b64 s[0:1], s[6:7]
	s_cbranch_execz .LBB159_37
.LBB159_46:
	v_sub_f32_e32 v0, v12, v6
	v_bfe_u32 v1, v0, 16, 1
	s_movk_i32 s0, 0x7fff
	v_add3_u32 v1, v0, v1, s0
	v_lshrrev_b32_e32 v1, 16, v1
	v_mov_b32_e32 v3, 0x7fc0
	v_cmp_o_f32_e32 vcc, v0, v0
	v_cndmask_b32_e32 v0, v3, v1, vcc
	global_store_short v2, v0, s[12:13]
	s_endpgm
	.section	.rodata,"a",@progbits
	.p2align	6, 0x0
	.amdhsa_kernel _ZN2at6native12_GLOBAL__N_122cunn_SoftMaxForwardRegIN3c108BFloat16EfS4_NS1_25LogSoftMaxForwardEpilogueElLi5EEEvPT1_PKT_T3_
		.amdhsa_group_segment_fixed_size 0
		.amdhsa_private_segment_fixed_size 0
		.amdhsa_kernarg_size 280
		.amdhsa_user_sgpr_count 6
		.amdhsa_user_sgpr_private_segment_buffer 1
		.amdhsa_user_sgpr_dispatch_ptr 0
		.amdhsa_user_sgpr_queue_ptr 0
		.amdhsa_user_sgpr_kernarg_segment_ptr 1
		.amdhsa_user_sgpr_dispatch_id 0
		.amdhsa_user_sgpr_flat_scratch_init 0
		.amdhsa_user_sgpr_kernarg_preload_length 0
		.amdhsa_user_sgpr_kernarg_preload_offset 0
		.amdhsa_user_sgpr_private_segment_size 0
		.amdhsa_uses_dynamic_stack 0
		.amdhsa_system_sgpr_private_segment_wavefront_offset 0
		.amdhsa_system_sgpr_workgroup_id_x 1
		.amdhsa_system_sgpr_workgroup_id_y 0
		.amdhsa_system_sgpr_workgroup_id_z 0
		.amdhsa_system_sgpr_workgroup_info 0
		.amdhsa_system_vgpr_workitem_id 0
		.amdhsa_next_free_vgpr 23
		.amdhsa_next_free_sgpr 24
		.amdhsa_accum_offset 24
		.amdhsa_reserve_vcc 1
		.amdhsa_reserve_flat_scratch 0
		.amdhsa_float_round_mode_32 0
		.amdhsa_float_round_mode_16_64 0
		.amdhsa_float_denorm_mode_32 3
		.amdhsa_float_denorm_mode_16_64 3
		.amdhsa_dx10_clamp 1
		.amdhsa_ieee_mode 1
		.amdhsa_fp16_overflow 0
		.amdhsa_tg_split 0
		.amdhsa_exception_fp_ieee_invalid_op 0
		.amdhsa_exception_fp_denorm_src 0
		.amdhsa_exception_fp_ieee_div_zero 0
		.amdhsa_exception_fp_ieee_overflow 0
		.amdhsa_exception_fp_ieee_underflow 0
		.amdhsa_exception_fp_ieee_inexact 0
		.amdhsa_exception_int_div_zero 0
	.end_amdhsa_kernel
	.section	.text._ZN2at6native12_GLOBAL__N_122cunn_SoftMaxForwardRegIN3c108BFloat16EfS4_NS1_25LogSoftMaxForwardEpilogueElLi5EEEvPT1_PKT_T3_,"axG",@progbits,_ZN2at6native12_GLOBAL__N_122cunn_SoftMaxForwardRegIN3c108BFloat16EfS4_NS1_25LogSoftMaxForwardEpilogueElLi5EEEvPT1_PKT_T3_,comdat
.Lfunc_end159:
	.size	_ZN2at6native12_GLOBAL__N_122cunn_SoftMaxForwardRegIN3c108BFloat16EfS4_NS1_25LogSoftMaxForwardEpilogueElLi5EEEvPT1_PKT_T3_, .Lfunc_end159-_ZN2at6native12_GLOBAL__N_122cunn_SoftMaxForwardRegIN3c108BFloat16EfS4_NS1_25LogSoftMaxForwardEpilogueElLi5EEEvPT1_PKT_T3_
                                        ; -- End function
	.section	.AMDGPU.csdata,"",@progbits
; Kernel info:
; codeLenInByte = 2656
; NumSgprs: 28
; NumVgprs: 23
; NumAgprs: 0
; TotalNumVgprs: 23
; ScratchSize: 0
; MemoryBound: 0
; FloatMode: 240
; IeeeMode: 1
; LDSByteSize: 0 bytes/workgroup (compile time only)
; SGPRBlocks: 3
; VGPRBlocks: 2
; NumSGPRsForWavesPerEU: 28
; NumVGPRsForWavesPerEU: 23
; AccumOffset: 24
; Occupancy: 8
; WaveLimiterHint : 0
; COMPUTE_PGM_RSRC2:SCRATCH_EN: 0
; COMPUTE_PGM_RSRC2:USER_SGPR: 6
; COMPUTE_PGM_RSRC2:TRAP_HANDLER: 0
; COMPUTE_PGM_RSRC2:TGID_X_EN: 1
; COMPUTE_PGM_RSRC2:TGID_Y_EN: 0
; COMPUTE_PGM_RSRC2:TGID_Z_EN: 0
; COMPUTE_PGM_RSRC2:TIDIG_COMP_CNT: 0
; COMPUTE_PGM_RSRC3_GFX90A:ACCUM_OFFSET: 5
; COMPUTE_PGM_RSRC3_GFX90A:TG_SPLIT: 0
	.section	.text._ZN2at6native12_GLOBAL__N_122cunn_SoftMaxForwardRegIN3c108BFloat16EfS4_NS1_25LogSoftMaxForwardEpilogueElLi6EEEvPT1_PKT_T3_,"axG",@progbits,_ZN2at6native12_GLOBAL__N_122cunn_SoftMaxForwardRegIN3c108BFloat16EfS4_NS1_25LogSoftMaxForwardEpilogueElLi6EEEvPT1_PKT_T3_,comdat
	.globl	_ZN2at6native12_GLOBAL__N_122cunn_SoftMaxForwardRegIN3c108BFloat16EfS4_NS1_25LogSoftMaxForwardEpilogueElLi6EEEvPT1_PKT_T3_ ; -- Begin function _ZN2at6native12_GLOBAL__N_122cunn_SoftMaxForwardRegIN3c108BFloat16EfS4_NS1_25LogSoftMaxForwardEpilogueElLi6EEEvPT1_PKT_T3_
	.p2align	8
	.type	_ZN2at6native12_GLOBAL__N_122cunn_SoftMaxForwardRegIN3c108BFloat16EfS4_NS1_25LogSoftMaxForwardEpilogueElLi6EEEvPT1_PKT_T3_,@function
_ZN2at6native12_GLOBAL__N_122cunn_SoftMaxForwardRegIN3c108BFloat16EfS4_NS1_25LogSoftMaxForwardEpilogueElLi6EEEvPT1_PKT_T3_: ; @_ZN2at6native12_GLOBAL__N_122cunn_SoftMaxForwardRegIN3c108BFloat16EfS4_NS1_25LogSoftMaxForwardEpilogueElLi6EEEvPT1_PKT_T3_
; %bb.0:
	s_load_dwordx2 s[8:9], s[4:5], 0x10
	s_load_dwordx4 s[20:23], s[4:5], 0x0
	s_load_dword s2, s[4:5], 0x24
	v_mov_b32_e32 v3, 0
	v_mov_b32_e32 v1, v3
	s_waitcnt lgkmcnt(0)
	s_mul_i32 s0, s6, s9
	s_mul_hi_u32 s1, s6, s8
	s_add_i32 s1, s1, s0
	s_mul_i32 s0, s6, s8
	s_lshl_b64 s[24:25], s[0:1], 1
	s_add_u32 s10, s22, s24
	s_addc_u32 s11, s23, s25
	v_cmp_gt_i64_e32 vcc, s[8:9], v[0:1]
	v_mov_b32_e32 v8, 0xff7fffff
	v_lshlrev_b32_e32 v1, 1, v0
                                        ; implicit-def: $vgpr20
	s_and_saveexec_b64 s[0:1], vcc
	s_cbranch_execz .LBB160_2
; %bb.1:
	global_load_ushort v20, v1, s[10:11]
	s_waitcnt vmcnt(0)
	v_lshlrev_b32_e32 v2, 16, v20
	v_max_f32_e32 v2, v2, v2
	v_max_f32_e32 v8, 0xff7fffff, v2
.LBB160_2:
	s_or_b64 exec, exec, s[0:1]
	s_and_b32 s16, 0xffff, s2
	v_add_u32_e32 v2, s16, v0
	v_cmp_gt_i64_e64 s[0:1], s[8:9], v[2:3]
	v_lshlrev_b32_e32 v4, 1, v2
                                        ; implicit-def: $vgpr17
	s_and_saveexec_b64 s[2:3], s[0:1]
	s_cbranch_execz .LBB160_4
; %bb.3:
	global_load_ushort v17, v4, s[10:11]
	v_max_f32_e32 v5, v8, v8
	s_waitcnt vmcnt(0)
	v_lshlrev_b32_e32 v3, 16, v17
	v_max_f32_e32 v3, v3, v3
	v_max_f32_e32 v8, v5, v3
.LBB160_4:
	s_or_b64 exec, exec, s[2:3]
	v_add_u32_e32 v2, s16, v2
	v_mov_b32_e32 v3, 0
	v_cmp_gt_i64_e64 s[2:3], s[8:9], v[2:3]
	v_lshlrev_b32_e32 v5, 1, v2
                                        ; implicit-def: $vgpr19
	s_and_saveexec_b64 s[4:5], s[2:3]
	s_cbranch_execz .LBB160_6
; %bb.5:
	global_load_ushort v19, v5, s[10:11]
	v_max_f32_e32 v7, v8, v8
	s_waitcnt vmcnt(0)
	v_lshlrev_b32_e32 v6, 16, v19
	v_max_f32_e32 v6, v6, v6
	v_max_f32_e32 v8, v7, v6
.LBB160_6:
	s_or_b64 exec, exec, s[4:5]
	v_add_u32_e32 v2, s16, v2
	v_cmp_gt_i64_e64 s[4:5], s[8:9], v[2:3]
	v_lshlrev_b32_e32 v6, 1, v2
                                        ; implicit-def: $vgpr15
	s_and_saveexec_b64 s[6:7], s[4:5]
	s_cbranch_execz .LBB160_8
; %bb.7:
	global_load_ushort v15, v6, s[10:11]
	v_max_f32_e32 v7, v8, v8
	s_waitcnt vmcnt(0)
	v_lshlrev_b32_e32 v3, 16, v15
	v_max_f32_e32 v3, v3, v3
	v_max_f32_e32 v8, v7, v3
.LBB160_8:
	s_or_b64 exec, exec, s[6:7]
	v_add_u32_e32 v2, s16, v2
	v_mov_b32_e32 v3, 0
	v_cmp_gt_i64_e64 s[6:7], s[8:9], v[2:3]
	v_lshlrev_b32_e32 v7, 1, v2
                                        ; implicit-def: $vgpr14
	s_and_saveexec_b64 s[12:13], s[6:7]
	s_cbranch_execz .LBB160_10
; %bb.9:
	global_load_ushort v14, v7, s[10:11]
	v_max_f32_e32 v8, v8, v8
	s_waitcnt vmcnt(0)
	v_lshlrev_b32_e32 v9, 16, v14
	v_max_f32_e32 v9, v9, v9
	v_max_f32_e32 v8, v8, v9
.LBB160_10:
	s_or_b64 exec, exec, s[12:13]
	v_add_u32_e32 v2, s16, v2
	v_cmp_gt_i64_e64 s[8:9], s[8:9], v[2:3]
	v_lshlrev_b32_e32 v2, 1, v2
                                        ; implicit-def: $vgpr13
	s_and_saveexec_b64 s[12:13], s[8:9]
	s_cbranch_execz .LBB160_12
; %bb.11:
	global_load_ushort v13, v2, s[10:11]
	v_max_f32_e32 v8, v8, v8
	s_waitcnt vmcnt(0)
	v_lshlrev_b32_e32 v3, 16, v13
	v_max_f32_e32 v3, v3, v3
	v_max_f32_e32 v8, v8, v3
.LBB160_12:
	s_or_b64 exec, exec, s[12:13]
	v_mbcnt_lo_u32_b32 v3, -1, 0
	v_mbcnt_hi_u32_b32 v12, -1, v3
	v_and_b32_e32 v16, 63, v12
	v_cmp_gt_u32_e64 s[10:11], 32, v16
	v_cndmask_b32_e64 v3, 0, 1, s[10:11]
	v_lshlrev_b32_e32 v3, 5, v3
	v_add_lshl_u32 v3, v3, v12, 2
	ds_bpermute_b32 v9, v3, v8
	v_cmp_gt_u32_e64 s[10:11], 48, v16
	v_cndmask_b32_e64 v10, 0, 1, s[10:11]
	s_waitcnt lgkmcnt(0)
	s_barrier
	v_cmp_lt_f32_e64 s[10:11], v8, v9
	v_cndmask_b32_e64 v9, v8, v9, s[10:11]
	v_lshlrev_b32_e32 v8, 4, v10
	v_add_lshl_u32 v8, v8, v12, 2
	ds_bpermute_b32 v10, v8, v9
	s_waitcnt lgkmcnt(0)
	v_cmp_lt_f32_e64 s[10:11], v9, v10
	v_cndmask_b32_e64 v10, v9, v10, s[10:11]
	v_cmp_gt_u32_e64 s[10:11], 56, v16
	v_cndmask_b32_e64 v9, 0, 1, s[10:11]
	v_lshlrev_b32_e32 v9, 3, v9
	v_add_lshl_u32 v9, v9, v12, 2
	ds_bpermute_b32 v11, v9, v10
	s_waitcnt lgkmcnt(0)
	v_cmp_lt_f32_e64 s[10:11], v10, v11
	v_cndmask_b32_e64 v11, v10, v11, s[10:11]
	v_cmp_gt_u32_e64 s[10:11], 60, v16
	;; [unrolled: 8-line block ×3, first 2 shown]
	v_cndmask_b32_e64 v11, 0, 1, s[10:11]
	v_lshlrev_b32_e32 v11, 1, v11
	v_add_lshl_u32 v11, v11, v12, 2
	ds_bpermute_b32 v22, v11, v21
	v_and_b32_e32 v18, 63, v0
	s_waitcnt lgkmcnt(0)
	v_cmp_lt_f32_e64 s[10:11], v21, v22
	v_cndmask_b32_e64 v21, v21, v22, s[10:11]
	v_cmp_ne_u32_e64 s[10:11], 63, v16
	v_addc_co_u32_e64 v12, s[10:11], 0, v12, s[10:11]
	v_lshlrev_b32_e32 v12, 2, v12
	ds_bpermute_b32 v22, v12, v21
	v_cmp_eq_u32_e64 s[10:11], 0, v18
	v_lshrrev_b32_e32 v16, 4, v0
	s_and_saveexec_b64 s[12:13], s[10:11]
	s_xor_b64 s[14:15], exec, s[12:13]
	s_cbranch_execz .LBB160_14
; %bb.13:
	s_waitcnt lgkmcnt(0)
	v_cmp_lt_f32_e64 s[12:13], v21, v22
	v_add_u32_e32 v23, 0, v16
	v_cndmask_b32_e64 v21, v21, v22, s[12:13]
	ds_write_b32 v23, v21
.LBB160_14:
	s_or_b64 exec, exec, s[14:15]
	s_lshr_b32 s12, s16, 6
	v_cmp_gt_u32_e64 s[12:13], s12, v0
	v_mov_b32_e32 v21, 0xff7fffff
	v_lshl_add_u32 v18, v18, 2, 0
	s_waitcnt lgkmcnt(0)
	s_barrier
	s_and_saveexec_b64 s[14:15], s[12:13]
	s_cbranch_execnz .LBB160_43
; %bb.15:
	s_or_b64 exec, exec, s[14:15]
	v_cmp_gt_u32_e64 s[14:15], 64, v0
	s_and_saveexec_b64 s[18:19], s[14:15]
	s_cbranch_execnz .LBB160_44
.LBB160_16:
	s_or_b64 exec, exec, s[18:19]
	v_cmp_eq_u32_e64 s[16:17], 0, v0
	s_and_saveexec_b64 s[18:19], s[16:17]
	s_cbranch_execz .LBB160_18
.LBB160_17:
	v_mov_b32_e32 v0, 0
	s_waitcnt lgkmcnt(0)
	ds_write_b32 v0, v21
.LBB160_18:
	s_or_b64 exec, exec, s[18:19]
	s_waitcnt lgkmcnt(0)
	v_mov_b32_e32 v21, 0
	s_barrier
	ds_read_b32 v22, v21
	v_lshlrev_b32_e32 v0, 16, v20
	s_waitcnt lgkmcnt(0)
	v_sub_f32_e32 v0, v0, v22
	s_and_saveexec_b64 s[22:23], vcc
	s_cbranch_execz .LBB160_20
; %bb.19:
	s_mov_b32 s18, 0x3fb8aa3b
	v_mul_f32_e32 v20, 0x3fb8aa3b, v0
	v_fma_f32 v21, v0, s18, -v20
	v_rndne_f32_e32 v23, v20
	v_fmac_f32_e32 v21, 0x32a5705f, v0
	v_sub_f32_e32 v20, v20, v23
	v_add_f32_e32 v20, v20, v21
	v_exp_f32_e32 v20, v20
	v_cvt_i32_f32_e32 v21, v23
	s_mov_b32 s18, 0xc2ce8ed0
	v_cmp_ngt_f32_e64 s[18:19], s18, v0
	v_ldexp_f32 v20, v20, v21
	v_cndmask_b32_e64 v20, 0, v20, s[18:19]
	s_mov_b32 s18, 0x42b17218
	v_mov_b32_e32 v21, 0x7f800000
	v_cmp_nlt_f32_e64 s[18:19], s18, v0
	v_cndmask_b32_e64 v21, v21, v20, s[18:19]
.LBB160_20:
	s_or_b64 exec, exec, s[22:23]
	v_lshlrev_b32_e32 v17, 16, v17
	v_sub_f32_e32 v17, v17, v22
	s_and_saveexec_b64 s[22:23], s[0:1]
	s_cbranch_execz .LBB160_22
; %bb.21:
	s_mov_b32 s18, 0x3fb8aa3b
	v_mul_f32_e32 v20, 0x3fb8aa3b, v17
	v_fma_f32 v23, v17, s18, -v20
	v_rndne_f32_e32 v24, v20
	v_fmac_f32_e32 v23, 0x32a5705f, v17
	v_sub_f32_e32 v20, v20, v24
	v_add_f32_e32 v20, v20, v23
	v_exp_f32_e32 v20, v20
	v_cvt_i32_f32_e32 v23, v24
	s_mov_b32 s18, 0xc2ce8ed0
	v_cmp_ngt_f32_e64 s[18:19], s18, v17
	v_ldexp_f32 v20, v20, v23
	v_cndmask_b32_e64 v20, 0, v20, s[18:19]
	s_mov_b32 s18, 0x42b17218
	v_mov_b32_e32 v23, 0x7f800000
	v_cmp_nlt_f32_e64 s[18:19], s18, v17
	v_cndmask_b32_e64 v20, v23, v20, s[18:19]
	v_add_f32_e32 v21, v21, v20
.LBB160_22:
	s_or_b64 exec, exec, s[22:23]
	v_lshlrev_b32_e32 v19, 16, v19
	v_sub_f32_e32 v19, v19, v22
	s_and_saveexec_b64 s[22:23], s[2:3]
	s_cbranch_execz .LBB160_24
; %bb.23:
	s_mov_b32 s18, 0x3fb8aa3b
	v_mul_f32_e32 v20, 0x3fb8aa3b, v19
	v_fma_f32 v23, v19, s18, -v20
	v_rndne_f32_e32 v24, v20
	v_fmac_f32_e32 v23, 0x32a5705f, v19
	v_sub_f32_e32 v20, v20, v24
	v_add_f32_e32 v20, v20, v23
	v_exp_f32_e32 v20, v20
	v_cvt_i32_f32_e32 v23, v24
	s_mov_b32 s18, 0xc2ce8ed0
	v_cmp_ngt_f32_e64 s[18:19], s18, v19
	v_ldexp_f32 v20, v20, v23
	v_cndmask_b32_e64 v20, 0, v20, s[18:19]
	s_mov_b32 s18, 0x42b17218
	v_mov_b32_e32 v23, 0x7f800000
	v_cmp_nlt_f32_e64 s[18:19], s18, v19
	v_cndmask_b32_e64 v20, v23, v20, s[18:19]
	v_add_f32_e32 v21, v21, v20
.LBB160_24:
	;; [unrolled: 25-line block ×5, first 2 shown]
	s_or_b64 exec, exec, s[22:23]
	ds_bpermute_b32 v20, v3, v21
	s_waitcnt lgkmcnt(0)
	s_barrier
	v_add_f32_e32 v20, v21, v20
	ds_bpermute_b32 v21, v8, v20
	s_waitcnt lgkmcnt(0)
	v_add_f32_e32 v20, v20, v21
	ds_bpermute_b32 v21, v9, v20
	s_waitcnt lgkmcnt(0)
	v_add_f32_e32 v20, v20, v21
	ds_bpermute_b32 v21, v10, v20
	s_waitcnt lgkmcnt(0)
	v_add_f32_e32 v20, v20, v21
	ds_bpermute_b32 v21, v11, v20
	s_waitcnt lgkmcnt(0)
	v_add_f32_e32 v20, v20, v21
	ds_bpermute_b32 v21, v12, v20
	s_and_saveexec_b64 s[18:19], s[10:11]
	s_xor_b64 s[10:11], exec, s[18:19]
	s_cbranch_execz .LBB160_32
; %bb.31:
	v_add_u32_e32 v16, 0, v16
	s_waitcnt lgkmcnt(0)
	v_add_f32_e32 v20, v20, v21
	ds_write_b32 v16, v20
.LBB160_32:
	s_or_b64 exec, exec, s[10:11]
	v_mov_b32_e32 v16, 0
	s_waitcnt lgkmcnt(0)
	s_barrier
	s_and_saveexec_b64 s[10:11], s[12:13]
	s_cbranch_execnz .LBB160_45
; %bb.33:
	s_or_b64 exec, exec, s[10:11]
	s_and_saveexec_b64 s[10:11], s[14:15]
	s_cbranch_execnz .LBB160_46
.LBB160_34:
	s_or_b64 exec, exec, s[10:11]
	s_and_saveexec_b64 s[10:11], s[16:17]
	s_cbranch_execz .LBB160_36
.LBB160_35:
	v_mov_b32_e32 v3, 0
	s_waitcnt lgkmcnt(0)
	ds_write_b32 v3, v16
.LBB160_36:
	s_or_b64 exec, exec, s[10:11]
	v_mov_b32_e32 v3, 0
	s_waitcnt lgkmcnt(0)
	s_barrier
	ds_read_b32 v3, v3
	s_mov_b32 s10, 0x800000
	v_mov_b32_e32 v8, 0x4f800000
	s_mov_b32 s12, 0x3f317217
	s_add_u32 s14, s20, s24
	s_waitcnt lgkmcnt(0)
	v_cmp_gt_f32_e64 s[10:11], s10, v3
	v_cndmask_b32_e64 v8, 1.0, v8, s[10:11]
	v_mul_f32_e32 v3, v3, v8
	v_log_f32_e32 v3, v3
	s_addc_u32 s15, s21, s25
	v_mul_f32_e32 v8, 0x3f317217, v3
	v_fma_f32 v9, v3, s12, -v8
	v_fmac_f32_e32 v9, 0x3377d1cf, v3
	s_mov_b32 s12, 0x7f800000
	v_add_f32_e32 v8, v8, v9
	v_cmp_lt_f32_e64 s[12:13], |v3|, s12
	v_cndmask_b32_e64 v3, v3, v8, s[12:13]
	v_mov_b32_e32 v8, 0x41b17218
	v_cndmask_b32_e64 v8, 0, v8, s[10:11]
	v_sub_f32_e32 v3, v3, v8
	s_and_saveexec_b64 s[10:11], vcc
	s_cbranch_execnz .LBB160_47
; %bb.37:
	s_or_b64 exec, exec, s[10:11]
	s_and_saveexec_b64 s[10:11], s[0:1]
	s_cbranch_execnz .LBB160_48
.LBB160_38:
	s_or_b64 exec, exec, s[10:11]
	s_and_saveexec_b64 s[0:1], s[2:3]
	s_cbranch_execnz .LBB160_49
.LBB160_39:
	s_or_b64 exec, exec, s[0:1]
	s_and_saveexec_b64 s[0:1], s[4:5]
	s_cbranch_execnz .LBB160_50
.LBB160_40:
	s_or_b64 exec, exec, s[0:1]
	s_and_saveexec_b64 s[0:1], s[6:7]
	s_cbranch_execnz .LBB160_51
.LBB160_41:
	s_or_b64 exec, exec, s[0:1]
	s_and_saveexec_b64 s[0:1], s[8:9]
	s_cbranch_execnz .LBB160_52
.LBB160_42:
	s_endpgm
.LBB160_43:
	ds_read_b32 v21, v18
	s_or_b64 exec, exec, s[14:15]
	v_cmp_gt_u32_e64 s[14:15], 64, v0
	s_and_saveexec_b64 s[18:19], s[14:15]
	s_cbranch_execz .LBB160_16
.LBB160_44:
	s_waitcnt lgkmcnt(0)
	ds_bpermute_b32 v22, v3, v21
	s_waitcnt lgkmcnt(0)
	v_cmp_lt_f32_e64 s[16:17], v21, v22
	v_cndmask_b32_e64 v21, v21, v22, s[16:17]
	ds_bpermute_b32 v22, v8, v21
	s_waitcnt lgkmcnt(0)
	v_cmp_lt_f32_e64 s[16:17], v21, v22
	v_cndmask_b32_e64 v21, v21, v22, s[16:17]
	;; [unrolled: 4-line block ×6, first 2 shown]
	s_or_b64 exec, exec, s[18:19]
	v_cmp_eq_u32_e64 s[16:17], 0, v0
	s_and_saveexec_b64 s[18:19], s[16:17]
	s_cbranch_execnz .LBB160_17
	s_branch .LBB160_18
.LBB160_45:
	ds_read_b32 v16, v18
	s_or_b64 exec, exec, s[10:11]
	s_and_saveexec_b64 s[10:11], s[14:15]
	s_cbranch_execz .LBB160_34
.LBB160_46:
	s_waitcnt lgkmcnt(0)
	ds_bpermute_b32 v3, v3, v16
	s_waitcnt lgkmcnt(0)
	v_add_f32_e32 v3, v16, v3
	ds_bpermute_b32 v8, v8, v3
	s_waitcnt lgkmcnt(0)
	v_add_f32_e32 v3, v3, v8
	;; [unrolled: 3-line block ×6, first 2 shown]
	s_or_b64 exec, exec, s[10:11]
	s_and_saveexec_b64 s[10:11], s[16:17]
	s_cbranch_execnz .LBB160_35
	s_branch .LBB160_36
.LBB160_47:
	v_sub_f32_e32 v0, v0, v3
	v_bfe_u32 v8, v0, 16, 1
	s_movk_i32 s12, 0x7fff
	v_add3_u32 v8, v0, v8, s12
	v_lshrrev_b32_e32 v8, 16, v8
	v_mov_b32_e32 v9, 0x7fc0
	v_cmp_o_f32_e32 vcc, v0, v0
	v_cndmask_b32_e32 v0, v9, v8, vcc
	global_store_short v1, v0, s[14:15]
	s_or_b64 exec, exec, s[10:11]
	s_and_saveexec_b64 s[10:11], s[0:1]
	s_cbranch_execz .LBB160_38
.LBB160_48:
	v_sub_f32_e32 v0, v17, v3
	v_bfe_u32 v1, v0, 16, 1
	s_movk_i32 s0, 0x7fff
	v_add3_u32 v1, v0, v1, s0
	v_lshrrev_b32_e32 v1, 16, v1
	v_mov_b32_e32 v8, 0x7fc0
	v_cmp_o_f32_e32 vcc, v0, v0
	v_cndmask_b32_e32 v0, v8, v1, vcc
	global_store_short v4, v0, s[14:15]
	s_or_b64 exec, exec, s[10:11]
	s_and_saveexec_b64 s[0:1], s[2:3]
	s_cbranch_execz .LBB160_39
.LBB160_49:
	v_sub_f32_e32 v0, v19, v3
	v_bfe_u32 v1, v0, 16, 1
	s_movk_i32 s2, 0x7fff
	v_add3_u32 v1, v0, v1, s2
	v_lshrrev_b32_e32 v1, 16, v1
	v_mov_b32_e32 v4, 0x7fc0
	v_cmp_o_f32_e32 vcc, v0, v0
	v_cndmask_b32_e32 v0, v4, v1, vcc
	global_store_short v5, v0, s[14:15]
	s_or_b64 exec, exec, s[0:1]
	s_and_saveexec_b64 s[0:1], s[4:5]
	s_cbranch_execz .LBB160_40
.LBB160_50:
	v_sub_f32_e32 v0, v15, v3
	v_bfe_u32 v1, v0, 16, 1
	s_movk_i32 s2, 0x7fff
	v_add3_u32 v1, v0, v1, s2
	v_lshrrev_b32_e32 v1, 16, v1
	v_mov_b32_e32 v4, 0x7fc0
	v_cmp_o_f32_e32 vcc, v0, v0
	v_cndmask_b32_e32 v0, v4, v1, vcc
	global_store_short v6, v0, s[14:15]
	s_or_b64 exec, exec, s[0:1]
	s_and_saveexec_b64 s[0:1], s[6:7]
	s_cbranch_execz .LBB160_41
.LBB160_51:
	v_sub_f32_e32 v0, v14, v3
	v_bfe_u32 v1, v0, 16, 1
	s_movk_i32 s2, 0x7fff
	v_add3_u32 v1, v0, v1, s2
	v_lshrrev_b32_e32 v1, 16, v1
	v_mov_b32_e32 v4, 0x7fc0
	v_cmp_o_f32_e32 vcc, v0, v0
	v_cndmask_b32_e32 v0, v4, v1, vcc
	global_store_short v7, v0, s[14:15]
	s_or_b64 exec, exec, s[0:1]
	s_and_saveexec_b64 s[0:1], s[8:9]
	s_cbranch_execz .LBB160_42
.LBB160_52:
	v_sub_f32_e32 v0, v13, v3
	v_bfe_u32 v1, v0, 16, 1
	s_movk_i32 s0, 0x7fff
	v_add3_u32 v1, v0, v1, s0
	v_lshrrev_b32_e32 v1, 16, v1
	v_mov_b32_e32 v3, 0x7fc0
	v_cmp_o_f32_e32 vcc, v0, v0
	v_cndmask_b32_e32 v0, v3, v1, vcc
	global_store_short v2, v0, s[14:15]
	s_endpgm
	.section	.rodata,"a",@progbits
	.p2align	6, 0x0
	.amdhsa_kernel _ZN2at6native12_GLOBAL__N_122cunn_SoftMaxForwardRegIN3c108BFloat16EfS4_NS1_25LogSoftMaxForwardEpilogueElLi6EEEvPT1_PKT_T3_
		.amdhsa_group_segment_fixed_size 0
		.amdhsa_private_segment_fixed_size 0
		.amdhsa_kernarg_size 280
		.amdhsa_user_sgpr_count 6
		.amdhsa_user_sgpr_private_segment_buffer 1
		.amdhsa_user_sgpr_dispatch_ptr 0
		.amdhsa_user_sgpr_queue_ptr 0
		.amdhsa_user_sgpr_kernarg_segment_ptr 1
		.amdhsa_user_sgpr_dispatch_id 0
		.amdhsa_user_sgpr_flat_scratch_init 0
		.amdhsa_user_sgpr_kernarg_preload_length 0
		.amdhsa_user_sgpr_kernarg_preload_offset 0
		.amdhsa_user_sgpr_private_segment_size 0
		.amdhsa_uses_dynamic_stack 0
		.amdhsa_system_sgpr_private_segment_wavefront_offset 0
		.amdhsa_system_sgpr_workgroup_id_x 1
		.amdhsa_system_sgpr_workgroup_id_y 0
		.amdhsa_system_sgpr_workgroup_id_z 0
		.amdhsa_system_sgpr_workgroup_info 0
		.amdhsa_system_vgpr_workitem_id 0
		.amdhsa_next_free_vgpr 25
		.amdhsa_next_free_sgpr 26
		.amdhsa_accum_offset 28
		.amdhsa_reserve_vcc 1
		.amdhsa_reserve_flat_scratch 0
		.amdhsa_float_round_mode_32 0
		.amdhsa_float_round_mode_16_64 0
		.amdhsa_float_denorm_mode_32 3
		.amdhsa_float_denorm_mode_16_64 3
		.amdhsa_dx10_clamp 1
		.amdhsa_ieee_mode 1
		.amdhsa_fp16_overflow 0
		.amdhsa_tg_split 0
		.amdhsa_exception_fp_ieee_invalid_op 0
		.amdhsa_exception_fp_denorm_src 0
		.amdhsa_exception_fp_ieee_div_zero 0
		.amdhsa_exception_fp_ieee_overflow 0
		.amdhsa_exception_fp_ieee_underflow 0
		.amdhsa_exception_fp_ieee_inexact 0
		.amdhsa_exception_int_div_zero 0
	.end_amdhsa_kernel
	.section	.text._ZN2at6native12_GLOBAL__N_122cunn_SoftMaxForwardRegIN3c108BFloat16EfS4_NS1_25LogSoftMaxForwardEpilogueElLi6EEEvPT1_PKT_T3_,"axG",@progbits,_ZN2at6native12_GLOBAL__N_122cunn_SoftMaxForwardRegIN3c108BFloat16EfS4_NS1_25LogSoftMaxForwardEpilogueElLi6EEEvPT1_PKT_T3_,comdat
.Lfunc_end160:
	.size	_ZN2at6native12_GLOBAL__N_122cunn_SoftMaxForwardRegIN3c108BFloat16EfS4_NS1_25LogSoftMaxForwardEpilogueElLi6EEEvPT1_PKT_T3_, .Lfunc_end160-_ZN2at6native12_GLOBAL__N_122cunn_SoftMaxForwardRegIN3c108BFloat16EfS4_NS1_25LogSoftMaxForwardEpilogueElLi6EEEvPT1_PKT_T3_
                                        ; -- End function
	.section	.AMDGPU.csdata,"",@progbits
; Kernel info:
; codeLenInByte = 2928
; NumSgprs: 30
; NumVgprs: 25
; NumAgprs: 0
; TotalNumVgprs: 25
; ScratchSize: 0
; MemoryBound: 0
; FloatMode: 240
; IeeeMode: 1
; LDSByteSize: 0 bytes/workgroup (compile time only)
; SGPRBlocks: 3
; VGPRBlocks: 3
; NumSGPRsForWavesPerEU: 30
; NumVGPRsForWavesPerEU: 25
; AccumOffset: 28
; Occupancy: 8
; WaveLimiterHint : 0
; COMPUTE_PGM_RSRC2:SCRATCH_EN: 0
; COMPUTE_PGM_RSRC2:USER_SGPR: 6
; COMPUTE_PGM_RSRC2:TRAP_HANDLER: 0
; COMPUTE_PGM_RSRC2:TGID_X_EN: 1
; COMPUTE_PGM_RSRC2:TGID_Y_EN: 0
; COMPUTE_PGM_RSRC2:TGID_Z_EN: 0
; COMPUTE_PGM_RSRC2:TIDIG_COMP_CNT: 0
; COMPUTE_PGM_RSRC3_GFX90A:ACCUM_OFFSET: 6
; COMPUTE_PGM_RSRC3_GFX90A:TG_SPLIT: 0
	.section	.text._ZN2at6native12_GLOBAL__N_122cunn_SoftMaxForwardRegIN3c108BFloat16EfS4_NS1_25LogSoftMaxForwardEpilogueElLi7EEEvPT1_PKT_T3_,"axG",@progbits,_ZN2at6native12_GLOBAL__N_122cunn_SoftMaxForwardRegIN3c108BFloat16EfS4_NS1_25LogSoftMaxForwardEpilogueElLi7EEEvPT1_PKT_T3_,comdat
	.globl	_ZN2at6native12_GLOBAL__N_122cunn_SoftMaxForwardRegIN3c108BFloat16EfS4_NS1_25LogSoftMaxForwardEpilogueElLi7EEEvPT1_PKT_T3_ ; -- Begin function _ZN2at6native12_GLOBAL__N_122cunn_SoftMaxForwardRegIN3c108BFloat16EfS4_NS1_25LogSoftMaxForwardEpilogueElLi7EEEvPT1_PKT_T3_
	.p2align	8
	.type	_ZN2at6native12_GLOBAL__N_122cunn_SoftMaxForwardRegIN3c108BFloat16EfS4_NS1_25LogSoftMaxForwardEpilogueElLi7EEEvPT1_PKT_T3_,@function
_ZN2at6native12_GLOBAL__N_122cunn_SoftMaxForwardRegIN3c108BFloat16EfS4_NS1_25LogSoftMaxForwardEpilogueElLi7EEEvPT1_PKT_T3_: ; @_ZN2at6native12_GLOBAL__N_122cunn_SoftMaxForwardRegIN3c108BFloat16EfS4_NS1_25LogSoftMaxForwardEpilogueElLi7EEEvPT1_PKT_T3_
; %bb.0:
	s_load_dwordx2 s[10:11], s[4:5], 0x10
	s_load_dwordx4 s[24:27], s[4:5], 0x0
	s_load_dword s2, s[4:5], 0x24
	v_mov_b32_e32 v3, 0
	v_mov_b32_e32 v1, v3
	s_waitcnt lgkmcnt(0)
	s_mul_i32 s0, s6, s11
	s_mul_hi_u32 s1, s6, s10
	s_add_i32 s1, s1, s0
	s_mul_i32 s0, s6, s10
	s_lshl_b64 s[22:23], s[0:1], 1
	s_add_u32 s12, s26, s22
	s_addc_u32 s13, s27, s23
	v_cmp_gt_i64_e32 vcc, s[10:11], v[0:1]
	v_mov_b32_e32 v9, 0xff7fffff
	v_lshlrev_b32_e32 v1, 1, v0
                                        ; implicit-def: $vgpr22
	s_and_saveexec_b64 s[0:1], vcc
	s_cbranch_execz .LBB161_2
; %bb.1:
	global_load_ushort v22, v1, s[12:13]
	s_waitcnt vmcnt(0)
	v_lshlrev_b32_e32 v2, 16, v22
	v_max_f32_e32 v2, v2, v2
	v_max_f32_e32 v9, 0xff7fffff, v2
.LBB161_2:
	s_or_b64 exec, exec, s[0:1]
	s_and_b32 s18, 0xffff, s2
	v_add_u32_e32 v2, s18, v0
	v_cmp_gt_i64_e64 s[0:1], s[10:11], v[2:3]
	v_lshlrev_b32_e32 v4, 1, v2
                                        ; implicit-def: $vgpr18
	s_and_saveexec_b64 s[2:3], s[0:1]
	s_cbranch_execz .LBB161_4
; %bb.3:
	global_load_ushort v18, v4, s[12:13]
	v_max_f32_e32 v5, v9, v9
	s_waitcnt vmcnt(0)
	v_lshlrev_b32_e32 v3, 16, v18
	v_max_f32_e32 v3, v3, v3
	v_max_f32_e32 v9, v5, v3
.LBB161_4:
	s_or_b64 exec, exec, s[2:3]
	v_add_u32_e32 v2, s18, v2
	v_mov_b32_e32 v3, 0
	v_cmp_gt_i64_e64 s[2:3], s[10:11], v[2:3]
	v_lshlrev_b32_e32 v5, 1, v2
                                        ; implicit-def: $vgpr21
	s_and_saveexec_b64 s[4:5], s[2:3]
	s_cbranch_execz .LBB161_6
; %bb.5:
	global_load_ushort v21, v5, s[12:13]
	v_max_f32_e32 v7, v9, v9
	s_waitcnt vmcnt(0)
	v_lshlrev_b32_e32 v6, 16, v21
	v_max_f32_e32 v6, v6, v6
	v_max_f32_e32 v9, v7, v6
.LBB161_6:
	s_or_b64 exec, exec, s[4:5]
	v_add_u32_e32 v2, s18, v2
	v_cmp_gt_i64_e64 s[4:5], s[10:11], v[2:3]
	v_lshlrev_b32_e32 v6, 1, v2
                                        ; implicit-def: $vgpr20
	s_and_saveexec_b64 s[6:7], s[4:5]
	s_cbranch_execz .LBB161_8
; %bb.7:
	global_load_ushort v20, v6, s[12:13]
	v_max_f32_e32 v7, v9, v9
	s_waitcnt vmcnt(0)
	v_lshlrev_b32_e32 v3, 16, v20
	v_max_f32_e32 v3, v3, v3
	v_max_f32_e32 v9, v7, v3
.LBB161_8:
	s_or_b64 exec, exec, s[6:7]
	v_add_u32_e32 v2, s18, v2
	v_mov_b32_e32 v3, 0
	v_cmp_gt_i64_e64 s[6:7], s[10:11], v[2:3]
	v_lshlrev_b32_e32 v7, 1, v2
                                        ; implicit-def: $vgpr16
	s_and_saveexec_b64 s[8:9], s[6:7]
	s_cbranch_execz .LBB161_10
; %bb.9:
	global_load_ushort v16, v7, s[12:13]
	v_max_f32_e32 v9, v9, v9
	s_waitcnt vmcnt(0)
	v_lshlrev_b32_e32 v8, 16, v16
	v_max_f32_e32 v8, v8, v8
	v_max_f32_e32 v9, v9, v8
.LBB161_10:
	s_or_b64 exec, exec, s[8:9]
	v_add_u32_e32 v2, s18, v2
	v_cmp_gt_i64_e64 s[8:9], s[10:11], v[2:3]
	v_lshlrev_b32_e32 v3, 1, v2
                                        ; implicit-def: $vgpr15
	s_and_saveexec_b64 s[14:15], s[8:9]
	s_cbranch_execz .LBB161_12
; %bb.11:
	global_load_ushort v15, v3, s[12:13]
	v_max_f32_e32 v9, v9, v9
	s_waitcnt vmcnt(0)
	v_lshlrev_b32_e32 v8, 16, v15
	v_max_f32_e32 v8, v8, v8
	v_max_f32_e32 v9, v9, v8
.LBB161_12:
	s_or_b64 exec, exec, s[14:15]
	v_add_u32_e32 v10, s18, v2
	v_mov_b32_e32 v11, 0
	v_cmp_gt_i64_e64 s[10:11], s[10:11], v[10:11]
	v_lshlrev_b32_e32 v2, 1, v10
                                        ; implicit-def: $vgpr14
	s_and_saveexec_b64 s[14:15], s[10:11]
	s_cbranch_execz .LBB161_14
; %bb.13:
	global_load_ushort v14, v2, s[12:13]
	v_max_f32_e32 v9, v9, v9
	s_waitcnt vmcnt(0)
	v_lshlrev_b32_e32 v8, 16, v14
	v_max_f32_e32 v8, v8, v8
	v_max_f32_e32 v9, v9, v8
.LBB161_14:
	s_or_b64 exec, exec, s[14:15]
	v_mbcnt_lo_u32_b32 v8, -1, 0
	v_mbcnt_hi_u32_b32 v13, -1, v8
	v_and_b32_e32 v17, 63, v13
	v_cmp_gt_u32_e64 s[12:13], 32, v17
	v_cndmask_b32_e64 v8, 0, 1, s[12:13]
	v_lshlrev_b32_e32 v8, 5, v8
	v_add_lshl_u32 v8, v8, v13, 2
	ds_bpermute_b32 v10, v8, v9
	v_cmp_gt_u32_e64 s[12:13], 48, v17
	v_cndmask_b32_e64 v11, 0, 1, s[12:13]
	s_waitcnt lgkmcnt(0)
	s_barrier
	v_cmp_lt_f32_e64 s[12:13], v9, v10
	v_cndmask_b32_e64 v10, v9, v10, s[12:13]
	v_lshlrev_b32_e32 v9, 4, v11
	v_add_lshl_u32 v9, v9, v13, 2
	ds_bpermute_b32 v11, v9, v10
	s_waitcnt lgkmcnt(0)
	v_cmp_lt_f32_e64 s[12:13], v10, v11
	v_cndmask_b32_e64 v11, v10, v11, s[12:13]
	v_cmp_gt_u32_e64 s[12:13], 56, v17
	v_cndmask_b32_e64 v10, 0, 1, s[12:13]
	v_lshlrev_b32_e32 v10, 3, v10
	v_add_lshl_u32 v10, v10, v13, 2
	ds_bpermute_b32 v12, v10, v11
	s_waitcnt lgkmcnt(0)
	v_cmp_lt_f32_e64 s[12:13], v11, v12
	v_cndmask_b32_e64 v12, v11, v12, s[12:13]
	v_cmp_gt_u32_e64 s[12:13], 60, v17
	;; [unrolled: 8-line block ×3, first 2 shown]
	v_cndmask_b32_e64 v12, 0, 1, s[12:13]
	v_lshlrev_b32_e32 v12, 1, v12
	v_add_lshl_u32 v12, v12, v13, 2
	ds_bpermute_b32 v24, v12, v23
	v_and_b32_e32 v19, 63, v0
	s_waitcnt lgkmcnt(0)
	v_cmp_lt_f32_e64 s[12:13], v23, v24
	v_cndmask_b32_e64 v23, v23, v24, s[12:13]
	v_cmp_ne_u32_e64 s[12:13], 63, v17
	v_addc_co_u32_e64 v13, s[12:13], 0, v13, s[12:13]
	v_lshlrev_b32_e32 v13, 2, v13
	ds_bpermute_b32 v24, v13, v23
	v_cmp_eq_u32_e64 s[12:13], 0, v19
	v_lshrrev_b32_e32 v17, 4, v0
	s_and_saveexec_b64 s[14:15], s[12:13]
	s_xor_b64 s[16:17], exec, s[14:15]
	s_cbranch_execz .LBB161_16
; %bb.15:
	s_waitcnt lgkmcnt(0)
	v_cmp_lt_f32_e64 s[14:15], v23, v24
	v_add_u32_e32 v25, 0, v17
	v_cndmask_b32_e64 v23, v23, v24, s[14:15]
	ds_write_b32 v25, v23
.LBB161_16:
	s_or_b64 exec, exec, s[16:17]
	s_lshr_b32 s14, s18, 6
	v_cmp_gt_u32_e64 s[14:15], s14, v0
	v_mov_b32_e32 v23, 0xff7fffff
	v_lshl_add_u32 v19, v19, 2, 0
	s_waitcnt lgkmcnt(0)
	s_barrier
	s_and_saveexec_b64 s[16:17], s[14:15]
	s_cbranch_execnz .LBB161_48
; %bb.17:
	s_or_b64 exec, exec, s[16:17]
	v_cmp_gt_u32_e64 s[16:17], 64, v0
	s_and_saveexec_b64 s[20:21], s[16:17]
	s_cbranch_execnz .LBB161_49
.LBB161_18:
	s_or_b64 exec, exec, s[20:21]
	v_cmp_eq_u32_e64 s[18:19], 0, v0
	s_and_saveexec_b64 s[20:21], s[18:19]
	s_cbranch_execz .LBB161_20
.LBB161_19:
	v_mov_b32_e32 v0, 0
	s_waitcnt lgkmcnt(0)
	ds_write_b32 v0, v23
.LBB161_20:
	s_or_b64 exec, exec, s[20:21]
	s_waitcnt lgkmcnt(0)
	v_mov_b32_e32 v23, 0
	s_barrier
	ds_read_b32 v24, v23
	v_lshlrev_b32_e32 v0, 16, v22
	s_waitcnt lgkmcnt(0)
	v_sub_f32_e32 v0, v0, v24
	s_and_saveexec_b64 s[26:27], vcc
	s_cbranch_execz .LBB161_22
; %bb.21:
	s_mov_b32 s20, 0x3fb8aa3b
	v_mul_f32_e32 v22, 0x3fb8aa3b, v0
	v_fma_f32 v23, v0, s20, -v22
	v_rndne_f32_e32 v25, v22
	v_fmac_f32_e32 v23, 0x32a5705f, v0
	v_sub_f32_e32 v22, v22, v25
	v_add_f32_e32 v22, v22, v23
	v_exp_f32_e32 v22, v22
	v_cvt_i32_f32_e32 v23, v25
	s_mov_b32 s20, 0xc2ce8ed0
	v_cmp_ngt_f32_e64 s[20:21], s20, v0
	v_ldexp_f32 v22, v22, v23
	v_cndmask_b32_e64 v22, 0, v22, s[20:21]
	s_mov_b32 s20, 0x42b17218
	v_mov_b32_e32 v23, 0x7f800000
	v_cmp_nlt_f32_e64 s[20:21], s20, v0
	v_cndmask_b32_e64 v23, v23, v22, s[20:21]
.LBB161_22:
	s_or_b64 exec, exec, s[26:27]
	v_lshlrev_b32_e32 v18, 16, v18
	v_sub_f32_e32 v18, v18, v24
	s_and_saveexec_b64 s[26:27], s[0:1]
	s_cbranch_execz .LBB161_24
; %bb.23:
	s_mov_b32 s20, 0x3fb8aa3b
	v_mul_f32_e32 v22, 0x3fb8aa3b, v18
	v_fma_f32 v25, v18, s20, -v22
	v_rndne_f32_e32 v26, v22
	v_fmac_f32_e32 v25, 0x32a5705f, v18
	v_sub_f32_e32 v22, v22, v26
	v_add_f32_e32 v22, v22, v25
	v_exp_f32_e32 v22, v22
	v_cvt_i32_f32_e32 v25, v26
	s_mov_b32 s20, 0xc2ce8ed0
	v_cmp_ngt_f32_e64 s[20:21], s20, v18
	v_ldexp_f32 v22, v22, v25
	v_cndmask_b32_e64 v22, 0, v22, s[20:21]
	s_mov_b32 s20, 0x42b17218
	v_mov_b32_e32 v25, 0x7f800000
	v_cmp_nlt_f32_e64 s[20:21], s20, v18
	v_cndmask_b32_e64 v22, v25, v22, s[20:21]
	v_add_f32_e32 v23, v23, v22
.LBB161_24:
	s_or_b64 exec, exec, s[26:27]
	v_lshlrev_b32_e32 v21, 16, v21
	v_sub_f32_e32 v21, v21, v24
	s_and_saveexec_b64 s[26:27], s[2:3]
	s_cbranch_execz .LBB161_26
; %bb.25:
	s_mov_b32 s20, 0x3fb8aa3b
	v_mul_f32_e32 v22, 0x3fb8aa3b, v21
	v_fma_f32 v25, v21, s20, -v22
	v_rndne_f32_e32 v26, v22
	v_fmac_f32_e32 v25, 0x32a5705f, v21
	v_sub_f32_e32 v22, v22, v26
	v_add_f32_e32 v22, v22, v25
	v_exp_f32_e32 v22, v22
	v_cvt_i32_f32_e32 v25, v26
	s_mov_b32 s20, 0xc2ce8ed0
	v_cmp_ngt_f32_e64 s[20:21], s20, v21
	v_ldexp_f32 v22, v22, v25
	v_cndmask_b32_e64 v22, 0, v22, s[20:21]
	s_mov_b32 s20, 0x42b17218
	v_mov_b32_e32 v25, 0x7f800000
	v_cmp_nlt_f32_e64 s[20:21], s20, v21
	v_cndmask_b32_e64 v22, v25, v22, s[20:21]
	v_add_f32_e32 v23, v23, v22
.LBB161_26:
	;; [unrolled: 25-line block ×6, first 2 shown]
	s_or_b64 exec, exec, s[26:27]
	ds_bpermute_b32 v22, v8, v23
	s_waitcnt lgkmcnt(0)
	s_barrier
	v_add_f32_e32 v22, v23, v22
	ds_bpermute_b32 v23, v9, v22
	s_waitcnt lgkmcnt(0)
	v_add_f32_e32 v22, v22, v23
	ds_bpermute_b32 v23, v10, v22
	s_waitcnt lgkmcnt(0)
	;; [unrolled: 3-line block ×4, first 2 shown]
	v_add_f32_e32 v22, v22, v23
	ds_bpermute_b32 v23, v13, v22
	s_and_saveexec_b64 s[20:21], s[12:13]
	s_xor_b64 s[12:13], exec, s[20:21]
	s_cbranch_execz .LBB161_36
; %bb.35:
	v_add_u32_e32 v17, 0, v17
	s_waitcnt lgkmcnt(0)
	v_add_f32_e32 v22, v22, v23
	ds_write_b32 v17, v22
.LBB161_36:
	s_or_b64 exec, exec, s[12:13]
	v_mov_b32_e32 v17, 0
	s_waitcnt lgkmcnt(0)
	s_barrier
	s_and_saveexec_b64 s[12:13], s[14:15]
	s_cbranch_execnz .LBB161_50
; %bb.37:
	s_or_b64 exec, exec, s[12:13]
	s_and_saveexec_b64 s[12:13], s[16:17]
	s_cbranch_execnz .LBB161_51
.LBB161_38:
	s_or_b64 exec, exec, s[12:13]
	s_and_saveexec_b64 s[12:13], s[18:19]
	s_cbranch_execz .LBB161_40
.LBB161_39:
	v_mov_b32_e32 v8, 0
	s_waitcnt lgkmcnt(0)
	ds_write_b32 v8, v17
.LBB161_40:
	s_or_b64 exec, exec, s[12:13]
	v_mov_b32_e32 v8, 0
	s_waitcnt lgkmcnt(0)
	s_barrier
	ds_read_b32 v8, v8
	s_mov_b32 s12, 0x800000
	v_mov_b32_e32 v9, 0x4f800000
	s_mov_b32 s14, 0x3f317217
	s_add_u32 s16, s24, s22
	s_waitcnt lgkmcnt(0)
	v_cmp_gt_f32_e64 s[12:13], s12, v8
	v_cndmask_b32_e64 v9, 1.0, v9, s[12:13]
	v_mul_f32_e32 v8, v8, v9
	v_log_f32_e32 v8, v8
	s_addc_u32 s17, s25, s23
	v_mul_f32_e32 v9, 0x3f317217, v8
	v_fma_f32 v10, v8, s14, -v9
	v_fmac_f32_e32 v10, 0x3377d1cf, v8
	s_mov_b32 s14, 0x7f800000
	v_add_f32_e32 v9, v9, v10
	v_cmp_lt_f32_e64 s[14:15], |v8|, s14
	v_cndmask_b32_e64 v8, v8, v9, s[14:15]
	v_mov_b32_e32 v9, 0x41b17218
	v_cndmask_b32_e64 v9, 0, v9, s[12:13]
	v_sub_f32_e32 v8, v8, v9
	s_and_saveexec_b64 s[12:13], vcc
	s_cbranch_execnz .LBB161_52
; %bb.41:
	s_or_b64 exec, exec, s[12:13]
	s_and_saveexec_b64 s[12:13], s[0:1]
	s_cbranch_execnz .LBB161_53
.LBB161_42:
	s_or_b64 exec, exec, s[12:13]
	s_and_saveexec_b64 s[0:1], s[2:3]
	s_cbranch_execnz .LBB161_54
.LBB161_43:
	s_or_b64 exec, exec, s[0:1]
	s_and_saveexec_b64 s[0:1], s[4:5]
	s_cbranch_execnz .LBB161_55
.LBB161_44:
	s_or_b64 exec, exec, s[0:1]
	s_and_saveexec_b64 s[0:1], s[6:7]
	s_cbranch_execnz .LBB161_56
.LBB161_45:
	s_or_b64 exec, exec, s[0:1]
	s_and_saveexec_b64 s[0:1], s[8:9]
	s_cbranch_execnz .LBB161_57
.LBB161_46:
	s_or_b64 exec, exec, s[0:1]
	s_and_saveexec_b64 s[0:1], s[10:11]
	s_cbranch_execnz .LBB161_58
.LBB161_47:
	s_endpgm
.LBB161_48:
	ds_read_b32 v23, v19
	s_or_b64 exec, exec, s[16:17]
	v_cmp_gt_u32_e64 s[16:17], 64, v0
	s_and_saveexec_b64 s[20:21], s[16:17]
	s_cbranch_execz .LBB161_18
.LBB161_49:
	s_waitcnt lgkmcnt(0)
	ds_bpermute_b32 v24, v8, v23
	s_waitcnt lgkmcnt(0)
	v_cmp_lt_f32_e64 s[18:19], v23, v24
	v_cndmask_b32_e64 v23, v23, v24, s[18:19]
	ds_bpermute_b32 v24, v9, v23
	s_waitcnt lgkmcnt(0)
	v_cmp_lt_f32_e64 s[18:19], v23, v24
	v_cndmask_b32_e64 v23, v23, v24, s[18:19]
	;; [unrolled: 4-line block ×6, first 2 shown]
	s_or_b64 exec, exec, s[20:21]
	v_cmp_eq_u32_e64 s[18:19], 0, v0
	s_and_saveexec_b64 s[20:21], s[18:19]
	s_cbranch_execnz .LBB161_19
	s_branch .LBB161_20
.LBB161_50:
	ds_read_b32 v17, v19
	s_or_b64 exec, exec, s[12:13]
	s_and_saveexec_b64 s[12:13], s[16:17]
	s_cbranch_execz .LBB161_38
.LBB161_51:
	s_waitcnt lgkmcnt(0)
	ds_bpermute_b32 v8, v8, v17
	s_waitcnt lgkmcnt(0)
	v_add_f32_e32 v8, v17, v8
	ds_bpermute_b32 v9, v9, v8
	s_waitcnt lgkmcnt(0)
	v_add_f32_e32 v8, v8, v9
	;; [unrolled: 3-line block ×6, first 2 shown]
	s_or_b64 exec, exec, s[12:13]
	s_and_saveexec_b64 s[12:13], s[18:19]
	s_cbranch_execnz .LBB161_39
	s_branch .LBB161_40
.LBB161_52:
	v_sub_f32_e32 v0, v0, v8
	v_bfe_u32 v9, v0, 16, 1
	s_movk_i32 s14, 0x7fff
	v_add3_u32 v9, v0, v9, s14
	v_lshrrev_b32_e32 v9, 16, v9
	v_mov_b32_e32 v10, 0x7fc0
	v_cmp_o_f32_e32 vcc, v0, v0
	v_cndmask_b32_e32 v0, v10, v9, vcc
	global_store_short v1, v0, s[16:17]
	s_or_b64 exec, exec, s[12:13]
	s_and_saveexec_b64 s[12:13], s[0:1]
	s_cbranch_execz .LBB161_42
.LBB161_53:
	v_sub_f32_e32 v0, v18, v8
	v_bfe_u32 v1, v0, 16, 1
	s_movk_i32 s0, 0x7fff
	v_add3_u32 v1, v0, v1, s0
	v_lshrrev_b32_e32 v1, 16, v1
	v_mov_b32_e32 v9, 0x7fc0
	v_cmp_o_f32_e32 vcc, v0, v0
	v_cndmask_b32_e32 v0, v9, v1, vcc
	global_store_short v4, v0, s[16:17]
	s_or_b64 exec, exec, s[12:13]
	s_and_saveexec_b64 s[0:1], s[2:3]
	s_cbranch_execz .LBB161_43
.LBB161_54:
	v_sub_f32_e32 v0, v21, v8
	v_bfe_u32 v1, v0, 16, 1
	s_movk_i32 s2, 0x7fff
	v_add3_u32 v1, v0, v1, s2
	v_lshrrev_b32_e32 v1, 16, v1
	v_mov_b32_e32 v4, 0x7fc0
	v_cmp_o_f32_e32 vcc, v0, v0
	v_cndmask_b32_e32 v0, v4, v1, vcc
	global_store_short v5, v0, s[16:17]
	s_or_b64 exec, exec, s[0:1]
	s_and_saveexec_b64 s[0:1], s[4:5]
	s_cbranch_execz .LBB161_44
.LBB161_55:
	v_sub_f32_e32 v0, v20, v8
	v_bfe_u32 v1, v0, 16, 1
	s_movk_i32 s2, 0x7fff
	v_add3_u32 v1, v0, v1, s2
	v_lshrrev_b32_e32 v1, 16, v1
	v_mov_b32_e32 v4, 0x7fc0
	v_cmp_o_f32_e32 vcc, v0, v0
	v_cndmask_b32_e32 v0, v4, v1, vcc
	global_store_short v6, v0, s[16:17]
	s_or_b64 exec, exec, s[0:1]
	s_and_saveexec_b64 s[0:1], s[6:7]
	s_cbranch_execz .LBB161_45
.LBB161_56:
	v_sub_f32_e32 v0, v16, v8
	v_bfe_u32 v1, v0, 16, 1
	s_movk_i32 s2, 0x7fff
	v_add3_u32 v1, v0, v1, s2
	v_lshrrev_b32_e32 v1, 16, v1
	v_mov_b32_e32 v4, 0x7fc0
	v_cmp_o_f32_e32 vcc, v0, v0
	v_cndmask_b32_e32 v0, v4, v1, vcc
	global_store_short v7, v0, s[16:17]
	s_or_b64 exec, exec, s[0:1]
	s_and_saveexec_b64 s[0:1], s[8:9]
	s_cbranch_execz .LBB161_46
.LBB161_57:
	v_sub_f32_e32 v0, v15, v8
	v_bfe_u32 v1, v0, 16, 1
	s_movk_i32 s2, 0x7fff
	v_add3_u32 v1, v0, v1, s2
	v_lshrrev_b32_e32 v1, 16, v1
	v_mov_b32_e32 v4, 0x7fc0
	v_cmp_o_f32_e32 vcc, v0, v0
	v_cndmask_b32_e32 v0, v4, v1, vcc
	global_store_short v3, v0, s[16:17]
	s_or_b64 exec, exec, s[0:1]
	s_and_saveexec_b64 s[0:1], s[10:11]
	s_cbranch_execz .LBB161_47
.LBB161_58:
	v_sub_f32_e32 v0, v14, v8
	v_bfe_u32 v1, v0, 16, 1
	s_movk_i32 s0, 0x7fff
	v_add3_u32 v1, v0, v1, s0
	v_lshrrev_b32_e32 v1, 16, v1
	v_mov_b32_e32 v3, 0x7fc0
	v_cmp_o_f32_e32 vcc, v0, v0
	v_cndmask_b32_e32 v0, v3, v1, vcc
	global_store_short v2, v0, s[16:17]
	s_endpgm
	.section	.rodata,"a",@progbits
	.p2align	6, 0x0
	.amdhsa_kernel _ZN2at6native12_GLOBAL__N_122cunn_SoftMaxForwardRegIN3c108BFloat16EfS4_NS1_25LogSoftMaxForwardEpilogueElLi7EEEvPT1_PKT_T3_
		.amdhsa_group_segment_fixed_size 0
		.amdhsa_private_segment_fixed_size 0
		.amdhsa_kernarg_size 280
		.amdhsa_user_sgpr_count 6
		.amdhsa_user_sgpr_private_segment_buffer 1
		.amdhsa_user_sgpr_dispatch_ptr 0
		.amdhsa_user_sgpr_queue_ptr 0
		.amdhsa_user_sgpr_kernarg_segment_ptr 1
		.amdhsa_user_sgpr_dispatch_id 0
		.amdhsa_user_sgpr_flat_scratch_init 0
		.amdhsa_user_sgpr_kernarg_preload_length 0
		.amdhsa_user_sgpr_kernarg_preload_offset 0
		.amdhsa_user_sgpr_private_segment_size 0
		.amdhsa_uses_dynamic_stack 0
		.amdhsa_system_sgpr_private_segment_wavefront_offset 0
		.amdhsa_system_sgpr_workgroup_id_x 1
		.amdhsa_system_sgpr_workgroup_id_y 0
		.amdhsa_system_sgpr_workgroup_id_z 0
		.amdhsa_system_sgpr_workgroup_info 0
		.amdhsa_system_vgpr_workitem_id 0
		.amdhsa_next_free_vgpr 27
		.amdhsa_next_free_sgpr 28
		.amdhsa_accum_offset 28
		.amdhsa_reserve_vcc 1
		.amdhsa_reserve_flat_scratch 0
		.amdhsa_float_round_mode_32 0
		.amdhsa_float_round_mode_16_64 0
		.amdhsa_float_denorm_mode_32 3
		.amdhsa_float_denorm_mode_16_64 3
		.amdhsa_dx10_clamp 1
		.amdhsa_ieee_mode 1
		.amdhsa_fp16_overflow 0
		.amdhsa_tg_split 0
		.amdhsa_exception_fp_ieee_invalid_op 0
		.amdhsa_exception_fp_denorm_src 0
		.amdhsa_exception_fp_ieee_div_zero 0
		.amdhsa_exception_fp_ieee_overflow 0
		.amdhsa_exception_fp_ieee_underflow 0
		.amdhsa_exception_fp_ieee_inexact 0
		.amdhsa_exception_int_div_zero 0
	.end_amdhsa_kernel
	.section	.text._ZN2at6native12_GLOBAL__N_122cunn_SoftMaxForwardRegIN3c108BFloat16EfS4_NS1_25LogSoftMaxForwardEpilogueElLi7EEEvPT1_PKT_T3_,"axG",@progbits,_ZN2at6native12_GLOBAL__N_122cunn_SoftMaxForwardRegIN3c108BFloat16EfS4_NS1_25LogSoftMaxForwardEpilogueElLi7EEEvPT1_PKT_T3_,comdat
.Lfunc_end161:
	.size	_ZN2at6native12_GLOBAL__N_122cunn_SoftMaxForwardRegIN3c108BFloat16EfS4_NS1_25LogSoftMaxForwardEpilogueElLi7EEEvPT1_PKT_T3_, .Lfunc_end161-_ZN2at6native12_GLOBAL__N_122cunn_SoftMaxForwardRegIN3c108BFloat16EfS4_NS1_25LogSoftMaxForwardEpilogueElLi7EEEvPT1_PKT_T3_
                                        ; -- End function
	.section	.AMDGPU.csdata,"",@progbits
; Kernel info:
; codeLenInByte = 3204
; NumSgprs: 32
; NumVgprs: 27
; NumAgprs: 0
; TotalNumVgprs: 27
; ScratchSize: 0
; MemoryBound: 0
; FloatMode: 240
; IeeeMode: 1
; LDSByteSize: 0 bytes/workgroup (compile time only)
; SGPRBlocks: 3
; VGPRBlocks: 3
; NumSGPRsForWavesPerEU: 32
; NumVGPRsForWavesPerEU: 27
; AccumOffset: 28
; Occupancy: 8
; WaveLimiterHint : 0
; COMPUTE_PGM_RSRC2:SCRATCH_EN: 0
; COMPUTE_PGM_RSRC2:USER_SGPR: 6
; COMPUTE_PGM_RSRC2:TRAP_HANDLER: 0
; COMPUTE_PGM_RSRC2:TGID_X_EN: 1
; COMPUTE_PGM_RSRC2:TGID_Y_EN: 0
; COMPUTE_PGM_RSRC2:TGID_Z_EN: 0
; COMPUTE_PGM_RSRC2:TIDIG_COMP_CNT: 0
; COMPUTE_PGM_RSRC3_GFX90A:ACCUM_OFFSET: 6
; COMPUTE_PGM_RSRC3_GFX90A:TG_SPLIT: 0
	.section	.text._ZN2at6native12_GLOBAL__N_122cunn_SoftMaxForwardRegIN3c108BFloat16EfS4_NS1_25LogSoftMaxForwardEpilogueElLi8EEEvPT1_PKT_T3_,"axG",@progbits,_ZN2at6native12_GLOBAL__N_122cunn_SoftMaxForwardRegIN3c108BFloat16EfS4_NS1_25LogSoftMaxForwardEpilogueElLi8EEEvPT1_PKT_T3_,comdat
	.globl	_ZN2at6native12_GLOBAL__N_122cunn_SoftMaxForwardRegIN3c108BFloat16EfS4_NS1_25LogSoftMaxForwardEpilogueElLi8EEEvPT1_PKT_T3_ ; -- Begin function _ZN2at6native12_GLOBAL__N_122cunn_SoftMaxForwardRegIN3c108BFloat16EfS4_NS1_25LogSoftMaxForwardEpilogueElLi8EEEvPT1_PKT_T3_
	.p2align	8
	.type	_ZN2at6native12_GLOBAL__N_122cunn_SoftMaxForwardRegIN3c108BFloat16EfS4_NS1_25LogSoftMaxForwardEpilogueElLi8EEEvPT1_PKT_T3_,@function
_ZN2at6native12_GLOBAL__N_122cunn_SoftMaxForwardRegIN3c108BFloat16EfS4_NS1_25LogSoftMaxForwardEpilogueElLi8EEEvPT1_PKT_T3_: ; @_ZN2at6native12_GLOBAL__N_122cunn_SoftMaxForwardRegIN3c108BFloat16EfS4_NS1_25LogSoftMaxForwardEpilogueElLi8EEEvPT1_PKT_T3_
; %bb.0:
	s_load_dwordx2 s[12:13], s[4:5], 0x10
	s_load_dwordx4 s[24:27], s[4:5], 0x0
	s_load_dword s2, s[4:5], 0x24
	v_mov_b32_e32 v3, 0
	v_mov_b32_e32 v1, v3
	s_waitcnt lgkmcnt(0)
	s_mul_i32 s0, s6, s13
	s_mul_hi_u32 s1, s6, s12
	s_add_i32 s1, s1, s0
	s_mul_i32 s0, s6, s12
	s_lshl_b64 s[28:29], s[0:1], 1
	s_add_u32 s14, s26, s28
	s_addc_u32 s15, s27, s29
	v_cmp_gt_i64_e32 vcc, s[12:13], v[0:1]
	v_mov_b32_e32 v10, 0xff7fffff
	v_lshlrev_b32_e32 v1, 1, v0
                                        ; implicit-def: $vgpr24
	s_and_saveexec_b64 s[0:1], vcc
	s_cbranch_execz .LBB162_2
; %bb.1:
	global_load_ushort v24, v1, s[14:15]
	s_waitcnt vmcnt(0)
	v_lshlrev_b32_e32 v2, 16, v24
	v_max_f32_e32 v2, v2, v2
	v_max_f32_e32 v10, 0xff7fffff, v2
.LBB162_2:
	s_or_b64 exec, exec, s[0:1]
	s_and_b32 s20, 0xffff, s2
	v_add_u32_e32 v2, s20, v0
	v_cmp_gt_i64_e64 s[0:1], s[12:13], v[2:3]
	v_lshlrev_b32_e32 v4, 1, v2
                                        ; implicit-def: $vgpr19
	s_and_saveexec_b64 s[2:3], s[0:1]
	s_cbranch_execz .LBB162_4
; %bb.3:
	global_load_ushort v19, v4, s[14:15]
	v_max_f32_e32 v5, v10, v10
	s_waitcnt vmcnt(0)
	v_lshlrev_b32_e32 v3, 16, v19
	v_max_f32_e32 v3, v3, v3
	v_max_f32_e32 v10, v5, v3
.LBB162_4:
	s_or_b64 exec, exec, s[2:3]
	v_add_u32_e32 v2, s20, v2
	v_mov_b32_e32 v3, 0
	v_cmp_gt_i64_e64 s[2:3], s[12:13], v[2:3]
	v_lshlrev_b32_e32 v5, 1, v2
                                        ; implicit-def: $vgpr23
	s_and_saveexec_b64 s[4:5], s[2:3]
	s_cbranch_execz .LBB162_6
; %bb.5:
	global_load_ushort v23, v5, s[14:15]
	v_max_f32_e32 v7, v10, v10
	s_waitcnt vmcnt(0)
	v_lshlrev_b32_e32 v6, 16, v23
	v_max_f32_e32 v6, v6, v6
	v_max_f32_e32 v10, v7, v6
.LBB162_6:
	s_or_b64 exec, exec, s[4:5]
	v_add_u32_e32 v2, s20, v2
	v_cmp_gt_i64_e64 s[4:5], s[12:13], v[2:3]
	v_lshlrev_b32_e32 v6, 1, v2
                                        ; implicit-def: $vgpr22
	s_and_saveexec_b64 s[6:7], s[4:5]
	s_cbranch_execz .LBB162_8
; %bb.7:
	global_load_ushort v22, v6, s[14:15]
	v_max_f32_e32 v7, v10, v10
	s_waitcnt vmcnt(0)
	v_lshlrev_b32_e32 v3, 16, v22
	v_max_f32_e32 v3, v3, v3
	v_max_f32_e32 v10, v7, v3
.LBB162_8:
	s_or_b64 exec, exec, s[6:7]
	v_add_u32_e32 v2, s20, v2
	v_mov_b32_e32 v3, 0
	v_cmp_gt_i64_e64 s[6:7], s[12:13], v[2:3]
	v_lshlrev_b32_e32 v7, 1, v2
                                        ; implicit-def: $vgpr21
	s_and_saveexec_b64 s[8:9], s[6:7]
	s_cbranch_execz .LBB162_10
; %bb.9:
	global_load_ushort v21, v7, s[14:15]
	v_max_f32_e32 v9, v10, v10
	s_waitcnt vmcnt(0)
	v_lshlrev_b32_e32 v8, 16, v21
	v_max_f32_e32 v8, v8, v8
	v_max_f32_e32 v10, v9, v8
.LBB162_10:
	s_or_b64 exec, exec, s[8:9]
	v_add_u32_e32 v2, s20, v2
	v_cmp_gt_i64_e64 s[8:9], s[12:13], v[2:3]
	v_lshlrev_b32_e32 v8, 1, v2
                                        ; implicit-def: $vgpr17
	s_and_saveexec_b64 s[10:11], s[8:9]
	s_cbranch_execz .LBB162_12
; %bb.11:
	global_load_ushort v17, v8, s[14:15]
	v_max_f32_e32 v9, v10, v10
	s_waitcnt vmcnt(0)
	v_lshlrev_b32_e32 v3, 16, v17
	v_max_f32_e32 v3, v3, v3
	v_max_f32_e32 v10, v9, v3
.LBB162_12:
	s_or_b64 exec, exec, s[10:11]
	v_add_u32_e32 v2, s20, v2
	v_mov_b32_e32 v3, 0
	v_cmp_gt_i64_e64 s[10:11], s[12:13], v[2:3]
	v_lshlrev_b32_e32 v9, 1, v2
                                        ; implicit-def: $vgpr16
	s_and_saveexec_b64 s[16:17], s[10:11]
	s_cbranch_execz .LBB162_14
; %bb.13:
	global_load_ushort v16, v9, s[14:15]
	v_max_f32_e32 v10, v10, v10
	s_waitcnt vmcnt(0)
	v_lshlrev_b32_e32 v11, 16, v16
	v_max_f32_e32 v11, v11, v11
	v_max_f32_e32 v10, v10, v11
.LBB162_14:
	s_or_b64 exec, exec, s[16:17]
	v_add_u32_e32 v2, s20, v2
	v_cmp_gt_i64_e64 s[12:13], s[12:13], v[2:3]
	v_lshlrev_b32_e32 v2, 1, v2
                                        ; implicit-def: $vgpr15
	s_and_saveexec_b64 s[16:17], s[12:13]
	s_cbranch_execz .LBB162_16
; %bb.15:
	global_load_ushort v15, v2, s[14:15]
	v_max_f32_e32 v10, v10, v10
	s_waitcnt vmcnt(0)
	v_lshlrev_b32_e32 v3, 16, v15
	v_max_f32_e32 v3, v3, v3
	v_max_f32_e32 v10, v10, v3
.LBB162_16:
	s_or_b64 exec, exec, s[16:17]
	v_mbcnt_lo_u32_b32 v3, -1, 0
	v_mbcnt_hi_u32_b32 v14, -1, v3
	v_and_b32_e32 v18, 63, v14
	v_cmp_gt_u32_e64 s[14:15], 32, v18
	v_cndmask_b32_e64 v3, 0, 1, s[14:15]
	v_lshlrev_b32_e32 v3, 5, v3
	v_add_lshl_u32 v3, v3, v14, 2
	ds_bpermute_b32 v11, v3, v10
	v_cmp_gt_u32_e64 s[14:15], 48, v18
	v_cndmask_b32_e64 v12, 0, 1, s[14:15]
	s_waitcnt lgkmcnt(0)
	s_barrier
	v_cmp_lt_f32_e64 s[14:15], v10, v11
	v_cndmask_b32_e64 v11, v10, v11, s[14:15]
	v_lshlrev_b32_e32 v10, 4, v12
	v_add_lshl_u32 v10, v10, v14, 2
	ds_bpermute_b32 v12, v10, v11
	s_waitcnt lgkmcnt(0)
	v_cmp_lt_f32_e64 s[14:15], v11, v12
	v_cndmask_b32_e64 v12, v11, v12, s[14:15]
	v_cmp_gt_u32_e64 s[14:15], 56, v18
	v_cndmask_b32_e64 v11, 0, 1, s[14:15]
	v_lshlrev_b32_e32 v11, 3, v11
	v_add_lshl_u32 v11, v11, v14, 2
	ds_bpermute_b32 v13, v11, v12
	s_waitcnt lgkmcnt(0)
	v_cmp_lt_f32_e64 s[14:15], v12, v13
	v_cndmask_b32_e64 v13, v12, v13, s[14:15]
	v_cmp_gt_u32_e64 s[14:15], 60, v18
	;; [unrolled: 8-line block ×3, first 2 shown]
	v_cndmask_b32_e64 v13, 0, 1, s[14:15]
	v_lshlrev_b32_e32 v13, 1, v13
	v_add_lshl_u32 v13, v13, v14, 2
	ds_bpermute_b32 v26, v13, v25
	v_and_b32_e32 v20, 63, v0
	s_waitcnt lgkmcnt(0)
	v_cmp_lt_f32_e64 s[14:15], v25, v26
	v_cndmask_b32_e64 v25, v25, v26, s[14:15]
	v_cmp_ne_u32_e64 s[14:15], 63, v18
	v_addc_co_u32_e64 v14, s[14:15], 0, v14, s[14:15]
	v_lshlrev_b32_e32 v14, 2, v14
	ds_bpermute_b32 v26, v14, v25
	v_cmp_eq_u32_e64 s[14:15], 0, v20
	v_lshrrev_b32_e32 v18, 4, v0
	s_and_saveexec_b64 s[16:17], s[14:15]
	s_xor_b64 s[18:19], exec, s[16:17]
	s_cbranch_execz .LBB162_18
; %bb.17:
	s_waitcnt lgkmcnt(0)
	v_cmp_lt_f32_e64 s[16:17], v25, v26
	v_add_u32_e32 v27, 0, v18
	v_cndmask_b32_e64 v25, v25, v26, s[16:17]
	ds_write_b32 v27, v25
.LBB162_18:
	s_or_b64 exec, exec, s[18:19]
	s_lshr_b32 s16, s20, 6
	v_cmp_gt_u32_e64 s[16:17], s16, v0
	v_mov_b32_e32 v25, 0xff7fffff
	v_lshl_add_u32 v20, v20, 2, 0
	s_waitcnt lgkmcnt(0)
	s_barrier
	s_and_saveexec_b64 s[18:19], s[16:17]
	s_cbranch_execnz .LBB162_53
; %bb.19:
	s_or_b64 exec, exec, s[18:19]
	v_cmp_gt_u32_e64 s[18:19], 64, v0
	s_and_saveexec_b64 s[22:23], s[18:19]
	s_cbranch_execnz .LBB162_54
.LBB162_20:
	s_or_b64 exec, exec, s[22:23]
	v_cmp_eq_u32_e64 s[20:21], 0, v0
	s_and_saveexec_b64 s[22:23], s[20:21]
	s_cbranch_execz .LBB162_22
.LBB162_21:
	v_mov_b32_e32 v0, 0
	s_waitcnt lgkmcnt(0)
	ds_write_b32 v0, v25
.LBB162_22:
	s_or_b64 exec, exec, s[22:23]
	s_waitcnt lgkmcnt(0)
	v_mov_b32_e32 v25, 0
	s_barrier
	ds_read_b32 v26, v25
	v_lshlrev_b32_e32 v0, 16, v24
	s_waitcnt lgkmcnt(0)
	v_sub_f32_e32 v0, v0, v26
	s_and_saveexec_b64 s[26:27], vcc
	s_cbranch_execz .LBB162_24
; %bb.23:
	s_mov_b32 s22, 0x3fb8aa3b
	v_mul_f32_e32 v24, 0x3fb8aa3b, v0
	v_fma_f32 v25, v0, s22, -v24
	v_rndne_f32_e32 v27, v24
	v_fmac_f32_e32 v25, 0x32a5705f, v0
	v_sub_f32_e32 v24, v24, v27
	v_add_f32_e32 v24, v24, v25
	v_exp_f32_e32 v24, v24
	v_cvt_i32_f32_e32 v25, v27
	s_mov_b32 s22, 0xc2ce8ed0
	v_cmp_ngt_f32_e64 s[22:23], s22, v0
	v_ldexp_f32 v24, v24, v25
	v_cndmask_b32_e64 v24, 0, v24, s[22:23]
	s_mov_b32 s22, 0x42b17218
	v_mov_b32_e32 v25, 0x7f800000
	v_cmp_nlt_f32_e64 s[22:23], s22, v0
	v_cndmask_b32_e64 v25, v25, v24, s[22:23]
.LBB162_24:
	s_or_b64 exec, exec, s[26:27]
	v_lshlrev_b32_e32 v19, 16, v19
	v_sub_f32_e32 v19, v19, v26
	s_and_saveexec_b64 s[26:27], s[0:1]
	s_cbranch_execz .LBB162_26
; %bb.25:
	s_mov_b32 s22, 0x3fb8aa3b
	v_mul_f32_e32 v24, 0x3fb8aa3b, v19
	v_fma_f32 v27, v19, s22, -v24
	v_rndne_f32_e32 v28, v24
	v_fmac_f32_e32 v27, 0x32a5705f, v19
	v_sub_f32_e32 v24, v24, v28
	v_add_f32_e32 v24, v24, v27
	v_exp_f32_e32 v24, v24
	v_cvt_i32_f32_e32 v27, v28
	s_mov_b32 s22, 0xc2ce8ed0
	v_cmp_ngt_f32_e64 s[22:23], s22, v19
	v_ldexp_f32 v24, v24, v27
	v_cndmask_b32_e64 v24, 0, v24, s[22:23]
	s_mov_b32 s22, 0x42b17218
	v_mov_b32_e32 v27, 0x7f800000
	v_cmp_nlt_f32_e64 s[22:23], s22, v19
	v_cndmask_b32_e64 v24, v27, v24, s[22:23]
	v_add_f32_e32 v25, v25, v24
.LBB162_26:
	s_or_b64 exec, exec, s[26:27]
	v_lshlrev_b32_e32 v23, 16, v23
	v_sub_f32_e32 v23, v23, v26
	s_and_saveexec_b64 s[26:27], s[2:3]
	s_cbranch_execz .LBB162_28
; %bb.27:
	s_mov_b32 s22, 0x3fb8aa3b
	v_mul_f32_e32 v24, 0x3fb8aa3b, v23
	v_fma_f32 v27, v23, s22, -v24
	v_rndne_f32_e32 v28, v24
	v_fmac_f32_e32 v27, 0x32a5705f, v23
	v_sub_f32_e32 v24, v24, v28
	v_add_f32_e32 v24, v24, v27
	v_exp_f32_e32 v24, v24
	v_cvt_i32_f32_e32 v27, v28
	s_mov_b32 s22, 0xc2ce8ed0
	v_cmp_ngt_f32_e64 s[22:23], s22, v23
	v_ldexp_f32 v24, v24, v27
	v_cndmask_b32_e64 v24, 0, v24, s[22:23]
	s_mov_b32 s22, 0x42b17218
	v_mov_b32_e32 v27, 0x7f800000
	v_cmp_nlt_f32_e64 s[22:23], s22, v23
	v_cndmask_b32_e64 v24, v27, v24, s[22:23]
	v_add_f32_e32 v25, v25, v24
.LBB162_28:
	;; [unrolled: 25-line block ×7, first 2 shown]
	s_or_b64 exec, exec, s[26:27]
	ds_bpermute_b32 v24, v3, v25
	s_waitcnt lgkmcnt(0)
	s_barrier
	v_add_f32_e32 v24, v25, v24
	ds_bpermute_b32 v25, v10, v24
	s_waitcnt lgkmcnt(0)
	v_add_f32_e32 v24, v24, v25
	ds_bpermute_b32 v25, v11, v24
	s_waitcnt lgkmcnt(0)
	;; [unrolled: 3-line block ×4, first 2 shown]
	v_add_f32_e32 v24, v24, v25
	ds_bpermute_b32 v25, v14, v24
	s_and_saveexec_b64 s[22:23], s[14:15]
	s_xor_b64 s[14:15], exec, s[22:23]
	s_cbranch_execz .LBB162_40
; %bb.39:
	v_add_u32_e32 v18, 0, v18
	s_waitcnt lgkmcnt(0)
	v_add_f32_e32 v24, v24, v25
	ds_write_b32 v18, v24
.LBB162_40:
	s_or_b64 exec, exec, s[14:15]
	v_mov_b32_e32 v18, 0
	s_waitcnt lgkmcnt(0)
	s_barrier
	s_and_saveexec_b64 s[14:15], s[16:17]
	s_cbranch_execnz .LBB162_55
; %bb.41:
	s_or_b64 exec, exec, s[14:15]
	s_and_saveexec_b64 s[14:15], s[18:19]
	s_cbranch_execnz .LBB162_56
.LBB162_42:
	s_or_b64 exec, exec, s[14:15]
	s_and_saveexec_b64 s[14:15], s[20:21]
	s_cbranch_execz .LBB162_44
.LBB162_43:
	v_mov_b32_e32 v3, 0
	s_waitcnt lgkmcnt(0)
	ds_write_b32 v3, v18
.LBB162_44:
	s_or_b64 exec, exec, s[14:15]
	v_mov_b32_e32 v3, 0
	s_waitcnt lgkmcnt(0)
	s_barrier
	ds_read_b32 v3, v3
	s_mov_b32 s14, 0x800000
	v_mov_b32_e32 v10, 0x4f800000
	s_mov_b32 s16, 0x3f317217
	s_add_u32 s18, s24, s28
	s_waitcnt lgkmcnt(0)
	v_cmp_gt_f32_e64 s[14:15], s14, v3
	v_cndmask_b32_e64 v10, 1.0, v10, s[14:15]
	v_mul_f32_e32 v3, v3, v10
	v_log_f32_e32 v3, v3
	s_addc_u32 s19, s25, s29
	v_mul_f32_e32 v10, 0x3f317217, v3
	v_fma_f32 v11, v3, s16, -v10
	v_fmac_f32_e32 v11, 0x3377d1cf, v3
	s_mov_b32 s16, 0x7f800000
	v_add_f32_e32 v10, v10, v11
	v_cmp_lt_f32_e64 s[16:17], |v3|, s16
	v_cndmask_b32_e64 v3, v3, v10, s[16:17]
	v_mov_b32_e32 v10, 0x41b17218
	v_cndmask_b32_e64 v10, 0, v10, s[14:15]
	v_sub_f32_e32 v3, v3, v10
	s_and_saveexec_b64 s[14:15], vcc
	s_cbranch_execnz .LBB162_57
; %bb.45:
	s_or_b64 exec, exec, s[14:15]
	s_and_saveexec_b64 s[14:15], s[0:1]
	s_cbranch_execnz .LBB162_58
.LBB162_46:
	s_or_b64 exec, exec, s[14:15]
	s_and_saveexec_b64 s[0:1], s[2:3]
	s_cbranch_execnz .LBB162_59
.LBB162_47:
	s_or_b64 exec, exec, s[0:1]
	s_and_saveexec_b64 s[0:1], s[4:5]
	s_cbranch_execnz .LBB162_60
.LBB162_48:
	s_or_b64 exec, exec, s[0:1]
	s_and_saveexec_b64 s[0:1], s[6:7]
	s_cbranch_execnz .LBB162_61
.LBB162_49:
	s_or_b64 exec, exec, s[0:1]
	s_and_saveexec_b64 s[0:1], s[8:9]
	s_cbranch_execnz .LBB162_62
.LBB162_50:
	s_or_b64 exec, exec, s[0:1]
	s_and_saveexec_b64 s[0:1], s[10:11]
	s_cbranch_execnz .LBB162_63
.LBB162_51:
	s_or_b64 exec, exec, s[0:1]
	s_and_saveexec_b64 s[0:1], s[12:13]
	s_cbranch_execnz .LBB162_64
.LBB162_52:
	s_endpgm
.LBB162_53:
	ds_read_b32 v25, v20
	s_or_b64 exec, exec, s[18:19]
	v_cmp_gt_u32_e64 s[18:19], 64, v0
	s_and_saveexec_b64 s[22:23], s[18:19]
	s_cbranch_execz .LBB162_20
.LBB162_54:
	s_waitcnt lgkmcnt(0)
	ds_bpermute_b32 v26, v3, v25
	s_waitcnt lgkmcnt(0)
	v_cmp_lt_f32_e64 s[20:21], v25, v26
	v_cndmask_b32_e64 v25, v25, v26, s[20:21]
	ds_bpermute_b32 v26, v10, v25
	s_waitcnt lgkmcnt(0)
	v_cmp_lt_f32_e64 s[20:21], v25, v26
	v_cndmask_b32_e64 v25, v25, v26, s[20:21]
	;; [unrolled: 4-line block ×6, first 2 shown]
	s_or_b64 exec, exec, s[22:23]
	v_cmp_eq_u32_e64 s[20:21], 0, v0
	s_and_saveexec_b64 s[22:23], s[20:21]
	s_cbranch_execnz .LBB162_21
	s_branch .LBB162_22
.LBB162_55:
	ds_read_b32 v18, v20
	s_or_b64 exec, exec, s[14:15]
	s_and_saveexec_b64 s[14:15], s[18:19]
	s_cbranch_execz .LBB162_42
.LBB162_56:
	s_waitcnt lgkmcnt(0)
	ds_bpermute_b32 v3, v3, v18
	s_waitcnt lgkmcnt(0)
	v_add_f32_e32 v3, v18, v3
	ds_bpermute_b32 v10, v10, v3
	s_waitcnt lgkmcnt(0)
	v_add_f32_e32 v3, v3, v10
	;; [unrolled: 3-line block ×6, first 2 shown]
	s_or_b64 exec, exec, s[14:15]
	s_and_saveexec_b64 s[14:15], s[20:21]
	s_cbranch_execnz .LBB162_43
	s_branch .LBB162_44
.LBB162_57:
	v_sub_f32_e32 v0, v0, v3
	v_bfe_u32 v10, v0, 16, 1
	s_movk_i32 s16, 0x7fff
	v_add3_u32 v10, v0, v10, s16
	v_lshrrev_b32_e32 v10, 16, v10
	v_mov_b32_e32 v11, 0x7fc0
	v_cmp_o_f32_e32 vcc, v0, v0
	v_cndmask_b32_e32 v0, v11, v10, vcc
	global_store_short v1, v0, s[18:19]
	s_or_b64 exec, exec, s[14:15]
	s_and_saveexec_b64 s[14:15], s[0:1]
	s_cbranch_execz .LBB162_46
.LBB162_58:
	v_sub_f32_e32 v0, v19, v3
	v_bfe_u32 v1, v0, 16, 1
	s_movk_i32 s0, 0x7fff
	v_add3_u32 v1, v0, v1, s0
	v_lshrrev_b32_e32 v1, 16, v1
	v_mov_b32_e32 v10, 0x7fc0
	v_cmp_o_f32_e32 vcc, v0, v0
	v_cndmask_b32_e32 v0, v10, v1, vcc
	global_store_short v4, v0, s[18:19]
	s_or_b64 exec, exec, s[14:15]
	s_and_saveexec_b64 s[0:1], s[2:3]
	s_cbranch_execz .LBB162_47
.LBB162_59:
	v_sub_f32_e32 v0, v23, v3
	v_bfe_u32 v1, v0, 16, 1
	s_movk_i32 s2, 0x7fff
	v_add3_u32 v1, v0, v1, s2
	v_lshrrev_b32_e32 v1, 16, v1
	v_mov_b32_e32 v4, 0x7fc0
	v_cmp_o_f32_e32 vcc, v0, v0
	v_cndmask_b32_e32 v0, v4, v1, vcc
	global_store_short v5, v0, s[18:19]
	s_or_b64 exec, exec, s[0:1]
	s_and_saveexec_b64 s[0:1], s[4:5]
	s_cbranch_execz .LBB162_48
.LBB162_60:
	v_sub_f32_e32 v0, v22, v3
	v_bfe_u32 v1, v0, 16, 1
	s_movk_i32 s2, 0x7fff
	v_add3_u32 v1, v0, v1, s2
	v_lshrrev_b32_e32 v1, 16, v1
	v_mov_b32_e32 v4, 0x7fc0
	v_cmp_o_f32_e32 vcc, v0, v0
	v_cndmask_b32_e32 v0, v4, v1, vcc
	global_store_short v6, v0, s[18:19]
	s_or_b64 exec, exec, s[0:1]
	s_and_saveexec_b64 s[0:1], s[6:7]
	s_cbranch_execz .LBB162_49
.LBB162_61:
	v_sub_f32_e32 v0, v21, v3
	v_bfe_u32 v1, v0, 16, 1
	s_movk_i32 s2, 0x7fff
	v_add3_u32 v1, v0, v1, s2
	v_lshrrev_b32_e32 v1, 16, v1
	v_mov_b32_e32 v4, 0x7fc0
	v_cmp_o_f32_e32 vcc, v0, v0
	v_cndmask_b32_e32 v0, v4, v1, vcc
	global_store_short v7, v0, s[18:19]
	s_or_b64 exec, exec, s[0:1]
	s_and_saveexec_b64 s[0:1], s[8:9]
	s_cbranch_execz .LBB162_50
.LBB162_62:
	v_sub_f32_e32 v0, v17, v3
	v_bfe_u32 v1, v0, 16, 1
	s_movk_i32 s2, 0x7fff
	v_add3_u32 v1, v0, v1, s2
	v_lshrrev_b32_e32 v1, 16, v1
	v_mov_b32_e32 v4, 0x7fc0
	v_cmp_o_f32_e32 vcc, v0, v0
	v_cndmask_b32_e32 v0, v4, v1, vcc
	global_store_short v8, v0, s[18:19]
	s_or_b64 exec, exec, s[0:1]
	s_and_saveexec_b64 s[0:1], s[10:11]
	s_cbranch_execz .LBB162_51
.LBB162_63:
	v_sub_f32_e32 v0, v16, v3
	v_bfe_u32 v1, v0, 16, 1
	s_movk_i32 s2, 0x7fff
	v_add3_u32 v1, v0, v1, s2
	v_lshrrev_b32_e32 v1, 16, v1
	v_mov_b32_e32 v4, 0x7fc0
	v_cmp_o_f32_e32 vcc, v0, v0
	v_cndmask_b32_e32 v0, v4, v1, vcc
	global_store_short v9, v0, s[18:19]
	s_or_b64 exec, exec, s[0:1]
	s_and_saveexec_b64 s[0:1], s[12:13]
	s_cbranch_execz .LBB162_52
.LBB162_64:
	v_sub_f32_e32 v0, v15, v3
	v_bfe_u32 v1, v0, 16, 1
	s_movk_i32 s0, 0x7fff
	v_add3_u32 v1, v0, v1, s0
	v_lshrrev_b32_e32 v1, 16, v1
	v_mov_b32_e32 v3, 0x7fc0
	v_cmp_o_f32_e32 vcc, v0, v0
	v_cndmask_b32_e32 v0, v3, v1, vcc
	global_store_short v2, v0, s[18:19]
	s_endpgm
	.section	.rodata,"a",@progbits
	.p2align	6, 0x0
	.amdhsa_kernel _ZN2at6native12_GLOBAL__N_122cunn_SoftMaxForwardRegIN3c108BFloat16EfS4_NS1_25LogSoftMaxForwardEpilogueElLi8EEEvPT1_PKT_T3_
		.amdhsa_group_segment_fixed_size 0
		.amdhsa_private_segment_fixed_size 0
		.amdhsa_kernarg_size 280
		.amdhsa_user_sgpr_count 6
		.amdhsa_user_sgpr_private_segment_buffer 1
		.amdhsa_user_sgpr_dispatch_ptr 0
		.amdhsa_user_sgpr_queue_ptr 0
		.amdhsa_user_sgpr_kernarg_segment_ptr 1
		.amdhsa_user_sgpr_dispatch_id 0
		.amdhsa_user_sgpr_flat_scratch_init 0
		.amdhsa_user_sgpr_kernarg_preload_length 0
		.amdhsa_user_sgpr_kernarg_preload_offset 0
		.amdhsa_user_sgpr_private_segment_size 0
		.amdhsa_uses_dynamic_stack 0
		.amdhsa_system_sgpr_private_segment_wavefront_offset 0
		.amdhsa_system_sgpr_workgroup_id_x 1
		.amdhsa_system_sgpr_workgroup_id_y 0
		.amdhsa_system_sgpr_workgroup_id_z 0
		.amdhsa_system_sgpr_workgroup_info 0
		.amdhsa_system_vgpr_workitem_id 0
		.amdhsa_next_free_vgpr 29
		.amdhsa_next_free_sgpr 30
		.amdhsa_accum_offset 32
		.amdhsa_reserve_vcc 1
		.amdhsa_reserve_flat_scratch 0
		.amdhsa_float_round_mode_32 0
		.amdhsa_float_round_mode_16_64 0
		.amdhsa_float_denorm_mode_32 3
		.amdhsa_float_denorm_mode_16_64 3
		.amdhsa_dx10_clamp 1
		.amdhsa_ieee_mode 1
		.amdhsa_fp16_overflow 0
		.amdhsa_tg_split 0
		.amdhsa_exception_fp_ieee_invalid_op 0
		.amdhsa_exception_fp_denorm_src 0
		.amdhsa_exception_fp_ieee_div_zero 0
		.amdhsa_exception_fp_ieee_overflow 0
		.amdhsa_exception_fp_ieee_underflow 0
		.amdhsa_exception_fp_ieee_inexact 0
		.amdhsa_exception_int_div_zero 0
	.end_amdhsa_kernel
	.section	.text._ZN2at6native12_GLOBAL__N_122cunn_SoftMaxForwardRegIN3c108BFloat16EfS4_NS1_25LogSoftMaxForwardEpilogueElLi8EEEvPT1_PKT_T3_,"axG",@progbits,_ZN2at6native12_GLOBAL__N_122cunn_SoftMaxForwardRegIN3c108BFloat16EfS4_NS1_25LogSoftMaxForwardEpilogueElLi8EEEvPT1_PKT_T3_,comdat
.Lfunc_end162:
	.size	_ZN2at6native12_GLOBAL__N_122cunn_SoftMaxForwardRegIN3c108BFloat16EfS4_NS1_25LogSoftMaxForwardEpilogueElLi8EEEvPT1_PKT_T3_, .Lfunc_end162-_ZN2at6native12_GLOBAL__N_122cunn_SoftMaxForwardRegIN3c108BFloat16EfS4_NS1_25LogSoftMaxForwardEpilogueElLi8EEEvPT1_PKT_T3_
                                        ; -- End function
	.section	.AMDGPU.csdata,"",@progbits
; Kernel info:
; codeLenInByte = 3476
; NumSgprs: 34
; NumVgprs: 29
; NumAgprs: 0
; TotalNumVgprs: 29
; ScratchSize: 0
; MemoryBound: 0
; FloatMode: 240
; IeeeMode: 1
; LDSByteSize: 0 bytes/workgroup (compile time only)
; SGPRBlocks: 4
; VGPRBlocks: 3
; NumSGPRsForWavesPerEU: 34
; NumVGPRsForWavesPerEU: 29
; AccumOffset: 32
; Occupancy: 8
; WaveLimiterHint : 0
; COMPUTE_PGM_RSRC2:SCRATCH_EN: 0
; COMPUTE_PGM_RSRC2:USER_SGPR: 6
; COMPUTE_PGM_RSRC2:TRAP_HANDLER: 0
; COMPUTE_PGM_RSRC2:TGID_X_EN: 1
; COMPUTE_PGM_RSRC2:TGID_Y_EN: 0
; COMPUTE_PGM_RSRC2:TGID_Z_EN: 0
; COMPUTE_PGM_RSRC2:TIDIG_COMP_CNT: 0
; COMPUTE_PGM_RSRC3_GFX90A:ACCUM_OFFSET: 7
; COMPUTE_PGM_RSRC3_GFX90A:TG_SPLIT: 0
	.section	.text._ZN2at6native12_GLOBAL__N_122cunn_SoftMaxForwardRegIN3c108BFloat16EfS4_NS1_25LogSoftMaxForwardEpilogueElLi9EEEvPT1_PKT_T3_,"axG",@progbits,_ZN2at6native12_GLOBAL__N_122cunn_SoftMaxForwardRegIN3c108BFloat16EfS4_NS1_25LogSoftMaxForwardEpilogueElLi9EEEvPT1_PKT_T3_,comdat
	.globl	_ZN2at6native12_GLOBAL__N_122cunn_SoftMaxForwardRegIN3c108BFloat16EfS4_NS1_25LogSoftMaxForwardEpilogueElLi9EEEvPT1_PKT_T3_ ; -- Begin function _ZN2at6native12_GLOBAL__N_122cunn_SoftMaxForwardRegIN3c108BFloat16EfS4_NS1_25LogSoftMaxForwardEpilogueElLi9EEEvPT1_PKT_T3_
	.p2align	8
	.type	_ZN2at6native12_GLOBAL__N_122cunn_SoftMaxForwardRegIN3c108BFloat16EfS4_NS1_25LogSoftMaxForwardEpilogueElLi9EEEvPT1_PKT_T3_,@function
_ZN2at6native12_GLOBAL__N_122cunn_SoftMaxForwardRegIN3c108BFloat16EfS4_NS1_25LogSoftMaxForwardEpilogueElLi9EEEvPT1_PKT_T3_: ; @_ZN2at6native12_GLOBAL__N_122cunn_SoftMaxForwardRegIN3c108BFloat16EfS4_NS1_25LogSoftMaxForwardEpilogueElLi9EEEvPT1_PKT_T3_
; %bb.0:
	s_load_dwordx2 s[14:15], s[4:5], 0x10
	s_load_dwordx4 s[28:31], s[4:5], 0x0
	s_load_dword s2, s[4:5], 0x24
	v_mov_b32_e32 v3, 0
	v_mov_b32_e32 v1, v3
	s_waitcnt lgkmcnt(0)
	s_mul_i32 s0, s6, s15
	s_mul_hi_u32 s1, s6, s14
	s_add_i32 s1, s1, s0
	s_mul_i32 s0, s6, s14
	s_lshl_b64 s[26:27], s[0:1], 1
	s_add_u32 s16, s30, s26
	s_addc_u32 s17, s31, s27
	v_cmp_gt_i64_e32 vcc, s[14:15], v[0:1]
	v_mov_b32_e32 v11, 0xff7fffff
	v_lshlrev_b32_e32 v1, 1, v0
                                        ; implicit-def: $vgpr26
	s_and_saveexec_b64 s[0:1], vcc
	s_cbranch_execz .LBB163_2
; %bb.1:
	global_load_ushort v26, v1, s[16:17]
	s_waitcnt vmcnt(0)
	v_lshlrev_b32_e32 v2, 16, v26
	v_max_f32_e32 v2, v2, v2
	v_max_f32_e32 v11, 0xff7fffff, v2
.LBB163_2:
	s_or_b64 exec, exec, s[0:1]
	s_and_b32 s22, 0xffff, s2
	v_add_u32_e32 v2, s22, v0
	v_cmp_gt_i64_e64 s[0:1], s[14:15], v[2:3]
	v_lshlrev_b32_e32 v4, 1, v2
                                        ; implicit-def: $vgpr20
	s_and_saveexec_b64 s[2:3], s[0:1]
	s_cbranch_execz .LBB163_4
; %bb.3:
	global_load_ushort v20, v4, s[16:17]
	v_max_f32_e32 v5, v11, v11
	s_waitcnt vmcnt(0)
	v_lshlrev_b32_e32 v3, 16, v20
	v_max_f32_e32 v3, v3, v3
	v_max_f32_e32 v11, v5, v3
.LBB163_4:
	s_or_b64 exec, exec, s[2:3]
	v_add_u32_e32 v2, s22, v2
	v_mov_b32_e32 v3, 0
	v_cmp_gt_i64_e64 s[2:3], s[14:15], v[2:3]
	v_lshlrev_b32_e32 v5, 1, v2
                                        ; implicit-def: $vgpr24
	s_and_saveexec_b64 s[4:5], s[2:3]
	s_cbranch_execz .LBB163_6
; %bb.5:
	global_load_ushort v24, v5, s[16:17]
	v_max_f32_e32 v7, v11, v11
	s_waitcnt vmcnt(0)
	v_lshlrev_b32_e32 v6, 16, v24
	v_max_f32_e32 v6, v6, v6
	v_max_f32_e32 v11, v7, v6
.LBB163_6:
	s_or_b64 exec, exec, s[4:5]
	v_add_u32_e32 v2, s22, v2
	v_cmp_gt_i64_e64 s[4:5], s[14:15], v[2:3]
	v_lshlrev_b32_e32 v6, 1, v2
                                        ; implicit-def: $vgpr25
	s_and_saveexec_b64 s[6:7], s[4:5]
	s_cbranch_execz .LBB163_8
; %bb.7:
	global_load_ushort v25, v6, s[16:17]
	v_max_f32_e32 v7, v11, v11
	s_waitcnt vmcnt(0)
	v_lshlrev_b32_e32 v3, 16, v25
	v_max_f32_e32 v3, v3, v3
	v_max_f32_e32 v11, v7, v3
.LBB163_8:
	s_or_b64 exec, exec, s[6:7]
	v_add_u32_e32 v2, s22, v2
	v_mov_b32_e32 v3, 0
	v_cmp_gt_i64_e64 s[6:7], s[14:15], v[2:3]
	v_lshlrev_b32_e32 v7, 1, v2
                                        ; implicit-def: $vgpr23
	s_and_saveexec_b64 s[8:9], s[6:7]
	s_cbranch_execz .LBB163_10
; %bb.9:
	global_load_ushort v23, v7, s[16:17]
	v_max_f32_e32 v9, v11, v11
	s_waitcnt vmcnt(0)
	v_lshlrev_b32_e32 v8, 16, v23
	v_max_f32_e32 v8, v8, v8
	v_max_f32_e32 v11, v9, v8
.LBB163_10:
	s_or_b64 exec, exec, s[8:9]
	v_add_u32_e32 v2, s22, v2
	v_cmp_gt_i64_e64 s[8:9], s[14:15], v[2:3]
	v_lshlrev_b32_e32 v8, 1, v2
                                        ; implicit-def: $vgpr22
	s_and_saveexec_b64 s[10:11], s[8:9]
	s_cbranch_execz .LBB163_12
; %bb.11:
	global_load_ushort v22, v8, s[16:17]
	v_max_f32_e32 v9, v11, v11
	s_waitcnt vmcnt(0)
	v_lshlrev_b32_e32 v3, 16, v22
	v_max_f32_e32 v3, v3, v3
	v_max_f32_e32 v11, v9, v3
.LBB163_12:
	s_or_b64 exec, exec, s[10:11]
	v_add_u32_e32 v2, s22, v2
	v_mov_b32_e32 v3, 0
	v_cmp_gt_i64_e64 s[10:11], s[14:15], v[2:3]
	v_lshlrev_b32_e32 v9, 1, v2
                                        ; implicit-def: $vgpr18
	s_and_saveexec_b64 s[12:13], s[10:11]
	s_cbranch_execz .LBB163_14
; %bb.13:
	global_load_ushort v18, v9, s[16:17]
	v_max_f32_e32 v11, v11, v11
	s_waitcnt vmcnt(0)
	v_lshlrev_b32_e32 v10, 16, v18
	v_max_f32_e32 v10, v10, v10
	v_max_f32_e32 v11, v11, v10
.LBB163_14:
	s_or_b64 exec, exec, s[12:13]
	v_add_u32_e32 v2, s22, v2
	v_cmp_gt_i64_e64 s[12:13], s[14:15], v[2:3]
	v_lshlrev_b32_e32 v3, 1, v2
                                        ; implicit-def: $vgpr17
	s_and_saveexec_b64 s[18:19], s[12:13]
	s_cbranch_execz .LBB163_16
; %bb.15:
	global_load_ushort v17, v3, s[16:17]
	v_max_f32_e32 v11, v11, v11
	s_waitcnt vmcnt(0)
	v_lshlrev_b32_e32 v10, 16, v17
	v_max_f32_e32 v10, v10, v10
	v_max_f32_e32 v11, v11, v10
.LBB163_16:
	s_or_b64 exec, exec, s[18:19]
	v_add_u32_e32 v12, s22, v2
	v_mov_b32_e32 v13, 0
	v_cmp_gt_i64_e64 s[14:15], s[14:15], v[12:13]
	v_lshlrev_b32_e32 v2, 1, v12
                                        ; implicit-def: $vgpr16
	s_and_saveexec_b64 s[18:19], s[14:15]
	s_cbranch_execz .LBB163_18
; %bb.17:
	global_load_ushort v16, v2, s[16:17]
	v_max_f32_e32 v11, v11, v11
	s_waitcnt vmcnt(0)
	v_lshlrev_b32_e32 v10, 16, v16
	v_max_f32_e32 v10, v10, v10
	v_max_f32_e32 v11, v11, v10
.LBB163_18:
	s_or_b64 exec, exec, s[18:19]
	v_mbcnt_lo_u32_b32 v10, -1, 0
	v_mbcnt_hi_u32_b32 v15, -1, v10
	v_and_b32_e32 v19, 63, v15
	v_cmp_gt_u32_e64 s[16:17], 32, v19
	v_cndmask_b32_e64 v10, 0, 1, s[16:17]
	v_lshlrev_b32_e32 v10, 5, v10
	v_add_lshl_u32 v10, v10, v15, 2
	ds_bpermute_b32 v12, v10, v11
	v_cmp_gt_u32_e64 s[16:17], 48, v19
	v_cndmask_b32_e64 v13, 0, 1, s[16:17]
	s_waitcnt lgkmcnt(0)
	s_barrier
	v_cmp_lt_f32_e64 s[16:17], v11, v12
	v_cndmask_b32_e64 v12, v11, v12, s[16:17]
	v_lshlrev_b32_e32 v11, 4, v13
	v_add_lshl_u32 v11, v11, v15, 2
	ds_bpermute_b32 v13, v11, v12
	s_waitcnt lgkmcnt(0)
	v_cmp_lt_f32_e64 s[16:17], v12, v13
	v_cndmask_b32_e64 v13, v12, v13, s[16:17]
	v_cmp_gt_u32_e64 s[16:17], 56, v19
	v_cndmask_b32_e64 v12, 0, 1, s[16:17]
	v_lshlrev_b32_e32 v12, 3, v12
	v_add_lshl_u32 v12, v12, v15, 2
	ds_bpermute_b32 v14, v12, v13
	s_waitcnt lgkmcnt(0)
	v_cmp_lt_f32_e64 s[16:17], v13, v14
	v_cndmask_b32_e64 v14, v13, v14, s[16:17]
	v_cmp_gt_u32_e64 s[16:17], 60, v19
	;; [unrolled: 8-line block ×3, first 2 shown]
	v_cndmask_b32_e64 v14, 0, 1, s[16:17]
	v_lshlrev_b32_e32 v14, 1, v14
	v_add_lshl_u32 v14, v14, v15, 2
	ds_bpermute_b32 v28, v14, v27
	v_and_b32_e32 v21, 63, v0
	s_waitcnt lgkmcnt(0)
	v_cmp_lt_f32_e64 s[16:17], v27, v28
	v_cndmask_b32_e64 v27, v27, v28, s[16:17]
	v_cmp_ne_u32_e64 s[16:17], 63, v19
	v_addc_co_u32_e64 v15, s[16:17], 0, v15, s[16:17]
	v_lshlrev_b32_e32 v15, 2, v15
	ds_bpermute_b32 v28, v15, v27
	v_cmp_eq_u32_e64 s[16:17], 0, v21
	v_lshrrev_b32_e32 v19, 4, v0
	s_and_saveexec_b64 s[18:19], s[16:17]
	s_xor_b64 s[20:21], exec, s[18:19]
	s_cbranch_execz .LBB163_20
; %bb.19:
	s_waitcnt lgkmcnt(0)
	v_cmp_lt_f32_e64 s[18:19], v27, v28
	v_add_u32_e32 v29, 0, v19
	v_cndmask_b32_e64 v27, v27, v28, s[18:19]
	ds_write_b32 v29, v27
.LBB163_20:
	s_or_b64 exec, exec, s[20:21]
	s_lshr_b32 s18, s22, 6
	v_cmp_gt_u32_e64 s[18:19], s18, v0
	v_mov_b32_e32 v27, 0xff7fffff
	v_lshl_add_u32 v21, v21, 2, 0
	s_waitcnt lgkmcnt(0)
	s_barrier
	s_and_saveexec_b64 s[20:21], s[18:19]
	s_cbranch_execnz .LBB163_58
; %bb.21:
	s_or_b64 exec, exec, s[20:21]
	v_cmp_gt_u32_e64 s[20:21], 64, v0
	s_and_saveexec_b64 s[24:25], s[20:21]
	s_cbranch_execnz .LBB163_59
.LBB163_22:
	s_or_b64 exec, exec, s[24:25]
	v_cmp_eq_u32_e64 s[22:23], 0, v0
	s_and_saveexec_b64 s[24:25], s[22:23]
	s_cbranch_execz .LBB163_24
.LBB163_23:
	v_mov_b32_e32 v0, 0
	s_waitcnt lgkmcnt(0)
	ds_write_b32 v0, v27
.LBB163_24:
	s_or_b64 exec, exec, s[24:25]
	s_waitcnt lgkmcnt(0)
	v_mov_b32_e32 v27, 0
	s_barrier
	ds_read_b32 v28, v27
	v_lshlrev_b32_e32 v0, 16, v26
	s_waitcnt lgkmcnt(0)
	v_sub_f32_e32 v0, v0, v28
	s_and_saveexec_b64 s[30:31], vcc
	s_cbranch_execz .LBB163_26
; %bb.25:
	s_mov_b32 s24, 0x3fb8aa3b
	v_mul_f32_e32 v26, 0x3fb8aa3b, v0
	v_fma_f32 v27, v0, s24, -v26
	v_rndne_f32_e32 v29, v26
	v_fmac_f32_e32 v27, 0x32a5705f, v0
	v_sub_f32_e32 v26, v26, v29
	v_add_f32_e32 v26, v26, v27
	v_exp_f32_e32 v26, v26
	v_cvt_i32_f32_e32 v27, v29
	s_mov_b32 s24, 0xc2ce8ed0
	v_cmp_ngt_f32_e64 s[24:25], s24, v0
	v_ldexp_f32 v26, v26, v27
	v_cndmask_b32_e64 v26, 0, v26, s[24:25]
	s_mov_b32 s24, 0x42b17218
	v_mov_b32_e32 v27, 0x7f800000
	v_cmp_nlt_f32_e64 s[24:25], s24, v0
	v_cndmask_b32_e64 v27, v27, v26, s[24:25]
.LBB163_26:
	s_or_b64 exec, exec, s[30:31]
	v_lshlrev_b32_e32 v20, 16, v20
	v_sub_f32_e32 v20, v20, v28
	s_and_saveexec_b64 s[30:31], s[0:1]
	s_cbranch_execz .LBB163_28
; %bb.27:
	s_mov_b32 s24, 0x3fb8aa3b
	v_mul_f32_e32 v26, 0x3fb8aa3b, v20
	v_fma_f32 v29, v20, s24, -v26
	v_rndne_f32_e32 v30, v26
	v_fmac_f32_e32 v29, 0x32a5705f, v20
	v_sub_f32_e32 v26, v26, v30
	v_add_f32_e32 v26, v26, v29
	v_exp_f32_e32 v26, v26
	v_cvt_i32_f32_e32 v29, v30
	s_mov_b32 s24, 0xc2ce8ed0
	v_cmp_ngt_f32_e64 s[24:25], s24, v20
	v_ldexp_f32 v26, v26, v29
	v_cndmask_b32_e64 v26, 0, v26, s[24:25]
	s_mov_b32 s24, 0x42b17218
	v_mov_b32_e32 v29, 0x7f800000
	v_cmp_nlt_f32_e64 s[24:25], s24, v20
	v_cndmask_b32_e64 v26, v29, v26, s[24:25]
	v_add_f32_e32 v27, v27, v26
.LBB163_28:
	s_or_b64 exec, exec, s[30:31]
	v_lshlrev_b32_e32 v24, 16, v24
	v_sub_f32_e32 v24, v24, v28
	s_and_saveexec_b64 s[30:31], s[2:3]
	s_cbranch_execz .LBB163_30
; %bb.29:
	s_mov_b32 s24, 0x3fb8aa3b
	v_mul_f32_e32 v26, 0x3fb8aa3b, v24
	v_fma_f32 v29, v24, s24, -v26
	v_rndne_f32_e32 v30, v26
	v_fmac_f32_e32 v29, 0x32a5705f, v24
	v_sub_f32_e32 v26, v26, v30
	v_add_f32_e32 v26, v26, v29
	v_exp_f32_e32 v26, v26
	v_cvt_i32_f32_e32 v29, v30
	s_mov_b32 s24, 0xc2ce8ed0
	v_cmp_ngt_f32_e64 s[24:25], s24, v24
	v_ldexp_f32 v26, v26, v29
	v_cndmask_b32_e64 v26, 0, v26, s[24:25]
	s_mov_b32 s24, 0x42b17218
	v_mov_b32_e32 v29, 0x7f800000
	v_cmp_nlt_f32_e64 s[24:25], s24, v24
	v_cndmask_b32_e64 v26, v29, v26, s[24:25]
	v_add_f32_e32 v27, v27, v26
.LBB163_30:
	;; [unrolled: 25-line block ×8, first 2 shown]
	s_or_b64 exec, exec, s[30:31]
	ds_bpermute_b32 v26, v10, v27
	s_waitcnt lgkmcnt(0)
	s_barrier
	v_add_f32_e32 v26, v27, v26
	ds_bpermute_b32 v27, v11, v26
	s_waitcnt lgkmcnt(0)
	v_add_f32_e32 v26, v26, v27
	ds_bpermute_b32 v27, v12, v26
	s_waitcnt lgkmcnt(0)
	v_add_f32_e32 v26, v26, v27
	ds_bpermute_b32 v27, v13, v26
	s_waitcnt lgkmcnt(0)
	v_add_f32_e32 v26, v26, v27
	ds_bpermute_b32 v27, v14, v26
	s_waitcnt lgkmcnt(0)
	v_add_f32_e32 v26, v26, v27
	ds_bpermute_b32 v27, v15, v26
	s_and_saveexec_b64 s[24:25], s[16:17]
	s_xor_b64 s[16:17], exec, s[24:25]
	s_cbranch_execz .LBB163_44
; %bb.43:
	v_add_u32_e32 v19, 0, v19
	s_waitcnt lgkmcnt(0)
	v_add_f32_e32 v26, v26, v27
	ds_write_b32 v19, v26
.LBB163_44:
	s_or_b64 exec, exec, s[16:17]
	v_mov_b32_e32 v19, 0
	s_waitcnt lgkmcnt(0)
	s_barrier
	s_and_saveexec_b64 s[16:17], s[18:19]
	s_cbranch_execnz .LBB163_60
; %bb.45:
	s_or_b64 exec, exec, s[16:17]
	s_and_saveexec_b64 s[16:17], s[20:21]
	s_cbranch_execnz .LBB163_61
.LBB163_46:
	s_or_b64 exec, exec, s[16:17]
	s_and_saveexec_b64 s[16:17], s[22:23]
	s_cbranch_execz .LBB163_48
.LBB163_47:
	v_mov_b32_e32 v10, 0
	s_waitcnt lgkmcnt(0)
	ds_write_b32 v10, v19
.LBB163_48:
	s_or_b64 exec, exec, s[16:17]
	v_mov_b32_e32 v10, 0
	s_waitcnt lgkmcnt(0)
	s_barrier
	ds_read_b32 v10, v10
	s_mov_b32 s16, 0x800000
	v_mov_b32_e32 v11, 0x4f800000
	s_mov_b32 s18, 0x3f317217
	s_add_u32 s20, s28, s26
	s_waitcnt lgkmcnt(0)
	v_cmp_gt_f32_e64 s[16:17], s16, v10
	v_cndmask_b32_e64 v11, 1.0, v11, s[16:17]
	v_mul_f32_e32 v10, v10, v11
	v_log_f32_e32 v10, v10
	s_addc_u32 s21, s29, s27
	v_mul_f32_e32 v11, 0x3f317217, v10
	v_fma_f32 v12, v10, s18, -v11
	v_fmac_f32_e32 v12, 0x3377d1cf, v10
	s_mov_b32 s18, 0x7f800000
	v_add_f32_e32 v11, v11, v12
	v_cmp_lt_f32_e64 s[18:19], |v10|, s18
	v_cndmask_b32_e64 v10, v10, v11, s[18:19]
	v_mov_b32_e32 v11, 0x41b17218
	v_cndmask_b32_e64 v11, 0, v11, s[16:17]
	v_sub_f32_e32 v10, v10, v11
	s_and_saveexec_b64 s[16:17], vcc
	s_cbranch_execnz .LBB163_62
; %bb.49:
	s_or_b64 exec, exec, s[16:17]
	s_and_saveexec_b64 s[16:17], s[0:1]
	s_cbranch_execnz .LBB163_63
.LBB163_50:
	s_or_b64 exec, exec, s[16:17]
	s_and_saveexec_b64 s[0:1], s[2:3]
	s_cbranch_execnz .LBB163_64
.LBB163_51:
	s_or_b64 exec, exec, s[0:1]
	s_and_saveexec_b64 s[0:1], s[4:5]
	s_cbranch_execnz .LBB163_65
.LBB163_52:
	s_or_b64 exec, exec, s[0:1]
	s_and_saveexec_b64 s[0:1], s[6:7]
	s_cbranch_execnz .LBB163_66
.LBB163_53:
	s_or_b64 exec, exec, s[0:1]
	s_and_saveexec_b64 s[0:1], s[8:9]
	s_cbranch_execnz .LBB163_67
.LBB163_54:
	s_or_b64 exec, exec, s[0:1]
	s_and_saveexec_b64 s[0:1], s[10:11]
	s_cbranch_execnz .LBB163_68
.LBB163_55:
	s_or_b64 exec, exec, s[0:1]
	s_and_saveexec_b64 s[0:1], s[12:13]
	s_cbranch_execnz .LBB163_69
.LBB163_56:
	s_or_b64 exec, exec, s[0:1]
	s_and_saveexec_b64 s[0:1], s[14:15]
	s_cbranch_execnz .LBB163_70
.LBB163_57:
	s_endpgm
.LBB163_58:
	ds_read_b32 v27, v21
	s_or_b64 exec, exec, s[20:21]
	v_cmp_gt_u32_e64 s[20:21], 64, v0
	s_and_saveexec_b64 s[24:25], s[20:21]
	s_cbranch_execz .LBB163_22
.LBB163_59:
	s_waitcnt lgkmcnt(0)
	ds_bpermute_b32 v28, v10, v27
	s_waitcnt lgkmcnt(0)
	v_cmp_lt_f32_e64 s[22:23], v27, v28
	v_cndmask_b32_e64 v27, v27, v28, s[22:23]
	ds_bpermute_b32 v28, v11, v27
	s_waitcnt lgkmcnt(0)
	v_cmp_lt_f32_e64 s[22:23], v27, v28
	v_cndmask_b32_e64 v27, v27, v28, s[22:23]
	;; [unrolled: 4-line block ×6, first 2 shown]
	s_or_b64 exec, exec, s[24:25]
	v_cmp_eq_u32_e64 s[22:23], 0, v0
	s_and_saveexec_b64 s[24:25], s[22:23]
	s_cbranch_execnz .LBB163_23
	s_branch .LBB163_24
.LBB163_60:
	ds_read_b32 v19, v21
	s_or_b64 exec, exec, s[16:17]
	s_and_saveexec_b64 s[16:17], s[20:21]
	s_cbranch_execz .LBB163_46
.LBB163_61:
	s_waitcnt lgkmcnt(0)
	ds_bpermute_b32 v10, v10, v19
	s_waitcnt lgkmcnt(0)
	v_add_f32_e32 v10, v19, v10
	ds_bpermute_b32 v11, v11, v10
	s_waitcnt lgkmcnt(0)
	v_add_f32_e32 v10, v10, v11
	;; [unrolled: 3-line block ×6, first 2 shown]
	s_or_b64 exec, exec, s[16:17]
	s_and_saveexec_b64 s[16:17], s[22:23]
	s_cbranch_execnz .LBB163_47
	s_branch .LBB163_48
.LBB163_62:
	v_sub_f32_e32 v0, v0, v10
	v_bfe_u32 v11, v0, 16, 1
	s_movk_i32 s18, 0x7fff
	v_add3_u32 v11, v0, v11, s18
	v_lshrrev_b32_e32 v11, 16, v11
	v_mov_b32_e32 v12, 0x7fc0
	v_cmp_o_f32_e32 vcc, v0, v0
	v_cndmask_b32_e32 v0, v12, v11, vcc
	global_store_short v1, v0, s[20:21]
	s_or_b64 exec, exec, s[16:17]
	s_and_saveexec_b64 s[16:17], s[0:1]
	s_cbranch_execz .LBB163_50
.LBB163_63:
	v_sub_f32_e32 v0, v20, v10
	v_bfe_u32 v1, v0, 16, 1
	s_movk_i32 s0, 0x7fff
	v_add3_u32 v1, v0, v1, s0
	v_lshrrev_b32_e32 v1, 16, v1
	v_mov_b32_e32 v11, 0x7fc0
	v_cmp_o_f32_e32 vcc, v0, v0
	v_cndmask_b32_e32 v0, v11, v1, vcc
	global_store_short v4, v0, s[20:21]
	s_or_b64 exec, exec, s[16:17]
	s_and_saveexec_b64 s[0:1], s[2:3]
	s_cbranch_execz .LBB163_51
.LBB163_64:
	v_sub_f32_e32 v0, v24, v10
	v_bfe_u32 v1, v0, 16, 1
	s_movk_i32 s2, 0x7fff
	v_add3_u32 v1, v0, v1, s2
	v_lshrrev_b32_e32 v1, 16, v1
	v_mov_b32_e32 v4, 0x7fc0
	v_cmp_o_f32_e32 vcc, v0, v0
	v_cndmask_b32_e32 v0, v4, v1, vcc
	global_store_short v5, v0, s[20:21]
	s_or_b64 exec, exec, s[0:1]
	s_and_saveexec_b64 s[0:1], s[4:5]
	s_cbranch_execz .LBB163_52
.LBB163_65:
	v_sub_f32_e32 v0, v25, v10
	v_bfe_u32 v1, v0, 16, 1
	s_movk_i32 s2, 0x7fff
	v_add3_u32 v1, v0, v1, s2
	v_lshrrev_b32_e32 v1, 16, v1
	v_mov_b32_e32 v4, 0x7fc0
	v_cmp_o_f32_e32 vcc, v0, v0
	v_cndmask_b32_e32 v0, v4, v1, vcc
	global_store_short v6, v0, s[20:21]
	s_or_b64 exec, exec, s[0:1]
	s_and_saveexec_b64 s[0:1], s[6:7]
	s_cbranch_execz .LBB163_53
.LBB163_66:
	v_sub_f32_e32 v0, v23, v10
	v_bfe_u32 v1, v0, 16, 1
	s_movk_i32 s2, 0x7fff
	v_add3_u32 v1, v0, v1, s2
	v_lshrrev_b32_e32 v1, 16, v1
	v_mov_b32_e32 v4, 0x7fc0
	v_cmp_o_f32_e32 vcc, v0, v0
	v_cndmask_b32_e32 v0, v4, v1, vcc
	global_store_short v7, v0, s[20:21]
	s_or_b64 exec, exec, s[0:1]
	s_and_saveexec_b64 s[0:1], s[8:9]
	s_cbranch_execz .LBB163_54
.LBB163_67:
	v_sub_f32_e32 v0, v22, v10
	v_bfe_u32 v1, v0, 16, 1
	s_movk_i32 s2, 0x7fff
	v_add3_u32 v1, v0, v1, s2
	v_lshrrev_b32_e32 v1, 16, v1
	v_mov_b32_e32 v4, 0x7fc0
	v_cmp_o_f32_e32 vcc, v0, v0
	v_cndmask_b32_e32 v0, v4, v1, vcc
	global_store_short v8, v0, s[20:21]
	s_or_b64 exec, exec, s[0:1]
	s_and_saveexec_b64 s[0:1], s[10:11]
	s_cbranch_execz .LBB163_55
.LBB163_68:
	v_sub_f32_e32 v0, v18, v10
	v_bfe_u32 v1, v0, 16, 1
	s_movk_i32 s2, 0x7fff
	v_add3_u32 v1, v0, v1, s2
	v_lshrrev_b32_e32 v1, 16, v1
	v_mov_b32_e32 v4, 0x7fc0
	v_cmp_o_f32_e32 vcc, v0, v0
	v_cndmask_b32_e32 v0, v4, v1, vcc
	global_store_short v9, v0, s[20:21]
	s_or_b64 exec, exec, s[0:1]
	s_and_saveexec_b64 s[0:1], s[12:13]
	s_cbranch_execz .LBB163_56
.LBB163_69:
	v_sub_f32_e32 v0, v17, v10
	v_bfe_u32 v1, v0, 16, 1
	s_movk_i32 s2, 0x7fff
	v_add3_u32 v1, v0, v1, s2
	v_lshrrev_b32_e32 v1, 16, v1
	v_mov_b32_e32 v4, 0x7fc0
	v_cmp_o_f32_e32 vcc, v0, v0
	v_cndmask_b32_e32 v0, v4, v1, vcc
	global_store_short v3, v0, s[20:21]
	s_or_b64 exec, exec, s[0:1]
	s_and_saveexec_b64 s[0:1], s[14:15]
	s_cbranch_execz .LBB163_57
.LBB163_70:
	v_sub_f32_e32 v0, v16, v10
	v_bfe_u32 v1, v0, 16, 1
	s_movk_i32 s0, 0x7fff
	v_add3_u32 v1, v0, v1, s0
	v_lshrrev_b32_e32 v1, 16, v1
	v_mov_b32_e32 v3, 0x7fc0
	v_cmp_o_f32_e32 vcc, v0, v0
	v_cndmask_b32_e32 v0, v3, v1, vcc
	global_store_short v2, v0, s[20:21]
	s_endpgm
	.section	.rodata,"a",@progbits
	.p2align	6, 0x0
	.amdhsa_kernel _ZN2at6native12_GLOBAL__N_122cunn_SoftMaxForwardRegIN3c108BFloat16EfS4_NS1_25LogSoftMaxForwardEpilogueElLi9EEEvPT1_PKT_T3_
		.amdhsa_group_segment_fixed_size 0
		.amdhsa_private_segment_fixed_size 0
		.amdhsa_kernarg_size 280
		.amdhsa_user_sgpr_count 6
		.amdhsa_user_sgpr_private_segment_buffer 1
		.amdhsa_user_sgpr_dispatch_ptr 0
		.amdhsa_user_sgpr_queue_ptr 0
		.amdhsa_user_sgpr_kernarg_segment_ptr 1
		.amdhsa_user_sgpr_dispatch_id 0
		.amdhsa_user_sgpr_flat_scratch_init 0
		.amdhsa_user_sgpr_kernarg_preload_length 0
		.amdhsa_user_sgpr_kernarg_preload_offset 0
		.amdhsa_user_sgpr_private_segment_size 0
		.amdhsa_uses_dynamic_stack 0
		.amdhsa_system_sgpr_private_segment_wavefront_offset 0
		.amdhsa_system_sgpr_workgroup_id_x 1
		.amdhsa_system_sgpr_workgroup_id_y 0
		.amdhsa_system_sgpr_workgroup_id_z 0
		.amdhsa_system_sgpr_workgroup_info 0
		.amdhsa_system_vgpr_workitem_id 0
		.amdhsa_next_free_vgpr 31
		.amdhsa_next_free_sgpr 32
		.amdhsa_accum_offset 32
		.amdhsa_reserve_vcc 1
		.amdhsa_reserve_flat_scratch 0
		.amdhsa_float_round_mode_32 0
		.amdhsa_float_round_mode_16_64 0
		.amdhsa_float_denorm_mode_32 3
		.amdhsa_float_denorm_mode_16_64 3
		.amdhsa_dx10_clamp 1
		.amdhsa_ieee_mode 1
		.amdhsa_fp16_overflow 0
		.amdhsa_tg_split 0
		.amdhsa_exception_fp_ieee_invalid_op 0
		.amdhsa_exception_fp_denorm_src 0
		.amdhsa_exception_fp_ieee_div_zero 0
		.amdhsa_exception_fp_ieee_overflow 0
		.amdhsa_exception_fp_ieee_underflow 0
		.amdhsa_exception_fp_ieee_inexact 0
		.amdhsa_exception_int_div_zero 0
	.end_amdhsa_kernel
	.section	.text._ZN2at6native12_GLOBAL__N_122cunn_SoftMaxForwardRegIN3c108BFloat16EfS4_NS1_25LogSoftMaxForwardEpilogueElLi9EEEvPT1_PKT_T3_,"axG",@progbits,_ZN2at6native12_GLOBAL__N_122cunn_SoftMaxForwardRegIN3c108BFloat16EfS4_NS1_25LogSoftMaxForwardEpilogueElLi9EEEvPT1_PKT_T3_,comdat
.Lfunc_end163:
	.size	_ZN2at6native12_GLOBAL__N_122cunn_SoftMaxForwardRegIN3c108BFloat16EfS4_NS1_25LogSoftMaxForwardEpilogueElLi9EEEvPT1_PKT_T3_, .Lfunc_end163-_ZN2at6native12_GLOBAL__N_122cunn_SoftMaxForwardRegIN3c108BFloat16EfS4_NS1_25LogSoftMaxForwardEpilogueElLi9EEEvPT1_PKT_T3_
                                        ; -- End function
	.section	.AMDGPU.csdata,"",@progbits
; Kernel info:
; codeLenInByte = 3752
; NumSgprs: 36
; NumVgprs: 31
; NumAgprs: 0
; TotalNumVgprs: 31
; ScratchSize: 0
; MemoryBound: 0
; FloatMode: 240
; IeeeMode: 1
; LDSByteSize: 0 bytes/workgroup (compile time only)
; SGPRBlocks: 4
; VGPRBlocks: 3
; NumSGPRsForWavesPerEU: 36
; NumVGPRsForWavesPerEU: 31
; AccumOffset: 32
; Occupancy: 8
; WaveLimiterHint : 0
; COMPUTE_PGM_RSRC2:SCRATCH_EN: 0
; COMPUTE_PGM_RSRC2:USER_SGPR: 6
; COMPUTE_PGM_RSRC2:TRAP_HANDLER: 0
; COMPUTE_PGM_RSRC2:TGID_X_EN: 1
; COMPUTE_PGM_RSRC2:TGID_Y_EN: 0
; COMPUTE_PGM_RSRC2:TGID_Z_EN: 0
; COMPUTE_PGM_RSRC2:TIDIG_COMP_CNT: 0
; COMPUTE_PGM_RSRC3_GFX90A:ACCUM_OFFSET: 7
; COMPUTE_PGM_RSRC3_GFX90A:TG_SPLIT: 0
	.section	.text._ZN2at6native12_GLOBAL__N_123cunn_SoftMaxForwardSmemILi8EN3c108BFloat16EfS4_NS1_25LogSoftMaxForwardEpilogueElEEvPT2_PKT0_T4_,"axG",@progbits,_ZN2at6native12_GLOBAL__N_123cunn_SoftMaxForwardSmemILi8EN3c108BFloat16EfS4_NS1_25LogSoftMaxForwardEpilogueElEEvPT2_PKT0_T4_,comdat
	.globl	_ZN2at6native12_GLOBAL__N_123cunn_SoftMaxForwardSmemILi8EN3c108BFloat16EfS4_NS1_25LogSoftMaxForwardEpilogueElEEvPT2_PKT0_T4_ ; -- Begin function _ZN2at6native12_GLOBAL__N_123cunn_SoftMaxForwardSmemILi8EN3c108BFloat16EfS4_NS1_25LogSoftMaxForwardEpilogueElEEvPT2_PKT0_T4_
	.p2align	8
	.type	_ZN2at6native12_GLOBAL__N_123cunn_SoftMaxForwardSmemILi8EN3c108BFloat16EfS4_NS1_25LogSoftMaxForwardEpilogueElEEvPT2_PKT0_T4_,@function
_ZN2at6native12_GLOBAL__N_123cunn_SoftMaxForwardSmemILi8EN3c108BFloat16EfS4_NS1_25LogSoftMaxForwardEpilogueElEEvPT2_PKT0_T4_: ; @_ZN2at6native12_GLOBAL__N_123cunn_SoftMaxForwardSmemILi8EN3c108BFloat16EfS4_NS1_25LogSoftMaxForwardEpilogueElEEvPT2_PKT0_T4_
; %bb.0:
	s_load_dwordx4 s[24:27], s[4:5], 0x0
	s_load_dwordx2 s[28:29], s[4:5], 0x10
	v_mov_b32_e32 v1, 0
	v_lshlrev_b32_e32 v2, 3, v0
	v_mov_b32_e32 v3, v1
	s_mov_b32 s10, 0
	s_waitcnt lgkmcnt(0)
	v_cmp_gt_i64_e32 vcc, s[28:29], v[2:3]
	v_mov_b32_e32 v6, 0xff7fffff
	s_mul_i32 s33, s29, s6
	s_mul_hi_u32 s36, s28, s6
	s_mul_i32 s30, s28, s6
	v_lshlrev_b32_e32 v8, 4, v0
	s_and_saveexec_b64 s[2:3], vcc
	s_cbranch_execz .LBB164_4
; %bb.1:
	s_load_dword s6, s[4:5], 0x24
	s_add_i32 s31, s36, s33
	s_lshl_b64 s[0:1], s[30:31], 1
	v_add_u32_e32 v7, 0, v8
	v_mov_b32_e32 v6, 0xff7fffff
	s_waitcnt lgkmcnt(0)
	s_and_b32 s8, s6, 0xffff
	s_add_u32 s0, s26, s0
	s_addc_u32 s1, s27, s1
	v_mov_b32_e32 v2, s1
	v_add_co_u32_e64 v3, s[0:1], s0, v8
	v_addc_co_u32_e64 v4, s[0:1], 0, v2, s[0:1]
	v_add_co_u32_e64 v2, s[0:1], 8, v3
	v_addc_co_u32_e64 v3, s[0:1], 0, v4, s[0:1]
	s_lshl_b32 s9, s8, 4
	s_mov_b64 s[6:7], 0
	v_mov_b32_e32 v9, s10
	v_mov_b32_e32 v10, s10
	v_pk_mov_b32 v[4:5], v[0:1], v[0:1] op_sel:[0,1]
.LBB164_2:                              ; =>This Inner Loop Header: Depth=1
	global_load_dwordx4 v[12:15], v[2:3], off offset:-8
	v_add_co_u32_e64 v4, s[0:1], s8, v4
	v_addc_co_u32_e64 v5, s[0:1], v5, v9, s[0:1]
	v_add_co_u32_e64 v2, s[0:1], s9, v2
	v_addc_co_u32_e64 v3, s[0:1], v3, v10, s[0:1]
	v_lshlrev_b64 v[16:17], 3, v[4:5]
	v_cmp_le_i64_e64 s[0:1], s[28:29], v[16:17]
	s_or_b64 s[6:7], s[0:1], s[6:7]
	s_waitcnt vmcnt(0)
	ds_write_b128 v7, v[12:15]
	v_lshlrev_b32_e32 v11, 16, v12
	v_and_b32_e32 v12, 0xffff0000, v12
	v_lshlrev_b32_e32 v16, 16, v13
	v_and_b32_e32 v13, 0xffff0000, v13
	v_max3_f32 v6, v6, v11, v12
	v_lshlrev_b32_e32 v17, 16, v14
	v_and_b32_e32 v14, 0xffff0000, v14
	v_max3_f32 v6, v6, v16, v13
	;; [unrolled: 3-line block ×3, first 2 shown]
	v_add_u32_e32 v7, s9, v7
	v_max3_f32 v6, v6, v18, v15
	s_andn2_b64 exec, exec, s[6:7]
	s_cbranch_execnz .LBB164_2
; %bb.3:
	s_or_b64 exec, exec, s[6:7]
.LBB164_4:
	s_or_b64 exec, exec, s[2:3]
	v_mbcnt_lo_u32_b32 v2, -1, 0
	v_mbcnt_hi_u32_b32 v4, -1, v2
	v_and_b32_e32 v5, 63, v4
	v_cmp_gt_u32_e64 s[0:1], 32, v5
	v_cndmask_b32_e64 v2, 0, 1, s[0:1]
	v_lshlrev_b32_e32 v2, 5, v2
	v_add_lshl_u32 v10, v2, v4, 2
	ds_bpermute_b32 v2, v10, v6
	v_cmp_gt_u32_e64 s[0:1], 48, v5
	v_cndmask_b32_e64 v3, 0, 1, s[0:1]
	v_lshlrev_b32_e32 v3, 4, v3
	v_add_lshl_u32 v11, v3, v4, 2
	s_waitcnt lgkmcnt(0)
	v_cmp_lt_f32_e64 s[0:1], v6, v2
	v_cndmask_b32_e64 v2, v6, v2, s[0:1]
	ds_bpermute_b32 v3, v11, v2
	v_lshrrev_b32_e32 v16, 4, v0
	s_waitcnt lgkmcnt(0)
	s_barrier
	v_cmp_lt_f32_e64 s[0:1], v2, v3
	v_cndmask_b32_e64 v2, v2, v3, s[0:1]
	v_cmp_gt_u32_e64 s[0:1], 56, v5
	v_cndmask_b32_e64 v3, 0, 1, s[0:1]
	v_lshlrev_b32_e32 v3, 3, v3
	v_add_lshl_u32 v12, v3, v4, 2
	ds_bpermute_b32 v3, v12, v2
	s_waitcnt lgkmcnt(0)
	v_cmp_lt_f32_e64 s[0:1], v2, v3
	v_cndmask_b32_e64 v2, v2, v3, s[0:1]
	v_cmp_gt_u32_e64 s[0:1], 60, v5
	v_cndmask_b32_e64 v3, 0, 1, s[0:1]
	v_lshlrev_b32_e32 v3, 2, v3
	v_add_lshl_u32 v13, v3, v4, 2
	ds_bpermute_b32 v3, v13, v2
	s_waitcnt lgkmcnt(0)
	v_cmp_lt_f32_e64 s[0:1], v2, v3
	v_cndmask_b32_e64 v2, v2, v3, s[0:1]
	v_cmp_gt_u32_e64 s[0:1], 62, v5
	v_cndmask_b32_e64 v3, 0, 1, s[0:1]
	v_lshlrev_b32_e32 v3, 1, v3
	v_add_lshl_u32 v14, v3, v4, 2
	ds_bpermute_b32 v6, v14, v2
	s_lshl_b32 s0, s28, 1
	s_add_i32 s31, s0, 0
	v_and_b32_e32 v3, 63, v0
	s_waitcnt lgkmcnt(0)
	v_cmp_lt_f32_e64 s[0:1], v2, v6
	v_cndmask_b32_e64 v2, v2, v6, s[0:1]
	v_cmp_ne_u32_e64 s[0:1], 63, v5
	v_addc_co_u32_e64 v4, s[0:1], 0, v4, s[0:1]
	v_lshlrev_b32_e32 v15, 2, v4
	ds_bpermute_b32 v4, v15, v2
	v_cmp_eq_u32_e64 s[0:1], 0, v3
	s_and_saveexec_b64 s[6:7], s[0:1]
	s_cbranch_execz .LBB164_6
; %bb.5:
	s_waitcnt lgkmcnt(0)
	v_cmp_lt_f32_e64 s[2:3], v2, v4
	v_add_u32_e32 v5, s31, v16
	v_cndmask_b32_e64 v2, v2, v4, s[2:3]
	ds_write_b32 v5, v2
.LBB164_6:
	s_or_b64 exec, exec, s[6:7]
	s_waitcnt lgkmcnt(0)
	s_barrier
	s_load_dword s10, s[4:5], 0x24
	v_mov_b32_e32 v2, 0xff7fffff
	v_lshl_add_u32 v17, v3, 2, s31
	s_waitcnt lgkmcnt(0)
	s_bfe_u32 s2, s10, 0xa0006
	v_cmp_gt_u32_e64 s[2:3], s2, v0
	s_and_saveexec_b64 s[4:5], s[2:3]
	s_cbranch_execnz .LBB164_24
; %bb.7:
	s_or_b64 exec, exec, s[4:5]
	v_cmp_gt_u32_e64 s[4:5], 64, v0
	s_and_saveexec_b64 s[8:9], s[4:5]
	s_cbranch_execnz .LBB164_25
.LBB164_8:
	s_or_b64 exec, exec, s[8:9]
	v_cmp_eq_u32_e64 s[6:7], 0, v0
	s_and_saveexec_b64 s[8:9], s[6:7]
	s_cbranch_execz .LBB164_10
.LBB164_9:
	v_mov_b32_e32 v3, s31
	s_waitcnt lgkmcnt(0)
	ds_write_b32 v3, v2
.LBB164_10:
	s_or_b64 exec, exec, s[8:9]
	s_waitcnt lgkmcnt(0)
	v_mov_b32_e32 v2, s31
	s_barrier
	ds_read_b32 v9, v2
	s_and_b32 s37, s10, 0xffff
	v_mov_b32_e32 v18, 0
	s_and_saveexec_b64 s[26:27], vcc
	s_cbranch_execz .LBB164_14
; %bb.11:
	s_mov_b32 s8, 0
	v_lshl_add_u32 v19, v0, 4, 0
	s_lshl_b32 s38, s37, 4
	s_mov_b64 s[34:35], 0
	v_mov_b32_e32 v18, 0
	s_mov_b32 s39, 0x3fb8aa3b
	s_mov_b32 s40, 0xc2ce8ed0
	;; [unrolled: 1-line block ×3, first 2 shown]
	v_mov_b32_e32 v20, 0x7f800000
	v_mov_b32_e32 v21, s8
	v_pk_mov_b32 v[6:7], v[0:1], v[0:1] op_sel:[0,1]
.LBB164_12:                             ; =>This Inner Loop Header: Depth=1
	ds_read_b128 v[2:5], v19
	v_add_co_u32_e64 v6, s[8:9], s37, v6
	v_addc_co_u32_e64 v7, s[8:9], v7, v21, s[8:9]
	v_lshlrev_b64 v[22:23], 3, v[6:7]
	v_cmp_le_i64_e64 s[8:9], s[28:29], v[22:23]
	s_waitcnt lgkmcnt(0)
	v_lshlrev_b32_e32 v22, 16, v2
	v_and_b32_e32 v2, 0xffff0000, v2
	v_lshlrev_b32_e32 v23, 16, v3
	v_and_b32_e32 v3, 0xffff0000, v3
	;; [unrolled: 2-line block ×4, first 2 shown]
	v_sub_f32_e32 v22, v22, v9
	v_sub_f32_e32 v2, v2, v9
	;; [unrolled: 1-line block ×8, first 2 shown]
	v_mul_f32_e32 v26, 0x3fb8aa3b, v22
	v_mul_f32_e32 v27, 0x3fb8aa3b, v2
	;; [unrolled: 1-line block ×8, first 2 shown]
	v_fma_f32 v34, v22, s39, -v26
	v_rndne_f32_e32 v35, v26
	v_fma_f32 v36, v2, s39, -v27
	v_rndne_f32_e32 v37, v27
	;; [unrolled: 2-line block ×8, first 2 shown]
	v_fmac_f32_e32 v34, 0x32a5705f, v22
	v_sub_f32_e32 v26, v26, v35
	v_fmac_f32_e32 v36, 0x32a5705f, v2
	v_sub_f32_e32 v27, v27, v37
	;; [unrolled: 2-line block ×8, first 2 shown]
	v_add_f32_e32 v26, v26, v34
	v_cvt_i32_f32_e32 v35, v35
	v_add_f32_e32 v27, v27, v36
	v_add_f32_e32 v28, v28, v38
	;; [unrolled: 1-line block ×7, first 2 shown]
	v_exp_f32_e32 v26, v26
	v_cvt_i32_f32_e32 v37, v37
	v_cvt_i32_f32_e32 v39, v39
	;; [unrolled: 1-line block ×7, first 2 shown]
	v_exp_f32_e32 v27, v27
	v_exp_f32_e32 v28, v28
	;; [unrolled: 1-line block ×7, first 2 shown]
	v_ldexp_f32 v26, v26, v35
	v_cmp_ngt_f32_e64 s[22:23], s40, v22
	s_or_b64 s[34:35], s[8:9], s[34:35]
	v_ldexp_f32 v27, v27, v37
	v_cmp_ngt_f32_e64 s[8:9], s40, v2
	v_ldexp_f32 v28, v28, v39
	v_cmp_ngt_f32_e64 s[10:11], s40, v23
	;; [unrolled: 2-line block ×7, first 2 shown]
	v_cndmask_b32_e64 v26, 0, v26, s[22:23]
	v_cmp_nlt_f32_e64 s[22:23], s41, v22
	v_cndmask_b32_e64 v27, 0, v27, s[8:9]
	v_cmp_nlt_f32_e64 s[8:9], s41, v2
	v_cndmask_b32_e64 v2, 0, v28, s[10:11]
	v_cmp_nlt_f32_e64 s[10:11], s41, v23
	v_cndmask_b32_e64 v23, 0, v29, s[12:13]
	v_cmp_nlt_f32_e64 s[12:13], s41, v3
	v_cndmask_b32_e64 v3, 0, v30, s[14:15]
	v_cmp_nlt_f32_e64 s[14:15], s41, v24
	v_cndmask_b32_e64 v24, 0, v31, s[16:17]
	v_cmp_nlt_f32_e64 s[16:17], s41, v4
	v_cndmask_b32_e64 v4, 0, v32, s[18:19]
	v_cmp_nlt_f32_e64 s[18:19], s41, v25
	v_cndmask_b32_e64 v25, 0, v33, s[20:21]
	v_cmp_nlt_f32_e64 s[20:21], s41, v5
	v_cndmask_b32_e64 v5, v20, v26, s[22:23]
	v_cndmask_b32_e64 v22, v20, v27, s[8:9]
	v_add_f32_e32 v5, v18, v5
	v_cndmask_b32_e64 v2, v20, v2, s[10:11]
	v_add_f32_e32 v5, v5, v22
	;; [unrolled: 2-line block ×7, first 2 shown]
	v_add_u32_e32 v19, s38, v19
	v_add_f32_e32 v18, v2, v25
	s_andn2_b64 exec, exec, s[34:35]
	s_cbranch_execnz .LBB164_12
; %bb.13:
	s_or_b64 exec, exec, s[34:35]
.LBB164_14:
	s_or_b64 exec, exec, s[26:27]
	ds_bpermute_b32 v2, v10, v18
	s_waitcnt lgkmcnt(0)
	s_barrier
	v_add_f32_e32 v2, v18, v2
	ds_bpermute_b32 v3, v11, v2
	s_waitcnt lgkmcnt(0)
	v_add_f32_e32 v2, v2, v3
	ds_bpermute_b32 v3, v12, v2
	s_waitcnt lgkmcnt(0)
	;; [unrolled: 3-line block ×4, first 2 shown]
	v_add_f32_e32 v2, v2, v3
	ds_bpermute_b32 v3, v15, v2
	s_and_saveexec_b64 s[8:9], s[0:1]
	s_cbranch_execz .LBB164_16
; %bb.15:
	v_add_u32_e32 v4, s31, v16
	s_waitcnt lgkmcnt(0)
	v_add_f32_e32 v2, v2, v3
	ds_write_b32 v4, v2
.LBB164_16:
	s_or_b64 exec, exec, s[8:9]
	v_mov_b32_e32 v2, 0
	s_waitcnt lgkmcnt(0)
	s_barrier
	s_and_saveexec_b64 s[0:1], s[2:3]
	s_cbranch_execnz .LBB164_26
; %bb.17:
	s_or_b64 exec, exec, s[0:1]
	s_and_saveexec_b64 s[0:1], s[4:5]
	s_cbranch_execnz .LBB164_27
.LBB164_18:
	s_or_b64 exec, exec, s[0:1]
	s_and_saveexec_b64 s[0:1], s[6:7]
	s_cbranch_execz .LBB164_20
.LBB164_19:
	v_mov_b32_e32 v3, s31
	s_waitcnt lgkmcnt(0)
	ds_write_b32 v3, v2
.LBB164_20:
	s_or_b64 exec, exec, s[0:1]
	s_waitcnt lgkmcnt(0)
	s_barrier
	s_and_saveexec_b64 s[0:1], vcc
	s_cbranch_execz .LBB164_23
; %bb.21:
	v_mov_b32_e32 v2, s31
	ds_read_b32 v2, v2
	s_mov_b32 s0, 0x800000
	v_mov_b32_e32 v3, 0x4f800000
	s_mov_b32 s1, 0x7f800000
	s_add_i32 s31, s36, s33
	s_waitcnt lgkmcnt(0)
	v_cmp_gt_f32_e32 vcc, s0, v2
	v_cndmask_b32_e32 v3, 1.0, v3, vcc
	v_mul_f32_e32 v2, v2, v3
	v_log_f32_e32 v2, v2
	s_mov_b32 s0, 0x3f317217
	s_mov_b32 s2, 0
	s_mov_b64 s[14:15], 0
	v_mul_f32_e32 v3, 0x3f317217, v2
	v_fma_f32 v4, v2, s0, -v3
	v_fmac_f32_e32 v4, 0x3377d1cf, v2
	v_add_f32_e32 v3, v3, v4
	v_cmp_lt_f32_e64 s[0:1], |v2|, s1
	v_cndmask_b32_e64 v2, v2, v3, s[0:1]
	s_lshl_b64 s[0:1], s[30:31], 1
	v_mov_b32_e32 v3, 0x41b17218
	s_add_u32 s0, s24, s0
	v_cndmask_b32_e32 v3, 0, v3, vcc
	s_addc_u32 s1, s25, s1
	v_sub_f32_e32 v4, v2, v3
	v_mov_b32_e32 v2, s1
	v_add_co_u32_e32 v3, vcc, s0, v8
	v_addc_co_u32_e32 v5, vcc, 0, v2, vcc
	v_add_co_u32_e32 v2, vcc, 8, v3
	v_addc_co_u32_e32 v3, vcc, 0, v5, vcc
	s_lshl_b32 s16, s37, 4
	v_add_u32_e32 v5, 0, v8
	s_movk_i32 s17, 0x7fff
	v_mov_b32_e32 v6, 0x7fc0
	s_mov_b32 s18, 0x5040100
	v_mov_b32_e32 v7, s2
	v_mov_b32_e32 v8, s2
.LBB164_22:                             ; =>This Inner Loop Header: Depth=1
	ds_read_b128 v[10:13], v5
	v_add_co_u32_e32 v0, vcc, s37, v0
	v_addc_co_u32_e32 v1, vcc, v1, v7, vcc
	v_lshlrev_b64 v[14:15], 3, v[0:1]
	v_cmp_le_i64_e32 vcc, s[28:29], v[14:15]
	s_waitcnt lgkmcnt(0)
	v_and_b32_e32 v14, 0xffff0000, v11
	v_and_b32_e32 v15, 0xffff0000, v10
	v_lshlrev_b32_e32 v11, 16, v11
	v_lshlrev_b32_e32 v10, 16, v10
	v_and_b32_e32 v16, 0xffff0000, v13
	v_and_b32_e32 v17, 0xffff0000, v12
	v_lshlrev_b32_e32 v13, 16, v13
	v_lshlrev_b32_e32 v12, 16, v12
	v_sub_f32_e32 v15, v15, v9
	v_sub_f32_e32 v10, v10, v9
	;; [unrolled: 1-line block ×16, first 2 shown]
	v_bfe_u32 v18, v15, 16, 1
	v_bfe_u32 v19, v10, 16, 1
	;; [unrolled: 1-line block ×8, first 2 shown]
	v_add3_u32 v21, v11, v21, s17
	v_add3_u32 v20, v14, v20, s17
	;; [unrolled: 1-line block ×8, first 2 shown]
	s_or_b64 s[14:15], vcc, s[14:15]
	v_lshrrev_b32_e32 v18, 16, v18
	v_lshrrev_b32_e32 v19, 16, v19
	;; [unrolled: 1-line block ×4, first 2 shown]
	v_cmp_o_f32_e32 vcc, v10, v10
	v_cmp_o_f32_e64 s[0:1], v14, v14
	v_cmp_o_f32_e64 s[2:3], v11, v11
	v_lshrrev_b32_e32 v10, 16, v22
	v_lshrrev_b32_e32 v11, 16, v23
	;; [unrolled: 1-line block ×4, first 2 shown]
	v_cmp_o_f32_e64 s[4:5], v17, v17
	v_cmp_o_f32_e64 s[6:7], v12, v12
	;; [unrolled: 1-line block ×5, first 2 shown]
	v_cndmask_b32_e64 v15, v6, v18, s[12:13]
	v_cndmask_b32_e32 v16, v6, v19, vcc
	v_cndmask_b32_e64 v17, v6, v20, s[0:1]
	v_cndmask_b32_e64 v18, v6, v21, s[2:3]
	;; [unrolled: 1-line block ×6, first 2 shown]
	v_perm_b32 v13, v12, v13, s18
	v_perm_b32 v12, v10, v11, s18
	;; [unrolled: 1-line block ×4, first 2 shown]
	global_store_dwordx4 v[2:3], v[10:13], off offset:-8
	v_add_co_u32_e32 v2, vcc, s16, v2
	v_add_u32_e32 v5, s16, v5
	v_addc_co_u32_e32 v3, vcc, v3, v8, vcc
	s_andn2_b64 exec, exec, s[14:15]
	s_cbranch_execnz .LBB164_22
.LBB164_23:
	s_endpgm
.LBB164_24:
	ds_read_b32 v2, v17
	s_or_b64 exec, exec, s[4:5]
	v_cmp_gt_u32_e64 s[4:5], 64, v0
	s_and_saveexec_b64 s[8:9], s[4:5]
	s_cbranch_execz .LBB164_8
.LBB164_25:
	s_waitcnt lgkmcnt(0)
	ds_bpermute_b32 v3, v10, v2
	s_waitcnt lgkmcnt(0)
	v_cmp_lt_f32_e64 s[6:7], v2, v3
	v_cndmask_b32_e64 v2, v2, v3, s[6:7]
	ds_bpermute_b32 v3, v11, v2
	s_waitcnt lgkmcnt(0)
	v_cmp_lt_f32_e64 s[6:7], v2, v3
	v_cndmask_b32_e64 v2, v2, v3, s[6:7]
	;; [unrolled: 4-line block ×6, first 2 shown]
	s_or_b64 exec, exec, s[8:9]
	v_cmp_eq_u32_e64 s[6:7], 0, v0
	s_and_saveexec_b64 s[8:9], s[6:7]
	s_cbranch_execnz .LBB164_9
	s_branch .LBB164_10
.LBB164_26:
	ds_read_b32 v2, v17
	s_or_b64 exec, exec, s[0:1]
	s_and_saveexec_b64 s[0:1], s[4:5]
	s_cbranch_execz .LBB164_18
.LBB164_27:
	s_waitcnt lgkmcnt(0)
	ds_bpermute_b32 v3, v10, v2
	s_waitcnt lgkmcnt(0)
	v_add_f32_e32 v2, v2, v3
	ds_bpermute_b32 v3, v11, v2
	s_waitcnt lgkmcnt(0)
	v_add_f32_e32 v2, v2, v3
	;; [unrolled: 3-line block ×6, first 2 shown]
	s_or_b64 exec, exec, s[0:1]
	s_and_saveexec_b64 s[0:1], s[6:7]
	s_cbranch_execnz .LBB164_19
	s_branch .LBB164_20
	.section	.rodata,"a",@progbits
	.p2align	6, 0x0
	.amdhsa_kernel _ZN2at6native12_GLOBAL__N_123cunn_SoftMaxForwardSmemILi8EN3c108BFloat16EfS4_NS1_25LogSoftMaxForwardEpilogueElEEvPT2_PKT0_T4_
		.amdhsa_group_segment_fixed_size 0
		.amdhsa_private_segment_fixed_size 0
		.amdhsa_kernarg_size 280
		.amdhsa_user_sgpr_count 6
		.amdhsa_user_sgpr_private_segment_buffer 1
		.amdhsa_user_sgpr_dispatch_ptr 0
		.amdhsa_user_sgpr_queue_ptr 0
		.amdhsa_user_sgpr_kernarg_segment_ptr 1
		.amdhsa_user_sgpr_dispatch_id 0
		.amdhsa_user_sgpr_flat_scratch_init 0
		.amdhsa_user_sgpr_kernarg_preload_length 0
		.amdhsa_user_sgpr_kernarg_preload_offset 0
		.amdhsa_user_sgpr_private_segment_size 0
		.amdhsa_uses_dynamic_stack 0
		.amdhsa_system_sgpr_private_segment_wavefront_offset 0
		.amdhsa_system_sgpr_workgroup_id_x 1
		.amdhsa_system_sgpr_workgroup_id_y 0
		.amdhsa_system_sgpr_workgroup_id_z 0
		.amdhsa_system_sgpr_workgroup_info 0
		.amdhsa_system_vgpr_workitem_id 0
		.amdhsa_next_free_vgpr 50
		.amdhsa_next_free_sgpr 42
		.amdhsa_accum_offset 52
		.amdhsa_reserve_vcc 1
		.amdhsa_reserve_flat_scratch 0
		.amdhsa_float_round_mode_32 0
		.amdhsa_float_round_mode_16_64 0
		.amdhsa_float_denorm_mode_32 3
		.amdhsa_float_denorm_mode_16_64 3
		.amdhsa_dx10_clamp 1
		.amdhsa_ieee_mode 1
		.amdhsa_fp16_overflow 0
		.amdhsa_tg_split 0
		.amdhsa_exception_fp_ieee_invalid_op 0
		.amdhsa_exception_fp_denorm_src 0
		.amdhsa_exception_fp_ieee_div_zero 0
		.amdhsa_exception_fp_ieee_overflow 0
		.amdhsa_exception_fp_ieee_underflow 0
		.amdhsa_exception_fp_ieee_inexact 0
		.amdhsa_exception_int_div_zero 0
	.end_amdhsa_kernel
	.section	.text._ZN2at6native12_GLOBAL__N_123cunn_SoftMaxForwardSmemILi8EN3c108BFloat16EfS4_NS1_25LogSoftMaxForwardEpilogueElEEvPT2_PKT0_T4_,"axG",@progbits,_ZN2at6native12_GLOBAL__N_123cunn_SoftMaxForwardSmemILi8EN3c108BFloat16EfS4_NS1_25LogSoftMaxForwardEpilogueElEEvPT2_PKT0_T4_,comdat
.Lfunc_end164:
	.size	_ZN2at6native12_GLOBAL__N_123cunn_SoftMaxForwardSmemILi8EN3c108BFloat16EfS4_NS1_25LogSoftMaxForwardEpilogueElEEvPT2_PKT0_T4_, .Lfunc_end164-_ZN2at6native12_GLOBAL__N_123cunn_SoftMaxForwardSmemILi8EN3c108BFloat16EfS4_NS1_25LogSoftMaxForwardEpilogueElEEvPT2_PKT0_T4_
                                        ; -- End function
	.section	.AMDGPU.csdata,"",@progbits
; Kernel info:
; codeLenInByte = 3092
; NumSgprs: 46
; NumVgprs: 50
; NumAgprs: 0
; TotalNumVgprs: 50
; ScratchSize: 0
; MemoryBound: 0
; FloatMode: 240
; IeeeMode: 1
; LDSByteSize: 0 bytes/workgroup (compile time only)
; SGPRBlocks: 5
; VGPRBlocks: 6
; NumSGPRsForWavesPerEU: 46
; NumVGPRsForWavesPerEU: 50
; AccumOffset: 52
; Occupancy: 8
; WaveLimiterHint : 0
; COMPUTE_PGM_RSRC2:SCRATCH_EN: 0
; COMPUTE_PGM_RSRC2:USER_SGPR: 6
; COMPUTE_PGM_RSRC2:TRAP_HANDLER: 0
; COMPUTE_PGM_RSRC2:TGID_X_EN: 1
; COMPUTE_PGM_RSRC2:TGID_Y_EN: 0
; COMPUTE_PGM_RSRC2:TGID_Z_EN: 0
; COMPUTE_PGM_RSRC2:TIDIG_COMP_CNT: 0
; COMPUTE_PGM_RSRC3_GFX90A:ACCUM_OFFSET: 12
; COMPUTE_PGM_RSRC3_GFX90A:TG_SPLIT: 0
	.section	.text._ZN2at6native12_GLOBAL__N_119cunn_SoftMaxForwardILi8EN3c108BFloat16EfS4_NS1_25LogSoftMaxForwardEpilogueEEEvPT2_PKT0_i,"axG",@progbits,_ZN2at6native12_GLOBAL__N_119cunn_SoftMaxForwardILi8EN3c108BFloat16EfS4_NS1_25LogSoftMaxForwardEpilogueEEEvPT2_PKT0_i,comdat
	.globl	_ZN2at6native12_GLOBAL__N_119cunn_SoftMaxForwardILi8EN3c108BFloat16EfS4_NS1_25LogSoftMaxForwardEpilogueEEEvPT2_PKT0_i ; -- Begin function _ZN2at6native12_GLOBAL__N_119cunn_SoftMaxForwardILi8EN3c108BFloat16EfS4_NS1_25LogSoftMaxForwardEpilogueEEEvPT2_PKT0_i
	.p2align	8
	.type	_ZN2at6native12_GLOBAL__N_119cunn_SoftMaxForwardILi8EN3c108BFloat16EfS4_NS1_25LogSoftMaxForwardEpilogueEEEvPT2_PKT0_i,@function
_ZN2at6native12_GLOBAL__N_119cunn_SoftMaxForwardILi8EN3c108BFloat16EfS4_NS1_25LogSoftMaxForwardEpilogueEEEvPT2_PKT0_i: ; @_ZN2at6native12_GLOBAL__N_119cunn_SoftMaxForwardILi8EN3c108BFloat16EfS4_NS1_25LogSoftMaxForwardEpilogueEEEvPT2_PKT0_i
; %bb.0:
	s_load_dword s33, s[4:5], 0x10
	s_load_dwordx4 s[24:27], s[4:5], 0x0
	s_mov_b32 s29, 0
	s_waitcnt lgkmcnt(0)
	s_ashr_i32 s0, s33, 31
	s_mul_hi_u32 s1, s33, s6
	s_mul_i32 s0, s0, s6
	s_add_i32 s1, s1, s0
	s_mul_i32 s0, s33, s6
	s_lshl_b64 s[30:31], s[0:1], 1
	s_add_u32 s26, s26, s30
	s_addc_u32 s27, s27, s31
	s_bfe_u32 s28, s26, 0x30001
	s_cmp_lg_u32 s28, 0
	s_cselect_b64 s[12:13], -1, 0
	s_and_b64 vcc, exec, s[12:13]
	s_cbranch_vccz .LBB165_25
; %bb.1:
	s_lshl_b64 s[0:1], s[28:29], 1
	s_sub_u32 s8, s26, s0
	s_subb_u32 s9, s27, s1
	s_add_i32 s7, s28, s33
	v_cmp_le_u32_e32 vcc, s28, v0
	v_cmp_gt_i32_e64 s[0:1], s7, v0
	s_and_b64 s[2:3], vcc, s[0:1]
	v_mov_b32_e32 v4, 0xff7fffff
	s_and_saveexec_b64 s[0:1], s[2:3]
	s_cbranch_execz .LBB165_3
; %bb.2:
	v_lshlrev_b32_e32 v1, 1, v0
	global_load_ushort v1, v1, s[8:9]
	s_waitcnt vmcnt(0)
	v_lshlrev_b32_e32 v1, 16, v1
	v_max_f32_e32 v1, v1, v1
	v_max_f32_e32 v4, 0xff7fffff, v1
.LBB165_3:
	s_or_b64 exec, exec, s[0:1]
	s_load_dword s0, s[4:5], 0x24
	s_add_u32 s2, s4, 24
	s_addc_u32 s3, s5, 0
	s_waitcnt lgkmcnt(0)
	s_and_b32 s0, s0, 0xffff
	v_mov_b32_e32 v1, s0
	s_lshl_b32 s0, s0, 1
	v_sub_u32_e64 v1, s7, v1 clamp
	s_add_u32 s0, s8, s0
	v_readfirstlane_b32 s7, v1
	s_addc_u32 s1, s9, 0
	s_branch .LBB165_5
.LBB165_4:
	s_add_u32 s2, s4, 24
	s_addc_u32 s3, s5, 0
	v_mov_b32_e32 v4, 0xff7fffff
	s_mov_b32 s7, s33
	s_mov_b64 s[0:1], s[26:27]
.LBB165_5:
	s_load_dword s8, s[2:3], 0x0
	v_mov_b32_e32 v1, 0
	s_waitcnt lgkmcnt(0)
	s_cmp_lt_u32 s6, s8
	s_cselect_b32 s8, 12, 18
	s_add_u32 s2, s2, s8
	s_addc_u32 s3, s3, 0
	global_load_ushort v5, v1, s[2:3]
	s_waitcnt vmcnt(0)
	v_readfirstlane_b32 s2, v5
	s_lshl_b32 s2, s2, 3
	v_cvt_f32_u32_e32 v1, s2
	s_sub_i32 s3, 0, s2
	v_rcp_iflag_f32_e32 v1, v1
	v_mul_f32_e32 v1, 0x4f7ffffe, v1
	v_cvt_u32_f32_e32 v1, v1
	v_readfirstlane_b32 s8, v1
	s_mul_i32 s3, s3, s8
	s_mul_hi_u32 s3, s8, s3
	s_add_i32 s8, s8, s3
	s_mul_hi_u32 s3, s7, s8
	s_mul_i32 s3, s3, s2
	s_sub_i32 s3, s7, s3
	s_sub_i32 s8, s3, s2
	s_cmp_ge_u32 s3, s2
	s_cselect_b32 s3, s8, s3
	s_sub_i32 s8, s3, s2
	s_cmp_ge_u32 s3, s2
	s_cselect_b32 s2, s8, s3
	s_sub_i32 s10, s7, s2
	v_lshlrev_b32_e32 v1, 3, v0
	v_cmp_gt_i32_e32 vcc, s10, v1
	s_and_saveexec_b64 s[2:3], vcc
	s_cbranch_execz .LBB165_9
; %bb.6:
	s_mov_b64 s[8:9], 0
	v_mov_b32_e32 v6, s1
	v_mov_b32_e32 v2, v0
.LBB165_7:                              ; =>This Inner Loop Header: Depth=1
	v_ashrrev_i32_e32 v3, 31, v2
	v_lshlrev_b64 v[8:9], 4, v[2:3]
	v_add_co_u32_e32 v8, vcc, s0, v8
	v_addc_co_u32_e32 v9, vcc, v6, v9, vcc
	global_load_dwordx4 v[8:11], v[8:9], off
	v_add_u32_e32 v2, v2, v5
	v_lshlrev_b32_e32 v3, 3, v2
	v_cmp_le_i32_e32 vcc, s10, v3
	s_or_b64 s[8:9], vcc, s[8:9]
	s_waitcnt vmcnt(0)
	v_lshlrev_b32_e32 v3, 16, v8
	v_and_b32_e32 v7, 0xffff0000, v8
	v_lshlrev_b32_e32 v8, 16, v9
	v_and_b32_e32 v9, 0xffff0000, v9
	v_max3_f32 v3, v4, v3, v7
	v_lshlrev_b32_e32 v12, 16, v10
	v_and_b32_e32 v10, 0xffff0000, v10
	v_max3_f32 v3, v3, v8, v9
	;; [unrolled: 3-line block ×3, first 2 shown]
	v_max3_f32 v4, v3, v13, v11
	s_andn2_b64 exec, exec, s[8:9]
	s_cbranch_execnz .LBB165_7
; %bb.8:
	s_or_b64 exec, exec, s[8:9]
.LBB165_9:
	s_or_b64 exec, exec, s[2:3]
	v_add_u32_e32 v2, s10, v0
	v_cmp_gt_i32_e32 vcc, s7, v2
	s_and_saveexec_b64 s[2:3], vcc
	s_cbranch_execz .LBB165_13
; %bb.10:
	s_mov_b64 s[8:9], 0
	v_mov_b32_e32 v6, s1
.LBB165_11:                             ; =>This Inner Loop Header: Depth=1
	v_ashrrev_i32_e32 v3, 31, v2
	v_lshlrev_b64 v[8:9], 1, v[2:3]
	v_add_co_u32_e32 v8, vcc, s0, v8
	v_addc_co_u32_e32 v9, vcc, v6, v9, vcc
	global_load_ushort v3, v[8:9], off
	v_add_u32_e32 v2, v2, v5
	v_max_f32_e32 v4, v4, v4
	v_cmp_le_i32_e32 vcc, s7, v2
	s_or_b64 s[8:9], vcc, s[8:9]
	s_waitcnt vmcnt(0)
	v_lshlrev_b32_e32 v3, 16, v3
	v_max_f32_e32 v3, v3, v3
	v_max_f32_e32 v4, v4, v3
	s_andn2_b64 exec, exec, s[8:9]
	s_cbranch_execnz .LBB165_11
; %bb.12:
	s_or_b64 exec, exec, s[8:9]
.LBB165_13:
	s_or_b64 exec, exec, s[2:3]
	v_mbcnt_lo_u32_b32 v2, -1, 0
	v_mbcnt_hi_u32_b32 v5, -1, v2
	v_and_b32_e32 v6, 63, v5
	v_cmp_gt_u32_e32 vcc, 32, v6
	v_cndmask_b32_e64 v2, 0, 1, vcc
	v_lshlrev_b32_e32 v2, 5, v2
	v_add_lshl_u32 v8, v2, v5, 2
	ds_bpermute_b32 v2, v8, v4
	v_cmp_gt_u32_e32 vcc, 48, v6
	v_cndmask_b32_e64 v3, 0, 1, vcc
	v_lshlrev_b32_e32 v3, 4, v3
	v_add_lshl_u32 v9, v3, v5, 2
	s_waitcnt lgkmcnt(0)
	v_cmp_lt_f32_e32 vcc, v4, v2
	v_cndmask_b32_e32 v2, v4, v2, vcc
	ds_bpermute_b32 v3, v9, v2
	v_lshrrev_b32_e32 v14, 4, v0
	s_waitcnt lgkmcnt(0)
	s_barrier
	v_cmp_lt_f32_e32 vcc, v2, v3
	v_cndmask_b32_e32 v2, v2, v3, vcc
	v_cmp_gt_u32_e32 vcc, 56, v6
	v_cndmask_b32_e64 v3, 0, 1, vcc
	v_lshlrev_b32_e32 v3, 3, v3
	v_add_lshl_u32 v10, v3, v5, 2
	ds_bpermute_b32 v3, v10, v2
	s_waitcnt lgkmcnt(0)
	v_cmp_lt_f32_e32 vcc, v2, v3
	v_cndmask_b32_e32 v2, v2, v3, vcc
	v_cmp_gt_u32_e32 vcc, 60, v6
	v_cndmask_b32_e64 v3, 0, 1, vcc
	v_lshlrev_b32_e32 v3, 2, v3
	v_add_lshl_u32 v11, v3, v5, 2
	ds_bpermute_b32 v3, v11, v2
	s_waitcnt lgkmcnt(0)
	v_cmp_lt_f32_e32 vcc, v2, v3
	v_cndmask_b32_e32 v2, v2, v3, vcc
	v_cmp_gt_u32_e32 vcc, 62, v6
	v_cndmask_b32_e64 v3, 0, 1, vcc
	v_lshlrev_b32_e32 v3, 1, v3
	v_add_lshl_u32 v12, v3, v5, 2
	ds_bpermute_b32 v4, v12, v2
	v_and_b32_e32 v3, 63, v0
	v_cmp_eq_u32_e64 s[2:3], 0, v3
	s_waitcnt lgkmcnt(0)
	v_cmp_lt_f32_e32 vcc, v2, v4
	v_cndmask_b32_e32 v2, v2, v4, vcc
	v_cmp_ne_u32_e32 vcc, 63, v6
	v_addc_co_u32_e32 v4, vcc, 0, v5, vcc
	v_lshlrev_b32_e32 v13, 2, v4
	ds_bpermute_b32 v4, v13, v2
	s_and_saveexec_b64 s[0:1], s[2:3]
	s_cbranch_execz .LBB165_15
; %bb.14:
	s_waitcnt lgkmcnt(0)
	v_cmp_lt_f32_e32 vcc, v2, v4
	v_add_u32_e32 v5, 0, v14
	v_cndmask_b32_e32 v2, v2, v4, vcc
	ds_write_b32 v5, v2
.LBB165_15:
	s_or_b64 exec, exec, s[0:1]
	s_waitcnt lgkmcnt(0)
	s_barrier
	s_load_dword s7, s[4:5], 0x24
	s_add_u32 s14, s4, 24
	s_addc_u32 s15, s5, 0
	v_mov_b32_e32 v2, 0xff7fffff
	v_lshl_add_u32 v15, v3, 2, 0
	s_waitcnt lgkmcnt(0)
	s_bfe_u32 s0, s7, 0xa0006
	v_cmp_gt_u32_e64 s[4:5], s0, v0
	s_and_saveexec_b64 s[0:1], s[4:5]
	s_cbranch_execnz .LBB165_23
; %bb.16:
	s_or_b64 exec, exec, s[0:1]
	v_cmp_gt_u32_e64 s[10:11], 64, v0
	s_and_saveexec_b64 s[0:1], s[10:11]
	s_cbranch_execnz .LBB165_24
.LBB165_17:
	s_or_b64 exec, exec, s[0:1]
	v_cmp_eq_u32_e64 s[8:9], 0, v0
	s_and_saveexec_b64 s[0:1], s[8:9]
	s_cbranch_execz .LBB165_19
.LBB165_18:
	v_mov_b32_e32 v3, 0
	s_waitcnt lgkmcnt(0)
	ds_write_b32 v3, v2
.LBB165_19:
	s_or_b64 exec, exec, s[0:1]
	v_mov_b32_e32 v16, 0
	s_waitcnt lgkmcnt(0)
	s_barrier
	ds_read_b32 v6, v16
	v_cndmask_b32_e64 v2, 0, 1, s[12:13]
	s_and_b32 s40, s7, 0xffff
	v_cmp_ne_u32_e64 s[0:1], 1, v2
	s_andn2_b64 vcc, exec, s[12:13]
	s_mov_b32 s29, 0
	s_cbranch_vccnz .LBB165_26
; %bb.20:
	s_lshl_b64 s[12:13], s[28:29], 1
	s_sub_u32 s16, s26, s12
	s_subb_u32 s17, s27, s13
	s_add_i32 s7, s28, s33
	v_cmp_le_u32_e32 vcc, s28, v0
	v_cmp_gt_i32_e64 s[12:13], s7, v0
	s_and_b64 s[18:19], vcc, s[12:13]
	v_mov_b32_e32 v16, 0
	s_and_saveexec_b64 s[12:13], s[18:19]
	s_cbranch_execz .LBB165_22
; %bb.21:
	v_lshlrev_b32_e32 v2, 1, v0
	global_load_ushort v2, v2, s[16:17]
	s_mov_b32 s18, 0x3fb8aa3b
	s_mov_b32 s19, 0x42b17218
	s_waitcnt vmcnt(0)
	v_lshlrev_b32_e32 v2, 16, v2
	s_waitcnt lgkmcnt(0)
	v_sub_f32_e32 v2, v2, v6
	v_mul_f32_e32 v3, 0x3fb8aa3b, v2
	v_fma_f32 v4, v2, s18, -v3
	v_rndne_f32_e32 v5, v3
	v_fmac_f32_e32 v4, 0x32a5705f, v2
	v_sub_f32_e32 v3, v3, v5
	v_add_f32_e32 v3, v3, v4
	v_cvt_i32_f32_e32 v5, v5
	v_exp_f32_e32 v3, v3
	s_mov_b32 s18, 0xc2ce8ed0
	v_cmp_ngt_f32_e32 vcc, s18, v2
	v_mov_b32_e32 v4, 0x7f800000
	v_ldexp_f32 v3, v3, v5
	v_cndmask_b32_e32 v3, 0, v3, vcc
	v_cmp_nlt_f32_e32 vcc, s19, v2
	v_cndmask_b32_e32 v16, v4, v3, vcc
.LBB165_22:
	s_or_b64 exec, exec, s[12:13]
	v_mov_b32_e32 v2, s40
	v_sub_u32_e64 v2, s7, v2 clamp
	s_lshl_b32 s7, s40, 1
	s_add_u32 s34, s16, s7
	v_readfirstlane_b32 s29, v2
	s_addc_u32 s35, s17, 0
	s_branch .LBB165_27
.LBB165_23:
	ds_read_b32 v2, v15
	s_or_b64 exec, exec, s[0:1]
	v_cmp_gt_u32_e64 s[10:11], 64, v0
	s_and_saveexec_b64 s[0:1], s[10:11]
	s_cbranch_execz .LBB165_17
.LBB165_24:
	s_waitcnt lgkmcnt(0)
	ds_bpermute_b32 v3, v8, v2
	s_waitcnt lgkmcnt(0)
	v_cmp_lt_f32_e32 vcc, v2, v3
	v_cndmask_b32_e32 v2, v2, v3, vcc
	ds_bpermute_b32 v3, v9, v2
	s_waitcnt lgkmcnt(0)
	v_cmp_lt_f32_e32 vcc, v2, v3
	v_cndmask_b32_e32 v2, v2, v3, vcc
	;; [unrolled: 4-line block ×6, first 2 shown]
	s_or_b64 exec, exec, s[0:1]
	v_cmp_eq_u32_e64 s[8:9], 0, v0
	s_and_saveexec_b64 s[0:1], s[8:9]
	s_cbranch_execnz .LBB165_18
	s_branch .LBB165_19
.LBB165_25:
                                        ; implicit-def: $sgpr0_sgpr1
                                        ; implicit-def: $sgpr7
                                        ; implicit-def: $vgpr4
                                        ; implicit-def: $sgpr2_sgpr3
	s_cbranch_execnz .LBB165_4
	s_branch .LBB165_5
.LBB165_26:
	s_mov_b64 s[34:35], s[26:27]
	s_mov_b32 s29, s33
.LBB165_27:
	s_load_dword s7, s[14:15], 0x0
	v_mov_b32_e32 v2, 0
	s_waitcnt lgkmcnt(0)
	s_cmp_lt_u32 s6, s7
	s_cselect_b32 s6, 12, 18
	s_add_u32 s6, s14, s6
	s_addc_u32 s7, s15, 0
	global_load_ushort v7, v2, s[6:7]
	s_waitcnt vmcnt(0)
	v_readfirstlane_b32 s6, v7
	s_lshl_b32 s41, s6, 3
	v_cvt_f32_u32_e32 v2, s41
	s_sub_i32 s6, 0, s41
	v_rcp_iflag_f32_e32 v2, v2
	v_mul_f32_e32 v2, 0x4f7ffffe, v2
	v_cvt_u32_f32_e32 v2, v2
	v_readfirstlane_b32 s42, v2
	s_mul_i32 s6, s6, s42
	s_mul_hi_u32 s6, s42, s6
	s_add_i32 s42, s42, s6
	s_mul_hi_u32 s6, s29, s42
	s_mul_i32 s6, s6, s41
	s_sub_i32 s6, s29, s6
	s_sub_i32 s7, s6, s41
	s_cmp_ge_u32 s6, s41
	s_cselect_b32 s6, s7, s6
	s_sub_i32 s7, s6, s41
	s_cmp_ge_u32 s6, s41
	s_cselect_b32 s6, s7, s6
	s_sub_i32 s43, s29, s6
	v_cmp_gt_i32_e32 vcc, s43, v1
	s_and_saveexec_b64 s[36:37], vcc
	s_cbranch_execz .LBB165_31
; %bb.28:
	s_mov_b64 s[38:39], 0
	v_mov_b32_e32 v17, s35
	s_mov_b32 s44, 0x3fb8aa3b
	s_mov_b32 s45, 0xc2ce8ed0
	;; [unrolled: 1-line block ×3, first 2 shown]
	v_mov_b32_e32 v18, 0x7f800000
	v_mov_b32_e32 v2, v0
.LBB165_29:                             ; =>This Inner Loop Header: Depth=1
	v_ashrrev_i32_e32 v3, 31, v2
	v_lshlrev_b64 v[4:5], 4, v[2:3]
	v_add_co_u32_e32 v4, vcc, s34, v4
	v_addc_co_u32_e32 v5, vcc, v17, v5, vcc
	global_load_dwordx4 v[20:23], v[4:5], off
	v_add_u32_e32 v2, v2, v7
	v_lshlrev_b32_e32 v3, 3, v2
	v_cmp_le_i32_e32 vcc, s43, v3
	s_or_b64 s[38:39], vcc, s[38:39]
	s_waitcnt vmcnt(0)
	v_lshlrev_b32_e32 v3, 16, v20
	v_and_b32_e32 v4, 0xffff0000, v20
	v_sub_f32_e32 v3, v3, v6
	v_lshlrev_b32_e32 v5, 16, v21
	v_and_b32_e32 v19, 0xffff0000, v21
	v_lshlrev_b32_e32 v20, 16, v22
	v_and_b32_e32 v21, 0xffff0000, v22
	;; [unrolled: 2-line block ×3, first 2 shown]
	v_sub_f32_e32 v4, v4, v6
	v_mul_f32_e32 v24, 0x3fb8aa3b, v3
	v_sub_f32_e32 v5, v5, v6
	v_sub_f32_e32 v19, v19, v6
	;; [unrolled: 1-line block ×6, first 2 shown]
	v_mul_f32_e32 v25, 0x3fb8aa3b, v4
	v_fma_f32 v32, v3, s44, -v24
	v_rndne_f32_e32 v33, v24
	v_mul_f32_e32 v26, 0x3fb8aa3b, v5
	v_mul_f32_e32 v27, 0x3fb8aa3b, v19
	;; [unrolled: 1-line block ×6, first 2 shown]
	v_fma_f32 v34, v4, s44, -v25
	v_rndne_f32_e32 v35, v25
	v_fmac_f32_e32 v32, 0x32a5705f, v3
	v_sub_f32_e32 v24, v24, v33
	v_fma_f32 v36, v5, s44, -v26
	v_rndne_f32_e32 v37, v26
	v_fma_f32 v38, v19, s44, -v27
	v_rndne_f32_e32 v39, v27
	;; [unrolled: 2-line block ×6, first 2 shown]
	v_fmac_f32_e32 v34, 0x32a5705f, v4
	v_sub_f32_e32 v25, v25, v35
	v_add_f32_e32 v24, v24, v32
	v_cvt_i32_f32_e32 v33, v33
	v_fmac_f32_e32 v36, 0x32a5705f, v5
	v_sub_f32_e32 v26, v26, v37
	v_fmac_f32_e32 v38, 0x32a5705f, v19
	v_sub_f32_e32 v27, v27, v39
	v_fmac_f32_e32 v40, 0x32a5705f, v20
	v_sub_f32_e32 v28, v28, v41
	v_fmac_f32_e32 v42, 0x32a5705f, v21
	v_sub_f32_e32 v29, v29, v43
	v_fmac_f32_e32 v44, 0x32a5705f, v22
	v_sub_f32_e32 v30, v30, v45
	v_fmac_f32_e32 v46, 0x32a5705f, v23
	v_sub_f32_e32 v31, v31, v47
	v_add_f32_e32 v25, v25, v34
	v_exp_f32_e32 v24, v24
	v_cvt_i32_f32_e32 v35, v35
	v_add_f32_e32 v26, v26, v36
	v_add_f32_e32 v27, v27, v38
	;; [unrolled: 1-line block ×6, first 2 shown]
	v_exp_f32_e32 v25, v25
	v_cvt_i32_f32_e32 v37, v37
	v_cvt_i32_f32_e32 v39, v39
	;; [unrolled: 1-line block ×6, first 2 shown]
	v_exp_f32_e32 v26, v26
	v_exp_f32_e32 v27, v27
	;; [unrolled: 1-line block ×6, first 2 shown]
	v_ldexp_f32 v24, v24, v33
	v_cmp_ngt_f32_e64 s[22:23], s45, v3
	v_ldexp_f32 v25, v25, v35
	v_cmp_ngt_f32_e32 vcc, s45, v4
	v_cndmask_b32_e64 v24, 0, v24, s[22:23]
	v_cmp_nlt_f32_e64 s[22:23], s46, v3
	v_ldexp_f32 v26, v26, v37
	v_cmp_ngt_f32_e64 s[6:7], s45, v5
	v_ldexp_f32 v27, v27, v39
	v_cmp_ngt_f32_e64 s[12:13], s45, v19
	v_ldexp_f32 v28, v28, v41
	v_cmp_ngt_f32_e64 s[14:15], s45, v20
	v_ldexp_f32 v29, v29, v43
	v_cmp_ngt_f32_e64 s[16:17], s45, v21
	v_ldexp_f32 v30, v30, v45
	v_cmp_ngt_f32_e64 s[18:19], s45, v22
	v_ldexp_f32 v31, v31, v47
	v_cmp_ngt_f32_e64 s[20:21], s45, v23
	v_cndmask_b32_e32 v25, 0, v25, vcc
	v_cmp_nlt_f32_e32 vcc, s46, v4
	v_cndmask_b32_e64 v3, v18, v24, s[22:23]
	v_cndmask_b32_e64 v4, 0, v26, s[6:7]
	v_cmp_nlt_f32_e64 s[6:7], s46, v5
	v_cndmask_b32_e64 v5, 0, v27, s[12:13]
	v_cmp_nlt_f32_e64 s[12:13], s46, v19
	;; [unrolled: 2-line block ×6, first 2 shown]
	v_cndmask_b32_e32 v23, v18, v25, vcc
	v_add_f32_e32 v3, v16, v3
	v_cndmask_b32_e64 v4, v18, v4, s[6:7]
	v_add_f32_e32 v3, v3, v23
	v_cndmask_b32_e64 v5, v18, v5, s[12:13]
	;; [unrolled: 2-line block ×6, first 2 shown]
	v_add_f32_e32 v3, v3, v21
	v_add_f32_e32 v16, v3, v22
	s_andn2_b64 exec, exec, s[38:39]
	s_cbranch_execnz .LBB165_29
; %bb.30:
	s_or_b64 exec, exec, s[38:39]
.LBB165_31:
	s_or_b64 exec, exec, s[36:37]
	v_add_u32_e32 v2, s43, v0
	v_cmp_gt_i32_e32 vcc, s29, v2
	s_and_saveexec_b64 s[12:13], vcc
	s_cbranch_execz .LBB165_35
; %bb.32:
	s_mov_b64 s[14:15], 0
	v_mov_b32_e32 v4, s35
	s_mov_b32 s16, 0x3fb8aa3b
	s_mov_b32 s17, 0xc2ce8ed0
	;; [unrolled: 1-line block ×3, first 2 shown]
	v_mov_b32_e32 v5, 0x7f800000
.LBB165_33:                             ; =>This Inner Loop Header: Depth=1
	v_ashrrev_i32_e32 v3, 31, v2
	v_lshlrev_b64 v[18:19], 1, v[2:3]
	v_add_co_u32_e32 v18, vcc, s34, v18
	v_addc_co_u32_e32 v19, vcc, v4, v19, vcc
	global_load_ushort v3, v[18:19], off
	v_add_u32_e32 v2, v2, v7
	v_cmp_le_i32_e32 vcc, s29, v2
	s_or_b64 s[14:15], vcc, s[14:15]
	s_waitcnt vmcnt(0)
	v_lshlrev_b32_e32 v3, 16, v3
	v_sub_f32_e32 v3, v3, v6
	v_mul_f32_e32 v17, 0x3fb8aa3b, v3
	v_fma_f32 v18, v3, s16, -v17
	v_rndne_f32_e32 v19, v17
	v_fmac_f32_e32 v18, 0x32a5705f, v3
	v_sub_f32_e32 v17, v17, v19
	v_add_f32_e32 v17, v17, v18
	v_cvt_i32_f32_e32 v19, v19
	v_exp_f32_e32 v17, v17
	v_cmp_ngt_f32_e64 s[6:7], s17, v3
	v_ldexp_f32 v17, v17, v19
	v_cndmask_b32_e64 v17, 0, v17, s[6:7]
	v_cmp_nlt_f32_e64 s[6:7], s18, v3
	v_cndmask_b32_e64 v3, v5, v17, s[6:7]
	v_add_f32_e32 v16, v16, v3
	s_andn2_b64 exec, exec, s[14:15]
	s_cbranch_execnz .LBB165_33
; %bb.34:
	s_or_b64 exec, exec, s[14:15]
.LBB165_35:
	s_or_b64 exec, exec, s[12:13]
	ds_bpermute_b32 v2, v8, v16
	s_waitcnt lgkmcnt(0)
	s_barrier
	v_add_f32_e32 v2, v16, v2
	ds_bpermute_b32 v3, v9, v2
	s_waitcnt lgkmcnt(0)
	v_add_f32_e32 v2, v2, v3
	ds_bpermute_b32 v3, v10, v2
	s_waitcnt lgkmcnt(0)
	;; [unrolled: 3-line block ×4, first 2 shown]
	v_add_f32_e32 v2, v2, v3
	ds_bpermute_b32 v3, v13, v2
	s_and_saveexec_b64 s[6:7], s[2:3]
	s_cbranch_execz .LBB165_37
; %bb.36:
	v_add_u32_e32 v4, 0, v14
	s_waitcnt lgkmcnt(0)
	v_add_f32_e32 v2, v2, v3
	ds_write_b32 v4, v2
.LBB165_37:
	s_or_b64 exec, exec, s[6:7]
	v_mov_b32_e32 v2, 0
	s_waitcnt lgkmcnt(0)
	s_barrier
	s_and_saveexec_b64 s[2:3], s[4:5]
	s_cbranch_execnz .LBB165_58
; %bb.38:
	s_or_b64 exec, exec, s[2:3]
	s_and_saveexec_b64 s[2:3], s[10:11]
	s_cbranch_execnz .LBB165_59
.LBB165_39:
	s_or_b64 exec, exec, s[2:3]
	s_and_saveexec_b64 s[2:3], s[8:9]
	s_cbranch_execz .LBB165_41
.LBB165_40:
	v_mov_b32_e32 v3, 0
	s_waitcnt lgkmcnt(0)
	ds_write_b32 v3, v2
.LBB165_41:
	s_or_b64 exec, exec, s[2:3]
	s_waitcnt lgkmcnt(0)
	v_mov_b32_e32 v2, 0
	s_barrier
	ds_read_b32 v2, v2
	s_mov_b32 s2, 0x800000
	v_mov_b32_e32 v3, 0x4f800000
	s_add_u32 s8, s24, s30
	s_addc_u32 s9, s25, s31
	s_waitcnt lgkmcnt(0)
	v_cmp_gt_f32_e32 vcc, s2, v2
	v_cndmask_b32_e32 v3, 1.0, v3, vcc
	v_mul_f32_e32 v2, v2, v3
	v_log_f32_e32 v2, v2
	s_mov_b32 s2, 0x3f317217
	s_bfe_u32 s4, s8, 0x30001
	s_cmp_lg_u32 s28, s4
	v_mul_f32_e32 v3, 0x3f317217, v2
	v_fma_f32 v4, v2, s2, -v3
	v_fmac_f32_e32 v4, 0x3377d1cf, v2
	s_mov_b32 s2, 0x7f800000
	v_add_f32_e32 v3, v3, v4
	v_cmp_lt_f32_e64 s[2:3], |v2|, s2
	v_cndmask_b32_e64 v2, v2, v3, s[2:3]
	v_mov_b32_e32 v3, 0x41b17218
	v_cndmask_b32_e32 v3, 0, v3, vcc
	v_sub_f32_e32 v4, v2, v3
	s_mov_b64 s[2:3], -1
	s_cbranch_scc0 .LBB165_46
; %bb.42:
	v_cmp_gt_i32_e32 vcc, s33, v0
	s_and_saveexec_b64 s[4:5], vcc
	s_cbranch_execz .LBB165_45
; %bb.43:
	s_mov_b64 s[6:7], 0
	v_mov_b32_e32 v5, s27
	s_movk_i32 s10, 0x7fff
	v_mov_b32_e32 v8, 0x7fc0
	v_mov_b32_e32 v9, s9
	;; [unrolled: 1-line block ×3, first 2 shown]
.LBB165_44:                             ; =>This Inner Loop Header: Depth=1
	v_ashrrev_i32_e32 v3, 31, v2
	v_lshlrev_b64 v[10:11], 1, v[2:3]
	v_add_co_u32_e32 v12, vcc, s26, v10
	v_addc_co_u32_e32 v13, vcc, v5, v11, vcc
	global_load_ushort v3, v[12:13], off
	v_add_co_u32_e32 v10, vcc, s8, v10
	v_add_u32_e32 v2, s40, v2
	v_addc_co_u32_e32 v11, vcc, v9, v11, vcc
	v_cmp_le_i32_e32 vcc, s33, v2
	s_or_b64 s[6:7], vcc, s[6:7]
	s_waitcnt vmcnt(0)
	v_lshlrev_b32_e32 v3, 16, v3
	v_sub_f32_e32 v3, v3, v6
	v_sub_f32_e32 v3, v3, v4
	v_bfe_u32 v12, v3, 16, 1
	v_add3_u32 v12, v3, v12, s10
	v_lshrrev_b32_e32 v12, 16, v12
	v_cmp_o_f32_e64 s[2:3], v3, v3
	v_cndmask_b32_e64 v3, v8, v12, s[2:3]
	global_store_short v[10:11], v3, off
	s_andn2_b64 exec, exec, s[6:7]
	s_cbranch_execnz .LBB165_44
.LBB165_45:
	s_or_b64 exec, exec, s[4:5]
	s_mov_b64 s[2:3], 0
.LBB165_46:
	s_andn2_b64 vcc, exec, s[2:3]
	s_cbranch_vccnz .LBB165_57
; %bb.47:
	s_and_b64 vcc, exec, s[0:1]
	s_cbranch_vccnz .LBB165_51
; %bb.48:
	s_mov_b32 s29, 0
	s_lshl_b64 s[0:1], s[28:29], 1
	s_sub_u32 s2, s26, s0
	s_subb_u32 s3, s27, s1
	s_sub_u32 s4, s8, s0
	s_subb_u32 s5, s9, s1
	s_add_i32 s6, s28, s33
	v_cmp_le_u32_e32 vcc, s28, v0
	v_cmp_gt_i32_e64 s[0:1], s6, v0
	s_and_b64 s[8:9], vcc, s[0:1]
	s_and_saveexec_b64 s[0:1], s[8:9]
	s_cbranch_execz .LBB165_50
; %bb.49:
	v_lshlrev_b32_e32 v2, 1, v0
	global_load_ushort v3, v2, s[2:3]
	s_movk_i32 s7, 0x7fff
	v_mov_b32_e32 v5, 0x7fc0
	s_waitcnt vmcnt(0)
	v_lshlrev_b32_e32 v3, 16, v3
	v_sub_f32_e32 v3, v3, v6
	v_sub_f32_e32 v3, v3, v4
	v_bfe_u32 v8, v3, 16, 1
	v_add3_u32 v8, v3, v8, s7
	v_lshrrev_b32_e32 v8, 16, v8
	v_cmp_o_f32_e32 vcc, v3, v3
	v_cndmask_b32_e32 v3, v5, v8, vcc
	global_store_short v2, v3, s[4:5]
.LBB165_50:
	s_or_b64 exec, exec, s[0:1]
	s_lshl_b32 s0, s40, 1
	s_add_u32 s26, s2, s0
	v_mov_b32_e32 v2, s40
	s_addc_u32 s27, s3, 0
	v_sub_u32_e64 v2, s6, v2 clamp
	s_add_u32 s8, s4, s0
	v_readfirstlane_b32 s33, v2
	s_addc_u32 s9, s5, 0
.LBB165_51:
	s_mul_hi_u32 s0, s33, s42
	s_mul_i32 s0, s0, s41
	s_sub_i32 s0, s33, s0
	s_sub_i32 s1, s0, s41
	s_cmp_ge_u32 s0, s41
	s_cselect_b32 s0, s1, s0
	s_sub_i32 s1, s0, s41
	s_cmp_ge_u32 s0, s41
	s_cselect_b32 s0, s1, s0
	s_sub_i32 s6, s33, s0
	v_cmp_gt_i32_e32 vcc, s6, v1
	s_and_saveexec_b64 s[2:3], vcc
	s_cbranch_execz .LBB165_54
; %bb.52:
	s_mov_b64 s[4:5], 0
	v_mov_b32_e32 v1, s27
	v_mov_b32_e32 v5, s9
	s_movk_i32 s7, 0x7fff
	v_mov_b32_e32 v8, 0x7fc0
	s_mov_b32 s10, 0x5040100
	v_mov_b32_e32 v2, v0
.LBB165_53:                             ; =>This Inner Loop Header: Depth=1
	v_ashrrev_i32_e32 v3, 31, v2
	v_lshlrev_b64 v[14:15], 4, v[2:3]
	v_add_co_u32_e32 v10, vcc, s26, v14
	v_addc_co_u32_e32 v11, vcc, v1, v15, vcc
	global_load_dwordx4 v[10:13], v[10:11], off
	v_add_u32_e32 v2, v2, v7
	v_add_co_u32_e32 v14, vcc, s8, v14
	v_addc_co_u32_e32 v15, vcc, v5, v15, vcc
	v_lshlrev_b32_e32 v3, 3, v2
	v_cmp_le_i32_e32 vcc, s6, v3
	s_or_b64 s[4:5], vcc, s[4:5]
	s_waitcnt vmcnt(0)
	v_lshlrev_b32_e32 v3, 16, v11
	v_and_b32_e32 v9, 0xffff0000, v11
	v_lshlrev_b32_e32 v11, 16, v10
	v_and_b32_e32 v10, 0xffff0000, v10
	v_sub_f32_e32 v10, v10, v6
	v_sub_f32_e32 v11, v11, v6
	;; [unrolled: 1-line block ×5, first 2 shown]
	v_bfe_u32 v18, v10, 16, 1
	v_lshlrev_b32_e32 v17, 16, v12
	v_and_b32_e32 v12, 0xffff0000, v12
	v_sub_f32_e32 v3, v3, v6
	v_sub_f32_e32 v9, v9, v4
	v_bfe_u32 v19, v11, 16, 1
	v_add3_u32 v18, v10, v18, s7
	v_sub_f32_e32 v12, v12, v6
	v_sub_f32_e32 v3, v3, v4
	v_bfe_u32 v20, v9, 16, 1
	v_add3_u32 v19, v11, v19, s7
	v_lshrrev_b32_e32 v18, 16, v18
	v_cmp_o_f32_e64 s[0:1], v10, v10
	v_lshlrev_b32_e32 v16, 16, v13
	v_and_b32_e32 v13, 0xffff0000, v13
	v_sub_f32_e32 v17, v17, v6
	v_sub_f32_e32 v12, v12, v4
	v_bfe_u32 v21, v3, 16, 1
	v_add3_u32 v20, v9, v20, s7
	v_lshrrev_b32_e32 v19, 16, v19
	v_cndmask_b32_e64 v10, v8, v18, s[0:1]
	v_cmp_o_f32_e64 s[0:1], v11, v11
	v_sub_f32_e32 v13, v13, v6
	v_sub_f32_e32 v17, v17, v4
	v_bfe_u32 v22, v12, 16, 1
	v_add3_u32 v21, v3, v21, s7
	v_lshrrev_b32_e32 v20, 16, v20
	v_cndmask_b32_e64 v18, v8, v19, s[0:1]
	v_cmp_o_f32_e64 s[0:1], v9, v9
	;; [unrolled: 7-line block ×3, first 2 shown]
	v_sub_f32_e32 v16, v16, v4
	v_bfe_u32 v24, v13, 16, 1
	v_add3_u32 v23, v17, v23, s7
	v_lshrrev_b32_e32 v22, 16, v22
	v_cndmask_b32_e64 v3, v8, v21, s[0:1]
	v_cmp_o_f32_e64 s[0:1], v12, v12
	v_bfe_u32 v25, v16, 16, 1
	v_add3_u32 v24, v13, v24, s7
	v_lshrrev_b32_e32 v23, 16, v23
	v_cndmask_b32_e64 v11, v8, v22, s[0:1]
	v_cmp_o_f32_e64 s[0:1], v17, v17
	v_add3_u32 v25, v16, v25, s7
	v_lshrrev_b32_e32 v24, 16, v24
	v_cndmask_b32_e64 v12, v8, v23, s[0:1]
	v_cmp_o_f32_e64 s[0:1], v13, v13
	v_lshrrev_b32_e32 v25, 16, v25
	v_cndmask_b32_e64 v13, v8, v24, s[0:1]
	v_cmp_o_f32_e64 s[0:1], v16, v16
	v_cndmask_b32_e64 v16, v8, v25, s[0:1]
	v_perm_b32 v13, v13, v16, s10
	v_perm_b32 v12, v11, v12, s10
	;; [unrolled: 1-line block ×4, first 2 shown]
	global_store_dwordx4 v[14:15], v[10:13], off
	s_andn2_b64 exec, exec, s[4:5]
	s_cbranch_execnz .LBB165_53
.LBB165_54:
	s_or_b64 exec, exec, s[2:3]
	v_add_u32_e32 v0, s6, v0
	v_cmp_gt_i32_e32 vcc, s33, v0
	s_and_saveexec_b64 s[0:1], vcc
	s_cbranch_execz .LBB165_57
; %bb.55:
	s_mov_b64 s[2:3], 0
	v_mov_b32_e32 v2, s27
	s_movk_i32 s4, 0x7fff
	v_mov_b32_e32 v3, 0x7fc0
	v_mov_b32_e32 v5, s9
.LBB165_56:                             ; =>This Inner Loop Header: Depth=1
	v_ashrrev_i32_e32 v1, 31, v0
	v_lshlrev_b64 v[8:9], 1, v[0:1]
	v_add_co_u32_e32 v10, vcc, s26, v8
	v_addc_co_u32_e32 v11, vcc, v2, v9, vcc
	global_load_ushort v1, v[10:11], off
	v_add_co_u32_e32 v8, vcc, s8, v8
	v_add_u32_e32 v0, v0, v7
	v_addc_co_u32_e32 v9, vcc, v5, v9, vcc
	v_cmp_le_i32_e32 vcc, s33, v0
	s_or_b64 s[2:3], vcc, s[2:3]
	s_waitcnt vmcnt(0)
	v_lshlrev_b32_e32 v1, 16, v1
	v_sub_f32_e32 v1, v1, v6
	v_sub_f32_e32 v1, v1, v4
	v_bfe_u32 v10, v1, 16, 1
	v_add3_u32 v10, v1, v10, s4
	v_lshrrev_b32_e32 v10, 16, v10
	v_cmp_o_f32_e64 s[0:1], v1, v1
	v_cndmask_b32_e64 v1, v3, v10, s[0:1]
	global_store_short v[8:9], v1, off
	s_andn2_b64 exec, exec, s[2:3]
	s_cbranch_execnz .LBB165_56
.LBB165_57:
	s_endpgm
.LBB165_58:
	ds_read_b32 v2, v15
	s_or_b64 exec, exec, s[2:3]
	s_and_saveexec_b64 s[2:3], s[10:11]
	s_cbranch_execz .LBB165_39
.LBB165_59:
	s_waitcnt lgkmcnt(0)
	ds_bpermute_b32 v3, v8, v2
	s_waitcnt lgkmcnt(0)
	v_add_f32_e32 v2, v2, v3
	ds_bpermute_b32 v3, v9, v2
	s_waitcnt lgkmcnt(0)
	v_add_f32_e32 v2, v2, v3
	;; [unrolled: 3-line block ×6, first 2 shown]
	s_or_b64 exec, exec, s[2:3]
	s_and_saveexec_b64 s[2:3], s[8:9]
	s_cbranch_execnz .LBB165_40
	s_branch .LBB165_41
	.section	.rodata,"a",@progbits
	.p2align	6, 0x0
	.amdhsa_kernel _ZN2at6native12_GLOBAL__N_119cunn_SoftMaxForwardILi8EN3c108BFloat16EfS4_NS1_25LogSoftMaxForwardEpilogueEEEvPT2_PKT0_i
		.amdhsa_group_segment_fixed_size 0
		.amdhsa_private_segment_fixed_size 0
		.amdhsa_kernarg_size 280
		.amdhsa_user_sgpr_count 6
		.amdhsa_user_sgpr_private_segment_buffer 1
		.amdhsa_user_sgpr_dispatch_ptr 0
		.amdhsa_user_sgpr_queue_ptr 0
		.amdhsa_user_sgpr_kernarg_segment_ptr 1
		.amdhsa_user_sgpr_dispatch_id 0
		.amdhsa_user_sgpr_flat_scratch_init 0
		.amdhsa_user_sgpr_kernarg_preload_length 0
		.amdhsa_user_sgpr_kernarg_preload_offset 0
		.amdhsa_user_sgpr_private_segment_size 0
		.amdhsa_uses_dynamic_stack 0
		.amdhsa_system_sgpr_private_segment_wavefront_offset 0
		.amdhsa_system_sgpr_workgroup_id_x 1
		.amdhsa_system_sgpr_workgroup_id_y 0
		.amdhsa_system_sgpr_workgroup_id_z 0
		.amdhsa_system_sgpr_workgroup_info 0
		.amdhsa_system_vgpr_workitem_id 0
		.amdhsa_next_free_vgpr 48
		.amdhsa_next_free_sgpr 47
		.amdhsa_accum_offset 48
		.amdhsa_reserve_vcc 1
		.amdhsa_reserve_flat_scratch 0
		.amdhsa_float_round_mode_32 0
		.amdhsa_float_round_mode_16_64 0
		.amdhsa_float_denorm_mode_32 3
		.amdhsa_float_denorm_mode_16_64 3
		.amdhsa_dx10_clamp 1
		.amdhsa_ieee_mode 1
		.amdhsa_fp16_overflow 0
		.amdhsa_tg_split 0
		.amdhsa_exception_fp_ieee_invalid_op 0
		.amdhsa_exception_fp_denorm_src 0
		.amdhsa_exception_fp_ieee_div_zero 0
		.amdhsa_exception_fp_ieee_overflow 0
		.amdhsa_exception_fp_ieee_underflow 0
		.amdhsa_exception_fp_ieee_inexact 0
		.amdhsa_exception_int_div_zero 0
	.end_amdhsa_kernel
	.section	.text._ZN2at6native12_GLOBAL__N_119cunn_SoftMaxForwardILi8EN3c108BFloat16EfS4_NS1_25LogSoftMaxForwardEpilogueEEEvPT2_PKT0_i,"axG",@progbits,_ZN2at6native12_GLOBAL__N_119cunn_SoftMaxForwardILi8EN3c108BFloat16EfS4_NS1_25LogSoftMaxForwardEpilogueEEEvPT2_PKT0_i,comdat
.Lfunc_end165:
	.size	_ZN2at6native12_GLOBAL__N_119cunn_SoftMaxForwardILi8EN3c108BFloat16EfS4_NS1_25LogSoftMaxForwardEpilogueEEEvPT2_PKT0_i, .Lfunc_end165-_ZN2at6native12_GLOBAL__N_119cunn_SoftMaxForwardILi8EN3c108BFloat16EfS4_NS1_25LogSoftMaxForwardEpilogueEEEvPT2_PKT0_i
                                        ; -- End function
	.section	.AMDGPU.csdata,"",@progbits
; Kernel info:
; codeLenInByte = 4372
; NumSgprs: 51
; NumVgprs: 48
; NumAgprs: 0
; TotalNumVgprs: 48
; ScratchSize: 0
; MemoryBound: 0
; FloatMode: 240
; IeeeMode: 1
; LDSByteSize: 0 bytes/workgroup (compile time only)
; SGPRBlocks: 6
; VGPRBlocks: 5
; NumSGPRsForWavesPerEU: 51
; NumVGPRsForWavesPerEU: 48
; AccumOffset: 48
; Occupancy: 8
; WaveLimiterHint : 0
; COMPUTE_PGM_RSRC2:SCRATCH_EN: 0
; COMPUTE_PGM_RSRC2:USER_SGPR: 6
; COMPUTE_PGM_RSRC2:TRAP_HANDLER: 0
; COMPUTE_PGM_RSRC2:TGID_X_EN: 1
; COMPUTE_PGM_RSRC2:TGID_Y_EN: 0
; COMPUTE_PGM_RSRC2:TGID_Z_EN: 0
; COMPUTE_PGM_RSRC2:TIDIG_COMP_CNT: 0
; COMPUTE_PGM_RSRC3_GFX90A:ACCUM_OFFSET: 11
; COMPUTE_PGM_RSRC3_GFX90A:TG_SPLIT: 0
	.section	.text._ZN12_GLOBAL__N_120softmax_warp_forwardIN3c108BFloat16EffLi0ELb1ELb0ELi64EEEvPT0_PKT_iiiPKbib,"axG",@progbits,_ZN12_GLOBAL__N_120softmax_warp_forwardIN3c108BFloat16EffLi0ELb1ELb0ELi64EEEvPT0_PKT_iiiPKbib,comdat
	.globl	_ZN12_GLOBAL__N_120softmax_warp_forwardIN3c108BFloat16EffLi0ELb1ELb0ELi64EEEvPT0_PKT_iiiPKbib ; -- Begin function _ZN12_GLOBAL__N_120softmax_warp_forwardIN3c108BFloat16EffLi0ELb1ELb0ELi64EEEvPT0_PKT_iiiPKbib
	.p2align	8
	.type	_ZN12_GLOBAL__N_120softmax_warp_forwardIN3c108BFloat16EffLi0ELb1ELb0ELi64EEEvPT0_PKT_iiiPKbib,@function
_ZN12_GLOBAL__N_120softmax_warp_forwardIN3c108BFloat16EffLi0ELb1ELb0ELi64EEEvPT0_PKT_iiiPKbib: ; @_ZN12_GLOBAL__N_120softmax_warp_forwardIN3c108BFloat16EffLi0ELb1ELb0ELi64EEEvPT0_PKT_iiiPKbib
; %bb.0:
	s_load_dword s0, s[4:5], 0x3c
	s_load_dwordx8 s[8:15], s[4:5], 0x0
	v_bfe_u32 v1, v0, 10, 10
	v_and_b32_e32 v0, 0x3ff, v0
	s_waitcnt lgkmcnt(0)
	s_lshr_b32 s0, s0, 16
	s_mul_i32 s6, s6, s0
	v_add_lshl_u32 v1, s6, v1, 1
	v_mad_u64_u32 v[2:3], s[0:1], v1, s13, v[0:1]
	v_ashrrev_i32_e32 v3, 31, v2
	v_lshlrev_b64 v[4:5], 1, v[2:3]
	v_sub_u32_e32 v6, s12, v1
	v_mov_b32_e32 v1, s11
	v_add_co_u32_e32 v4, vcc, s10, v4
	v_addc_co_u32_e32 v5, vcc, v1, v5, vcc
	v_cmp_gt_i32_e32 vcc, s14, v0
	v_cmp_lt_i32_e64 s[0:1], 0, v6
	s_and_b64 s[4:5], vcc, s[0:1]
	v_mov_b32_e32 v1, 0xff800000
	v_mov_b32_e32 v0, 0xff800000
	s_and_saveexec_b64 s[2:3], s[4:5]
	s_cbranch_execz .LBB166_2
; %bb.1:
	global_load_ushort v0, v[4:5], off
	s_waitcnt vmcnt(0)
	v_lshlrev_b32_e32 v0, 16, v0
.LBB166_2:
	s_or_b64 exec, exec, s[2:3]
	v_cmp_lt_i32_e64 s[2:3], 1, v6
	s_and_b64 s[2:3], vcc, s[2:3]
	s_and_saveexec_b64 s[4:5], s[2:3]
	s_cbranch_execz .LBB166_4
; %bb.3:
	s_mov_b32 s15, 0
	s_lshl_b64 s[2:3], s[14:15], 1
	v_mov_b32_e32 v1, s3
	v_add_co_u32_e64 v4, s[2:3], s2, v4
	v_addc_co_u32_e64 v5, s[2:3], v5, v1, s[2:3]
	global_load_ushort v1, v[4:5], off
	s_waitcnt vmcnt(0)
	v_lshlrev_b32_e32 v1, 16, v1
.LBB166_4:
	s_or_b64 exec, exec, s[4:5]
	s_and_saveexec_b64 s[2:3], s[0:1]
	s_cbranch_execz .LBB166_10
; %bb.5:
	v_pk_add_f32 v[8:9], v[0:1], v[0:1] neg_lo:[0,1] neg_hi:[0,1]
	s_mov_b32 s3, 0x3fb8aa3b
	v_mul_f32_e32 v5, 0x3fb8aa3b, v9
	v_fma_f32 v7, v9, s3, -v5
	v_rndne_f32_e32 v10, v5
	v_fmac_f32_e32 v7, 0x32a5705f, v9
	v_sub_f32_e32 v5, v5, v10
	v_add_f32_e32 v5, v5, v7
	v_exp_f32_e32 v5, v5
	v_cvt_i32_f32_e32 v7, v10
	v_lshlrev_b64 v[2:3], 2, v[2:3]
	v_mov_b32_e32 v4, s9
	v_add_co_u32_e64 v2, s[0:1], s8, v2
	v_addc_co_u32_e64 v3, s[0:1], v4, v3, s[0:1]
	v_ldexp_f32 v4, v5, v7
	v_mul_f32_e32 v5, 0x3fb8aa3b, v8
	v_fma_f32 v7, v8, s3, -v5
	v_rndne_f32_e32 v10, v5
	v_fmac_f32_e32 v7, 0x32a5705f, v8
	v_sub_f32_e32 v5, v5, v10
	v_add_f32_e32 v5, v5, v7
	v_exp_f32_e32 v5, v5
	v_cvt_i32_f32_e32 v7, v10
	s_mov_b32 s4, 0xc2ce8ed0
	v_cmp_ngt_f32_e64 s[0:1], s4, v9
	s_mov_b32 s5, 0x42b17218
	v_cndmask_b32_e64 v4, 0, v4, s[0:1]
	v_mov_b32_e32 v10, 0x7f800000
	v_cmp_nlt_f32_e64 s[0:1], s5, v9
	v_cndmask_b32_e64 v4, v10, v4, s[0:1]
	v_ldexp_f32 v5, v5, v7
	v_cmp_ngt_f32_e64 s[0:1], s4, v8
	v_cndmask_b32_e64 v5, 0, v5, s[0:1]
	v_cmp_nlt_f32_e64 s[0:1], s5, v8
	s_mov_b32 s2, 0x7f800000
	v_cndmask_b32_e64 v5, v10, v5, s[0:1]
	s_and_saveexec_b64 s[4:5], vcc
	s_cbranch_execz .LBB166_7
; %bb.6:
	s_mov_b32 s0, 0x800000
	v_mov_b32_e32 v7, 0x4f800000
	v_cmp_gt_f32_e64 s[0:1], s0, v5
	v_cndmask_b32_e64 v7, 1.0, v7, s[0:1]
	v_mul_f32_e32 v5, v5, v7
	v_log_f32_e32 v5, v5
	s_mov_b32 s3, 0x3f317217
	v_sub_f32_e32 v0, v0, v0
	v_mul_f32_e32 v7, 0x3f317217, v5
	v_fma_f32 v8, v5, s3, -v7
	v_fmac_f32_e32 v8, 0x3377d1cf, v5
	v_add_f32_e32 v7, v7, v8
	v_cmp_lt_f32_e64 s[2:3], |v5|, s2
	v_cndmask_b32_e64 v5, v5, v7, s[2:3]
	v_mov_b32_e32 v7, 0x41b17218
	v_cndmask_b32_e64 v7, 0, v7, s[0:1]
	v_sub_f32_e32 v5, v5, v7
	v_sub_f32_e32 v0, v0, v5
	global_store_dword v[2:3], v0, off
.LBB166_7:
	s_or_b64 exec, exec, s[4:5]
	v_cmp_ne_u32_e64 s[0:1], 1, v6
	s_and_b64 exec, exec, s[0:1]
	s_cbranch_execz .LBB166_10
; %bb.8:
	s_and_b64 exec, exec, vcc
	s_cbranch_execz .LBB166_10
; %bb.9:
	s_mov_b32 s0, 0x800000
	v_mov_b32_e32 v0, 0x4f800000
	v_cmp_gt_f32_e32 vcc, s0, v4
	v_cndmask_b32_e32 v0, 1.0, v0, vcc
	v_mul_f32_e32 v0, v4, v0
	v_log_f32_e32 v0, v0
	s_mov_b32 s0, 0x3f317217
	s_mov_b32 s15, 0
	v_sub_f32_e32 v1, v1, v1
	v_mul_f32_e32 v4, 0x3f317217, v0
	v_fma_f32 v5, v0, s0, -v4
	v_fmac_f32_e32 v5, 0x3377d1cf, v0
	s_mov_b32 s0, 0x7f800000
	v_add_f32_e32 v4, v4, v5
	v_cmp_lt_f32_e64 s[0:1], |v0|, s0
	v_cndmask_b32_e64 v0, v0, v4, s[0:1]
	v_mov_b32_e32 v4, 0x41b17218
	v_cndmask_b32_e32 v4, 0, v4, vcc
	v_sub_f32_e32 v0, v0, v4
	s_lshl_b64 s[0:1], s[14:15], 2
	v_sub_f32_e32 v4, v1, v0
	v_mov_b32_e32 v1, s1
	v_add_co_u32_e32 v0, vcc, s0, v2
	v_addc_co_u32_e32 v1, vcc, v3, v1, vcc
	global_store_dword v[0:1], v4, off
.LBB166_10:
	s_endpgm
	.section	.rodata,"a",@progbits
	.p2align	6, 0x0
	.amdhsa_kernel _ZN12_GLOBAL__N_120softmax_warp_forwardIN3c108BFloat16EffLi0ELb1ELb0ELi64EEEvPT0_PKT_iiiPKbib
		.amdhsa_group_segment_fixed_size 0
		.amdhsa_private_segment_fixed_size 0
		.amdhsa_kernarg_size 304
		.amdhsa_user_sgpr_count 6
		.amdhsa_user_sgpr_private_segment_buffer 1
		.amdhsa_user_sgpr_dispatch_ptr 0
		.amdhsa_user_sgpr_queue_ptr 0
		.amdhsa_user_sgpr_kernarg_segment_ptr 1
		.amdhsa_user_sgpr_dispatch_id 0
		.amdhsa_user_sgpr_flat_scratch_init 0
		.amdhsa_user_sgpr_kernarg_preload_length 0
		.amdhsa_user_sgpr_kernarg_preload_offset 0
		.amdhsa_user_sgpr_private_segment_size 0
		.amdhsa_uses_dynamic_stack 0
		.amdhsa_system_sgpr_private_segment_wavefront_offset 0
		.amdhsa_system_sgpr_workgroup_id_x 1
		.amdhsa_system_sgpr_workgroup_id_y 0
		.amdhsa_system_sgpr_workgroup_id_z 0
		.amdhsa_system_sgpr_workgroup_info 0
		.amdhsa_system_vgpr_workitem_id 1
		.amdhsa_next_free_vgpr 11
		.amdhsa_next_free_sgpr 16
		.amdhsa_accum_offset 12
		.amdhsa_reserve_vcc 1
		.amdhsa_reserve_flat_scratch 0
		.amdhsa_float_round_mode_32 0
		.amdhsa_float_round_mode_16_64 0
		.amdhsa_float_denorm_mode_32 3
		.amdhsa_float_denorm_mode_16_64 3
		.amdhsa_dx10_clamp 1
		.amdhsa_ieee_mode 1
		.amdhsa_fp16_overflow 0
		.amdhsa_tg_split 0
		.amdhsa_exception_fp_ieee_invalid_op 0
		.amdhsa_exception_fp_denorm_src 0
		.amdhsa_exception_fp_ieee_div_zero 0
		.amdhsa_exception_fp_ieee_overflow 0
		.amdhsa_exception_fp_ieee_underflow 0
		.amdhsa_exception_fp_ieee_inexact 0
		.amdhsa_exception_int_div_zero 0
	.end_amdhsa_kernel
	.section	.text._ZN12_GLOBAL__N_120softmax_warp_forwardIN3c108BFloat16EffLi0ELb1ELb0ELi64EEEvPT0_PKT_iiiPKbib,"axG",@progbits,_ZN12_GLOBAL__N_120softmax_warp_forwardIN3c108BFloat16EffLi0ELb1ELb0ELi64EEEvPT0_PKT_iiiPKbib,comdat
.Lfunc_end166:
	.size	_ZN12_GLOBAL__N_120softmax_warp_forwardIN3c108BFloat16EffLi0ELb1ELb0ELi64EEEvPT0_PKT_iiiPKbib, .Lfunc_end166-_ZN12_GLOBAL__N_120softmax_warp_forwardIN3c108BFloat16EffLi0ELb1ELb0ELi64EEEvPT0_PKT_iiiPKbib
                                        ; -- End function
	.section	.AMDGPU.csdata,"",@progbits
; Kernel info:
; codeLenInByte = 780
; NumSgprs: 20
; NumVgprs: 11
; NumAgprs: 0
; TotalNumVgprs: 11
; ScratchSize: 0
; MemoryBound: 0
; FloatMode: 240
; IeeeMode: 1
; LDSByteSize: 0 bytes/workgroup (compile time only)
; SGPRBlocks: 2
; VGPRBlocks: 1
; NumSGPRsForWavesPerEU: 20
; NumVGPRsForWavesPerEU: 11
; AccumOffset: 12
; Occupancy: 8
; WaveLimiterHint : 0
; COMPUTE_PGM_RSRC2:SCRATCH_EN: 0
; COMPUTE_PGM_RSRC2:USER_SGPR: 6
; COMPUTE_PGM_RSRC2:TRAP_HANDLER: 0
; COMPUTE_PGM_RSRC2:TGID_X_EN: 1
; COMPUTE_PGM_RSRC2:TGID_Y_EN: 0
; COMPUTE_PGM_RSRC2:TGID_Z_EN: 0
; COMPUTE_PGM_RSRC2:TIDIG_COMP_CNT: 1
; COMPUTE_PGM_RSRC3_GFX90A:ACCUM_OFFSET: 2
; COMPUTE_PGM_RSRC3_GFX90A:TG_SPLIT: 0
	.section	.text._ZN12_GLOBAL__N_120softmax_warp_forwardIN3c108BFloat16EffLi0ELb1ELb0ELi32EEEvPT0_PKT_iiiPKbib,"axG",@progbits,_ZN12_GLOBAL__N_120softmax_warp_forwardIN3c108BFloat16EffLi0ELb1ELb0ELi32EEEvPT0_PKT_iiiPKbib,comdat
	.globl	_ZN12_GLOBAL__N_120softmax_warp_forwardIN3c108BFloat16EffLi0ELb1ELb0ELi32EEEvPT0_PKT_iiiPKbib ; -- Begin function _ZN12_GLOBAL__N_120softmax_warp_forwardIN3c108BFloat16EffLi0ELb1ELb0ELi32EEEvPT0_PKT_iiiPKbib
	.p2align	8
	.type	_ZN12_GLOBAL__N_120softmax_warp_forwardIN3c108BFloat16EffLi0ELb1ELb0ELi32EEEvPT0_PKT_iiiPKbib,@function
_ZN12_GLOBAL__N_120softmax_warp_forwardIN3c108BFloat16EffLi0ELb1ELb0ELi32EEEvPT0_PKT_iiiPKbib: ; @_ZN12_GLOBAL__N_120softmax_warp_forwardIN3c108BFloat16EffLi0ELb1ELb0ELi32EEEvPT0_PKT_iiiPKbib
; %bb.0:
	s_load_dword s0, s[4:5], 0x3c
	s_load_dwordx8 s[8:15], s[4:5], 0x0
	v_bfe_u32 v1, v0, 10, 10
	v_and_b32_e32 v0, 0x3ff, v0
	s_waitcnt lgkmcnt(0)
	s_lshr_b32 s0, s0, 16
	s_mul_i32 s6, s6, s0
	v_add_lshl_u32 v1, s6, v1, 1
	v_mad_u64_u32 v[2:3], s[0:1], v1, s13, v[0:1]
	v_ashrrev_i32_e32 v3, 31, v2
	v_lshlrev_b64 v[4:5], 1, v[2:3]
	v_sub_u32_e32 v6, s12, v1
	v_mov_b32_e32 v1, s11
	v_add_co_u32_e32 v4, vcc, s10, v4
	v_addc_co_u32_e32 v5, vcc, v1, v5, vcc
	v_cmp_gt_i32_e32 vcc, s14, v0
	v_cmp_lt_i32_e64 s[0:1], 0, v6
	s_and_b64 s[4:5], vcc, s[0:1]
	v_mov_b32_e32 v1, 0xff800000
	v_mov_b32_e32 v0, 0xff800000
	s_and_saveexec_b64 s[2:3], s[4:5]
	s_cbranch_execz .LBB167_2
; %bb.1:
	global_load_ushort v0, v[4:5], off
	s_waitcnt vmcnt(0)
	v_lshlrev_b32_e32 v0, 16, v0
.LBB167_2:
	s_or_b64 exec, exec, s[2:3]
	v_cmp_lt_i32_e64 s[2:3], 1, v6
	s_and_b64 s[2:3], vcc, s[2:3]
	s_and_saveexec_b64 s[4:5], s[2:3]
	s_cbranch_execz .LBB167_4
; %bb.3:
	s_mov_b32 s15, 0
	s_lshl_b64 s[2:3], s[14:15], 1
	v_mov_b32_e32 v1, s3
	v_add_co_u32_e64 v4, s[2:3], s2, v4
	v_addc_co_u32_e64 v5, s[2:3], v5, v1, s[2:3]
	global_load_ushort v1, v[4:5], off
	s_waitcnt vmcnt(0)
	v_lshlrev_b32_e32 v1, 16, v1
.LBB167_4:
	s_or_b64 exec, exec, s[4:5]
	s_and_saveexec_b64 s[2:3], s[0:1]
	s_cbranch_execz .LBB167_10
; %bb.5:
	v_pk_add_f32 v[8:9], v[0:1], v[0:1] neg_lo:[0,1] neg_hi:[0,1]
	s_mov_b32 s3, 0x3fb8aa3b
	v_mul_f32_e32 v5, 0x3fb8aa3b, v9
	v_fma_f32 v7, v9, s3, -v5
	v_rndne_f32_e32 v10, v5
	v_fmac_f32_e32 v7, 0x32a5705f, v9
	v_sub_f32_e32 v5, v5, v10
	v_add_f32_e32 v5, v5, v7
	v_exp_f32_e32 v5, v5
	v_cvt_i32_f32_e32 v7, v10
	v_lshlrev_b64 v[2:3], 2, v[2:3]
	v_mov_b32_e32 v4, s9
	v_add_co_u32_e64 v2, s[0:1], s8, v2
	v_addc_co_u32_e64 v3, s[0:1], v4, v3, s[0:1]
	v_ldexp_f32 v4, v5, v7
	v_mul_f32_e32 v5, 0x3fb8aa3b, v8
	v_fma_f32 v7, v8, s3, -v5
	v_rndne_f32_e32 v10, v5
	v_fmac_f32_e32 v7, 0x32a5705f, v8
	v_sub_f32_e32 v5, v5, v10
	v_add_f32_e32 v5, v5, v7
	v_exp_f32_e32 v5, v5
	v_cvt_i32_f32_e32 v7, v10
	s_mov_b32 s4, 0xc2ce8ed0
	v_cmp_ngt_f32_e64 s[0:1], s4, v9
	s_mov_b32 s5, 0x42b17218
	v_cndmask_b32_e64 v4, 0, v4, s[0:1]
	v_mov_b32_e32 v10, 0x7f800000
	v_cmp_nlt_f32_e64 s[0:1], s5, v9
	v_cndmask_b32_e64 v4, v10, v4, s[0:1]
	v_ldexp_f32 v5, v5, v7
	v_cmp_ngt_f32_e64 s[0:1], s4, v8
	v_cndmask_b32_e64 v5, 0, v5, s[0:1]
	v_cmp_nlt_f32_e64 s[0:1], s5, v8
	s_mov_b32 s2, 0x7f800000
	v_cndmask_b32_e64 v5, v10, v5, s[0:1]
	s_and_saveexec_b64 s[4:5], vcc
	s_cbranch_execz .LBB167_7
; %bb.6:
	s_mov_b32 s0, 0x800000
	v_mov_b32_e32 v7, 0x4f800000
	v_cmp_gt_f32_e64 s[0:1], s0, v5
	v_cndmask_b32_e64 v7, 1.0, v7, s[0:1]
	v_mul_f32_e32 v5, v5, v7
	v_log_f32_e32 v5, v5
	s_mov_b32 s3, 0x3f317217
	v_sub_f32_e32 v0, v0, v0
	v_mul_f32_e32 v7, 0x3f317217, v5
	v_fma_f32 v8, v5, s3, -v7
	v_fmac_f32_e32 v8, 0x3377d1cf, v5
	v_add_f32_e32 v7, v7, v8
	v_cmp_lt_f32_e64 s[2:3], |v5|, s2
	v_cndmask_b32_e64 v5, v5, v7, s[2:3]
	v_mov_b32_e32 v7, 0x41b17218
	v_cndmask_b32_e64 v7, 0, v7, s[0:1]
	v_sub_f32_e32 v5, v5, v7
	v_sub_f32_e32 v0, v0, v5
	global_store_dword v[2:3], v0, off
.LBB167_7:
	s_or_b64 exec, exec, s[4:5]
	v_cmp_ne_u32_e64 s[0:1], 1, v6
	s_and_b64 exec, exec, s[0:1]
	s_cbranch_execz .LBB167_10
; %bb.8:
	s_and_b64 exec, exec, vcc
	s_cbranch_execz .LBB167_10
; %bb.9:
	s_mov_b32 s0, 0x800000
	v_mov_b32_e32 v0, 0x4f800000
	v_cmp_gt_f32_e32 vcc, s0, v4
	v_cndmask_b32_e32 v0, 1.0, v0, vcc
	v_mul_f32_e32 v0, v4, v0
	v_log_f32_e32 v0, v0
	s_mov_b32 s0, 0x3f317217
	s_mov_b32 s15, 0
	v_sub_f32_e32 v1, v1, v1
	v_mul_f32_e32 v4, 0x3f317217, v0
	v_fma_f32 v5, v0, s0, -v4
	v_fmac_f32_e32 v5, 0x3377d1cf, v0
	s_mov_b32 s0, 0x7f800000
	v_add_f32_e32 v4, v4, v5
	v_cmp_lt_f32_e64 s[0:1], |v0|, s0
	v_cndmask_b32_e64 v0, v0, v4, s[0:1]
	v_mov_b32_e32 v4, 0x41b17218
	v_cndmask_b32_e32 v4, 0, v4, vcc
	v_sub_f32_e32 v0, v0, v4
	s_lshl_b64 s[0:1], s[14:15], 2
	v_sub_f32_e32 v4, v1, v0
	v_mov_b32_e32 v1, s1
	v_add_co_u32_e32 v0, vcc, s0, v2
	v_addc_co_u32_e32 v1, vcc, v3, v1, vcc
	global_store_dword v[0:1], v4, off
.LBB167_10:
	s_endpgm
	.section	.rodata,"a",@progbits
	.p2align	6, 0x0
	.amdhsa_kernel _ZN12_GLOBAL__N_120softmax_warp_forwardIN3c108BFloat16EffLi0ELb1ELb0ELi32EEEvPT0_PKT_iiiPKbib
		.amdhsa_group_segment_fixed_size 0
		.amdhsa_private_segment_fixed_size 0
		.amdhsa_kernarg_size 304
		.amdhsa_user_sgpr_count 6
		.amdhsa_user_sgpr_private_segment_buffer 1
		.amdhsa_user_sgpr_dispatch_ptr 0
		.amdhsa_user_sgpr_queue_ptr 0
		.amdhsa_user_sgpr_kernarg_segment_ptr 1
		.amdhsa_user_sgpr_dispatch_id 0
		.amdhsa_user_sgpr_flat_scratch_init 0
		.amdhsa_user_sgpr_kernarg_preload_length 0
		.amdhsa_user_sgpr_kernarg_preload_offset 0
		.amdhsa_user_sgpr_private_segment_size 0
		.amdhsa_uses_dynamic_stack 0
		.amdhsa_system_sgpr_private_segment_wavefront_offset 0
		.amdhsa_system_sgpr_workgroup_id_x 1
		.amdhsa_system_sgpr_workgroup_id_y 0
		.amdhsa_system_sgpr_workgroup_id_z 0
		.amdhsa_system_sgpr_workgroup_info 0
		.amdhsa_system_vgpr_workitem_id 1
		.amdhsa_next_free_vgpr 11
		.amdhsa_next_free_sgpr 16
		.amdhsa_accum_offset 12
		.amdhsa_reserve_vcc 1
		.amdhsa_reserve_flat_scratch 0
		.amdhsa_float_round_mode_32 0
		.amdhsa_float_round_mode_16_64 0
		.amdhsa_float_denorm_mode_32 3
		.amdhsa_float_denorm_mode_16_64 3
		.amdhsa_dx10_clamp 1
		.amdhsa_ieee_mode 1
		.amdhsa_fp16_overflow 0
		.amdhsa_tg_split 0
		.amdhsa_exception_fp_ieee_invalid_op 0
		.amdhsa_exception_fp_denorm_src 0
		.amdhsa_exception_fp_ieee_div_zero 0
		.amdhsa_exception_fp_ieee_overflow 0
		.amdhsa_exception_fp_ieee_underflow 0
		.amdhsa_exception_fp_ieee_inexact 0
		.amdhsa_exception_int_div_zero 0
	.end_amdhsa_kernel
	.section	.text._ZN12_GLOBAL__N_120softmax_warp_forwardIN3c108BFloat16EffLi0ELb1ELb0ELi32EEEvPT0_PKT_iiiPKbib,"axG",@progbits,_ZN12_GLOBAL__N_120softmax_warp_forwardIN3c108BFloat16EffLi0ELb1ELb0ELi32EEEvPT0_PKT_iiiPKbib,comdat
.Lfunc_end167:
	.size	_ZN12_GLOBAL__N_120softmax_warp_forwardIN3c108BFloat16EffLi0ELb1ELb0ELi32EEEvPT0_PKT_iiiPKbib, .Lfunc_end167-_ZN12_GLOBAL__N_120softmax_warp_forwardIN3c108BFloat16EffLi0ELb1ELb0ELi32EEEvPT0_PKT_iiiPKbib
                                        ; -- End function
	.section	.AMDGPU.csdata,"",@progbits
; Kernel info:
; codeLenInByte = 780
; NumSgprs: 20
; NumVgprs: 11
; NumAgprs: 0
; TotalNumVgprs: 11
; ScratchSize: 0
; MemoryBound: 0
; FloatMode: 240
; IeeeMode: 1
; LDSByteSize: 0 bytes/workgroup (compile time only)
; SGPRBlocks: 2
; VGPRBlocks: 1
; NumSGPRsForWavesPerEU: 20
; NumVGPRsForWavesPerEU: 11
; AccumOffset: 12
; Occupancy: 8
; WaveLimiterHint : 0
; COMPUTE_PGM_RSRC2:SCRATCH_EN: 0
; COMPUTE_PGM_RSRC2:USER_SGPR: 6
; COMPUTE_PGM_RSRC2:TRAP_HANDLER: 0
; COMPUTE_PGM_RSRC2:TGID_X_EN: 1
; COMPUTE_PGM_RSRC2:TGID_Y_EN: 0
; COMPUTE_PGM_RSRC2:TGID_Z_EN: 0
; COMPUTE_PGM_RSRC2:TIDIG_COMP_CNT: 1
; COMPUTE_PGM_RSRC3_GFX90A:ACCUM_OFFSET: 2
; COMPUTE_PGM_RSRC3_GFX90A:TG_SPLIT: 0
	.section	.text._ZN12_GLOBAL__N_120softmax_warp_forwardIN3c108BFloat16EffLi1ELb1ELb0ELi64EEEvPT0_PKT_iiiPKbib,"axG",@progbits,_ZN12_GLOBAL__N_120softmax_warp_forwardIN3c108BFloat16EffLi1ELb1ELb0ELi64EEEvPT0_PKT_iiiPKbib,comdat
	.globl	_ZN12_GLOBAL__N_120softmax_warp_forwardIN3c108BFloat16EffLi1ELb1ELb0ELi64EEEvPT0_PKT_iiiPKbib ; -- Begin function _ZN12_GLOBAL__N_120softmax_warp_forwardIN3c108BFloat16EffLi1ELb1ELb0ELi64EEEvPT0_PKT_iiiPKbib
	.p2align	8
	.type	_ZN12_GLOBAL__N_120softmax_warp_forwardIN3c108BFloat16EffLi1ELb1ELb0ELi64EEEvPT0_PKT_iiiPKbib,@function
_ZN12_GLOBAL__N_120softmax_warp_forwardIN3c108BFloat16EffLi1ELb1ELb0ELi64EEEvPT0_PKT_iiiPKbib: ; @_ZN12_GLOBAL__N_120softmax_warp_forwardIN3c108BFloat16EffLi1ELb1ELb0ELi64EEEvPT0_PKT_iiiPKbib
; %bb.0:
	s_load_dword s0, s[4:5], 0x3c
	s_load_dwordx8 s[8:15], s[4:5], 0x0
	v_bfe_u32 v1, v0, 10, 10
	v_and_b32_e32 v0, 0x3ff, v0
	s_waitcnt lgkmcnt(0)
	s_lshr_b32 s0, s0, 16
	s_mul_i32 s6, s6, s0
	v_add_lshl_u32 v1, s6, v1, 1
	v_mad_u64_u32 v[4:5], s[0:1], v1, s13, v[0:1]
	v_ashrrev_i32_e32 v5, 31, v4
	v_lshlrev_b64 v[2:3], 1, v[4:5]
	v_sub_u32_e32 v10, s12, v1
	v_mov_b32_e32 v1, s11
	v_add_co_u32_e32 v2, vcc, s10, v2
	v_addc_co_u32_e32 v3, vcc, v1, v3, vcc
	v_cmp_gt_i32_e32 vcc, s14, v0
	v_cmp_lt_i32_e64 s[0:1], 0, v10
	s_and_b64 s[4:5], vcc, s[0:1]
	v_mov_b32_e32 v1, 0xff800000
	v_mov_b32_e32 v0, 0xff800000
	s_and_saveexec_b64 s[2:3], s[4:5]
	s_cbranch_execz .LBB168_2
; %bb.1:
	global_load_ushort v0, v[2:3], off
	s_waitcnt vmcnt(0)
	v_lshlrev_b32_e32 v0, 16, v0
.LBB168_2:
	s_or_b64 exec, exec, s[2:3]
	v_cmp_lt_i32_e64 s[2:3], 1, v10
	s_and_b64 s[2:3], vcc, s[2:3]
	s_and_saveexec_b64 s[4:5], s[2:3]
	s_cbranch_execz .LBB168_4
; %bb.3:
	s_mov_b32 s15, 0
	s_lshl_b64 s[2:3], s[14:15], 1
	v_mov_b32_e32 v1, s3
	v_add_co_u32_e64 v2, s[2:3], s2, v2
	v_addc_co_u32_e64 v3, s[2:3], v3, v1, s[2:3]
	global_load_ushort v1, v[2:3], off
	s_waitcnt vmcnt(0)
	v_lshlrev_b32_e32 v1, 16, v1
.LBB168_4:
	s_or_b64 exec, exec, s[4:5]
	v_mbcnt_lo_u32_b32 v2, -1, 0
	v_mbcnt_hi_u32_b32 v2, -1, v2
	v_and_b32_e32 v6, 0x7e, v2
	v_xor_b32_e32 v3, 1, v2
	v_add_u32_e32 v6, 2, v6
	v_cmp_lt_i32_e64 s[2:3], v3, v6
	v_cndmask_b32_e64 v2, v2, v3, s[2:3]
	v_lshlrev_b32_e32 v9, 2, v2
	ds_bpermute_b32 v2, v9, v1
	ds_bpermute_b32 v6, v9, v0
	s_mov_b32 s4, 0x3fb8aa3b
	s_mov_b32 s5, 0xc2ce8ed0
	;; [unrolled: 1-line block ×3, first 2 shown]
	s_waitcnt lgkmcnt(1)
	v_cmp_lt_f32_e64 s[2:3], v1, v2
	v_cndmask_b32_e64 v3, v1, v2, s[2:3]
	s_waitcnt lgkmcnt(0)
	v_cmp_lt_f32_e64 s[2:3], v0, v6
	v_cndmask_b32_e64 v2, v0, v6, s[2:3]
	v_pk_add_f32 v[6:7], v[0:1], v[2:3] neg_lo:[0,1] neg_hi:[0,1]
	v_mul_f32_e32 v8, 0x3fb8aa3b, v7
	v_fma_f32 v11, v7, s4, -v8
	v_rndne_f32_e32 v12, v8
	v_fmac_f32_e32 v11, 0x32a5705f, v7
	v_sub_f32_e32 v8, v8, v12
	v_add_f32_e32 v8, v8, v11
	v_exp_f32_e32 v8, v8
	v_cvt_i32_f32_e32 v11, v12
	v_cmp_ngt_f32_e64 s[2:3], s5, v7
	v_ldexp_f32 v8, v8, v11
	v_mul_f32_e32 v11, 0x3fb8aa3b, v6
	v_fma_f32 v12, v6, s4, -v11
	v_rndne_f32_e32 v13, v11
	v_fmac_f32_e32 v12, 0x32a5705f, v6
	v_sub_f32_e32 v11, v11, v13
	v_add_f32_e32 v11, v11, v12
	v_exp_f32_e32 v11, v11
	v_cvt_i32_f32_e32 v12, v13
	v_cndmask_b32_e64 v8, 0, v8, s[2:3]
	v_mov_b32_e32 v13, 0x7f800000
	v_cmp_nlt_f32_e64 s[2:3], s6, v7
	v_cndmask_b32_e64 v7, v13, v8, s[2:3]
	v_ldexp_f32 v8, v11, v12
	v_cmp_ngt_f32_e64 s[2:3], s5, v6
	v_cndmask_b32_e64 v8, 0, v8, s[2:3]
	v_cmp_nlt_f32_e64 s[2:3], s6, v6
	v_cndmask_b32_e64 v6, v13, v8, s[2:3]
	ds_bpermute_b32 v8, v9, v6
	ds_bpermute_b32 v9, v9, v7
	s_and_saveexec_b64 s[2:3], s[0:1]
	s_cbranch_execz .LBB168_10
; %bb.5:
	v_lshlrev_b64 v[4:5], 2, v[4:5]
	v_mov_b32_e32 v11, s9
	v_add_co_u32_e64 v4, s[0:1], s8, v4
	v_addc_co_u32_e64 v5, s[0:1], v11, v5, s[0:1]
	s_waitcnt lgkmcnt(0)
	v_pk_add_f32 v[6:7], v[6:7], v[8:9]
	s_and_saveexec_b64 s[4:5], vcc
	s_cbranch_execz .LBB168_7
; %bb.6:
	s_mov_b32 s0, 0x800000
	v_mov_b32_e32 v8, 0x4f800000
	v_cmp_gt_f32_e64 s[0:1], s0, v6
	v_cndmask_b32_e64 v8, 1.0, v8, s[0:1]
	v_mul_f32_e32 v6, v6, v8
	v_log_f32_e32 v6, v6
	s_mov_b32 s2, 0x3f317217
	v_sub_f32_e32 v0, v0, v2
	v_mul_f32_e32 v8, 0x3f317217, v6
	v_fma_f32 v9, v6, s2, -v8
	v_fmac_f32_e32 v9, 0x3377d1cf, v6
	s_mov_b32 s2, 0x7f800000
	v_add_f32_e32 v8, v8, v9
	v_cmp_lt_f32_e64 s[2:3], |v6|, s2
	v_cndmask_b32_e64 v6, v6, v8, s[2:3]
	v_mov_b32_e32 v8, 0x41b17218
	v_cndmask_b32_e64 v8, 0, v8, s[0:1]
	v_sub_f32_e32 v6, v6, v8
	v_sub_f32_e32 v0, v0, v6
	global_store_dword v[4:5], v0, off
.LBB168_7:
	s_or_b64 exec, exec, s[4:5]
	v_cmp_ne_u32_e64 s[0:1], 1, v10
	s_and_b64 exec, exec, s[0:1]
	s_cbranch_execz .LBB168_10
; %bb.8:
	s_and_b64 exec, exec, vcc
	s_cbranch_execz .LBB168_10
; %bb.9:
	s_mov_b32 s0, 0x800000
	v_mov_b32_e32 v0, 0x4f800000
	v_cmp_gt_f32_e32 vcc, s0, v7
	v_cndmask_b32_e32 v0, 1.0, v0, vcc
	v_mul_f32_e32 v0, v7, v0
	v_log_f32_e32 v0, v0
	s_mov_b32 s0, 0x3f317217
	s_mov_b32 s15, 0
	v_sub_f32_e32 v1, v1, v3
	v_mul_f32_e32 v2, 0x3f317217, v0
	v_fma_f32 v6, v0, s0, -v2
	v_fmac_f32_e32 v6, 0x3377d1cf, v0
	s_mov_b32 s0, 0x7f800000
	v_add_f32_e32 v2, v2, v6
	v_cmp_lt_f32_e64 s[0:1], |v0|, s0
	v_cndmask_b32_e64 v0, v0, v2, s[0:1]
	v_mov_b32_e32 v2, 0x41b17218
	v_cndmask_b32_e32 v2, 0, v2, vcc
	v_sub_f32_e32 v0, v0, v2
	s_lshl_b64 s[0:1], s[14:15], 2
	v_sub_f32_e32 v2, v1, v0
	v_mov_b32_e32 v1, s1
	v_add_co_u32_e32 v0, vcc, s0, v4
	v_addc_co_u32_e32 v1, vcc, v5, v1, vcc
	global_store_dword v[0:1], v2, off
.LBB168_10:
	s_endpgm
	.section	.rodata,"a",@progbits
	.p2align	6, 0x0
	.amdhsa_kernel _ZN12_GLOBAL__N_120softmax_warp_forwardIN3c108BFloat16EffLi1ELb1ELb0ELi64EEEvPT0_PKT_iiiPKbib
		.amdhsa_group_segment_fixed_size 0
		.amdhsa_private_segment_fixed_size 0
		.amdhsa_kernarg_size 304
		.amdhsa_user_sgpr_count 6
		.amdhsa_user_sgpr_private_segment_buffer 1
		.amdhsa_user_sgpr_dispatch_ptr 0
		.amdhsa_user_sgpr_queue_ptr 0
		.amdhsa_user_sgpr_kernarg_segment_ptr 1
		.amdhsa_user_sgpr_dispatch_id 0
		.amdhsa_user_sgpr_flat_scratch_init 0
		.amdhsa_user_sgpr_kernarg_preload_length 0
		.amdhsa_user_sgpr_kernarg_preload_offset 0
		.amdhsa_user_sgpr_private_segment_size 0
		.amdhsa_uses_dynamic_stack 0
		.amdhsa_system_sgpr_private_segment_wavefront_offset 0
		.amdhsa_system_sgpr_workgroup_id_x 1
		.amdhsa_system_sgpr_workgroup_id_y 0
		.amdhsa_system_sgpr_workgroup_id_z 0
		.amdhsa_system_sgpr_workgroup_info 0
		.amdhsa_system_vgpr_workitem_id 1
		.amdhsa_next_free_vgpr 14
		.amdhsa_next_free_sgpr 16
		.amdhsa_accum_offset 16
		.amdhsa_reserve_vcc 1
		.amdhsa_reserve_flat_scratch 0
		.amdhsa_float_round_mode_32 0
		.amdhsa_float_round_mode_16_64 0
		.amdhsa_float_denorm_mode_32 3
		.amdhsa_float_denorm_mode_16_64 3
		.amdhsa_dx10_clamp 1
		.amdhsa_ieee_mode 1
		.amdhsa_fp16_overflow 0
		.amdhsa_tg_split 0
		.amdhsa_exception_fp_ieee_invalid_op 0
		.amdhsa_exception_fp_denorm_src 0
		.amdhsa_exception_fp_ieee_div_zero 0
		.amdhsa_exception_fp_ieee_overflow 0
		.amdhsa_exception_fp_ieee_underflow 0
		.amdhsa_exception_fp_ieee_inexact 0
		.amdhsa_exception_int_div_zero 0
	.end_amdhsa_kernel
	.section	.text._ZN12_GLOBAL__N_120softmax_warp_forwardIN3c108BFloat16EffLi1ELb1ELb0ELi64EEEvPT0_PKT_iiiPKbib,"axG",@progbits,_ZN12_GLOBAL__N_120softmax_warp_forwardIN3c108BFloat16EffLi1ELb1ELb0ELi64EEEvPT0_PKT_iiiPKbib,comdat
.Lfunc_end168:
	.size	_ZN12_GLOBAL__N_120softmax_warp_forwardIN3c108BFloat16EffLi1ELb1ELb0ELi64EEEvPT0_PKT_iiiPKbib, .Lfunc_end168-_ZN12_GLOBAL__N_120softmax_warp_forwardIN3c108BFloat16EffLi1ELb1ELb0ELi64EEEvPT0_PKT_iiiPKbib
                                        ; -- End function
	.section	.AMDGPU.csdata,"",@progbits
; Kernel info:
; codeLenInByte = 916
; NumSgprs: 20
; NumVgprs: 14
; NumAgprs: 0
; TotalNumVgprs: 14
; ScratchSize: 0
; MemoryBound: 0
; FloatMode: 240
; IeeeMode: 1
; LDSByteSize: 0 bytes/workgroup (compile time only)
; SGPRBlocks: 2
; VGPRBlocks: 1
; NumSGPRsForWavesPerEU: 20
; NumVGPRsForWavesPerEU: 14
; AccumOffset: 16
; Occupancy: 8
; WaveLimiterHint : 0
; COMPUTE_PGM_RSRC2:SCRATCH_EN: 0
; COMPUTE_PGM_RSRC2:USER_SGPR: 6
; COMPUTE_PGM_RSRC2:TRAP_HANDLER: 0
; COMPUTE_PGM_RSRC2:TGID_X_EN: 1
; COMPUTE_PGM_RSRC2:TGID_Y_EN: 0
; COMPUTE_PGM_RSRC2:TGID_Z_EN: 0
; COMPUTE_PGM_RSRC2:TIDIG_COMP_CNT: 1
; COMPUTE_PGM_RSRC3_GFX90A:ACCUM_OFFSET: 3
; COMPUTE_PGM_RSRC3_GFX90A:TG_SPLIT: 0
	.section	.text._ZN12_GLOBAL__N_120softmax_warp_forwardIN3c108BFloat16EffLi1ELb1ELb0ELi32EEEvPT0_PKT_iiiPKbib,"axG",@progbits,_ZN12_GLOBAL__N_120softmax_warp_forwardIN3c108BFloat16EffLi1ELb1ELb0ELi32EEEvPT0_PKT_iiiPKbib,comdat
	.globl	_ZN12_GLOBAL__N_120softmax_warp_forwardIN3c108BFloat16EffLi1ELb1ELb0ELi32EEEvPT0_PKT_iiiPKbib ; -- Begin function _ZN12_GLOBAL__N_120softmax_warp_forwardIN3c108BFloat16EffLi1ELb1ELb0ELi32EEEvPT0_PKT_iiiPKbib
	.p2align	8
	.type	_ZN12_GLOBAL__N_120softmax_warp_forwardIN3c108BFloat16EffLi1ELb1ELb0ELi32EEEvPT0_PKT_iiiPKbib,@function
_ZN12_GLOBAL__N_120softmax_warp_forwardIN3c108BFloat16EffLi1ELb1ELb0ELi32EEEvPT0_PKT_iiiPKbib: ; @_ZN12_GLOBAL__N_120softmax_warp_forwardIN3c108BFloat16EffLi1ELb1ELb0ELi32EEEvPT0_PKT_iiiPKbib
; %bb.0:
	s_load_dword s0, s[4:5], 0x3c
	s_load_dwordx8 s[8:15], s[4:5], 0x0
	v_bfe_u32 v1, v0, 10, 10
	v_and_b32_e32 v0, 0x3ff, v0
	s_waitcnt lgkmcnt(0)
	s_lshr_b32 s0, s0, 16
	s_mul_i32 s6, s6, s0
	v_add_lshl_u32 v1, s6, v1, 1
	v_mad_u64_u32 v[4:5], s[0:1], v1, s13, v[0:1]
	v_ashrrev_i32_e32 v5, 31, v4
	v_lshlrev_b64 v[2:3], 1, v[4:5]
	v_sub_u32_e32 v10, s12, v1
	v_mov_b32_e32 v1, s11
	v_add_co_u32_e32 v2, vcc, s10, v2
	v_addc_co_u32_e32 v3, vcc, v1, v3, vcc
	v_cmp_gt_i32_e32 vcc, s14, v0
	v_cmp_lt_i32_e64 s[0:1], 0, v10
	s_and_b64 s[4:5], vcc, s[0:1]
	v_mov_b32_e32 v1, 0xff800000
	v_mov_b32_e32 v0, 0xff800000
	s_and_saveexec_b64 s[2:3], s[4:5]
	s_cbranch_execz .LBB169_2
; %bb.1:
	global_load_ushort v0, v[2:3], off
	s_waitcnt vmcnt(0)
	v_lshlrev_b32_e32 v0, 16, v0
.LBB169_2:
	s_or_b64 exec, exec, s[2:3]
	v_cmp_lt_i32_e64 s[2:3], 1, v10
	s_and_b64 s[2:3], vcc, s[2:3]
	s_and_saveexec_b64 s[4:5], s[2:3]
	s_cbranch_execz .LBB169_4
; %bb.3:
	s_mov_b32 s15, 0
	s_lshl_b64 s[2:3], s[14:15], 1
	v_mov_b32_e32 v1, s3
	v_add_co_u32_e64 v2, s[2:3], s2, v2
	v_addc_co_u32_e64 v3, s[2:3], v3, v1, s[2:3]
	global_load_ushort v1, v[2:3], off
	s_waitcnt vmcnt(0)
	v_lshlrev_b32_e32 v1, 16, v1
.LBB169_4:
	s_or_b64 exec, exec, s[4:5]
	v_mbcnt_lo_u32_b32 v2, -1, 0
	v_mbcnt_hi_u32_b32 v2, -1, v2
	v_and_b32_e32 v6, 0x7e, v2
	v_xor_b32_e32 v3, 1, v2
	v_add_u32_e32 v6, 2, v6
	v_cmp_lt_i32_e64 s[2:3], v3, v6
	v_cndmask_b32_e64 v2, v2, v3, s[2:3]
	v_lshlrev_b32_e32 v9, 2, v2
	ds_bpermute_b32 v2, v9, v1
	ds_bpermute_b32 v6, v9, v0
	s_mov_b32 s4, 0x3fb8aa3b
	s_mov_b32 s5, 0xc2ce8ed0
	;; [unrolled: 1-line block ×3, first 2 shown]
	s_waitcnt lgkmcnt(1)
	v_cmp_lt_f32_e64 s[2:3], v1, v2
	v_cndmask_b32_e64 v3, v1, v2, s[2:3]
	s_waitcnt lgkmcnt(0)
	v_cmp_lt_f32_e64 s[2:3], v0, v6
	v_cndmask_b32_e64 v2, v0, v6, s[2:3]
	v_pk_add_f32 v[6:7], v[0:1], v[2:3] neg_lo:[0,1] neg_hi:[0,1]
	v_mul_f32_e32 v8, 0x3fb8aa3b, v7
	v_fma_f32 v11, v7, s4, -v8
	v_rndne_f32_e32 v12, v8
	v_fmac_f32_e32 v11, 0x32a5705f, v7
	v_sub_f32_e32 v8, v8, v12
	v_add_f32_e32 v8, v8, v11
	v_exp_f32_e32 v8, v8
	v_cvt_i32_f32_e32 v11, v12
	v_cmp_ngt_f32_e64 s[2:3], s5, v7
	v_ldexp_f32 v8, v8, v11
	v_mul_f32_e32 v11, 0x3fb8aa3b, v6
	v_fma_f32 v12, v6, s4, -v11
	v_rndne_f32_e32 v13, v11
	v_fmac_f32_e32 v12, 0x32a5705f, v6
	v_sub_f32_e32 v11, v11, v13
	v_add_f32_e32 v11, v11, v12
	v_exp_f32_e32 v11, v11
	v_cvt_i32_f32_e32 v12, v13
	v_cndmask_b32_e64 v8, 0, v8, s[2:3]
	v_mov_b32_e32 v13, 0x7f800000
	v_cmp_nlt_f32_e64 s[2:3], s6, v7
	v_cndmask_b32_e64 v7, v13, v8, s[2:3]
	v_ldexp_f32 v8, v11, v12
	v_cmp_ngt_f32_e64 s[2:3], s5, v6
	v_cndmask_b32_e64 v8, 0, v8, s[2:3]
	v_cmp_nlt_f32_e64 s[2:3], s6, v6
	v_cndmask_b32_e64 v6, v13, v8, s[2:3]
	ds_bpermute_b32 v8, v9, v6
	ds_bpermute_b32 v9, v9, v7
	s_and_saveexec_b64 s[2:3], s[0:1]
	s_cbranch_execz .LBB169_10
; %bb.5:
	v_lshlrev_b64 v[4:5], 2, v[4:5]
	v_mov_b32_e32 v11, s9
	v_add_co_u32_e64 v4, s[0:1], s8, v4
	v_addc_co_u32_e64 v5, s[0:1], v11, v5, s[0:1]
	s_waitcnt lgkmcnt(0)
	v_pk_add_f32 v[6:7], v[6:7], v[8:9]
	s_and_saveexec_b64 s[4:5], vcc
	s_cbranch_execz .LBB169_7
; %bb.6:
	s_mov_b32 s0, 0x800000
	v_mov_b32_e32 v8, 0x4f800000
	v_cmp_gt_f32_e64 s[0:1], s0, v6
	v_cndmask_b32_e64 v8, 1.0, v8, s[0:1]
	v_mul_f32_e32 v6, v6, v8
	v_log_f32_e32 v6, v6
	s_mov_b32 s2, 0x3f317217
	v_sub_f32_e32 v0, v0, v2
	v_mul_f32_e32 v8, 0x3f317217, v6
	v_fma_f32 v9, v6, s2, -v8
	v_fmac_f32_e32 v9, 0x3377d1cf, v6
	s_mov_b32 s2, 0x7f800000
	v_add_f32_e32 v8, v8, v9
	v_cmp_lt_f32_e64 s[2:3], |v6|, s2
	v_cndmask_b32_e64 v6, v6, v8, s[2:3]
	v_mov_b32_e32 v8, 0x41b17218
	v_cndmask_b32_e64 v8, 0, v8, s[0:1]
	v_sub_f32_e32 v6, v6, v8
	v_sub_f32_e32 v0, v0, v6
	global_store_dword v[4:5], v0, off
.LBB169_7:
	s_or_b64 exec, exec, s[4:5]
	v_cmp_ne_u32_e64 s[0:1], 1, v10
	s_and_b64 exec, exec, s[0:1]
	s_cbranch_execz .LBB169_10
; %bb.8:
	s_and_b64 exec, exec, vcc
	s_cbranch_execz .LBB169_10
; %bb.9:
	s_mov_b32 s0, 0x800000
	v_mov_b32_e32 v0, 0x4f800000
	v_cmp_gt_f32_e32 vcc, s0, v7
	v_cndmask_b32_e32 v0, 1.0, v0, vcc
	v_mul_f32_e32 v0, v7, v0
	v_log_f32_e32 v0, v0
	s_mov_b32 s0, 0x3f317217
	s_mov_b32 s15, 0
	v_sub_f32_e32 v1, v1, v3
	v_mul_f32_e32 v2, 0x3f317217, v0
	v_fma_f32 v6, v0, s0, -v2
	v_fmac_f32_e32 v6, 0x3377d1cf, v0
	s_mov_b32 s0, 0x7f800000
	v_add_f32_e32 v2, v2, v6
	v_cmp_lt_f32_e64 s[0:1], |v0|, s0
	v_cndmask_b32_e64 v0, v0, v2, s[0:1]
	v_mov_b32_e32 v2, 0x41b17218
	v_cndmask_b32_e32 v2, 0, v2, vcc
	v_sub_f32_e32 v0, v0, v2
	s_lshl_b64 s[0:1], s[14:15], 2
	v_sub_f32_e32 v2, v1, v0
	v_mov_b32_e32 v1, s1
	v_add_co_u32_e32 v0, vcc, s0, v4
	v_addc_co_u32_e32 v1, vcc, v5, v1, vcc
	global_store_dword v[0:1], v2, off
.LBB169_10:
	s_endpgm
	.section	.rodata,"a",@progbits
	.p2align	6, 0x0
	.amdhsa_kernel _ZN12_GLOBAL__N_120softmax_warp_forwardIN3c108BFloat16EffLi1ELb1ELb0ELi32EEEvPT0_PKT_iiiPKbib
		.amdhsa_group_segment_fixed_size 0
		.amdhsa_private_segment_fixed_size 0
		.amdhsa_kernarg_size 304
		.amdhsa_user_sgpr_count 6
		.amdhsa_user_sgpr_private_segment_buffer 1
		.amdhsa_user_sgpr_dispatch_ptr 0
		.amdhsa_user_sgpr_queue_ptr 0
		.amdhsa_user_sgpr_kernarg_segment_ptr 1
		.amdhsa_user_sgpr_dispatch_id 0
		.amdhsa_user_sgpr_flat_scratch_init 0
		.amdhsa_user_sgpr_kernarg_preload_length 0
		.amdhsa_user_sgpr_kernarg_preload_offset 0
		.amdhsa_user_sgpr_private_segment_size 0
		.amdhsa_uses_dynamic_stack 0
		.amdhsa_system_sgpr_private_segment_wavefront_offset 0
		.amdhsa_system_sgpr_workgroup_id_x 1
		.amdhsa_system_sgpr_workgroup_id_y 0
		.amdhsa_system_sgpr_workgroup_id_z 0
		.amdhsa_system_sgpr_workgroup_info 0
		.amdhsa_system_vgpr_workitem_id 1
		.amdhsa_next_free_vgpr 14
		.amdhsa_next_free_sgpr 16
		.amdhsa_accum_offset 16
		.amdhsa_reserve_vcc 1
		.amdhsa_reserve_flat_scratch 0
		.amdhsa_float_round_mode_32 0
		.amdhsa_float_round_mode_16_64 0
		.amdhsa_float_denorm_mode_32 3
		.amdhsa_float_denorm_mode_16_64 3
		.amdhsa_dx10_clamp 1
		.amdhsa_ieee_mode 1
		.amdhsa_fp16_overflow 0
		.amdhsa_tg_split 0
		.amdhsa_exception_fp_ieee_invalid_op 0
		.amdhsa_exception_fp_denorm_src 0
		.amdhsa_exception_fp_ieee_div_zero 0
		.amdhsa_exception_fp_ieee_overflow 0
		.amdhsa_exception_fp_ieee_underflow 0
		.amdhsa_exception_fp_ieee_inexact 0
		.amdhsa_exception_int_div_zero 0
	.end_amdhsa_kernel
	.section	.text._ZN12_GLOBAL__N_120softmax_warp_forwardIN3c108BFloat16EffLi1ELb1ELb0ELi32EEEvPT0_PKT_iiiPKbib,"axG",@progbits,_ZN12_GLOBAL__N_120softmax_warp_forwardIN3c108BFloat16EffLi1ELb1ELb0ELi32EEEvPT0_PKT_iiiPKbib,comdat
.Lfunc_end169:
	.size	_ZN12_GLOBAL__N_120softmax_warp_forwardIN3c108BFloat16EffLi1ELb1ELb0ELi32EEEvPT0_PKT_iiiPKbib, .Lfunc_end169-_ZN12_GLOBAL__N_120softmax_warp_forwardIN3c108BFloat16EffLi1ELb1ELb0ELi32EEEvPT0_PKT_iiiPKbib
                                        ; -- End function
	.section	.AMDGPU.csdata,"",@progbits
; Kernel info:
; codeLenInByte = 916
; NumSgprs: 20
; NumVgprs: 14
; NumAgprs: 0
; TotalNumVgprs: 14
; ScratchSize: 0
; MemoryBound: 0
; FloatMode: 240
; IeeeMode: 1
; LDSByteSize: 0 bytes/workgroup (compile time only)
; SGPRBlocks: 2
; VGPRBlocks: 1
; NumSGPRsForWavesPerEU: 20
; NumVGPRsForWavesPerEU: 14
; AccumOffset: 16
; Occupancy: 8
; WaveLimiterHint : 0
; COMPUTE_PGM_RSRC2:SCRATCH_EN: 0
; COMPUTE_PGM_RSRC2:USER_SGPR: 6
; COMPUTE_PGM_RSRC2:TRAP_HANDLER: 0
; COMPUTE_PGM_RSRC2:TGID_X_EN: 1
; COMPUTE_PGM_RSRC2:TGID_Y_EN: 0
; COMPUTE_PGM_RSRC2:TGID_Z_EN: 0
; COMPUTE_PGM_RSRC2:TIDIG_COMP_CNT: 1
; COMPUTE_PGM_RSRC3_GFX90A:ACCUM_OFFSET: 3
; COMPUTE_PGM_RSRC3_GFX90A:TG_SPLIT: 0
	.section	.text._ZN12_GLOBAL__N_120softmax_warp_forwardIN3c108BFloat16EffLi2ELb1ELb0ELi64EEEvPT0_PKT_iiiPKbib,"axG",@progbits,_ZN12_GLOBAL__N_120softmax_warp_forwardIN3c108BFloat16EffLi2ELb1ELb0ELi64EEEvPT0_PKT_iiiPKbib,comdat
	.globl	_ZN12_GLOBAL__N_120softmax_warp_forwardIN3c108BFloat16EffLi2ELb1ELb0ELi64EEEvPT0_PKT_iiiPKbib ; -- Begin function _ZN12_GLOBAL__N_120softmax_warp_forwardIN3c108BFloat16EffLi2ELb1ELb0ELi64EEEvPT0_PKT_iiiPKbib
	.p2align	8
	.type	_ZN12_GLOBAL__N_120softmax_warp_forwardIN3c108BFloat16EffLi2ELb1ELb0ELi64EEEvPT0_PKT_iiiPKbib,@function
_ZN12_GLOBAL__N_120softmax_warp_forwardIN3c108BFloat16EffLi2ELb1ELb0ELi64EEEvPT0_PKT_iiiPKbib: ; @_ZN12_GLOBAL__N_120softmax_warp_forwardIN3c108BFloat16EffLi2ELb1ELb0ELi64EEEvPT0_PKT_iiiPKbib
; %bb.0:
	s_load_dword s0, s[4:5], 0x3c
	s_load_dwordx8 s[8:15], s[4:5], 0x0
	v_bfe_u32 v1, v0, 10, 10
	v_and_b32_e32 v0, 0x3ff, v0
	s_waitcnt lgkmcnt(0)
	s_lshr_b32 s0, s0, 16
	s_mul_i32 s6, s6, s0
	v_add_lshl_u32 v1, s6, v1, 1
	v_mad_u64_u32 v[2:3], s[0:1], v1, s13, v[0:1]
	v_ashrrev_i32_e32 v3, 31, v2
	v_lshlrev_b64 v[4:5], 1, v[2:3]
	v_sub_u32_e32 v10, s12, v1
	v_mov_b32_e32 v1, s11
	v_add_co_u32_e32 v4, vcc, s10, v4
	v_addc_co_u32_e32 v5, vcc, v1, v5, vcc
	v_cmp_gt_i32_e32 vcc, s14, v0
	v_cmp_lt_i32_e64 s[0:1], 0, v10
	s_and_b64 s[4:5], vcc, s[0:1]
	v_mov_b32_e32 v1, 0xff800000
	v_mov_b32_e32 v0, 0xff800000
	s_and_saveexec_b64 s[2:3], s[4:5]
	s_cbranch_execz .LBB170_2
; %bb.1:
	global_load_ushort v0, v[4:5], off
	s_waitcnt vmcnt(0)
	v_lshlrev_b32_e32 v0, 16, v0
.LBB170_2:
	s_or_b64 exec, exec, s[2:3]
	v_cmp_lt_i32_e64 s[2:3], 1, v10
	s_and_b64 s[2:3], vcc, s[2:3]
	s_and_saveexec_b64 s[4:5], s[2:3]
	s_cbranch_execz .LBB170_4
; %bb.3:
	s_mov_b32 s15, 0
	s_lshl_b64 s[2:3], s[14:15], 1
	v_mov_b32_e32 v1, s3
	v_add_co_u32_e64 v4, s[2:3], s2, v4
	v_addc_co_u32_e64 v5, s[2:3], v5, v1, s[2:3]
	global_load_ushort v1, v[4:5], off
	s_waitcnt vmcnt(0)
	v_lshlrev_b32_e32 v1, 16, v1
.LBB170_4:
	s_or_b64 exec, exec, s[4:5]
	v_mbcnt_lo_u32_b32 v4, -1, 0
	v_mbcnt_hi_u32_b32 v4, -1, v4
	v_and_b32_e32 v5, 0x7c, v4
	v_add_u32_e32 v5, 4, v5
	v_xor_b32_e32 v6, 2, v4
	v_cmp_lt_i32_e64 s[2:3], v6, v5
	v_cndmask_b32_e64 v6, v4, v6, s[2:3]
	v_lshlrev_b32_e32 v9, 2, v6
	ds_bpermute_b32 v7, v9, v1
	ds_bpermute_b32 v6, v9, v0
	v_xor_b32_e32 v8, 1, v4
	v_cmp_lt_i32_e64 s[2:3], v8, v5
	v_cndmask_b32_e64 v4, v4, v8, s[2:3]
	s_waitcnt lgkmcnt(1)
	v_cmp_lt_f32_e64 s[2:3], v1, v7
	v_lshlrev_b32_e32 v11, 2, v4
	v_cndmask_b32_e64 v4, v1, v7, s[2:3]
	s_waitcnt lgkmcnt(0)
	v_cmp_lt_f32_e64 s[2:3], v0, v6
	ds_bpermute_b32 v5, v11, v4
	v_cndmask_b32_e64 v6, v0, v6, s[2:3]
	ds_bpermute_b32 v7, v11, v6
	s_mov_b32 s4, 0x3fb8aa3b
	s_mov_b32 s5, 0xc2ce8ed0
	s_waitcnt lgkmcnt(1)
	v_cmp_lt_f32_e64 s[2:3], v4, v5
	v_cndmask_b32_e64 v5, v4, v5, s[2:3]
	s_waitcnt lgkmcnt(0)
	v_cmp_lt_f32_e64 s[2:3], v6, v7
	v_cndmask_b32_e64 v4, v6, v7, s[2:3]
	v_pk_add_f32 v[6:7], v[0:1], v[4:5] neg_lo:[0,1] neg_hi:[0,1]
	v_mul_f32_e32 v8, 0x3fb8aa3b, v7
	v_fma_f32 v12, v7, s4, -v8
	v_rndne_f32_e32 v13, v8
	v_fmac_f32_e32 v12, 0x32a5705f, v7
	v_sub_f32_e32 v8, v8, v13
	v_add_f32_e32 v8, v8, v12
	v_exp_f32_e32 v8, v8
	v_cvt_i32_f32_e32 v12, v13
	v_cmp_ngt_f32_e64 s[2:3], s5, v7
	s_mov_b32 s6, 0x42b17218
	v_ldexp_f32 v8, v8, v12
	v_mul_f32_e32 v12, 0x3fb8aa3b, v6
	v_fma_f32 v13, v6, s4, -v12
	v_rndne_f32_e32 v14, v12
	v_fmac_f32_e32 v13, 0x32a5705f, v6
	v_sub_f32_e32 v12, v12, v14
	v_add_f32_e32 v12, v12, v13
	v_exp_f32_e32 v12, v12
	v_cvt_i32_f32_e32 v13, v14
	v_cndmask_b32_e64 v8, 0, v8, s[2:3]
	v_mov_b32_e32 v14, 0x7f800000
	v_cmp_nlt_f32_e64 s[2:3], s6, v7
	v_cndmask_b32_e64 v7, v14, v8, s[2:3]
	v_ldexp_f32 v8, v12, v13
	v_cmp_ngt_f32_e64 s[2:3], s5, v6
	v_cndmask_b32_e64 v8, 0, v8, s[2:3]
	v_cmp_nlt_f32_e64 s[2:3], s6, v6
	v_cndmask_b32_e64 v6, v14, v8, s[2:3]
	ds_bpermute_b32 v8, v9, v6
	ds_bpermute_b32 v9, v9, v7
	s_waitcnt lgkmcnt(0)
	v_pk_add_f32 v[6:7], v[6:7], v[8:9]
	ds_bpermute_b32 v8, v11, v6
	ds_bpermute_b32 v9, v11, v7
	s_and_saveexec_b64 s[2:3], s[0:1]
	s_cbranch_execz .LBB170_10
; %bb.5:
	v_lshlrev_b64 v[2:3], 2, v[2:3]
	v_mov_b32_e32 v11, s9
	v_add_co_u32_e64 v2, s[0:1], s8, v2
	v_addc_co_u32_e64 v3, s[0:1], v11, v3, s[0:1]
	s_waitcnt lgkmcnt(0)
	v_pk_add_f32 v[6:7], v[6:7], v[8:9]
	s_and_saveexec_b64 s[4:5], vcc
	s_cbranch_execz .LBB170_7
; %bb.6:
	s_mov_b32 s0, 0x800000
	v_mov_b32_e32 v8, 0x4f800000
	v_cmp_gt_f32_e64 s[0:1], s0, v6
	v_cndmask_b32_e64 v8, 1.0, v8, s[0:1]
	v_mul_f32_e32 v6, v6, v8
	v_log_f32_e32 v6, v6
	s_mov_b32 s2, 0x3f317217
	v_sub_f32_e32 v0, v0, v4
	v_mul_f32_e32 v8, 0x3f317217, v6
	v_fma_f32 v9, v6, s2, -v8
	v_fmac_f32_e32 v9, 0x3377d1cf, v6
	s_mov_b32 s2, 0x7f800000
	v_add_f32_e32 v8, v8, v9
	v_cmp_lt_f32_e64 s[2:3], |v6|, s2
	v_cndmask_b32_e64 v6, v6, v8, s[2:3]
	v_mov_b32_e32 v8, 0x41b17218
	v_cndmask_b32_e64 v8, 0, v8, s[0:1]
	v_sub_f32_e32 v6, v6, v8
	v_sub_f32_e32 v0, v0, v6
	global_store_dword v[2:3], v0, off
.LBB170_7:
	s_or_b64 exec, exec, s[4:5]
	v_cmp_ne_u32_e64 s[0:1], 1, v10
	s_and_b64 exec, exec, s[0:1]
	s_cbranch_execz .LBB170_10
; %bb.8:
	s_and_b64 exec, exec, vcc
	s_cbranch_execz .LBB170_10
; %bb.9:
	s_mov_b32 s0, 0x800000
	v_mov_b32_e32 v0, 0x4f800000
	v_cmp_gt_f32_e32 vcc, s0, v7
	v_cndmask_b32_e32 v0, 1.0, v0, vcc
	v_mul_f32_e32 v0, v7, v0
	v_log_f32_e32 v0, v0
	s_mov_b32 s0, 0x3f317217
	s_mov_b32 s15, 0
	v_sub_f32_e32 v1, v1, v5
	v_mul_f32_e32 v4, 0x3f317217, v0
	v_fma_f32 v6, v0, s0, -v4
	v_fmac_f32_e32 v6, 0x3377d1cf, v0
	s_mov_b32 s0, 0x7f800000
	v_add_f32_e32 v4, v4, v6
	v_cmp_lt_f32_e64 s[0:1], |v0|, s0
	v_cndmask_b32_e64 v0, v0, v4, s[0:1]
	v_mov_b32_e32 v4, 0x41b17218
	v_cndmask_b32_e32 v4, 0, v4, vcc
	v_sub_f32_e32 v0, v0, v4
	s_lshl_b64 s[0:1], s[14:15], 2
	v_sub_f32_e32 v4, v1, v0
	v_mov_b32_e32 v1, s1
	v_add_co_u32_e32 v0, vcc, s0, v2
	v_addc_co_u32_e32 v1, vcc, v3, v1, vcc
	global_store_dword v[0:1], v4, off
.LBB170_10:
	s_endpgm
	.section	.rodata,"a",@progbits
	.p2align	6, 0x0
	.amdhsa_kernel _ZN12_GLOBAL__N_120softmax_warp_forwardIN3c108BFloat16EffLi2ELb1ELb0ELi64EEEvPT0_PKT_iiiPKbib
		.amdhsa_group_segment_fixed_size 0
		.amdhsa_private_segment_fixed_size 0
		.amdhsa_kernarg_size 304
		.amdhsa_user_sgpr_count 6
		.amdhsa_user_sgpr_private_segment_buffer 1
		.amdhsa_user_sgpr_dispatch_ptr 0
		.amdhsa_user_sgpr_queue_ptr 0
		.amdhsa_user_sgpr_kernarg_segment_ptr 1
		.amdhsa_user_sgpr_dispatch_id 0
		.amdhsa_user_sgpr_flat_scratch_init 0
		.amdhsa_user_sgpr_kernarg_preload_length 0
		.amdhsa_user_sgpr_kernarg_preload_offset 0
		.amdhsa_user_sgpr_private_segment_size 0
		.amdhsa_uses_dynamic_stack 0
		.amdhsa_system_sgpr_private_segment_wavefront_offset 0
		.amdhsa_system_sgpr_workgroup_id_x 1
		.amdhsa_system_sgpr_workgroup_id_y 0
		.amdhsa_system_sgpr_workgroup_id_z 0
		.amdhsa_system_sgpr_workgroup_info 0
		.amdhsa_system_vgpr_workitem_id 1
		.amdhsa_next_free_vgpr 15
		.amdhsa_next_free_sgpr 16
		.amdhsa_accum_offset 16
		.amdhsa_reserve_vcc 1
		.amdhsa_reserve_flat_scratch 0
		.amdhsa_float_round_mode_32 0
		.amdhsa_float_round_mode_16_64 0
		.amdhsa_float_denorm_mode_32 3
		.amdhsa_float_denorm_mode_16_64 3
		.amdhsa_dx10_clamp 1
		.amdhsa_ieee_mode 1
		.amdhsa_fp16_overflow 0
		.amdhsa_tg_split 0
		.amdhsa_exception_fp_ieee_invalid_op 0
		.amdhsa_exception_fp_denorm_src 0
		.amdhsa_exception_fp_ieee_div_zero 0
		.amdhsa_exception_fp_ieee_overflow 0
		.amdhsa_exception_fp_ieee_underflow 0
		.amdhsa_exception_fp_ieee_inexact 0
		.amdhsa_exception_int_div_zero 0
	.end_amdhsa_kernel
	.section	.text._ZN12_GLOBAL__N_120softmax_warp_forwardIN3c108BFloat16EffLi2ELb1ELb0ELi64EEEvPT0_PKT_iiiPKbib,"axG",@progbits,_ZN12_GLOBAL__N_120softmax_warp_forwardIN3c108BFloat16EffLi2ELb1ELb0ELi64EEEvPT0_PKT_iiiPKbib,comdat
.Lfunc_end170:
	.size	_ZN12_GLOBAL__N_120softmax_warp_forwardIN3c108BFloat16EffLi2ELb1ELb0ELi64EEEvPT0_PKT_iiiPKbib, .Lfunc_end170-_ZN12_GLOBAL__N_120softmax_warp_forwardIN3c108BFloat16EffLi2ELb1ELb0ELi64EEEvPT0_PKT_iiiPKbib
                                        ; -- End function
	.section	.AMDGPU.csdata,"",@progbits
; Kernel info:
; codeLenInByte = 1024
; NumSgprs: 20
; NumVgprs: 15
; NumAgprs: 0
; TotalNumVgprs: 15
; ScratchSize: 0
; MemoryBound: 0
; FloatMode: 240
; IeeeMode: 1
; LDSByteSize: 0 bytes/workgroup (compile time only)
; SGPRBlocks: 2
; VGPRBlocks: 1
; NumSGPRsForWavesPerEU: 20
; NumVGPRsForWavesPerEU: 15
; AccumOffset: 16
; Occupancy: 8
; WaveLimiterHint : 0
; COMPUTE_PGM_RSRC2:SCRATCH_EN: 0
; COMPUTE_PGM_RSRC2:USER_SGPR: 6
; COMPUTE_PGM_RSRC2:TRAP_HANDLER: 0
; COMPUTE_PGM_RSRC2:TGID_X_EN: 1
; COMPUTE_PGM_RSRC2:TGID_Y_EN: 0
; COMPUTE_PGM_RSRC2:TGID_Z_EN: 0
; COMPUTE_PGM_RSRC2:TIDIG_COMP_CNT: 1
; COMPUTE_PGM_RSRC3_GFX90A:ACCUM_OFFSET: 3
; COMPUTE_PGM_RSRC3_GFX90A:TG_SPLIT: 0
	.section	.text._ZN12_GLOBAL__N_120softmax_warp_forwardIN3c108BFloat16EffLi2ELb1ELb0ELi32EEEvPT0_PKT_iiiPKbib,"axG",@progbits,_ZN12_GLOBAL__N_120softmax_warp_forwardIN3c108BFloat16EffLi2ELb1ELb0ELi32EEEvPT0_PKT_iiiPKbib,comdat
	.globl	_ZN12_GLOBAL__N_120softmax_warp_forwardIN3c108BFloat16EffLi2ELb1ELb0ELi32EEEvPT0_PKT_iiiPKbib ; -- Begin function _ZN12_GLOBAL__N_120softmax_warp_forwardIN3c108BFloat16EffLi2ELb1ELb0ELi32EEEvPT0_PKT_iiiPKbib
	.p2align	8
	.type	_ZN12_GLOBAL__N_120softmax_warp_forwardIN3c108BFloat16EffLi2ELb1ELb0ELi32EEEvPT0_PKT_iiiPKbib,@function
_ZN12_GLOBAL__N_120softmax_warp_forwardIN3c108BFloat16EffLi2ELb1ELb0ELi32EEEvPT0_PKT_iiiPKbib: ; @_ZN12_GLOBAL__N_120softmax_warp_forwardIN3c108BFloat16EffLi2ELb1ELb0ELi32EEEvPT0_PKT_iiiPKbib
; %bb.0:
	s_load_dword s0, s[4:5], 0x3c
	s_load_dwordx8 s[8:15], s[4:5], 0x0
	v_bfe_u32 v1, v0, 10, 10
	v_and_b32_e32 v0, 0x3ff, v0
	s_waitcnt lgkmcnt(0)
	s_lshr_b32 s0, s0, 16
	s_mul_i32 s6, s6, s0
	v_add_lshl_u32 v1, s6, v1, 1
	v_mad_u64_u32 v[2:3], s[0:1], v1, s13, v[0:1]
	v_ashrrev_i32_e32 v3, 31, v2
	v_lshlrev_b64 v[4:5], 1, v[2:3]
	v_sub_u32_e32 v10, s12, v1
	v_mov_b32_e32 v1, s11
	v_add_co_u32_e32 v4, vcc, s10, v4
	v_addc_co_u32_e32 v5, vcc, v1, v5, vcc
	v_cmp_gt_i32_e32 vcc, s14, v0
	v_cmp_lt_i32_e64 s[0:1], 0, v10
	s_and_b64 s[4:5], vcc, s[0:1]
	v_mov_b32_e32 v1, 0xff800000
	v_mov_b32_e32 v0, 0xff800000
	s_and_saveexec_b64 s[2:3], s[4:5]
	s_cbranch_execz .LBB171_2
; %bb.1:
	global_load_ushort v0, v[4:5], off
	s_waitcnt vmcnt(0)
	v_lshlrev_b32_e32 v0, 16, v0
.LBB171_2:
	s_or_b64 exec, exec, s[2:3]
	v_cmp_lt_i32_e64 s[2:3], 1, v10
	s_and_b64 s[2:3], vcc, s[2:3]
	s_and_saveexec_b64 s[4:5], s[2:3]
	s_cbranch_execz .LBB171_4
; %bb.3:
	s_mov_b32 s15, 0
	s_lshl_b64 s[2:3], s[14:15], 1
	v_mov_b32_e32 v1, s3
	v_add_co_u32_e64 v4, s[2:3], s2, v4
	v_addc_co_u32_e64 v5, s[2:3], v5, v1, s[2:3]
	global_load_ushort v1, v[4:5], off
	s_waitcnt vmcnt(0)
	v_lshlrev_b32_e32 v1, 16, v1
.LBB171_4:
	s_or_b64 exec, exec, s[4:5]
	v_mbcnt_lo_u32_b32 v4, -1, 0
	v_mbcnt_hi_u32_b32 v4, -1, v4
	v_and_b32_e32 v5, 0x7c, v4
	v_add_u32_e32 v5, 4, v5
	v_xor_b32_e32 v6, 2, v4
	v_cmp_lt_i32_e64 s[2:3], v6, v5
	v_cndmask_b32_e64 v6, v4, v6, s[2:3]
	v_lshlrev_b32_e32 v9, 2, v6
	ds_bpermute_b32 v7, v9, v1
	ds_bpermute_b32 v6, v9, v0
	v_xor_b32_e32 v8, 1, v4
	v_cmp_lt_i32_e64 s[2:3], v8, v5
	v_cndmask_b32_e64 v4, v4, v8, s[2:3]
	s_waitcnt lgkmcnt(1)
	v_cmp_lt_f32_e64 s[2:3], v1, v7
	v_lshlrev_b32_e32 v11, 2, v4
	v_cndmask_b32_e64 v4, v1, v7, s[2:3]
	s_waitcnt lgkmcnt(0)
	v_cmp_lt_f32_e64 s[2:3], v0, v6
	ds_bpermute_b32 v5, v11, v4
	v_cndmask_b32_e64 v6, v0, v6, s[2:3]
	ds_bpermute_b32 v7, v11, v6
	s_mov_b32 s4, 0x3fb8aa3b
	s_mov_b32 s5, 0xc2ce8ed0
	s_waitcnt lgkmcnt(1)
	v_cmp_lt_f32_e64 s[2:3], v4, v5
	v_cndmask_b32_e64 v5, v4, v5, s[2:3]
	s_waitcnt lgkmcnt(0)
	v_cmp_lt_f32_e64 s[2:3], v6, v7
	v_cndmask_b32_e64 v4, v6, v7, s[2:3]
	v_pk_add_f32 v[6:7], v[0:1], v[4:5] neg_lo:[0,1] neg_hi:[0,1]
	v_mul_f32_e32 v8, 0x3fb8aa3b, v7
	v_fma_f32 v12, v7, s4, -v8
	v_rndne_f32_e32 v13, v8
	v_fmac_f32_e32 v12, 0x32a5705f, v7
	v_sub_f32_e32 v8, v8, v13
	v_add_f32_e32 v8, v8, v12
	v_exp_f32_e32 v8, v8
	v_cvt_i32_f32_e32 v12, v13
	v_cmp_ngt_f32_e64 s[2:3], s5, v7
	s_mov_b32 s6, 0x42b17218
	v_ldexp_f32 v8, v8, v12
	v_mul_f32_e32 v12, 0x3fb8aa3b, v6
	v_fma_f32 v13, v6, s4, -v12
	v_rndne_f32_e32 v14, v12
	v_fmac_f32_e32 v13, 0x32a5705f, v6
	v_sub_f32_e32 v12, v12, v14
	v_add_f32_e32 v12, v12, v13
	v_exp_f32_e32 v12, v12
	v_cvt_i32_f32_e32 v13, v14
	v_cndmask_b32_e64 v8, 0, v8, s[2:3]
	v_mov_b32_e32 v14, 0x7f800000
	v_cmp_nlt_f32_e64 s[2:3], s6, v7
	v_cndmask_b32_e64 v7, v14, v8, s[2:3]
	v_ldexp_f32 v8, v12, v13
	v_cmp_ngt_f32_e64 s[2:3], s5, v6
	v_cndmask_b32_e64 v8, 0, v8, s[2:3]
	v_cmp_nlt_f32_e64 s[2:3], s6, v6
	v_cndmask_b32_e64 v6, v14, v8, s[2:3]
	ds_bpermute_b32 v8, v9, v6
	ds_bpermute_b32 v9, v9, v7
	s_waitcnt lgkmcnt(0)
	v_pk_add_f32 v[6:7], v[6:7], v[8:9]
	ds_bpermute_b32 v8, v11, v6
	ds_bpermute_b32 v9, v11, v7
	s_and_saveexec_b64 s[2:3], s[0:1]
	s_cbranch_execz .LBB171_10
; %bb.5:
	v_lshlrev_b64 v[2:3], 2, v[2:3]
	v_mov_b32_e32 v11, s9
	v_add_co_u32_e64 v2, s[0:1], s8, v2
	v_addc_co_u32_e64 v3, s[0:1], v11, v3, s[0:1]
	s_waitcnt lgkmcnt(0)
	v_pk_add_f32 v[6:7], v[6:7], v[8:9]
	s_and_saveexec_b64 s[4:5], vcc
	s_cbranch_execz .LBB171_7
; %bb.6:
	s_mov_b32 s0, 0x800000
	v_mov_b32_e32 v8, 0x4f800000
	v_cmp_gt_f32_e64 s[0:1], s0, v6
	v_cndmask_b32_e64 v8, 1.0, v8, s[0:1]
	v_mul_f32_e32 v6, v6, v8
	v_log_f32_e32 v6, v6
	s_mov_b32 s2, 0x3f317217
	v_sub_f32_e32 v0, v0, v4
	v_mul_f32_e32 v8, 0x3f317217, v6
	v_fma_f32 v9, v6, s2, -v8
	v_fmac_f32_e32 v9, 0x3377d1cf, v6
	s_mov_b32 s2, 0x7f800000
	v_add_f32_e32 v8, v8, v9
	v_cmp_lt_f32_e64 s[2:3], |v6|, s2
	v_cndmask_b32_e64 v6, v6, v8, s[2:3]
	v_mov_b32_e32 v8, 0x41b17218
	v_cndmask_b32_e64 v8, 0, v8, s[0:1]
	v_sub_f32_e32 v6, v6, v8
	v_sub_f32_e32 v0, v0, v6
	global_store_dword v[2:3], v0, off
.LBB171_7:
	s_or_b64 exec, exec, s[4:5]
	v_cmp_ne_u32_e64 s[0:1], 1, v10
	s_and_b64 exec, exec, s[0:1]
	s_cbranch_execz .LBB171_10
; %bb.8:
	s_and_b64 exec, exec, vcc
	s_cbranch_execz .LBB171_10
; %bb.9:
	s_mov_b32 s0, 0x800000
	v_mov_b32_e32 v0, 0x4f800000
	v_cmp_gt_f32_e32 vcc, s0, v7
	v_cndmask_b32_e32 v0, 1.0, v0, vcc
	v_mul_f32_e32 v0, v7, v0
	v_log_f32_e32 v0, v0
	s_mov_b32 s0, 0x3f317217
	s_mov_b32 s15, 0
	v_sub_f32_e32 v1, v1, v5
	v_mul_f32_e32 v4, 0x3f317217, v0
	v_fma_f32 v6, v0, s0, -v4
	v_fmac_f32_e32 v6, 0x3377d1cf, v0
	s_mov_b32 s0, 0x7f800000
	v_add_f32_e32 v4, v4, v6
	v_cmp_lt_f32_e64 s[0:1], |v0|, s0
	v_cndmask_b32_e64 v0, v0, v4, s[0:1]
	v_mov_b32_e32 v4, 0x41b17218
	v_cndmask_b32_e32 v4, 0, v4, vcc
	v_sub_f32_e32 v0, v0, v4
	s_lshl_b64 s[0:1], s[14:15], 2
	v_sub_f32_e32 v4, v1, v0
	v_mov_b32_e32 v1, s1
	v_add_co_u32_e32 v0, vcc, s0, v2
	v_addc_co_u32_e32 v1, vcc, v3, v1, vcc
	global_store_dword v[0:1], v4, off
.LBB171_10:
	s_endpgm
	.section	.rodata,"a",@progbits
	.p2align	6, 0x0
	.amdhsa_kernel _ZN12_GLOBAL__N_120softmax_warp_forwardIN3c108BFloat16EffLi2ELb1ELb0ELi32EEEvPT0_PKT_iiiPKbib
		.amdhsa_group_segment_fixed_size 0
		.amdhsa_private_segment_fixed_size 0
		.amdhsa_kernarg_size 304
		.amdhsa_user_sgpr_count 6
		.amdhsa_user_sgpr_private_segment_buffer 1
		.amdhsa_user_sgpr_dispatch_ptr 0
		.amdhsa_user_sgpr_queue_ptr 0
		.amdhsa_user_sgpr_kernarg_segment_ptr 1
		.amdhsa_user_sgpr_dispatch_id 0
		.amdhsa_user_sgpr_flat_scratch_init 0
		.amdhsa_user_sgpr_kernarg_preload_length 0
		.amdhsa_user_sgpr_kernarg_preload_offset 0
		.amdhsa_user_sgpr_private_segment_size 0
		.amdhsa_uses_dynamic_stack 0
		.amdhsa_system_sgpr_private_segment_wavefront_offset 0
		.amdhsa_system_sgpr_workgroup_id_x 1
		.amdhsa_system_sgpr_workgroup_id_y 0
		.amdhsa_system_sgpr_workgroup_id_z 0
		.amdhsa_system_sgpr_workgroup_info 0
		.amdhsa_system_vgpr_workitem_id 1
		.amdhsa_next_free_vgpr 15
		.amdhsa_next_free_sgpr 16
		.amdhsa_accum_offset 16
		.amdhsa_reserve_vcc 1
		.amdhsa_reserve_flat_scratch 0
		.amdhsa_float_round_mode_32 0
		.amdhsa_float_round_mode_16_64 0
		.amdhsa_float_denorm_mode_32 3
		.amdhsa_float_denorm_mode_16_64 3
		.amdhsa_dx10_clamp 1
		.amdhsa_ieee_mode 1
		.amdhsa_fp16_overflow 0
		.amdhsa_tg_split 0
		.amdhsa_exception_fp_ieee_invalid_op 0
		.amdhsa_exception_fp_denorm_src 0
		.amdhsa_exception_fp_ieee_div_zero 0
		.amdhsa_exception_fp_ieee_overflow 0
		.amdhsa_exception_fp_ieee_underflow 0
		.amdhsa_exception_fp_ieee_inexact 0
		.amdhsa_exception_int_div_zero 0
	.end_amdhsa_kernel
	.section	.text._ZN12_GLOBAL__N_120softmax_warp_forwardIN3c108BFloat16EffLi2ELb1ELb0ELi32EEEvPT0_PKT_iiiPKbib,"axG",@progbits,_ZN12_GLOBAL__N_120softmax_warp_forwardIN3c108BFloat16EffLi2ELb1ELb0ELi32EEEvPT0_PKT_iiiPKbib,comdat
.Lfunc_end171:
	.size	_ZN12_GLOBAL__N_120softmax_warp_forwardIN3c108BFloat16EffLi2ELb1ELb0ELi32EEEvPT0_PKT_iiiPKbib, .Lfunc_end171-_ZN12_GLOBAL__N_120softmax_warp_forwardIN3c108BFloat16EffLi2ELb1ELb0ELi32EEEvPT0_PKT_iiiPKbib
                                        ; -- End function
	.section	.AMDGPU.csdata,"",@progbits
; Kernel info:
; codeLenInByte = 1024
; NumSgprs: 20
; NumVgprs: 15
; NumAgprs: 0
; TotalNumVgprs: 15
; ScratchSize: 0
; MemoryBound: 0
; FloatMode: 240
; IeeeMode: 1
; LDSByteSize: 0 bytes/workgroup (compile time only)
; SGPRBlocks: 2
; VGPRBlocks: 1
; NumSGPRsForWavesPerEU: 20
; NumVGPRsForWavesPerEU: 15
; AccumOffset: 16
; Occupancy: 8
; WaveLimiterHint : 0
; COMPUTE_PGM_RSRC2:SCRATCH_EN: 0
; COMPUTE_PGM_RSRC2:USER_SGPR: 6
; COMPUTE_PGM_RSRC2:TRAP_HANDLER: 0
; COMPUTE_PGM_RSRC2:TGID_X_EN: 1
; COMPUTE_PGM_RSRC2:TGID_Y_EN: 0
; COMPUTE_PGM_RSRC2:TGID_Z_EN: 0
; COMPUTE_PGM_RSRC2:TIDIG_COMP_CNT: 1
; COMPUTE_PGM_RSRC3_GFX90A:ACCUM_OFFSET: 3
; COMPUTE_PGM_RSRC3_GFX90A:TG_SPLIT: 0
	.section	.text._ZN12_GLOBAL__N_120softmax_warp_forwardIN3c108BFloat16EffLi3ELb1ELb0ELi64EEEvPT0_PKT_iiiPKbib,"axG",@progbits,_ZN12_GLOBAL__N_120softmax_warp_forwardIN3c108BFloat16EffLi3ELb1ELb0ELi64EEEvPT0_PKT_iiiPKbib,comdat
	.globl	_ZN12_GLOBAL__N_120softmax_warp_forwardIN3c108BFloat16EffLi3ELb1ELb0ELi64EEEvPT0_PKT_iiiPKbib ; -- Begin function _ZN12_GLOBAL__N_120softmax_warp_forwardIN3c108BFloat16EffLi3ELb1ELb0ELi64EEEvPT0_PKT_iiiPKbib
	.p2align	8
	.type	_ZN12_GLOBAL__N_120softmax_warp_forwardIN3c108BFloat16EffLi3ELb1ELb0ELi64EEEvPT0_PKT_iiiPKbib,@function
_ZN12_GLOBAL__N_120softmax_warp_forwardIN3c108BFloat16EffLi3ELb1ELb0ELi64EEEvPT0_PKT_iiiPKbib: ; @_ZN12_GLOBAL__N_120softmax_warp_forwardIN3c108BFloat16EffLi3ELb1ELb0ELi64EEEvPT0_PKT_iiiPKbib
; %bb.0:
	s_load_dword s0, s[4:5], 0x3c
	s_load_dwordx8 s[8:15], s[4:5], 0x0
	v_bfe_u32 v1, v0, 10, 10
	v_and_b32_e32 v0, 0x3ff, v0
	s_waitcnt lgkmcnt(0)
	s_lshr_b32 s0, s0, 16
	s_mul_i32 s6, s6, s0
	v_add_lshl_u32 v1, s6, v1, 1
	v_mad_u64_u32 v[2:3], s[0:1], v1, s13, v[0:1]
	v_ashrrev_i32_e32 v3, 31, v2
	v_lshlrev_b64 v[4:5], 1, v[2:3]
	v_sub_u32_e32 v10, s12, v1
	v_mov_b32_e32 v1, s11
	v_add_co_u32_e32 v4, vcc, s10, v4
	v_addc_co_u32_e32 v5, vcc, v1, v5, vcc
	v_cmp_gt_i32_e32 vcc, s14, v0
	v_cmp_lt_i32_e64 s[0:1], 0, v10
	s_and_b64 s[4:5], vcc, s[0:1]
	v_mov_b32_e32 v1, 0xff800000
	v_mov_b32_e32 v0, 0xff800000
	s_and_saveexec_b64 s[2:3], s[4:5]
	s_cbranch_execz .LBB172_2
; %bb.1:
	global_load_ushort v0, v[4:5], off
	s_waitcnt vmcnt(0)
	v_lshlrev_b32_e32 v0, 16, v0
.LBB172_2:
	s_or_b64 exec, exec, s[2:3]
	v_cmp_lt_i32_e64 s[2:3], 1, v10
	s_and_b64 s[2:3], vcc, s[2:3]
	s_and_saveexec_b64 s[4:5], s[2:3]
	s_cbranch_execz .LBB172_4
; %bb.3:
	s_mov_b32 s15, 0
	s_lshl_b64 s[2:3], s[14:15], 1
	v_mov_b32_e32 v1, s3
	v_add_co_u32_e64 v4, s[2:3], s2, v4
	v_addc_co_u32_e64 v5, s[2:3], v5, v1, s[2:3]
	global_load_ushort v1, v[4:5], off
	s_waitcnt vmcnt(0)
	v_lshlrev_b32_e32 v1, 16, v1
.LBB172_4:
	s_or_b64 exec, exec, s[4:5]
	v_mbcnt_lo_u32_b32 v4, -1, 0
	v_mbcnt_hi_u32_b32 v4, -1, v4
	v_and_b32_e32 v5, 0x78, v4
	v_add_u32_e32 v5, 8, v5
	v_xor_b32_e32 v6, 4, v4
	v_cmp_lt_i32_e64 s[2:3], v6, v5
	v_cndmask_b32_e64 v6, v4, v6, s[2:3]
	v_lshlrev_b32_e32 v9, 2, v6
	ds_bpermute_b32 v7, v9, v1
	v_xor_b32_e32 v8, 2, v4
	ds_bpermute_b32 v6, v9, v0
	v_cmp_lt_i32_e64 s[2:3], v8, v5
	v_cndmask_b32_e64 v8, v4, v8, s[2:3]
	v_lshlrev_b32_e32 v11, 2, v8
	v_xor_b32_e32 v8, 1, v4
	v_cmp_lt_i32_e64 s[2:3], v8, v5
	v_cndmask_b32_e64 v4, v4, v8, s[2:3]
	s_waitcnt lgkmcnt(1)
	v_cmp_lt_f32_e64 s[2:3], v1, v7
	v_cndmask_b32_e64 v5, v1, v7, s[2:3]
	s_waitcnt lgkmcnt(0)
	v_cmp_lt_f32_e64 s[2:3], v0, v6
	ds_bpermute_b32 v7, v11, v5
	v_cndmask_b32_e64 v6, v0, v6, s[2:3]
	ds_bpermute_b32 v8, v11, v6
	v_lshlrev_b32_e32 v12, 2, v4
	s_mov_b32 s4, 0x3fb8aa3b
	s_waitcnt lgkmcnt(1)
	v_cmp_lt_f32_e64 s[2:3], v5, v7
	v_cndmask_b32_e64 v4, v5, v7, s[2:3]
	s_waitcnt lgkmcnt(0)
	v_cmp_lt_f32_e64 s[2:3], v6, v8
	ds_bpermute_b32 v5, v12, v4
	v_cndmask_b32_e64 v6, v6, v8, s[2:3]
	ds_bpermute_b32 v7, v12, v6
	s_mov_b32 s5, 0xc2ce8ed0
	s_mov_b32 s6, 0x42b17218
	s_waitcnt lgkmcnt(1)
	v_cmp_lt_f32_e64 s[2:3], v4, v5
	v_cndmask_b32_e64 v5, v4, v5, s[2:3]
	s_waitcnt lgkmcnt(0)
	v_cmp_lt_f32_e64 s[2:3], v6, v7
	v_cndmask_b32_e64 v4, v6, v7, s[2:3]
	v_pk_add_f32 v[6:7], v[0:1], v[4:5] neg_lo:[0,1] neg_hi:[0,1]
	v_mul_f32_e32 v8, 0x3fb8aa3b, v7
	v_fma_f32 v13, v7, s4, -v8
	v_rndne_f32_e32 v14, v8
	v_fmac_f32_e32 v13, 0x32a5705f, v7
	v_sub_f32_e32 v8, v8, v14
	v_add_f32_e32 v8, v8, v13
	v_exp_f32_e32 v8, v8
	v_cvt_i32_f32_e32 v13, v14
	v_cmp_ngt_f32_e64 s[2:3], s5, v7
	v_ldexp_f32 v8, v8, v13
	v_mul_f32_e32 v13, 0x3fb8aa3b, v6
	v_fma_f32 v14, v6, s4, -v13
	v_rndne_f32_e32 v15, v13
	v_fmac_f32_e32 v14, 0x32a5705f, v6
	v_sub_f32_e32 v13, v13, v15
	v_add_f32_e32 v13, v13, v14
	v_exp_f32_e32 v13, v13
	v_cvt_i32_f32_e32 v14, v15
	v_cndmask_b32_e64 v8, 0, v8, s[2:3]
	v_mov_b32_e32 v15, 0x7f800000
	v_cmp_nlt_f32_e64 s[2:3], s6, v7
	v_cndmask_b32_e64 v7, v15, v8, s[2:3]
	v_ldexp_f32 v8, v13, v14
	v_cmp_ngt_f32_e64 s[2:3], s5, v6
	v_cndmask_b32_e64 v8, 0, v8, s[2:3]
	v_cmp_nlt_f32_e64 s[2:3], s6, v6
	v_cndmask_b32_e64 v6, v15, v8, s[2:3]
	ds_bpermute_b32 v8, v9, v6
	ds_bpermute_b32 v9, v9, v7
	s_waitcnt lgkmcnt(0)
	v_pk_add_f32 v[6:7], v[6:7], v[8:9]
	ds_bpermute_b32 v8, v11, v6
	ds_bpermute_b32 v9, v11, v7
	s_waitcnt lgkmcnt(0)
	v_pk_add_f32 v[6:7], v[6:7], v[8:9]
	ds_bpermute_b32 v8, v12, v6
	ds_bpermute_b32 v9, v12, v7
	s_and_saveexec_b64 s[2:3], s[0:1]
	s_cbranch_execz .LBB172_10
; %bb.5:
	v_lshlrev_b64 v[2:3], 2, v[2:3]
	v_mov_b32_e32 v11, s9
	v_add_co_u32_e64 v2, s[0:1], s8, v2
	v_addc_co_u32_e64 v3, s[0:1], v11, v3, s[0:1]
	s_waitcnt lgkmcnt(0)
	v_pk_add_f32 v[6:7], v[6:7], v[8:9]
	s_and_saveexec_b64 s[4:5], vcc
	s_cbranch_execz .LBB172_7
; %bb.6:
	s_mov_b32 s0, 0x800000
	v_mov_b32_e32 v8, 0x4f800000
	v_cmp_gt_f32_e64 s[0:1], s0, v6
	v_cndmask_b32_e64 v8, 1.0, v8, s[0:1]
	v_mul_f32_e32 v6, v6, v8
	v_log_f32_e32 v6, v6
	s_mov_b32 s2, 0x3f317217
	v_sub_f32_e32 v0, v0, v4
	v_mul_f32_e32 v8, 0x3f317217, v6
	v_fma_f32 v9, v6, s2, -v8
	v_fmac_f32_e32 v9, 0x3377d1cf, v6
	s_mov_b32 s2, 0x7f800000
	v_add_f32_e32 v8, v8, v9
	v_cmp_lt_f32_e64 s[2:3], |v6|, s2
	v_cndmask_b32_e64 v6, v6, v8, s[2:3]
	v_mov_b32_e32 v8, 0x41b17218
	v_cndmask_b32_e64 v8, 0, v8, s[0:1]
	v_sub_f32_e32 v6, v6, v8
	v_sub_f32_e32 v0, v0, v6
	global_store_dword v[2:3], v0, off
.LBB172_7:
	s_or_b64 exec, exec, s[4:5]
	v_cmp_ne_u32_e64 s[0:1], 1, v10
	s_and_b64 exec, exec, s[0:1]
	s_cbranch_execz .LBB172_10
; %bb.8:
	s_and_b64 exec, exec, vcc
	s_cbranch_execz .LBB172_10
; %bb.9:
	s_mov_b32 s0, 0x800000
	v_mov_b32_e32 v0, 0x4f800000
	v_cmp_gt_f32_e32 vcc, s0, v7
	v_cndmask_b32_e32 v0, 1.0, v0, vcc
	v_mul_f32_e32 v0, v7, v0
	v_log_f32_e32 v0, v0
	s_mov_b32 s0, 0x3f317217
	s_mov_b32 s15, 0
	v_sub_f32_e32 v1, v1, v5
	v_mul_f32_e32 v4, 0x3f317217, v0
	v_fma_f32 v6, v0, s0, -v4
	v_fmac_f32_e32 v6, 0x3377d1cf, v0
	s_mov_b32 s0, 0x7f800000
	v_add_f32_e32 v4, v4, v6
	v_cmp_lt_f32_e64 s[0:1], |v0|, s0
	v_cndmask_b32_e64 v0, v0, v4, s[0:1]
	v_mov_b32_e32 v4, 0x41b17218
	v_cndmask_b32_e32 v4, 0, v4, vcc
	v_sub_f32_e32 v0, v0, v4
	s_lshl_b64 s[0:1], s[14:15], 2
	v_sub_f32_e32 v4, v1, v0
	v_mov_b32_e32 v1, s1
	v_add_co_u32_e32 v0, vcc, s0, v2
	v_addc_co_u32_e32 v1, vcc, v3, v1, vcc
	global_store_dword v[0:1], v4, off
.LBB172_10:
	s_endpgm
	.section	.rodata,"a",@progbits
	.p2align	6, 0x0
	.amdhsa_kernel _ZN12_GLOBAL__N_120softmax_warp_forwardIN3c108BFloat16EffLi3ELb1ELb0ELi64EEEvPT0_PKT_iiiPKbib
		.amdhsa_group_segment_fixed_size 0
		.amdhsa_private_segment_fixed_size 0
		.amdhsa_kernarg_size 304
		.amdhsa_user_sgpr_count 6
		.amdhsa_user_sgpr_private_segment_buffer 1
		.amdhsa_user_sgpr_dispatch_ptr 0
		.amdhsa_user_sgpr_queue_ptr 0
		.amdhsa_user_sgpr_kernarg_segment_ptr 1
		.amdhsa_user_sgpr_dispatch_id 0
		.amdhsa_user_sgpr_flat_scratch_init 0
		.amdhsa_user_sgpr_kernarg_preload_length 0
		.amdhsa_user_sgpr_kernarg_preload_offset 0
		.amdhsa_user_sgpr_private_segment_size 0
		.amdhsa_uses_dynamic_stack 0
		.amdhsa_system_sgpr_private_segment_wavefront_offset 0
		.amdhsa_system_sgpr_workgroup_id_x 1
		.amdhsa_system_sgpr_workgroup_id_y 0
		.amdhsa_system_sgpr_workgroup_id_z 0
		.amdhsa_system_sgpr_workgroup_info 0
		.amdhsa_system_vgpr_workitem_id 1
		.amdhsa_next_free_vgpr 16
		.amdhsa_next_free_sgpr 16
		.amdhsa_accum_offset 16
		.amdhsa_reserve_vcc 1
		.amdhsa_reserve_flat_scratch 0
		.amdhsa_float_round_mode_32 0
		.amdhsa_float_round_mode_16_64 0
		.amdhsa_float_denorm_mode_32 3
		.amdhsa_float_denorm_mode_16_64 3
		.amdhsa_dx10_clamp 1
		.amdhsa_ieee_mode 1
		.amdhsa_fp16_overflow 0
		.amdhsa_tg_split 0
		.amdhsa_exception_fp_ieee_invalid_op 0
		.amdhsa_exception_fp_denorm_src 0
		.amdhsa_exception_fp_ieee_div_zero 0
		.amdhsa_exception_fp_ieee_overflow 0
		.amdhsa_exception_fp_ieee_underflow 0
		.amdhsa_exception_fp_ieee_inexact 0
		.amdhsa_exception_int_div_zero 0
	.end_amdhsa_kernel
	.section	.text._ZN12_GLOBAL__N_120softmax_warp_forwardIN3c108BFloat16EffLi3ELb1ELb0ELi64EEEvPT0_PKT_iiiPKbib,"axG",@progbits,_ZN12_GLOBAL__N_120softmax_warp_forwardIN3c108BFloat16EffLi3ELb1ELb0ELi64EEEvPT0_PKT_iiiPKbib,comdat
.Lfunc_end172:
	.size	_ZN12_GLOBAL__N_120softmax_warp_forwardIN3c108BFloat16EffLi3ELb1ELb0ELi64EEEvPT0_PKT_iiiPKbib, .Lfunc_end172-_ZN12_GLOBAL__N_120softmax_warp_forwardIN3c108BFloat16EffLi3ELb1ELb0ELi64EEEvPT0_PKT_iiiPKbib
                                        ; -- End function
	.section	.AMDGPU.csdata,"",@progbits
; Kernel info:
; codeLenInByte = 1132
; NumSgprs: 20
; NumVgprs: 16
; NumAgprs: 0
; TotalNumVgprs: 16
; ScratchSize: 0
; MemoryBound: 0
; FloatMode: 240
; IeeeMode: 1
; LDSByteSize: 0 bytes/workgroup (compile time only)
; SGPRBlocks: 2
; VGPRBlocks: 1
; NumSGPRsForWavesPerEU: 20
; NumVGPRsForWavesPerEU: 16
; AccumOffset: 16
; Occupancy: 8
; WaveLimiterHint : 0
; COMPUTE_PGM_RSRC2:SCRATCH_EN: 0
; COMPUTE_PGM_RSRC2:USER_SGPR: 6
; COMPUTE_PGM_RSRC2:TRAP_HANDLER: 0
; COMPUTE_PGM_RSRC2:TGID_X_EN: 1
; COMPUTE_PGM_RSRC2:TGID_Y_EN: 0
; COMPUTE_PGM_RSRC2:TGID_Z_EN: 0
; COMPUTE_PGM_RSRC2:TIDIG_COMP_CNT: 1
; COMPUTE_PGM_RSRC3_GFX90A:ACCUM_OFFSET: 3
; COMPUTE_PGM_RSRC3_GFX90A:TG_SPLIT: 0
	.section	.text._ZN12_GLOBAL__N_120softmax_warp_forwardIN3c108BFloat16EffLi3ELb1ELb0ELi32EEEvPT0_PKT_iiiPKbib,"axG",@progbits,_ZN12_GLOBAL__N_120softmax_warp_forwardIN3c108BFloat16EffLi3ELb1ELb0ELi32EEEvPT0_PKT_iiiPKbib,comdat
	.globl	_ZN12_GLOBAL__N_120softmax_warp_forwardIN3c108BFloat16EffLi3ELb1ELb0ELi32EEEvPT0_PKT_iiiPKbib ; -- Begin function _ZN12_GLOBAL__N_120softmax_warp_forwardIN3c108BFloat16EffLi3ELb1ELb0ELi32EEEvPT0_PKT_iiiPKbib
	.p2align	8
	.type	_ZN12_GLOBAL__N_120softmax_warp_forwardIN3c108BFloat16EffLi3ELb1ELb0ELi32EEEvPT0_PKT_iiiPKbib,@function
_ZN12_GLOBAL__N_120softmax_warp_forwardIN3c108BFloat16EffLi3ELb1ELb0ELi32EEEvPT0_PKT_iiiPKbib: ; @_ZN12_GLOBAL__N_120softmax_warp_forwardIN3c108BFloat16EffLi3ELb1ELb0ELi32EEEvPT0_PKT_iiiPKbib
; %bb.0:
	s_load_dword s0, s[4:5], 0x3c
	s_load_dwordx8 s[8:15], s[4:5], 0x0
	v_bfe_u32 v1, v0, 10, 10
	v_and_b32_e32 v0, 0x3ff, v0
	s_waitcnt lgkmcnt(0)
	s_lshr_b32 s0, s0, 16
	s_mul_i32 s6, s6, s0
	v_add_lshl_u32 v1, s6, v1, 1
	v_mad_u64_u32 v[2:3], s[0:1], v1, s13, v[0:1]
	v_ashrrev_i32_e32 v3, 31, v2
	v_lshlrev_b64 v[4:5], 1, v[2:3]
	v_sub_u32_e32 v10, s12, v1
	v_mov_b32_e32 v1, s11
	v_add_co_u32_e32 v4, vcc, s10, v4
	v_addc_co_u32_e32 v5, vcc, v1, v5, vcc
	v_cmp_gt_i32_e32 vcc, s14, v0
	v_cmp_lt_i32_e64 s[0:1], 0, v10
	s_and_b64 s[4:5], vcc, s[0:1]
	v_mov_b32_e32 v1, 0xff800000
	v_mov_b32_e32 v0, 0xff800000
	s_and_saveexec_b64 s[2:3], s[4:5]
	s_cbranch_execz .LBB173_2
; %bb.1:
	global_load_ushort v0, v[4:5], off
	s_waitcnt vmcnt(0)
	v_lshlrev_b32_e32 v0, 16, v0
.LBB173_2:
	s_or_b64 exec, exec, s[2:3]
	v_cmp_lt_i32_e64 s[2:3], 1, v10
	s_and_b64 s[2:3], vcc, s[2:3]
	s_and_saveexec_b64 s[4:5], s[2:3]
	s_cbranch_execz .LBB173_4
; %bb.3:
	s_mov_b32 s15, 0
	s_lshl_b64 s[2:3], s[14:15], 1
	v_mov_b32_e32 v1, s3
	v_add_co_u32_e64 v4, s[2:3], s2, v4
	v_addc_co_u32_e64 v5, s[2:3], v5, v1, s[2:3]
	global_load_ushort v1, v[4:5], off
	s_waitcnt vmcnt(0)
	v_lshlrev_b32_e32 v1, 16, v1
.LBB173_4:
	s_or_b64 exec, exec, s[4:5]
	v_mbcnt_lo_u32_b32 v4, -1, 0
	v_mbcnt_hi_u32_b32 v4, -1, v4
	v_and_b32_e32 v5, 0x78, v4
	v_add_u32_e32 v5, 8, v5
	v_xor_b32_e32 v6, 4, v4
	v_cmp_lt_i32_e64 s[2:3], v6, v5
	v_cndmask_b32_e64 v6, v4, v6, s[2:3]
	v_lshlrev_b32_e32 v9, 2, v6
	ds_bpermute_b32 v7, v9, v1
	v_xor_b32_e32 v8, 2, v4
	ds_bpermute_b32 v6, v9, v0
	v_cmp_lt_i32_e64 s[2:3], v8, v5
	v_cndmask_b32_e64 v8, v4, v8, s[2:3]
	v_lshlrev_b32_e32 v11, 2, v8
	v_xor_b32_e32 v8, 1, v4
	v_cmp_lt_i32_e64 s[2:3], v8, v5
	v_cndmask_b32_e64 v4, v4, v8, s[2:3]
	s_waitcnt lgkmcnt(1)
	v_cmp_lt_f32_e64 s[2:3], v1, v7
	v_cndmask_b32_e64 v5, v1, v7, s[2:3]
	s_waitcnt lgkmcnt(0)
	v_cmp_lt_f32_e64 s[2:3], v0, v6
	ds_bpermute_b32 v7, v11, v5
	v_cndmask_b32_e64 v6, v0, v6, s[2:3]
	ds_bpermute_b32 v8, v11, v6
	v_lshlrev_b32_e32 v12, 2, v4
	s_mov_b32 s4, 0x3fb8aa3b
	s_waitcnt lgkmcnt(1)
	v_cmp_lt_f32_e64 s[2:3], v5, v7
	v_cndmask_b32_e64 v4, v5, v7, s[2:3]
	s_waitcnt lgkmcnt(0)
	v_cmp_lt_f32_e64 s[2:3], v6, v8
	ds_bpermute_b32 v5, v12, v4
	v_cndmask_b32_e64 v6, v6, v8, s[2:3]
	ds_bpermute_b32 v7, v12, v6
	s_mov_b32 s5, 0xc2ce8ed0
	s_mov_b32 s6, 0x42b17218
	s_waitcnt lgkmcnt(1)
	v_cmp_lt_f32_e64 s[2:3], v4, v5
	v_cndmask_b32_e64 v5, v4, v5, s[2:3]
	s_waitcnt lgkmcnt(0)
	v_cmp_lt_f32_e64 s[2:3], v6, v7
	v_cndmask_b32_e64 v4, v6, v7, s[2:3]
	v_pk_add_f32 v[6:7], v[0:1], v[4:5] neg_lo:[0,1] neg_hi:[0,1]
	v_mul_f32_e32 v8, 0x3fb8aa3b, v7
	v_fma_f32 v13, v7, s4, -v8
	v_rndne_f32_e32 v14, v8
	v_fmac_f32_e32 v13, 0x32a5705f, v7
	v_sub_f32_e32 v8, v8, v14
	v_add_f32_e32 v8, v8, v13
	v_exp_f32_e32 v8, v8
	v_cvt_i32_f32_e32 v13, v14
	v_cmp_ngt_f32_e64 s[2:3], s5, v7
	v_ldexp_f32 v8, v8, v13
	v_mul_f32_e32 v13, 0x3fb8aa3b, v6
	v_fma_f32 v14, v6, s4, -v13
	v_rndne_f32_e32 v15, v13
	v_fmac_f32_e32 v14, 0x32a5705f, v6
	v_sub_f32_e32 v13, v13, v15
	v_add_f32_e32 v13, v13, v14
	v_exp_f32_e32 v13, v13
	v_cvt_i32_f32_e32 v14, v15
	v_cndmask_b32_e64 v8, 0, v8, s[2:3]
	v_mov_b32_e32 v15, 0x7f800000
	v_cmp_nlt_f32_e64 s[2:3], s6, v7
	v_cndmask_b32_e64 v7, v15, v8, s[2:3]
	v_ldexp_f32 v8, v13, v14
	v_cmp_ngt_f32_e64 s[2:3], s5, v6
	v_cndmask_b32_e64 v8, 0, v8, s[2:3]
	v_cmp_nlt_f32_e64 s[2:3], s6, v6
	v_cndmask_b32_e64 v6, v15, v8, s[2:3]
	ds_bpermute_b32 v8, v9, v6
	ds_bpermute_b32 v9, v9, v7
	s_waitcnt lgkmcnt(0)
	v_pk_add_f32 v[6:7], v[6:7], v[8:9]
	ds_bpermute_b32 v8, v11, v6
	ds_bpermute_b32 v9, v11, v7
	s_waitcnt lgkmcnt(0)
	v_pk_add_f32 v[6:7], v[6:7], v[8:9]
	ds_bpermute_b32 v8, v12, v6
	ds_bpermute_b32 v9, v12, v7
	s_and_saveexec_b64 s[2:3], s[0:1]
	s_cbranch_execz .LBB173_10
; %bb.5:
	v_lshlrev_b64 v[2:3], 2, v[2:3]
	v_mov_b32_e32 v11, s9
	v_add_co_u32_e64 v2, s[0:1], s8, v2
	v_addc_co_u32_e64 v3, s[0:1], v11, v3, s[0:1]
	s_waitcnt lgkmcnt(0)
	v_pk_add_f32 v[6:7], v[6:7], v[8:9]
	s_and_saveexec_b64 s[4:5], vcc
	s_cbranch_execz .LBB173_7
; %bb.6:
	s_mov_b32 s0, 0x800000
	v_mov_b32_e32 v8, 0x4f800000
	v_cmp_gt_f32_e64 s[0:1], s0, v6
	v_cndmask_b32_e64 v8, 1.0, v8, s[0:1]
	v_mul_f32_e32 v6, v6, v8
	v_log_f32_e32 v6, v6
	s_mov_b32 s2, 0x3f317217
	v_sub_f32_e32 v0, v0, v4
	v_mul_f32_e32 v8, 0x3f317217, v6
	v_fma_f32 v9, v6, s2, -v8
	v_fmac_f32_e32 v9, 0x3377d1cf, v6
	s_mov_b32 s2, 0x7f800000
	v_add_f32_e32 v8, v8, v9
	v_cmp_lt_f32_e64 s[2:3], |v6|, s2
	v_cndmask_b32_e64 v6, v6, v8, s[2:3]
	v_mov_b32_e32 v8, 0x41b17218
	v_cndmask_b32_e64 v8, 0, v8, s[0:1]
	v_sub_f32_e32 v6, v6, v8
	v_sub_f32_e32 v0, v0, v6
	global_store_dword v[2:3], v0, off
.LBB173_7:
	s_or_b64 exec, exec, s[4:5]
	v_cmp_ne_u32_e64 s[0:1], 1, v10
	s_and_b64 exec, exec, s[0:1]
	s_cbranch_execz .LBB173_10
; %bb.8:
	s_and_b64 exec, exec, vcc
	s_cbranch_execz .LBB173_10
; %bb.9:
	s_mov_b32 s0, 0x800000
	v_mov_b32_e32 v0, 0x4f800000
	v_cmp_gt_f32_e32 vcc, s0, v7
	v_cndmask_b32_e32 v0, 1.0, v0, vcc
	v_mul_f32_e32 v0, v7, v0
	v_log_f32_e32 v0, v0
	s_mov_b32 s0, 0x3f317217
	s_mov_b32 s15, 0
	v_sub_f32_e32 v1, v1, v5
	v_mul_f32_e32 v4, 0x3f317217, v0
	v_fma_f32 v6, v0, s0, -v4
	v_fmac_f32_e32 v6, 0x3377d1cf, v0
	s_mov_b32 s0, 0x7f800000
	v_add_f32_e32 v4, v4, v6
	v_cmp_lt_f32_e64 s[0:1], |v0|, s0
	v_cndmask_b32_e64 v0, v0, v4, s[0:1]
	v_mov_b32_e32 v4, 0x41b17218
	v_cndmask_b32_e32 v4, 0, v4, vcc
	v_sub_f32_e32 v0, v0, v4
	s_lshl_b64 s[0:1], s[14:15], 2
	v_sub_f32_e32 v4, v1, v0
	v_mov_b32_e32 v1, s1
	v_add_co_u32_e32 v0, vcc, s0, v2
	v_addc_co_u32_e32 v1, vcc, v3, v1, vcc
	global_store_dword v[0:1], v4, off
.LBB173_10:
	s_endpgm
	.section	.rodata,"a",@progbits
	.p2align	6, 0x0
	.amdhsa_kernel _ZN12_GLOBAL__N_120softmax_warp_forwardIN3c108BFloat16EffLi3ELb1ELb0ELi32EEEvPT0_PKT_iiiPKbib
		.amdhsa_group_segment_fixed_size 0
		.amdhsa_private_segment_fixed_size 0
		.amdhsa_kernarg_size 304
		.amdhsa_user_sgpr_count 6
		.amdhsa_user_sgpr_private_segment_buffer 1
		.amdhsa_user_sgpr_dispatch_ptr 0
		.amdhsa_user_sgpr_queue_ptr 0
		.amdhsa_user_sgpr_kernarg_segment_ptr 1
		.amdhsa_user_sgpr_dispatch_id 0
		.amdhsa_user_sgpr_flat_scratch_init 0
		.amdhsa_user_sgpr_kernarg_preload_length 0
		.amdhsa_user_sgpr_kernarg_preload_offset 0
		.amdhsa_user_sgpr_private_segment_size 0
		.amdhsa_uses_dynamic_stack 0
		.amdhsa_system_sgpr_private_segment_wavefront_offset 0
		.amdhsa_system_sgpr_workgroup_id_x 1
		.amdhsa_system_sgpr_workgroup_id_y 0
		.amdhsa_system_sgpr_workgroup_id_z 0
		.amdhsa_system_sgpr_workgroup_info 0
		.amdhsa_system_vgpr_workitem_id 1
		.amdhsa_next_free_vgpr 16
		.amdhsa_next_free_sgpr 16
		.amdhsa_accum_offset 16
		.amdhsa_reserve_vcc 1
		.amdhsa_reserve_flat_scratch 0
		.amdhsa_float_round_mode_32 0
		.amdhsa_float_round_mode_16_64 0
		.amdhsa_float_denorm_mode_32 3
		.amdhsa_float_denorm_mode_16_64 3
		.amdhsa_dx10_clamp 1
		.amdhsa_ieee_mode 1
		.amdhsa_fp16_overflow 0
		.amdhsa_tg_split 0
		.amdhsa_exception_fp_ieee_invalid_op 0
		.amdhsa_exception_fp_denorm_src 0
		.amdhsa_exception_fp_ieee_div_zero 0
		.amdhsa_exception_fp_ieee_overflow 0
		.amdhsa_exception_fp_ieee_underflow 0
		.amdhsa_exception_fp_ieee_inexact 0
		.amdhsa_exception_int_div_zero 0
	.end_amdhsa_kernel
	.section	.text._ZN12_GLOBAL__N_120softmax_warp_forwardIN3c108BFloat16EffLi3ELb1ELb0ELi32EEEvPT0_PKT_iiiPKbib,"axG",@progbits,_ZN12_GLOBAL__N_120softmax_warp_forwardIN3c108BFloat16EffLi3ELb1ELb0ELi32EEEvPT0_PKT_iiiPKbib,comdat
.Lfunc_end173:
	.size	_ZN12_GLOBAL__N_120softmax_warp_forwardIN3c108BFloat16EffLi3ELb1ELb0ELi32EEEvPT0_PKT_iiiPKbib, .Lfunc_end173-_ZN12_GLOBAL__N_120softmax_warp_forwardIN3c108BFloat16EffLi3ELb1ELb0ELi32EEEvPT0_PKT_iiiPKbib
                                        ; -- End function
	.section	.AMDGPU.csdata,"",@progbits
; Kernel info:
; codeLenInByte = 1132
; NumSgprs: 20
; NumVgprs: 16
; NumAgprs: 0
; TotalNumVgprs: 16
; ScratchSize: 0
; MemoryBound: 0
; FloatMode: 240
; IeeeMode: 1
; LDSByteSize: 0 bytes/workgroup (compile time only)
; SGPRBlocks: 2
; VGPRBlocks: 1
; NumSGPRsForWavesPerEU: 20
; NumVGPRsForWavesPerEU: 16
; AccumOffset: 16
; Occupancy: 8
; WaveLimiterHint : 0
; COMPUTE_PGM_RSRC2:SCRATCH_EN: 0
; COMPUTE_PGM_RSRC2:USER_SGPR: 6
; COMPUTE_PGM_RSRC2:TRAP_HANDLER: 0
; COMPUTE_PGM_RSRC2:TGID_X_EN: 1
; COMPUTE_PGM_RSRC2:TGID_Y_EN: 0
; COMPUTE_PGM_RSRC2:TGID_Z_EN: 0
; COMPUTE_PGM_RSRC2:TIDIG_COMP_CNT: 1
; COMPUTE_PGM_RSRC3_GFX90A:ACCUM_OFFSET: 3
; COMPUTE_PGM_RSRC3_GFX90A:TG_SPLIT: 0
	.section	.text._ZN12_GLOBAL__N_120softmax_warp_forwardIN3c108BFloat16EffLi4ELb1ELb0ELi64EEEvPT0_PKT_iiiPKbib,"axG",@progbits,_ZN12_GLOBAL__N_120softmax_warp_forwardIN3c108BFloat16EffLi4ELb1ELb0ELi64EEEvPT0_PKT_iiiPKbib,comdat
	.globl	_ZN12_GLOBAL__N_120softmax_warp_forwardIN3c108BFloat16EffLi4ELb1ELb0ELi64EEEvPT0_PKT_iiiPKbib ; -- Begin function _ZN12_GLOBAL__N_120softmax_warp_forwardIN3c108BFloat16EffLi4ELb1ELb0ELi64EEEvPT0_PKT_iiiPKbib
	.p2align	8
	.type	_ZN12_GLOBAL__N_120softmax_warp_forwardIN3c108BFloat16EffLi4ELb1ELb0ELi64EEEvPT0_PKT_iiiPKbib,@function
_ZN12_GLOBAL__N_120softmax_warp_forwardIN3c108BFloat16EffLi4ELb1ELb0ELi64EEEvPT0_PKT_iiiPKbib: ; @_ZN12_GLOBAL__N_120softmax_warp_forwardIN3c108BFloat16EffLi4ELb1ELb0ELi64EEEvPT0_PKT_iiiPKbib
; %bb.0:
	s_load_dword s0, s[4:5], 0x3c
	s_load_dwordx8 s[8:15], s[4:5], 0x0
	v_bfe_u32 v1, v0, 10, 10
	v_and_b32_e32 v0, 0x3ff, v0
	s_waitcnt lgkmcnt(0)
	s_lshr_b32 s0, s0, 16
	s_mul_i32 s6, s6, s0
	v_add_lshl_u32 v1, s6, v1, 1
	v_mad_u64_u32 v[2:3], s[0:1], v1, s13, v[0:1]
	v_ashrrev_i32_e32 v3, 31, v2
	v_lshlrev_b64 v[4:5], 1, v[2:3]
	v_sub_u32_e32 v10, s12, v1
	v_mov_b32_e32 v1, s11
	v_add_co_u32_e32 v4, vcc, s10, v4
	v_addc_co_u32_e32 v5, vcc, v1, v5, vcc
	v_cmp_gt_i32_e32 vcc, s14, v0
	v_cmp_lt_i32_e64 s[0:1], 0, v10
	s_and_b64 s[4:5], vcc, s[0:1]
	v_mov_b32_e32 v1, 0xff800000
	v_mov_b32_e32 v0, 0xff800000
	s_and_saveexec_b64 s[2:3], s[4:5]
	s_cbranch_execz .LBB174_2
; %bb.1:
	global_load_ushort v0, v[4:5], off
	s_waitcnt vmcnt(0)
	v_lshlrev_b32_e32 v0, 16, v0
.LBB174_2:
	s_or_b64 exec, exec, s[2:3]
	v_cmp_lt_i32_e64 s[2:3], 1, v10
	s_and_b64 s[2:3], vcc, s[2:3]
	s_and_saveexec_b64 s[4:5], s[2:3]
	s_cbranch_execz .LBB174_4
; %bb.3:
	s_mov_b32 s15, 0
	s_lshl_b64 s[2:3], s[14:15], 1
	v_mov_b32_e32 v1, s3
	v_add_co_u32_e64 v4, s[2:3], s2, v4
	v_addc_co_u32_e64 v5, s[2:3], v5, v1, s[2:3]
	global_load_ushort v1, v[4:5], off
	s_waitcnt vmcnt(0)
	v_lshlrev_b32_e32 v1, 16, v1
.LBB174_4:
	s_or_b64 exec, exec, s[4:5]
	v_mbcnt_lo_u32_b32 v4, -1, 0
	v_mbcnt_hi_u32_b32 v4, -1, v4
	v_and_b32_e32 v5, 0x70, v4
	v_add_u32_e32 v5, 16, v5
	v_xor_b32_e32 v6, 8, v4
	v_cmp_lt_i32_e64 s[2:3], v6, v5
	v_cndmask_b32_e64 v6, v4, v6, s[2:3]
	v_lshlrev_b32_e32 v9, 2, v6
	ds_bpermute_b32 v6, v9, v1
	ds_bpermute_b32 v7, v9, v0
	v_xor_b32_e32 v8, 4, v4
	v_xor_b32_e32 v13, 2, v4
	;; [unrolled: 1-line block ×3, first 2 shown]
	s_waitcnt lgkmcnt(1)
	v_cmp_lt_f32_e64 s[2:3], v1, v6
	v_cndmask_b32_e64 v6, v1, v6, s[2:3]
	s_waitcnt lgkmcnt(0)
	v_cmp_lt_f32_e64 s[2:3], v0, v7
	v_cndmask_b32_e64 v7, v0, v7, s[2:3]
	v_cmp_lt_i32_e64 s[2:3], v8, v5
	v_cndmask_b32_e64 v8, v4, v8, s[2:3]
	v_lshlrev_b32_e32 v11, 2, v8
	ds_bpermute_b32 v12, v11, v6
	ds_bpermute_b32 v8, v11, v7
	v_cmp_lt_i32_e64 s[2:3], v13, v5
	v_cndmask_b32_e64 v13, v4, v13, s[2:3]
	v_cmp_lt_i32_e64 s[2:3], v14, v5
	v_cndmask_b32_e64 v4, v4, v14, s[2:3]
	s_waitcnt lgkmcnt(1)
	v_cmp_lt_f32_e64 s[2:3], v6, v12
	v_lshlrev_b32_e32 v13, 2, v13
	v_cndmask_b32_e64 v5, v6, v12, s[2:3]
	s_waitcnt lgkmcnt(0)
	v_cmp_lt_f32_e64 s[2:3], v7, v8
	ds_bpermute_b32 v6, v13, v5
	v_cndmask_b32_e64 v7, v7, v8, s[2:3]
	ds_bpermute_b32 v8, v13, v7
	v_lshlrev_b32_e32 v12, 2, v4
	s_mov_b32 s4, 0x3fb8aa3b
	s_waitcnt lgkmcnt(1)
	v_cmp_lt_f32_e64 s[2:3], v5, v6
	v_cndmask_b32_e64 v4, v5, v6, s[2:3]
	s_waitcnt lgkmcnt(0)
	v_cmp_lt_f32_e64 s[2:3], v7, v8
	ds_bpermute_b32 v5, v12, v4
	v_cndmask_b32_e64 v6, v7, v8, s[2:3]
	ds_bpermute_b32 v7, v12, v6
	s_mov_b32 s5, 0xc2ce8ed0
	s_mov_b32 s6, 0x42b17218
	s_waitcnt lgkmcnt(1)
	v_cmp_lt_f32_e64 s[2:3], v4, v5
	v_cndmask_b32_e64 v5, v4, v5, s[2:3]
	s_waitcnt lgkmcnt(0)
	v_cmp_lt_f32_e64 s[2:3], v6, v7
	v_cndmask_b32_e64 v4, v6, v7, s[2:3]
	v_pk_add_f32 v[6:7], v[0:1], v[4:5] neg_lo:[0,1] neg_hi:[0,1]
	v_mul_f32_e32 v8, 0x3fb8aa3b, v7
	v_fma_f32 v14, v7, s4, -v8
	v_rndne_f32_e32 v15, v8
	v_fmac_f32_e32 v14, 0x32a5705f, v7
	v_sub_f32_e32 v8, v8, v15
	v_add_f32_e32 v8, v8, v14
	v_exp_f32_e32 v8, v8
	v_cvt_i32_f32_e32 v14, v15
	v_cmp_ngt_f32_e64 s[2:3], s5, v7
	v_ldexp_f32 v8, v8, v14
	v_mul_f32_e32 v14, 0x3fb8aa3b, v6
	v_fma_f32 v15, v6, s4, -v14
	v_rndne_f32_e32 v16, v14
	v_fmac_f32_e32 v15, 0x32a5705f, v6
	v_sub_f32_e32 v14, v14, v16
	v_add_f32_e32 v14, v14, v15
	v_exp_f32_e32 v14, v14
	v_cvt_i32_f32_e32 v15, v16
	v_cndmask_b32_e64 v8, 0, v8, s[2:3]
	v_mov_b32_e32 v16, 0x7f800000
	v_cmp_nlt_f32_e64 s[2:3], s6, v7
	v_cndmask_b32_e64 v7, v16, v8, s[2:3]
	v_ldexp_f32 v8, v14, v15
	v_cmp_ngt_f32_e64 s[2:3], s5, v6
	v_cndmask_b32_e64 v8, 0, v8, s[2:3]
	v_cmp_nlt_f32_e64 s[2:3], s6, v6
	v_cndmask_b32_e64 v6, v16, v8, s[2:3]
	ds_bpermute_b32 v8, v9, v6
	ds_bpermute_b32 v9, v9, v7
	s_waitcnt lgkmcnt(0)
	v_pk_add_f32 v[6:7], v[6:7], v[8:9]
	ds_bpermute_b32 v8, v11, v6
	ds_bpermute_b32 v9, v11, v7
	s_waitcnt lgkmcnt(0)
	v_pk_add_f32 v[6:7], v[6:7], v[8:9]
	;; [unrolled: 4-line block ×3, first 2 shown]
	ds_bpermute_b32 v8, v12, v6
	ds_bpermute_b32 v9, v12, v7
	s_and_saveexec_b64 s[2:3], s[0:1]
	s_cbranch_execz .LBB174_10
; %bb.5:
	v_lshlrev_b64 v[2:3], 2, v[2:3]
	v_mov_b32_e32 v11, s9
	v_add_co_u32_e64 v2, s[0:1], s8, v2
	v_addc_co_u32_e64 v3, s[0:1], v11, v3, s[0:1]
	s_waitcnt lgkmcnt(0)
	v_pk_add_f32 v[6:7], v[6:7], v[8:9]
	s_and_saveexec_b64 s[4:5], vcc
	s_cbranch_execz .LBB174_7
; %bb.6:
	s_mov_b32 s0, 0x800000
	v_mov_b32_e32 v8, 0x4f800000
	v_cmp_gt_f32_e64 s[0:1], s0, v6
	v_cndmask_b32_e64 v8, 1.0, v8, s[0:1]
	v_mul_f32_e32 v6, v6, v8
	v_log_f32_e32 v6, v6
	s_mov_b32 s2, 0x3f317217
	v_sub_f32_e32 v0, v0, v4
	v_mul_f32_e32 v8, 0x3f317217, v6
	v_fma_f32 v9, v6, s2, -v8
	v_fmac_f32_e32 v9, 0x3377d1cf, v6
	s_mov_b32 s2, 0x7f800000
	v_add_f32_e32 v8, v8, v9
	v_cmp_lt_f32_e64 s[2:3], |v6|, s2
	v_cndmask_b32_e64 v6, v6, v8, s[2:3]
	v_mov_b32_e32 v8, 0x41b17218
	v_cndmask_b32_e64 v8, 0, v8, s[0:1]
	v_sub_f32_e32 v6, v6, v8
	v_sub_f32_e32 v0, v0, v6
	global_store_dword v[2:3], v0, off
.LBB174_7:
	s_or_b64 exec, exec, s[4:5]
	v_cmp_ne_u32_e64 s[0:1], 1, v10
	s_and_b64 exec, exec, s[0:1]
	s_cbranch_execz .LBB174_10
; %bb.8:
	s_and_b64 exec, exec, vcc
	s_cbranch_execz .LBB174_10
; %bb.9:
	s_mov_b32 s0, 0x800000
	v_mov_b32_e32 v0, 0x4f800000
	v_cmp_gt_f32_e32 vcc, s0, v7
	v_cndmask_b32_e32 v0, 1.0, v0, vcc
	v_mul_f32_e32 v0, v7, v0
	v_log_f32_e32 v0, v0
	s_mov_b32 s0, 0x3f317217
	s_mov_b32 s15, 0
	v_sub_f32_e32 v1, v1, v5
	v_mul_f32_e32 v4, 0x3f317217, v0
	v_fma_f32 v6, v0, s0, -v4
	v_fmac_f32_e32 v6, 0x3377d1cf, v0
	s_mov_b32 s0, 0x7f800000
	v_add_f32_e32 v4, v4, v6
	v_cmp_lt_f32_e64 s[0:1], |v0|, s0
	v_cndmask_b32_e64 v0, v0, v4, s[0:1]
	v_mov_b32_e32 v4, 0x41b17218
	v_cndmask_b32_e32 v4, 0, v4, vcc
	v_sub_f32_e32 v0, v0, v4
	s_lshl_b64 s[0:1], s[14:15], 2
	v_sub_f32_e32 v4, v1, v0
	v_mov_b32_e32 v1, s1
	v_add_co_u32_e32 v0, vcc, s0, v2
	v_addc_co_u32_e32 v1, vcc, v3, v1, vcc
	global_store_dword v[0:1], v4, off
.LBB174_10:
	s_endpgm
	.section	.rodata,"a",@progbits
	.p2align	6, 0x0
	.amdhsa_kernel _ZN12_GLOBAL__N_120softmax_warp_forwardIN3c108BFloat16EffLi4ELb1ELb0ELi64EEEvPT0_PKT_iiiPKbib
		.amdhsa_group_segment_fixed_size 0
		.amdhsa_private_segment_fixed_size 0
		.amdhsa_kernarg_size 304
		.amdhsa_user_sgpr_count 6
		.amdhsa_user_sgpr_private_segment_buffer 1
		.amdhsa_user_sgpr_dispatch_ptr 0
		.amdhsa_user_sgpr_queue_ptr 0
		.amdhsa_user_sgpr_kernarg_segment_ptr 1
		.amdhsa_user_sgpr_dispatch_id 0
		.amdhsa_user_sgpr_flat_scratch_init 0
		.amdhsa_user_sgpr_kernarg_preload_length 0
		.amdhsa_user_sgpr_kernarg_preload_offset 0
		.amdhsa_user_sgpr_private_segment_size 0
		.amdhsa_uses_dynamic_stack 0
		.amdhsa_system_sgpr_private_segment_wavefront_offset 0
		.amdhsa_system_sgpr_workgroup_id_x 1
		.amdhsa_system_sgpr_workgroup_id_y 0
		.amdhsa_system_sgpr_workgroup_id_z 0
		.amdhsa_system_sgpr_workgroup_info 0
		.amdhsa_system_vgpr_workitem_id 1
		.amdhsa_next_free_vgpr 17
		.amdhsa_next_free_sgpr 16
		.amdhsa_accum_offset 20
		.amdhsa_reserve_vcc 1
		.amdhsa_reserve_flat_scratch 0
		.amdhsa_float_round_mode_32 0
		.amdhsa_float_round_mode_16_64 0
		.amdhsa_float_denorm_mode_32 3
		.amdhsa_float_denorm_mode_16_64 3
		.amdhsa_dx10_clamp 1
		.amdhsa_ieee_mode 1
		.amdhsa_fp16_overflow 0
		.amdhsa_tg_split 0
		.amdhsa_exception_fp_ieee_invalid_op 0
		.amdhsa_exception_fp_denorm_src 0
		.amdhsa_exception_fp_ieee_div_zero 0
		.amdhsa_exception_fp_ieee_overflow 0
		.amdhsa_exception_fp_ieee_underflow 0
		.amdhsa_exception_fp_ieee_inexact 0
		.amdhsa_exception_int_div_zero 0
	.end_amdhsa_kernel
	.section	.text._ZN12_GLOBAL__N_120softmax_warp_forwardIN3c108BFloat16EffLi4ELb1ELb0ELi64EEEvPT0_PKT_iiiPKbib,"axG",@progbits,_ZN12_GLOBAL__N_120softmax_warp_forwardIN3c108BFloat16EffLi4ELb1ELb0ELi64EEEvPT0_PKT_iiiPKbib,comdat
.Lfunc_end174:
	.size	_ZN12_GLOBAL__N_120softmax_warp_forwardIN3c108BFloat16EffLi4ELb1ELb0ELi64EEEvPT0_PKT_iiiPKbib, .Lfunc_end174-_ZN12_GLOBAL__N_120softmax_warp_forwardIN3c108BFloat16EffLi4ELb1ELb0ELi64EEEvPT0_PKT_iiiPKbib
                                        ; -- End function
	.section	.AMDGPU.csdata,"",@progbits
; Kernel info:
; codeLenInByte = 1240
; NumSgprs: 20
; NumVgprs: 17
; NumAgprs: 0
; TotalNumVgprs: 17
; ScratchSize: 0
; MemoryBound: 0
; FloatMode: 240
; IeeeMode: 1
; LDSByteSize: 0 bytes/workgroup (compile time only)
; SGPRBlocks: 2
; VGPRBlocks: 2
; NumSGPRsForWavesPerEU: 20
; NumVGPRsForWavesPerEU: 17
; AccumOffset: 20
; Occupancy: 8
; WaveLimiterHint : 0
; COMPUTE_PGM_RSRC2:SCRATCH_EN: 0
; COMPUTE_PGM_RSRC2:USER_SGPR: 6
; COMPUTE_PGM_RSRC2:TRAP_HANDLER: 0
; COMPUTE_PGM_RSRC2:TGID_X_EN: 1
; COMPUTE_PGM_RSRC2:TGID_Y_EN: 0
; COMPUTE_PGM_RSRC2:TGID_Z_EN: 0
; COMPUTE_PGM_RSRC2:TIDIG_COMP_CNT: 1
; COMPUTE_PGM_RSRC3_GFX90A:ACCUM_OFFSET: 4
; COMPUTE_PGM_RSRC3_GFX90A:TG_SPLIT: 0
	.section	.text._ZN12_GLOBAL__N_120softmax_warp_forwardIN3c108BFloat16EffLi4ELb1ELb0ELi32EEEvPT0_PKT_iiiPKbib,"axG",@progbits,_ZN12_GLOBAL__N_120softmax_warp_forwardIN3c108BFloat16EffLi4ELb1ELb0ELi32EEEvPT0_PKT_iiiPKbib,comdat
	.globl	_ZN12_GLOBAL__N_120softmax_warp_forwardIN3c108BFloat16EffLi4ELb1ELb0ELi32EEEvPT0_PKT_iiiPKbib ; -- Begin function _ZN12_GLOBAL__N_120softmax_warp_forwardIN3c108BFloat16EffLi4ELb1ELb0ELi32EEEvPT0_PKT_iiiPKbib
	.p2align	8
	.type	_ZN12_GLOBAL__N_120softmax_warp_forwardIN3c108BFloat16EffLi4ELb1ELb0ELi32EEEvPT0_PKT_iiiPKbib,@function
_ZN12_GLOBAL__N_120softmax_warp_forwardIN3c108BFloat16EffLi4ELb1ELb0ELi32EEEvPT0_PKT_iiiPKbib: ; @_ZN12_GLOBAL__N_120softmax_warp_forwardIN3c108BFloat16EffLi4ELb1ELb0ELi32EEEvPT0_PKT_iiiPKbib
; %bb.0:
	s_load_dword s0, s[4:5], 0x3c
	s_load_dwordx8 s[8:15], s[4:5], 0x0
	v_bfe_u32 v1, v0, 10, 10
	v_and_b32_e32 v0, 0x3ff, v0
	s_waitcnt lgkmcnt(0)
	s_lshr_b32 s0, s0, 16
	s_mul_i32 s6, s6, s0
	v_add_lshl_u32 v1, s6, v1, 1
	v_mad_u64_u32 v[2:3], s[0:1], v1, s13, v[0:1]
	v_ashrrev_i32_e32 v3, 31, v2
	v_lshlrev_b64 v[4:5], 1, v[2:3]
	v_sub_u32_e32 v10, s12, v1
	v_mov_b32_e32 v1, s11
	v_add_co_u32_e32 v4, vcc, s10, v4
	v_addc_co_u32_e32 v5, vcc, v1, v5, vcc
	v_cmp_gt_i32_e32 vcc, s14, v0
	v_cmp_lt_i32_e64 s[0:1], 0, v10
	s_and_b64 s[4:5], vcc, s[0:1]
	v_mov_b32_e32 v1, 0xff800000
	v_mov_b32_e32 v0, 0xff800000
	s_and_saveexec_b64 s[2:3], s[4:5]
	s_cbranch_execz .LBB175_2
; %bb.1:
	global_load_ushort v0, v[4:5], off
	s_waitcnt vmcnt(0)
	v_lshlrev_b32_e32 v0, 16, v0
.LBB175_2:
	s_or_b64 exec, exec, s[2:3]
	v_cmp_lt_i32_e64 s[2:3], 1, v10
	s_and_b64 s[2:3], vcc, s[2:3]
	s_and_saveexec_b64 s[4:5], s[2:3]
	s_cbranch_execz .LBB175_4
; %bb.3:
	s_mov_b32 s15, 0
	s_lshl_b64 s[2:3], s[14:15], 1
	v_mov_b32_e32 v1, s3
	v_add_co_u32_e64 v4, s[2:3], s2, v4
	v_addc_co_u32_e64 v5, s[2:3], v5, v1, s[2:3]
	global_load_ushort v1, v[4:5], off
	s_waitcnt vmcnt(0)
	v_lshlrev_b32_e32 v1, 16, v1
.LBB175_4:
	s_or_b64 exec, exec, s[4:5]
	v_mbcnt_lo_u32_b32 v4, -1, 0
	v_mbcnt_hi_u32_b32 v4, -1, v4
	v_and_b32_e32 v5, 0x70, v4
	v_add_u32_e32 v5, 16, v5
	v_xor_b32_e32 v6, 8, v4
	v_cmp_lt_i32_e64 s[2:3], v6, v5
	v_cndmask_b32_e64 v6, v4, v6, s[2:3]
	v_lshlrev_b32_e32 v9, 2, v6
	ds_bpermute_b32 v6, v9, v1
	ds_bpermute_b32 v7, v9, v0
	v_xor_b32_e32 v8, 4, v4
	v_xor_b32_e32 v13, 2, v4
	;; [unrolled: 1-line block ×3, first 2 shown]
	s_waitcnt lgkmcnt(1)
	v_cmp_lt_f32_e64 s[2:3], v1, v6
	v_cndmask_b32_e64 v6, v1, v6, s[2:3]
	s_waitcnt lgkmcnt(0)
	v_cmp_lt_f32_e64 s[2:3], v0, v7
	v_cndmask_b32_e64 v7, v0, v7, s[2:3]
	v_cmp_lt_i32_e64 s[2:3], v8, v5
	v_cndmask_b32_e64 v8, v4, v8, s[2:3]
	v_lshlrev_b32_e32 v11, 2, v8
	ds_bpermute_b32 v12, v11, v6
	ds_bpermute_b32 v8, v11, v7
	v_cmp_lt_i32_e64 s[2:3], v13, v5
	v_cndmask_b32_e64 v13, v4, v13, s[2:3]
	v_cmp_lt_i32_e64 s[2:3], v14, v5
	v_cndmask_b32_e64 v4, v4, v14, s[2:3]
	s_waitcnt lgkmcnt(1)
	v_cmp_lt_f32_e64 s[2:3], v6, v12
	v_lshlrev_b32_e32 v13, 2, v13
	v_cndmask_b32_e64 v5, v6, v12, s[2:3]
	s_waitcnt lgkmcnt(0)
	v_cmp_lt_f32_e64 s[2:3], v7, v8
	ds_bpermute_b32 v6, v13, v5
	v_cndmask_b32_e64 v7, v7, v8, s[2:3]
	ds_bpermute_b32 v8, v13, v7
	v_lshlrev_b32_e32 v12, 2, v4
	s_mov_b32 s4, 0x3fb8aa3b
	s_waitcnt lgkmcnt(1)
	v_cmp_lt_f32_e64 s[2:3], v5, v6
	v_cndmask_b32_e64 v4, v5, v6, s[2:3]
	s_waitcnt lgkmcnt(0)
	v_cmp_lt_f32_e64 s[2:3], v7, v8
	ds_bpermute_b32 v5, v12, v4
	v_cndmask_b32_e64 v6, v7, v8, s[2:3]
	ds_bpermute_b32 v7, v12, v6
	s_mov_b32 s5, 0xc2ce8ed0
	s_mov_b32 s6, 0x42b17218
	s_waitcnt lgkmcnt(1)
	v_cmp_lt_f32_e64 s[2:3], v4, v5
	v_cndmask_b32_e64 v5, v4, v5, s[2:3]
	s_waitcnt lgkmcnt(0)
	v_cmp_lt_f32_e64 s[2:3], v6, v7
	v_cndmask_b32_e64 v4, v6, v7, s[2:3]
	v_pk_add_f32 v[6:7], v[0:1], v[4:5] neg_lo:[0,1] neg_hi:[0,1]
	v_mul_f32_e32 v8, 0x3fb8aa3b, v7
	v_fma_f32 v14, v7, s4, -v8
	v_rndne_f32_e32 v15, v8
	v_fmac_f32_e32 v14, 0x32a5705f, v7
	v_sub_f32_e32 v8, v8, v15
	v_add_f32_e32 v8, v8, v14
	v_exp_f32_e32 v8, v8
	v_cvt_i32_f32_e32 v14, v15
	v_cmp_ngt_f32_e64 s[2:3], s5, v7
	v_ldexp_f32 v8, v8, v14
	v_mul_f32_e32 v14, 0x3fb8aa3b, v6
	v_fma_f32 v15, v6, s4, -v14
	v_rndne_f32_e32 v16, v14
	v_fmac_f32_e32 v15, 0x32a5705f, v6
	v_sub_f32_e32 v14, v14, v16
	v_add_f32_e32 v14, v14, v15
	v_exp_f32_e32 v14, v14
	v_cvt_i32_f32_e32 v15, v16
	v_cndmask_b32_e64 v8, 0, v8, s[2:3]
	v_mov_b32_e32 v16, 0x7f800000
	v_cmp_nlt_f32_e64 s[2:3], s6, v7
	v_cndmask_b32_e64 v7, v16, v8, s[2:3]
	v_ldexp_f32 v8, v14, v15
	v_cmp_ngt_f32_e64 s[2:3], s5, v6
	v_cndmask_b32_e64 v8, 0, v8, s[2:3]
	v_cmp_nlt_f32_e64 s[2:3], s6, v6
	v_cndmask_b32_e64 v6, v16, v8, s[2:3]
	ds_bpermute_b32 v8, v9, v6
	ds_bpermute_b32 v9, v9, v7
	s_waitcnt lgkmcnt(0)
	v_pk_add_f32 v[6:7], v[6:7], v[8:9]
	ds_bpermute_b32 v8, v11, v6
	ds_bpermute_b32 v9, v11, v7
	s_waitcnt lgkmcnt(0)
	v_pk_add_f32 v[6:7], v[6:7], v[8:9]
	;; [unrolled: 4-line block ×3, first 2 shown]
	ds_bpermute_b32 v8, v12, v6
	ds_bpermute_b32 v9, v12, v7
	s_and_saveexec_b64 s[2:3], s[0:1]
	s_cbranch_execz .LBB175_10
; %bb.5:
	v_lshlrev_b64 v[2:3], 2, v[2:3]
	v_mov_b32_e32 v11, s9
	v_add_co_u32_e64 v2, s[0:1], s8, v2
	v_addc_co_u32_e64 v3, s[0:1], v11, v3, s[0:1]
	s_waitcnt lgkmcnt(0)
	v_pk_add_f32 v[6:7], v[6:7], v[8:9]
	s_and_saveexec_b64 s[4:5], vcc
	s_cbranch_execz .LBB175_7
; %bb.6:
	s_mov_b32 s0, 0x800000
	v_mov_b32_e32 v8, 0x4f800000
	v_cmp_gt_f32_e64 s[0:1], s0, v6
	v_cndmask_b32_e64 v8, 1.0, v8, s[0:1]
	v_mul_f32_e32 v6, v6, v8
	v_log_f32_e32 v6, v6
	s_mov_b32 s2, 0x3f317217
	v_sub_f32_e32 v0, v0, v4
	v_mul_f32_e32 v8, 0x3f317217, v6
	v_fma_f32 v9, v6, s2, -v8
	v_fmac_f32_e32 v9, 0x3377d1cf, v6
	s_mov_b32 s2, 0x7f800000
	v_add_f32_e32 v8, v8, v9
	v_cmp_lt_f32_e64 s[2:3], |v6|, s2
	v_cndmask_b32_e64 v6, v6, v8, s[2:3]
	v_mov_b32_e32 v8, 0x41b17218
	v_cndmask_b32_e64 v8, 0, v8, s[0:1]
	v_sub_f32_e32 v6, v6, v8
	v_sub_f32_e32 v0, v0, v6
	global_store_dword v[2:3], v0, off
.LBB175_7:
	s_or_b64 exec, exec, s[4:5]
	v_cmp_ne_u32_e64 s[0:1], 1, v10
	s_and_b64 exec, exec, s[0:1]
	s_cbranch_execz .LBB175_10
; %bb.8:
	s_and_b64 exec, exec, vcc
	s_cbranch_execz .LBB175_10
; %bb.9:
	s_mov_b32 s0, 0x800000
	v_mov_b32_e32 v0, 0x4f800000
	v_cmp_gt_f32_e32 vcc, s0, v7
	v_cndmask_b32_e32 v0, 1.0, v0, vcc
	v_mul_f32_e32 v0, v7, v0
	v_log_f32_e32 v0, v0
	s_mov_b32 s0, 0x3f317217
	s_mov_b32 s15, 0
	v_sub_f32_e32 v1, v1, v5
	v_mul_f32_e32 v4, 0x3f317217, v0
	v_fma_f32 v6, v0, s0, -v4
	v_fmac_f32_e32 v6, 0x3377d1cf, v0
	s_mov_b32 s0, 0x7f800000
	v_add_f32_e32 v4, v4, v6
	v_cmp_lt_f32_e64 s[0:1], |v0|, s0
	v_cndmask_b32_e64 v0, v0, v4, s[0:1]
	v_mov_b32_e32 v4, 0x41b17218
	v_cndmask_b32_e32 v4, 0, v4, vcc
	v_sub_f32_e32 v0, v0, v4
	s_lshl_b64 s[0:1], s[14:15], 2
	v_sub_f32_e32 v4, v1, v0
	v_mov_b32_e32 v1, s1
	v_add_co_u32_e32 v0, vcc, s0, v2
	v_addc_co_u32_e32 v1, vcc, v3, v1, vcc
	global_store_dword v[0:1], v4, off
.LBB175_10:
	s_endpgm
	.section	.rodata,"a",@progbits
	.p2align	6, 0x0
	.amdhsa_kernel _ZN12_GLOBAL__N_120softmax_warp_forwardIN3c108BFloat16EffLi4ELb1ELb0ELi32EEEvPT0_PKT_iiiPKbib
		.amdhsa_group_segment_fixed_size 0
		.amdhsa_private_segment_fixed_size 0
		.amdhsa_kernarg_size 304
		.amdhsa_user_sgpr_count 6
		.amdhsa_user_sgpr_private_segment_buffer 1
		.amdhsa_user_sgpr_dispatch_ptr 0
		.amdhsa_user_sgpr_queue_ptr 0
		.amdhsa_user_sgpr_kernarg_segment_ptr 1
		.amdhsa_user_sgpr_dispatch_id 0
		.amdhsa_user_sgpr_flat_scratch_init 0
		.amdhsa_user_sgpr_kernarg_preload_length 0
		.amdhsa_user_sgpr_kernarg_preload_offset 0
		.amdhsa_user_sgpr_private_segment_size 0
		.amdhsa_uses_dynamic_stack 0
		.amdhsa_system_sgpr_private_segment_wavefront_offset 0
		.amdhsa_system_sgpr_workgroup_id_x 1
		.amdhsa_system_sgpr_workgroup_id_y 0
		.amdhsa_system_sgpr_workgroup_id_z 0
		.amdhsa_system_sgpr_workgroup_info 0
		.amdhsa_system_vgpr_workitem_id 1
		.amdhsa_next_free_vgpr 17
		.amdhsa_next_free_sgpr 16
		.amdhsa_accum_offset 20
		.amdhsa_reserve_vcc 1
		.amdhsa_reserve_flat_scratch 0
		.amdhsa_float_round_mode_32 0
		.amdhsa_float_round_mode_16_64 0
		.amdhsa_float_denorm_mode_32 3
		.amdhsa_float_denorm_mode_16_64 3
		.amdhsa_dx10_clamp 1
		.amdhsa_ieee_mode 1
		.amdhsa_fp16_overflow 0
		.amdhsa_tg_split 0
		.amdhsa_exception_fp_ieee_invalid_op 0
		.amdhsa_exception_fp_denorm_src 0
		.amdhsa_exception_fp_ieee_div_zero 0
		.amdhsa_exception_fp_ieee_overflow 0
		.amdhsa_exception_fp_ieee_underflow 0
		.amdhsa_exception_fp_ieee_inexact 0
		.amdhsa_exception_int_div_zero 0
	.end_amdhsa_kernel
	.section	.text._ZN12_GLOBAL__N_120softmax_warp_forwardIN3c108BFloat16EffLi4ELb1ELb0ELi32EEEvPT0_PKT_iiiPKbib,"axG",@progbits,_ZN12_GLOBAL__N_120softmax_warp_forwardIN3c108BFloat16EffLi4ELb1ELb0ELi32EEEvPT0_PKT_iiiPKbib,comdat
.Lfunc_end175:
	.size	_ZN12_GLOBAL__N_120softmax_warp_forwardIN3c108BFloat16EffLi4ELb1ELb0ELi32EEEvPT0_PKT_iiiPKbib, .Lfunc_end175-_ZN12_GLOBAL__N_120softmax_warp_forwardIN3c108BFloat16EffLi4ELb1ELb0ELi32EEEvPT0_PKT_iiiPKbib
                                        ; -- End function
	.section	.AMDGPU.csdata,"",@progbits
; Kernel info:
; codeLenInByte = 1240
; NumSgprs: 20
; NumVgprs: 17
; NumAgprs: 0
; TotalNumVgprs: 17
; ScratchSize: 0
; MemoryBound: 0
; FloatMode: 240
; IeeeMode: 1
; LDSByteSize: 0 bytes/workgroup (compile time only)
; SGPRBlocks: 2
; VGPRBlocks: 2
; NumSGPRsForWavesPerEU: 20
; NumVGPRsForWavesPerEU: 17
; AccumOffset: 20
; Occupancy: 8
; WaveLimiterHint : 0
; COMPUTE_PGM_RSRC2:SCRATCH_EN: 0
; COMPUTE_PGM_RSRC2:USER_SGPR: 6
; COMPUTE_PGM_RSRC2:TRAP_HANDLER: 0
; COMPUTE_PGM_RSRC2:TGID_X_EN: 1
; COMPUTE_PGM_RSRC2:TGID_Y_EN: 0
; COMPUTE_PGM_RSRC2:TGID_Z_EN: 0
; COMPUTE_PGM_RSRC2:TIDIG_COMP_CNT: 1
; COMPUTE_PGM_RSRC3_GFX90A:ACCUM_OFFSET: 4
; COMPUTE_PGM_RSRC3_GFX90A:TG_SPLIT: 0
	.section	.text._ZN12_GLOBAL__N_120softmax_warp_forwardIN3c108BFloat16EffLi5ELb1ELb0ELi64EEEvPT0_PKT_iiiPKbib,"axG",@progbits,_ZN12_GLOBAL__N_120softmax_warp_forwardIN3c108BFloat16EffLi5ELb1ELb0ELi64EEEvPT0_PKT_iiiPKbib,comdat
	.globl	_ZN12_GLOBAL__N_120softmax_warp_forwardIN3c108BFloat16EffLi5ELb1ELb0ELi64EEEvPT0_PKT_iiiPKbib ; -- Begin function _ZN12_GLOBAL__N_120softmax_warp_forwardIN3c108BFloat16EffLi5ELb1ELb0ELi64EEEvPT0_PKT_iiiPKbib
	.p2align	8
	.type	_ZN12_GLOBAL__N_120softmax_warp_forwardIN3c108BFloat16EffLi5ELb1ELb0ELi64EEEvPT0_PKT_iiiPKbib,@function
_ZN12_GLOBAL__N_120softmax_warp_forwardIN3c108BFloat16EffLi5ELb1ELb0ELi64EEEvPT0_PKT_iiiPKbib: ; @_ZN12_GLOBAL__N_120softmax_warp_forwardIN3c108BFloat16EffLi5ELb1ELb0ELi64EEEvPT0_PKT_iiiPKbib
; %bb.0:
	s_load_dword s0, s[4:5], 0x3c
	s_load_dwordx8 s[8:15], s[4:5], 0x0
	v_bfe_u32 v1, v0, 10, 10
	v_and_b32_e32 v0, 0x3ff, v0
	s_waitcnt lgkmcnt(0)
	s_lshr_b32 s0, s0, 16
	s_mul_i32 s6, s6, s0
	v_add_lshl_u32 v1, s6, v1, 1
	v_mad_u64_u32 v[2:3], s[0:1], v1, s13, v[0:1]
	v_ashrrev_i32_e32 v3, 31, v2
	v_lshlrev_b64 v[4:5], 1, v[2:3]
	v_sub_u32_e32 v10, s12, v1
	v_mov_b32_e32 v1, s11
	v_add_co_u32_e32 v4, vcc, s10, v4
	v_addc_co_u32_e32 v5, vcc, v1, v5, vcc
	v_cmp_gt_i32_e32 vcc, s14, v0
	v_cmp_lt_i32_e64 s[0:1], 0, v10
	s_and_b64 s[4:5], vcc, s[0:1]
	v_mov_b32_e32 v1, 0xff800000
	v_mov_b32_e32 v0, 0xff800000
	s_and_saveexec_b64 s[2:3], s[4:5]
	s_cbranch_execz .LBB176_2
; %bb.1:
	global_load_ushort v0, v[4:5], off
	s_waitcnt vmcnt(0)
	v_lshlrev_b32_e32 v0, 16, v0
.LBB176_2:
	s_or_b64 exec, exec, s[2:3]
	v_cmp_lt_i32_e64 s[2:3], 1, v10
	s_and_b64 s[2:3], vcc, s[2:3]
	s_and_saveexec_b64 s[4:5], s[2:3]
	s_cbranch_execz .LBB176_4
; %bb.3:
	s_mov_b32 s15, 0
	s_lshl_b64 s[2:3], s[14:15], 1
	v_mov_b32_e32 v1, s3
	v_add_co_u32_e64 v4, s[2:3], s2, v4
	v_addc_co_u32_e64 v5, s[2:3], v5, v1, s[2:3]
	global_load_ushort v1, v[4:5], off
	s_waitcnt vmcnt(0)
	v_lshlrev_b32_e32 v1, 16, v1
.LBB176_4:
	s_or_b64 exec, exec, s[4:5]
	v_mbcnt_lo_u32_b32 v4, -1, 0
	v_mbcnt_hi_u32_b32 v4, -1, v4
	v_and_b32_e32 v5, 0x60, v4
	v_add_u32_e32 v5, 32, v5
	v_xor_b32_e32 v6, 16, v4
	v_cmp_lt_i32_e64 s[2:3], v6, v5
	v_cndmask_b32_e64 v6, v4, v6, s[2:3]
	v_lshlrev_b32_e32 v9, 2, v6
	ds_bpermute_b32 v7, v9, v1
	ds_bpermute_b32 v6, v9, v0
	v_xor_b32_e32 v8, 8, v4
	v_cmp_lt_i32_e64 s[2:3], v8, v5
	v_cndmask_b32_e64 v8, v4, v8, s[2:3]
	s_waitcnt lgkmcnt(1)
	v_cmp_lt_f32_e64 s[2:3], v1, v7
	v_lshlrev_b32_e32 v11, 2, v8
	v_cndmask_b32_e64 v7, v1, v7, s[2:3]
	s_waitcnt lgkmcnt(0)
	v_cmp_lt_f32_e64 s[2:3], v0, v6
	ds_bpermute_b32 v8, v11, v7
	v_cndmask_b32_e64 v6, v0, v6, s[2:3]
	ds_bpermute_b32 v12, v11, v6
	v_xor_b32_e32 v14, 2, v4
	v_xor_b32_e32 v15, 1, v4
	s_waitcnt lgkmcnt(1)
	v_cmp_lt_f32_e64 s[2:3], v7, v8
	v_cndmask_b32_e64 v7, v7, v8, s[2:3]
	s_waitcnt lgkmcnt(0)
	v_cmp_lt_f32_e64 s[2:3], v6, v12
	v_xor_b32_e32 v8, 4, v4
	v_cndmask_b32_e64 v6, v6, v12, s[2:3]
	v_cmp_lt_i32_e64 s[2:3], v8, v5
	v_cndmask_b32_e64 v8, v4, v8, s[2:3]
	v_lshlrev_b32_e32 v12, 2, v8
	ds_bpermute_b32 v13, v12, v7
	ds_bpermute_b32 v8, v12, v6
	v_cmp_lt_i32_e64 s[2:3], v14, v5
	v_cndmask_b32_e64 v14, v4, v14, s[2:3]
	v_cmp_lt_i32_e64 s[2:3], v15, v5
	v_cndmask_b32_e64 v4, v4, v15, s[2:3]
	s_waitcnt lgkmcnt(1)
	v_cmp_lt_f32_e64 s[2:3], v7, v13
	v_lshlrev_b32_e32 v14, 2, v14
	v_cndmask_b32_e64 v5, v7, v13, s[2:3]
	s_waitcnt lgkmcnt(0)
	v_cmp_lt_f32_e64 s[2:3], v6, v8
	ds_bpermute_b32 v7, v14, v5
	v_cndmask_b32_e64 v6, v6, v8, s[2:3]
	ds_bpermute_b32 v8, v14, v6
	v_lshlrev_b32_e32 v13, 2, v4
	s_mov_b32 s4, 0x3fb8aa3b
	s_waitcnt lgkmcnt(1)
	v_cmp_lt_f32_e64 s[2:3], v5, v7
	v_cndmask_b32_e64 v4, v5, v7, s[2:3]
	s_waitcnt lgkmcnt(0)
	v_cmp_lt_f32_e64 s[2:3], v6, v8
	ds_bpermute_b32 v5, v13, v4
	v_cndmask_b32_e64 v6, v6, v8, s[2:3]
	ds_bpermute_b32 v7, v13, v6
	s_mov_b32 s5, 0xc2ce8ed0
	s_mov_b32 s6, 0x42b17218
	s_waitcnt lgkmcnt(1)
	v_cmp_lt_f32_e64 s[2:3], v4, v5
	v_cndmask_b32_e64 v5, v4, v5, s[2:3]
	s_waitcnt lgkmcnt(0)
	v_cmp_lt_f32_e64 s[2:3], v6, v7
	v_cndmask_b32_e64 v4, v6, v7, s[2:3]
	v_pk_add_f32 v[6:7], v[0:1], v[4:5] neg_lo:[0,1] neg_hi:[0,1]
	v_mul_f32_e32 v8, 0x3fb8aa3b, v7
	v_fma_f32 v15, v7, s4, -v8
	v_rndne_f32_e32 v16, v8
	v_fmac_f32_e32 v15, 0x32a5705f, v7
	v_sub_f32_e32 v8, v8, v16
	v_add_f32_e32 v8, v8, v15
	v_exp_f32_e32 v8, v8
	v_cvt_i32_f32_e32 v15, v16
	v_cmp_ngt_f32_e64 s[2:3], s5, v7
	v_ldexp_f32 v8, v8, v15
	v_mul_f32_e32 v15, 0x3fb8aa3b, v6
	v_fma_f32 v16, v6, s4, -v15
	v_rndne_f32_e32 v17, v15
	v_fmac_f32_e32 v16, 0x32a5705f, v6
	v_sub_f32_e32 v15, v15, v17
	v_add_f32_e32 v15, v15, v16
	v_exp_f32_e32 v15, v15
	v_cvt_i32_f32_e32 v16, v17
	v_cndmask_b32_e64 v8, 0, v8, s[2:3]
	v_mov_b32_e32 v17, 0x7f800000
	v_cmp_nlt_f32_e64 s[2:3], s6, v7
	v_cndmask_b32_e64 v7, v17, v8, s[2:3]
	v_ldexp_f32 v8, v15, v16
	v_cmp_ngt_f32_e64 s[2:3], s5, v6
	v_cndmask_b32_e64 v8, 0, v8, s[2:3]
	v_cmp_nlt_f32_e64 s[2:3], s6, v6
	v_cndmask_b32_e64 v6, v17, v8, s[2:3]
	ds_bpermute_b32 v8, v9, v6
	ds_bpermute_b32 v9, v9, v7
	s_waitcnt lgkmcnt(0)
	v_pk_add_f32 v[6:7], v[6:7], v[8:9]
	ds_bpermute_b32 v8, v11, v6
	ds_bpermute_b32 v9, v11, v7
	s_waitcnt lgkmcnt(0)
	v_pk_add_f32 v[6:7], v[6:7], v[8:9]
	;; [unrolled: 4-line block ×4, first 2 shown]
	ds_bpermute_b32 v8, v13, v6
	ds_bpermute_b32 v9, v13, v7
	s_and_saveexec_b64 s[2:3], s[0:1]
	s_cbranch_execz .LBB176_10
; %bb.5:
	v_lshlrev_b64 v[2:3], 2, v[2:3]
	v_mov_b32_e32 v11, s9
	v_add_co_u32_e64 v2, s[0:1], s8, v2
	v_addc_co_u32_e64 v3, s[0:1], v11, v3, s[0:1]
	s_waitcnt lgkmcnt(0)
	v_pk_add_f32 v[6:7], v[6:7], v[8:9]
	s_and_saveexec_b64 s[4:5], vcc
	s_cbranch_execz .LBB176_7
; %bb.6:
	s_mov_b32 s0, 0x800000
	v_mov_b32_e32 v8, 0x4f800000
	v_cmp_gt_f32_e64 s[0:1], s0, v6
	v_cndmask_b32_e64 v8, 1.0, v8, s[0:1]
	v_mul_f32_e32 v6, v6, v8
	v_log_f32_e32 v6, v6
	s_mov_b32 s2, 0x3f317217
	v_sub_f32_e32 v0, v0, v4
	v_mul_f32_e32 v8, 0x3f317217, v6
	v_fma_f32 v9, v6, s2, -v8
	v_fmac_f32_e32 v9, 0x3377d1cf, v6
	s_mov_b32 s2, 0x7f800000
	v_add_f32_e32 v8, v8, v9
	v_cmp_lt_f32_e64 s[2:3], |v6|, s2
	v_cndmask_b32_e64 v6, v6, v8, s[2:3]
	v_mov_b32_e32 v8, 0x41b17218
	v_cndmask_b32_e64 v8, 0, v8, s[0:1]
	v_sub_f32_e32 v6, v6, v8
	v_sub_f32_e32 v0, v0, v6
	global_store_dword v[2:3], v0, off
.LBB176_7:
	s_or_b64 exec, exec, s[4:5]
	v_cmp_ne_u32_e64 s[0:1], 1, v10
	s_and_b64 exec, exec, s[0:1]
	s_cbranch_execz .LBB176_10
; %bb.8:
	s_and_b64 exec, exec, vcc
	s_cbranch_execz .LBB176_10
; %bb.9:
	s_mov_b32 s0, 0x800000
	v_mov_b32_e32 v0, 0x4f800000
	v_cmp_gt_f32_e32 vcc, s0, v7
	v_cndmask_b32_e32 v0, 1.0, v0, vcc
	v_mul_f32_e32 v0, v7, v0
	v_log_f32_e32 v0, v0
	s_mov_b32 s0, 0x3f317217
	s_mov_b32 s15, 0
	v_sub_f32_e32 v1, v1, v5
	v_mul_f32_e32 v4, 0x3f317217, v0
	v_fma_f32 v6, v0, s0, -v4
	v_fmac_f32_e32 v6, 0x3377d1cf, v0
	s_mov_b32 s0, 0x7f800000
	v_add_f32_e32 v4, v4, v6
	v_cmp_lt_f32_e64 s[0:1], |v0|, s0
	v_cndmask_b32_e64 v0, v0, v4, s[0:1]
	v_mov_b32_e32 v4, 0x41b17218
	v_cndmask_b32_e32 v4, 0, v4, vcc
	v_sub_f32_e32 v0, v0, v4
	s_lshl_b64 s[0:1], s[14:15], 2
	v_sub_f32_e32 v4, v1, v0
	v_mov_b32_e32 v1, s1
	v_add_co_u32_e32 v0, vcc, s0, v2
	v_addc_co_u32_e32 v1, vcc, v3, v1, vcc
	global_store_dword v[0:1], v4, off
.LBB176_10:
	s_endpgm
	.section	.rodata,"a",@progbits
	.p2align	6, 0x0
	.amdhsa_kernel _ZN12_GLOBAL__N_120softmax_warp_forwardIN3c108BFloat16EffLi5ELb1ELb0ELi64EEEvPT0_PKT_iiiPKbib
		.amdhsa_group_segment_fixed_size 0
		.amdhsa_private_segment_fixed_size 0
		.amdhsa_kernarg_size 304
		.amdhsa_user_sgpr_count 6
		.amdhsa_user_sgpr_private_segment_buffer 1
		.amdhsa_user_sgpr_dispatch_ptr 0
		.amdhsa_user_sgpr_queue_ptr 0
		.amdhsa_user_sgpr_kernarg_segment_ptr 1
		.amdhsa_user_sgpr_dispatch_id 0
		.amdhsa_user_sgpr_flat_scratch_init 0
		.amdhsa_user_sgpr_kernarg_preload_length 0
		.amdhsa_user_sgpr_kernarg_preload_offset 0
		.amdhsa_user_sgpr_private_segment_size 0
		.amdhsa_uses_dynamic_stack 0
		.amdhsa_system_sgpr_private_segment_wavefront_offset 0
		.amdhsa_system_sgpr_workgroup_id_x 1
		.amdhsa_system_sgpr_workgroup_id_y 0
		.amdhsa_system_sgpr_workgroup_id_z 0
		.amdhsa_system_sgpr_workgroup_info 0
		.amdhsa_system_vgpr_workitem_id 1
		.amdhsa_next_free_vgpr 18
		.amdhsa_next_free_sgpr 16
		.amdhsa_accum_offset 20
		.amdhsa_reserve_vcc 1
		.amdhsa_reserve_flat_scratch 0
		.amdhsa_float_round_mode_32 0
		.amdhsa_float_round_mode_16_64 0
		.amdhsa_float_denorm_mode_32 3
		.amdhsa_float_denorm_mode_16_64 3
		.amdhsa_dx10_clamp 1
		.amdhsa_ieee_mode 1
		.amdhsa_fp16_overflow 0
		.amdhsa_tg_split 0
		.amdhsa_exception_fp_ieee_invalid_op 0
		.amdhsa_exception_fp_denorm_src 0
		.amdhsa_exception_fp_ieee_div_zero 0
		.amdhsa_exception_fp_ieee_overflow 0
		.amdhsa_exception_fp_ieee_underflow 0
		.amdhsa_exception_fp_ieee_inexact 0
		.amdhsa_exception_int_div_zero 0
	.end_amdhsa_kernel
	.section	.text._ZN12_GLOBAL__N_120softmax_warp_forwardIN3c108BFloat16EffLi5ELb1ELb0ELi64EEEvPT0_PKT_iiiPKbib,"axG",@progbits,_ZN12_GLOBAL__N_120softmax_warp_forwardIN3c108BFloat16EffLi5ELb1ELb0ELi64EEEvPT0_PKT_iiiPKbib,comdat
.Lfunc_end176:
	.size	_ZN12_GLOBAL__N_120softmax_warp_forwardIN3c108BFloat16EffLi5ELb1ELb0ELi64EEEvPT0_PKT_iiiPKbib, .Lfunc_end176-_ZN12_GLOBAL__N_120softmax_warp_forwardIN3c108BFloat16EffLi5ELb1ELb0ELi64EEEvPT0_PKT_iiiPKbib
                                        ; -- End function
	.section	.AMDGPU.csdata,"",@progbits
; Kernel info:
; codeLenInByte = 1348
; NumSgprs: 20
; NumVgprs: 18
; NumAgprs: 0
; TotalNumVgprs: 18
; ScratchSize: 0
; MemoryBound: 0
; FloatMode: 240
; IeeeMode: 1
; LDSByteSize: 0 bytes/workgroup (compile time only)
; SGPRBlocks: 2
; VGPRBlocks: 2
; NumSGPRsForWavesPerEU: 20
; NumVGPRsForWavesPerEU: 18
; AccumOffset: 20
; Occupancy: 8
; WaveLimiterHint : 0
; COMPUTE_PGM_RSRC2:SCRATCH_EN: 0
; COMPUTE_PGM_RSRC2:USER_SGPR: 6
; COMPUTE_PGM_RSRC2:TRAP_HANDLER: 0
; COMPUTE_PGM_RSRC2:TGID_X_EN: 1
; COMPUTE_PGM_RSRC2:TGID_Y_EN: 0
; COMPUTE_PGM_RSRC2:TGID_Z_EN: 0
; COMPUTE_PGM_RSRC2:TIDIG_COMP_CNT: 1
; COMPUTE_PGM_RSRC3_GFX90A:ACCUM_OFFSET: 4
; COMPUTE_PGM_RSRC3_GFX90A:TG_SPLIT: 0
	.section	.text._ZN12_GLOBAL__N_120softmax_warp_forwardIN3c108BFloat16EffLi5ELb1ELb0ELi32EEEvPT0_PKT_iiiPKbib,"axG",@progbits,_ZN12_GLOBAL__N_120softmax_warp_forwardIN3c108BFloat16EffLi5ELb1ELb0ELi32EEEvPT0_PKT_iiiPKbib,comdat
	.globl	_ZN12_GLOBAL__N_120softmax_warp_forwardIN3c108BFloat16EffLi5ELb1ELb0ELi32EEEvPT0_PKT_iiiPKbib ; -- Begin function _ZN12_GLOBAL__N_120softmax_warp_forwardIN3c108BFloat16EffLi5ELb1ELb0ELi32EEEvPT0_PKT_iiiPKbib
	.p2align	8
	.type	_ZN12_GLOBAL__N_120softmax_warp_forwardIN3c108BFloat16EffLi5ELb1ELb0ELi32EEEvPT0_PKT_iiiPKbib,@function
_ZN12_GLOBAL__N_120softmax_warp_forwardIN3c108BFloat16EffLi5ELb1ELb0ELi32EEEvPT0_PKT_iiiPKbib: ; @_ZN12_GLOBAL__N_120softmax_warp_forwardIN3c108BFloat16EffLi5ELb1ELb0ELi32EEEvPT0_PKT_iiiPKbib
; %bb.0:
	s_load_dword s0, s[4:5], 0x3c
	s_load_dwordx8 s[8:15], s[4:5], 0x0
	v_bfe_u32 v1, v0, 10, 10
	v_and_b32_e32 v0, 0x3ff, v0
	s_waitcnt lgkmcnt(0)
	s_lshr_b32 s0, s0, 16
	s_mul_i32 s6, s6, s0
	v_add_lshl_u32 v1, s6, v1, 1
	v_mad_u64_u32 v[2:3], s[0:1], v1, s13, v[0:1]
	v_ashrrev_i32_e32 v3, 31, v2
	v_lshlrev_b64 v[4:5], 1, v[2:3]
	v_sub_u32_e32 v10, s12, v1
	v_mov_b32_e32 v1, s11
	v_add_co_u32_e32 v4, vcc, s10, v4
	v_addc_co_u32_e32 v5, vcc, v1, v5, vcc
	v_cmp_gt_i32_e32 vcc, s14, v0
	v_cmp_lt_i32_e64 s[0:1], 0, v10
	s_and_b64 s[4:5], vcc, s[0:1]
	v_mov_b32_e32 v1, 0xff800000
	v_mov_b32_e32 v0, 0xff800000
	s_and_saveexec_b64 s[2:3], s[4:5]
	s_cbranch_execz .LBB177_2
; %bb.1:
	global_load_ushort v0, v[4:5], off
	s_waitcnt vmcnt(0)
	v_lshlrev_b32_e32 v0, 16, v0
.LBB177_2:
	s_or_b64 exec, exec, s[2:3]
	v_cmp_lt_i32_e64 s[2:3], 1, v10
	s_and_b64 s[2:3], vcc, s[2:3]
	s_and_saveexec_b64 s[4:5], s[2:3]
	s_cbranch_execz .LBB177_4
; %bb.3:
	s_mov_b32 s15, 0
	s_lshl_b64 s[2:3], s[14:15], 1
	v_mov_b32_e32 v1, s3
	v_add_co_u32_e64 v4, s[2:3], s2, v4
	v_addc_co_u32_e64 v5, s[2:3], v5, v1, s[2:3]
	global_load_ushort v1, v[4:5], off
	s_waitcnt vmcnt(0)
	v_lshlrev_b32_e32 v1, 16, v1
.LBB177_4:
	s_or_b64 exec, exec, s[4:5]
	v_mbcnt_lo_u32_b32 v4, -1, 0
	v_mbcnt_hi_u32_b32 v4, -1, v4
	v_and_b32_e32 v5, 0x60, v4
	v_add_u32_e32 v5, 32, v5
	v_xor_b32_e32 v6, 16, v4
	v_cmp_lt_i32_e64 s[2:3], v6, v5
	v_cndmask_b32_e64 v6, v4, v6, s[2:3]
	v_lshlrev_b32_e32 v9, 2, v6
	ds_bpermute_b32 v7, v9, v1
	ds_bpermute_b32 v6, v9, v0
	v_xor_b32_e32 v8, 8, v4
	v_cmp_lt_i32_e64 s[2:3], v8, v5
	v_cndmask_b32_e64 v8, v4, v8, s[2:3]
	s_waitcnt lgkmcnt(1)
	v_cmp_lt_f32_e64 s[2:3], v1, v7
	v_lshlrev_b32_e32 v11, 2, v8
	v_cndmask_b32_e64 v7, v1, v7, s[2:3]
	s_waitcnt lgkmcnt(0)
	v_cmp_lt_f32_e64 s[2:3], v0, v6
	ds_bpermute_b32 v8, v11, v7
	v_cndmask_b32_e64 v6, v0, v6, s[2:3]
	ds_bpermute_b32 v12, v11, v6
	v_xor_b32_e32 v14, 2, v4
	v_xor_b32_e32 v15, 1, v4
	s_waitcnt lgkmcnt(1)
	v_cmp_lt_f32_e64 s[2:3], v7, v8
	v_cndmask_b32_e64 v7, v7, v8, s[2:3]
	s_waitcnt lgkmcnt(0)
	v_cmp_lt_f32_e64 s[2:3], v6, v12
	v_xor_b32_e32 v8, 4, v4
	v_cndmask_b32_e64 v6, v6, v12, s[2:3]
	v_cmp_lt_i32_e64 s[2:3], v8, v5
	v_cndmask_b32_e64 v8, v4, v8, s[2:3]
	v_lshlrev_b32_e32 v12, 2, v8
	ds_bpermute_b32 v13, v12, v7
	ds_bpermute_b32 v8, v12, v6
	v_cmp_lt_i32_e64 s[2:3], v14, v5
	v_cndmask_b32_e64 v14, v4, v14, s[2:3]
	v_cmp_lt_i32_e64 s[2:3], v15, v5
	v_cndmask_b32_e64 v4, v4, v15, s[2:3]
	s_waitcnt lgkmcnt(1)
	v_cmp_lt_f32_e64 s[2:3], v7, v13
	v_lshlrev_b32_e32 v14, 2, v14
	v_cndmask_b32_e64 v5, v7, v13, s[2:3]
	s_waitcnt lgkmcnt(0)
	v_cmp_lt_f32_e64 s[2:3], v6, v8
	ds_bpermute_b32 v7, v14, v5
	v_cndmask_b32_e64 v6, v6, v8, s[2:3]
	ds_bpermute_b32 v8, v14, v6
	v_lshlrev_b32_e32 v13, 2, v4
	s_mov_b32 s4, 0x3fb8aa3b
	s_waitcnt lgkmcnt(1)
	v_cmp_lt_f32_e64 s[2:3], v5, v7
	v_cndmask_b32_e64 v4, v5, v7, s[2:3]
	s_waitcnt lgkmcnt(0)
	v_cmp_lt_f32_e64 s[2:3], v6, v8
	ds_bpermute_b32 v5, v13, v4
	v_cndmask_b32_e64 v6, v6, v8, s[2:3]
	ds_bpermute_b32 v7, v13, v6
	s_mov_b32 s5, 0xc2ce8ed0
	s_mov_b32 s6, 0x42b17218
	s_waitcnt lgkmcnt(1)
	v_cmp_lt_f32_e64 s[2:3], v4, v5
	v_cndmask_b32_e64 v5, v4, v5, s[2:3]
	s_waitcnt lgkmcnt(0)
	v_cmp_lt_f32_e64 s[2:3], v6, v7
	v_cndmask_b32_e64 v4, v6, v7, s[2:3]
	v_pk_add_f32 v[6:7], v[0:1], v[4:5] neg_lo:[0,1] neg_hi:[0,1]
	v_mul_f32_e32 v8, 0x3fb8aa3b, v7
	v_fma_f32 v15, v7, s4, -v8
	v_rndne_f32_e32 v16, v8
	v_fmac_f32_e32 v15, 0x32a5705f, v7
	v_sub_f32_e32 v8, v8, v16
	v_add_f32_e32 v8, v8, v15
	v_exp_f32_e32 v8, v8
	v_cvt_i32_f32_e32 v15, v16
	v_cmp_ngt_f32_e64 s[2:3], s5, v7
	v_ldexp_f32 v8, v8, v15
	v_mul_f32_e32 v15, 0x3fb8aa3b, v6
	v_fma_f32 v16, v6, s4, -v15
	v_rndne_f32_e32 v17, v15
	v_fmac_f32_e32 v16, 0x32a5705f, v6
	v_sub_f32_e32 v15, v15, v17
	v_add_f32_e32 v15, v15, v16
	v_exp_f32_e32 v15, v15
	v_cvt_i32_f32_e32 v16, v17
	v_cndmask_b32_e64 v8, 0, v8, s[2:3]
	v_mov_b32_e32 v17, 0x7f800000
	v_cmp_nlt_f32_e64 s[2:3], s6, v7
	v_cndmask_b32_e64 v7, v17, v8, s[2:3]
	v_ldexp_f32 v8, v15, v16
	v_cmp_ngt_f32_e64 s[2:3], s5, v6
	v_cndmask_b32_e64 v8, 0, v8, s[2:3]
	v_cmp_nlt_f32_e64 s[2:3], s6, v6
	v_cndmask_b32_e64 v6, v17, v8, s[2:3]
	ds_bpermute_b32 v8, v9, v6
	ds_bpermute_b32 v9, v9, v7
	s_waitcnt lgkmcnt(0)
	v_pk_add_f32 v[6:7], v[6:7], v[8:9]
	ds_bpermute_b32 v8, v11, v6
	ds_bpermute_b32 v9, v11, v7
	s_waitcnt lgkmcnt(0)
	v_pk_add_f32 v[6:7], v[6:7], v[8:9]
	ds_bpermute_b32 v8, v12, v6
	ds_bpermute_b32 v9, v12, v7
	s_waitcnt lgkmcnt(0)
	v_pk_add_f32 v[6:7], v[6:7], v[8:9]
	ds_bpermute_b32 v8, v14, v6
	ds_bpermute_b32 v9, v14, v7
	s_waitcnt lgkmcnt(0)
	v_pk_add_f32 v[6:7], v[6:7], v[8:9]
	ds_bpermute_b32 v8, v13, v6
	ds_bpermute_b32 v9, v13, v7
	s_and_saveexec_b64 s[2:3], s[0:1]
	s_cbranch_execz .LBB177_10
; %bb.5:
	v_lshlrev_b64 v[2:3], 2, v[2:3]
	v_mov_b32_e32 v11, s9
	v_add_co_u32_e64 v2, s[0:1], s8, v2
	v_addc_co_u32_e64 v3, s[0:1], v11, v3, s[0:1]
	s_waitcnt lgkmcnt(0)
	v_pk_add_f32 v[6:7], v[6:7], v[8:9]
	s_and_saveexec_b64 s[4:5], vcc
	s_cbranch_execz .LBB177_7
; %bb.6:
	s_mov_b32 s0, 0x800000
	v_mov_b32_e32 v8, 0x4f800000
	v_cmp_gt_f32_e64 s[0:1], s0, v6
	v_cndmask_b32_e64 v8, 1.0, v8, s[0:1]
	v_mul_f32_e32 v6, v6, v8
	v_log_f32_e32 v6, v6
	s_mov_b32 s2, 0x3f317217
	v_sub_f32_e32 v0, v0, v4
	v_mul_f32_e32 v8, 0x3f317217, v6
	v_fma_f32 v9, v6, s2, -v8
	v_fmac_f32_e32 v9, 0x3377d1cf, v6
	s_mov_b32 s2, 0x7f800000
	v_add_f32_e32 v8, v8, v9
	v_cmp_lt_f32_e64 s[2:3], |v6|, s2
	v_cndmask_b32_e64 v6, v6, v8, s[2:3]
	v_mov_b32_e32 v8, 0x41b17218
	v_cndmask_b32_e64 v8, 0, v8, s[0:1]
	v_sub_f32_e32 v6, v6, v8
	v_sub_f32_e32 v0, v0, v6
	global_store_dword v[2:3], v0, off
.LBB177_7:
	s_or_b64 exec, exec, s[4:5]
	v_cmp_ne_u32_e64 s[0:1], 1, v10
	s_and_b64 exec, exec, s[0:1]
	s_cbranch_execz .LBB177_10
; %bb.8:
	s_and_b64 exec, exec, vcc
	s_cbranch_execz .LBB177_10
; %bb.9:
	s_mov_b32 s0, 0x800000
	v_mov_b32_e32 v0, 0x4f800000
	v_cmp_gt_f32_e32 vcc, s0, v7
	v_cndmask_b32_e32 v0, 1.0, v0, vcc
	v_mul_f32_e32 v0, v7, v0
	v_log_f32_e32 v0, v0
	s_mov_b32 s0, 0x3f317217
	s_mov_b32 s15, 0
	v_sub_f32_e32 v1, v1, v5
	v_mul_f32_e32 v4, 0x3f317217, v0
	v_fma_f32 v6, v0, s0, -v4
	v_fmac_f32_e32 v6, 0x3377d1cf, v0
	s_mov_b32 s0, 0x7f800000
	v_add_f32_e32 v4, v4, v6
	v_cmp_lt_f32_e64 s[0:1], |v0|, s0
	v_cndmask_b32_e64 v0, v0, v4, s[0:1]
	v_mov_b32_e32 v4, 0x41b17218
	v_cndmask_b32_e32 v4, 0, v4, vcc
	v_sub_f32_e32 v0, v0, v4
	s_lshl_b64 s[0:1], s[14:15], 2
	v_sub_f32_e32 v4, v1, v0
	v_mov_b32_e32 v1, s1
	v_add_co_u32_e32 v0, vcc, s0, v2
	v_addc_co_u32_e32 v1, vcc, v3, v1, vcc
	global_store_dword v[0:1], v4, off
.LBB177_10:
	s_endpgm
	.section	.rodata,"a",@progbits
	.p2align	6, 0x0
	.amdhsa_kernel _ZN12_GLOBAL__N_120softmax_warp_forwardIN3c108BFloat16EffLi5ELb1ELb0ELi32EEEvPT0_PKT_iiiPKbib
		.amdhsa_group_segment_fixed_size 0
		.amdhsa_private_segment_fixed_size 0
		.amdhsa_kernarg_size 304
		.amdhsa_user_sgpr_count 6
		.amdhsa_user_sgpr_private_segment_buffer 1
		.amdhsa_user_sgpr_dispatch_ptr 0
		.amdhsa_user_sgpr_queue_ptr 0
		.amdhsa_user_sgpr_kernarg_segment_ptr 1
		.amdhsa_user_sgpr_dispatch_id 0
		.amdhsa_user_sgpr_flat_scratch_init 0
		.amdhsa_user_sgpr_kernarg_preload_length 0
		.amdhsa_user_sgpr_kernarg_preload_offset 0
		.amdhsa_user_sgpr_private_segment_size 0
		.amdhsa_uses_dynamic_stack 0
		.amdhsa_system_sgpr_private_segment_wavefront_offset 0
		.amdhsa_system_sgpr_workgroup_id_x 1
		.amdhsa_system_sgpr_workgroup_id_y 0
		.amdhsa_system_sgpr_workgroup_id_z 0
		.amdhsa_system_sgpr_workgroup_info 0
		.amdhsa_system_vgpr_workitem_id 1
		.amdhsa_next_free_vgpr 18
		.amdhsa_next_free_sgpr 16
		.amdhsa_accum_offset 20
		.amdhsa_reserve_vcc 1
		.amdhsa_reserve_flat_scratch 0
		.amdhsa_float_round_mode_32 0
		.amdhsa_float_round_mode_16_64 0
		.amdhsa_float_denorm_mode_32 3
		.amdhsa_float_denorm_mode_16_64 3
		.amdhsa_dx10_clamp 1
		.amdhsa_ieee_mode 1
		.amdhsa_fp16_overflow 0
		.amdhsa_tg_split 0
		.amdhsa_exception_fp_ieee_invalid_op 0
		.amdhsa_exception_fp_denorm_src 0
		.amdhsa_exception_fp_ieee_div_zero 0
		.amdhsa_exception_fp_ieee_overflow 0
		.amdhsa_exception_fp_ieee_underflow 0
		.amdhsa_exception_fp_ieee_inexact 0
		.amdhsa_exception_int_div_zero 0
	.end_amdhsa_kernel
	.section	.text._ZN12_GLOBAL__N_120softmax_warp_forwardIN3c108BFloat16EffLi5ELb1ELb0ELi32EEEvPT0_PKT_iiiPKbib,"axG",@progbits,_ZN12_GLOBAL__N_120softmax_warp_forwardIN3c108BFloat16EffLi5ELb1ELb0ELi32EEEvPT0_PKT_iiiPKbib,comdat
.Lfunc_end177:
	.size	_ZN12_GLOBAL__N_120softmax_warp_forwardIN3c108BFloat16EffLi5ELb1ELb0ELi32EEEvPT0_PKT_iiiPKbib, .Lfunc_end177-_ZN12_GLOBAL__N_120softmax_warp_forwardIN3c108BFloat16EffLi5ELb1ELb0ELi32EEEvPT0_PKT_iiiPKbib
                                        ; -- End function
	.section	.AMDGPU.csdata,"",@progbits
; Kernel info:
; codeLenInByte = 1348
; NumSgprs: 20
; NumVgprs: 18
; NumAgprs: 0
; TotalNumVgprs: 18
; ScratchSize: 0
; MemoryBound: 0
; FloatMode: 240
; IeeeMode: 1
; LDSByteSize: 0 bytes/workgroup (compile time only)
; SGPRBlocks: 2
; VGPRBlocks: 2
; NumSGPRsForWavesPerEU: 20
; NumVGPRsForWavesPerEU: 18
; AccumOffset: 20
; Occupancy: 8
; WaveLimiterHint : 0
; COMPUTE_PGM_RSRC2:SCRATCH_EN: 0
; COMPUTE_PGM_RSRC2:USER_SGPR: 6
; COMPUTE_PGM_RSRC2:TRAP_HANDLER: 0
; COMPUTE_PGM_RSRC2:TGID_X_EN: 1
; COMPUTE_PGM_RSRC2:TGID_Y_EN: 0
; COMPUTE_PGM_RSRC2:TGID_Z_EN: 0
; COMPUTE_PGM_RSRC2:TIDIG_COMP_CNT: 1
; COMPUTE_PGM_RSRC3_GFX90A:ACCUM_OFFSET: 4
; COMPUTE_PGM_RSRC3_GFX90A:TG_SPLIT: 0
	.section	.text._ZN12_GLOBAL__N_120softmax_warp_forwardIN3c108BFloat16EffLi6ELb1ELb0ELi64EEEvPT0_PKT_iiiPKbib,"axG",@progbits,_ZN12_GLOBAL__N_120softmax_warp_forwardIN3c108BFloat16EffLi6ELb1ELb0ELi64EEEvPT0_PKT_iiiPKbib,comdat
	.globl	_ZN12_GLOBAL__N_120softmax_warp_forwardIN3c108BFloat16EffLi6ELb1ELb0ELi64EEEvPT0_PKT_iiiPKbib ; -- Begin function _ZN12_GLOBAL__N_120softmax_warp_forwardIN3c108BFloat16EffLi6ELb1ELb0ELi64EEEvPT0_PKT_iiiPKbib
	.p2align	8
	.type	_ZN12_GLOBAL__N_120softmax_warp_forwardIN3c108BFloat16EffLi6ELb1ELb0ELi64EEEvPT0_PKT_iiiPKbib,@function
_ZN12_GLOBAL__N_120softmax_warp_forwardIN3c108BFloat16EffLi6ELb1ELb0ELi64EEEvPT0_PKT_iiiPKbib: ; @_ZN12_GLOBAL__N_120softmax_warp_forwardIN3c108BFloat16EffLi6ELb1ELb0ELi64EEEvPT0_PKT_iiiPKbib
; %bb.0:
	s_load_dword s0, s[4:5], 0x3c
	s_load_dwordx8 s[8:15], s[4:5], 0x0
	v_bfe_u32 v1, v0, 10, 10
	v_and_b32_e32 v0, 0x3ff, v0
	s_waitcnt lgkmcnt(0)
	s_lshr_b32 s0, s0, 16
	s_mul_i32 s6, s6, s0
	v_add_lshl_u32 v1, s6, v1, 1
	v_mad_u64_u32 v[2:3], s[0:1], v1, s13, v[0:1]
	v_ashrrev_i32_e32 v3, 31, v2
	v_lshlrev_b64 v[4:5], 1, v[2:3]
	v_sub_u32_e32 v10, s12, v1
	v_mov_b32_e32 v1, s11
	v_add_co_u32_e32 v4, vcc, s10, v4
	v_addc_co_u32_e32 v5, vcc, v1, v5, vcc
	v_cmp_gt_i32_e32 vcc, s14, v0
	v_cmp_lt_i32_e64 s[0:1], 0, v10
	s_and_b64 s[4:5], vcc, s[0:1]
	v_mov_b32_e32 v1, 0xff800000
	v_mov_b32_e32 v0, 0xff800000
	s_and_saveexec_b64 s[2:3], s[4:5]
	s_cbranch_execz .LBB178_2
; %bb.1:
	global_load_ushort v0, v[4:5], off
	s_waitcnt vmcnt(0)
	v_lshlrev_b32_e32 v0, 16, v0
.LBB178_2:
	s_or_b64 exec, exec, s[2:3]
	v_cmp_lt_i32_e64 s[2:3], 1, v10
	s_and_b64 s[2:3], vcc, s[2:3]
	s_and_saveexec_b64 s[4:5], s[2:3]
	s_cbranch_execz .LBB178_4
; %bb.3:
	s_mov_b32 s15, 0
	s_lshl_b64 s[2:3], s[14:15], 1
	v_mov_b32_e32 v1, s3
	v_add_co_u32_e64 v4, s[2:3], s2, v4
	v_addc_co_u32_e64 v5, s[2:3], v5, v1, s[2:3]
	global_load_ushort v1, v[4:5], off
	s_waitcnt vmcnt(0)
	v_lshlrev_b32_e32 v1, 16, v1
.LBB178_4:
	s_or_b64 exec, exec, s[4:5]
	v_mbcnt_lo_u32_b32 v4, -1, 0
	v_mbcnt_hi_u32_b32 v4, -1, v4
	v_and_b32_e32 v5, 64, v4
	v_add_u32_e32 v5, 64, v5
	v_xor_b32_e32 v6, 32, v4
	v_cmp_lt_i32_e64 s[2:3], v6, v5
	v_cndmask_b32_e64 v6, v4, v6, s[2:3]
	v_lshlrev_b32_e32 v9, 2, v6
	ds_bpermute_b32 v7, v9, v1
	v_xor_b32_e32 v8, 16, v4
	ds_bpermute_b32 v6, v9, v0
	v_cmp_lt_i32_e64 s[2:3], v8, v5
	v_cndmask_b32_e64 v8, v4, v8, s[2:3]
	v_lshlrev_b32_e32 v11, 2, v8
	v_xor_b32_e32 v8, 8, v4
	v_cmp_lt_i32_e64 s[2:3], v8, v5
	v_cndmask_b32_e64 v8, v4, v8, s[2:3]
	s_waitcnt lgkmcnt(1)
	v_cmp_lt_f32_e64 s[2:3], v1, v7
	v_cndmask_b32_e64 v7, v1, v7, s[2:3]
	s_waitcnt lgkmcnt(0)
	v_cmp_lt_f32_e64 s[2:3], v0, v6
	ds_bpermute_b32 v13, v11, v7
	v_cndmask_b32_e64 v6, v0, v6, s[2:3]
	ds_bpermute_b32 v14, v11, v6
	v_lshlrev_b32_e32 v12, 2, v8
	v_xor_b32_e32 v8, 4, v4
	v_cmp_lt_i32_e64 s[2:3], v8, v5
	v_cndmask_b32_e64 v8, v4, v8, s[2:3]
	s_waitcnt lgkmcnt(1)
	v_cmp_lt_f32_e64 s[2:3], v7, v13
	v_cndmask_b32_e64 v7, v7, v13, s[2:3]
	s_waitcnt lgkmcnt(0)
	v_cmp_lt_f32_e64 s[2:3], v6, v14
	ds_bpermute_b32 v13, v12, v7
	v_cndmask_b32_e64 v6, v6, v14, s[2:3]
	ds_bpermute_b32 v14, v12, v6
	v_lshlrev_b32_e32 v15, 2, v8
	v_xor_b32_e32 v16, 1, v4
	s_waitcnt lgkmcnt(1)
	v_cmp_lt_f32_e64 s[2:3], v7, v13
	v_cndmask_b32_e64 v7, v7, v13, s[2:3]
	s_waitcnt lgkmcnt(0)
	v_cmp_lt_f32_e64 s[2:3], v6, v14
	ds_bpermute_b32 v8, v15, v7
	v_cndmask_b32_e64 v6, v6, v14, s[2:3]
	ds_bpermute_b32 v13, v15, v6
	s_mov_b32 s4, 0x3fb8aa3b
	s_mov_b32 s5, 0xc2ce8ed0
	s_waitcnt lgkmcnt(1)
	v_cmp_lt_f32_e64 s[2:3], v7, v8
	v_cndmask_b32_e64 v7, v7, v8, s[2:3]
	s_waitcnt lgkmcnt(0)
	v_cmp_lt_f32_e64 s[2:3], v6, v13
	v_xor_b32_e32 v8, 2, v4
	v_cndmask_b32_e64 v6, v6, v13, s[2:3]
	v_cmp_lt_i32_e64 s[2:3], v8, v5
	v_cndmask_b32_e64 v8, v4, v8, s[2:3]
	v_lshlrev_b32_e32 v13, 2, v8
	ds_bpermute_b32 v14, v13, v7
	ds_bpermute_b32 v8, v13, v6
	v_cmp_lt_i32_e64 s[2:3], v16, v5
	v_cndmask_b32_e64 v4, v4, v16, s[2:3]
	v_lshlrev_b32_e32 v16, 2, v4
	s_waitcnt lgkmcnt(1)
	v_cmp_lt_f32_e64 s[2:3], v7, v14
	v_cndmask_b32_e64 v4, v7, v14, s[2:3]
	s_waitcnt lgkmcnt(0)
	v_cmp_lt_f32_e64 s[2:3], v6, v8
	ds_bpermute_b32 v5, v16, v4
	v_cndmask_b32_e64 v6, v6, v8, s[2:3]
	ds_bpermute_b32 v7, v16, v6
	s_mov_b32 s6, 0x42b17218
	s_waitcnt lgkmcnt(1)
	v_cmp_lt_f32_e64 s[2:3], v4, v5
	v_cndmask_b32_e64 v5, v4, v5, s[2:3]
	s_waitcnt lgkmcnt(0)
	v_cmp_lt_f32_e64 s[2:3], v6, v7
	v_cndmask_b32_e64 v4, v6, v7, s[2:3]
	v_pk_add_f32 v[6:7], v[0:1], v[4:5] neg_lo:[0,1] neg_hi:[0,1]
	v_mul_f32_e32 v8, 0x3fb8aa3b, v7
	v_fma_f32 v14, v7, s4, -v8
	v_rndne_f32_e32 v17, v8
	v_fmac_f32_e32 v14, 0x32a5705f, v7
	v_sub_f32_e32 v8, v8, v17
	v_add_f32_e32 v8, v8, v14
	v_exp_f32_e32 v8, v8
	v_cvt_i32_f32_e32 v14, v17
	v_cmp_ngt_f32_e64 s[2:3], s5, v7
	v_ldexp_f32 v8, v8, v14
	v_mul_f32_e32 v14, 0x3fb8aa3b, v6
	v_fma_f32 v17, v6, s4, -v14
	v_rndne_f32_e32 v18, v14
	v_fmac_f32_e32 v17, 0x32a5705f, v6
	v_sub_f32_e32 v14, v14, v18
	v_add_f32_e32 v14, v14, v17
	v_exp_f32_e32 v14, v14
	v_cvt_i32_f32_e32 v17, v18
	v_cndmask_b32_e64 v8, 0, v8, s[2:3]
	v_mov_b32_e32 v18, 0x7f800000
	v_cmp_nlt_f32_e64 s[2:3], s6, v7
	v_cndmask_b32_e64 v7, v18, v8, s[2:3]
	v_ldexp_f32 v8, v14, v17
	v_cmp_ngt_f32_e64 s[2:3], s5, v6
	v_cndmask_b32_e64 v8, 0, v8, s[2:3]
	v_cmp_nlt_f32_e64 s[2:3], s6, v6
	v_cndmask_b32_e64 v6, v18, v8, s[2:3]
	ds_bpermute_b32 v8, v9, v6
	ds_bpermute_b32 v9, v9, v7
	s_waitcnt lgkmcnt(0)
	v_pk_add_f32 v[6:7], v[6:7], v[8:9]
	ds_bpermute_b32 v8, v11, v6
	ds_bpermute_b32 v9, v11, v7
	s_waitcnt lgkmcnt(0)
	v_pk_add_f32 v[6:7], v[6:7], v[8:9]
	;; [unrolled: 4-line block ×5, first 2 shown]
	ds_bpermute_b32 v8, v16, v6
	ds_bpermute_b32 v9, v16, v7
	s_and_saveexec_b64 s[2:3], s[0:1]
	s_cbranch_execz .LBB178_10
; %bb.5:
	v_lshlrev_b64 v[2:3], 2, v[2:3]
	v_mov_b32_e32 v11, s9
	v_add_co_u32_e64 v2, s[0:1], s8, v2
	v_addc_co_u32_e64 v3, s[0:1], v11, v3, s[0:1]
	s_waitcnt lgkmcnt(0)
	v_pk_add_f32 v[6:7], v[6:7], v[8:9]
	s_and_saveexec_b64 s[4:5], vcc
	s_cbranch_execz .LBB178_7
; %bb.6:
	s_mov_b32 s0, 0x800000
	v_mov_b32_e32 v8, 0x4f800000
	v_cmp_gt_f32_e64 s[0:1], s0, v6
	v_cndmask_b32_e64 v8, 1.0, v8, s[0:1]
	v_mul_f32_e32 v6, v6, v8
	v_log_f32_e32 v6, v6
	s_mov_b32 s2, 0x3f317217
	v_sub_f32_e32 v0, v0, v4
	v_mul_f32_e32 v8, 0x3f317217, v6
	v_fma_f32 v9, v6, s2, -v8
	v_fmac_f32_e32 v9, 0x3377d1cf, v6
	s_mov_b32 s2, 0x7f800000
	v_add_f32_e32 v8, v8, v9
	v_cmp_lt_f32_e64 s[2:3], |v6|, s2
	v_cndmask_b32_e64 v6, v6, v8, s[2:3]
	v_mov_b32_e32 v8, 0x41b17218
	v_cndmask_b32_e64 v8, 0, v8, s[0:1]
	v_sub_f32_e32 v6, v6, v8
	v_sub_f32_e32 v0, v0, v6
	global_store_dword v[2:3], v0, off
.LBB178_7:
	s_or_b64 exec, exec, s[4:5]
	v_cmp_ne_u32_e64 s[0:1], 1, v10
	s_and_b64 exec, exec, s[0:1]
	s_cbranch_execz .LBB178_10
; %bb.8:
	s_and_b64 exec, exec, vcc
	s_cbranch_execz .LBB178_10
; %bb.9:
	s_mov_b32 s0, 0x800000
	v_mov_b32_e32 v0, 0x4f800000
	v_cmp_gt_f32_e32 vcc, s0, v7
	v_cndmask_b32_e32 v0, 1.0, v0, vcc
	v_mul_f32_e32 v0, v7, v0
	v_log_f32_e32 v0, v0
	s_mov_b32 s0, 0x3f317217
	s_mov_b32 s15, 0
	v_sub_f32_e32 v1, v1, v5
	v_mul_f32_e32 v4, 0x3f317217, v0
	v_fma_f32 v6, v0, s0, -v4
	v_fmac_f32_e32 v6, 0x3377d1cf, v0
	s_mov_b32 s0, 0x7f800000
	v_add_f32_e32 v4, v4, v6
	v_cmp_lt_f32_e64 s[0:1], |v0|, s0
	v_cndmask_b32_e64 v0, v0, v4, s[0:1]
	v_mov_b32_e32 v4, 0x41b17218
	v_cndmask_b32_e32 v4, 0, v4, vcc
	v_sub_f32_e32 v0, v0, v4
	s_lshl_b64 s[0:1], s[14:15], 2
	v_sub_f32_e32 v4, v1, v0
	v_mov_b32_e32 v1, s1
	v_add_co_u32_e32 v0, vcc, s0, v2
	v_addc_co_u32_e32 v1, vcc, v3, v1, vcc
	global_store_dword v[0:1], v4, off
.LBB178_10:
	s_endpgm
	.section	.rodata,"a",@progbits
	.p2align	6, 0x0
	.amdhsa_kernel _ZN12_GLOBAL__N_120softmax_warp_forwardIN3c108BFloat16EffLi6ELb1ELb0ELi64EEEvPT0_PKT_iiiPKbib
		.amdhsa_group_segment_fixed_size 0
		.amdhsa_private_segment_fixed_size 0
		.amdhsa_kernarg_size 304
		.amdhsa_user_sgpr_count 6
		.amdhsa_user_sgpr_private_segment_buffer 1
		.amdhsa_user_sgpr_dispatch_ptr 0
		.amdhsa_user_sgpr_queue_ptr 0
		.amdhsa_user_sgpr_kernarg_segment_ptr 1
		.amdhsa_user_sgpr_dispatch_id 0
		.amdhsa_user_sgpr_flat_scratch_init 0
		.amdhsa_user_sgpr_kernarg_preload_length 0
		.amdhsa_user_sgpr_kernarg_preload_offset 0
		.amdhsa_user_sgpr_private_segment_size 0
		.amdhsa_uses_dynamic_stack 0
		.amdhsa_system_sgpr_private_segment_wavefront_offset 0
		.amdhsa_system_sgpr_workgroup_id_x 1
		.amdhsa_system_sgpr_workgroup_id_y 0
		.amdhsa_system_sgpr_workgroup_id_z 0
		.amdhsa_system_sgpr_workgroup_info 0
		.amdhsa_system_vgpr_workitem_id 1
		.amdhsa_next_free_vgpr 19
		.amdhsa_next_free_sgpr 16
		.amdhsa_accum_offset 20
		.amdhsa_reserve_vcc 1
		.amdhsa_reserve_flat_scratch 0
		.amdhsa_float_round_mode_32 0
		.amdhsa_float_round_mode_16_64 0
		.amdhsa_float_denorm_mode_32 3
		.amdhsa_float_denorm_mode_16_64 3
		.amdhsa_dx10_clamp 1
		.amdhsa_ieee_mode 1
		.amdhsa_fp16_overflow 0
		.amdhsa_tg_split 0
		.amdhsa_exception_fp_ieee_invalid_op 0
		.amdhsa_exception_fp_denorm_src 0
		.amdhsa_exception_fp_ieee_div_zero 0
		.amdhsa_exception_fp_ieee_overflow 0
		.amdhsa_exception_fp_ieee_underflow 0
		.amdhsa_exception_fp_ieee_inexact 0
		.amdhsa_exception_int_div_zero 0
	.end_amdhsa_kernel
	.section	.text._ZN12_GLOBAL__N_120softmax_warp_forwardIN3c108BFloat16EffLi6ELb1ELb0ELi64EEEvPT0_PKT_iiiPKbib,"axG",@progbits,_ZN12_GLOBAL__N_120softmax_warp_forwardIN3c108BFloat16EffLi6ELb1ELb0ELi64EEEvPT0_PKT_iiiPKbib,comdat
.Lfunc_end178:
	.size	_ZN12_GLOBAL__N_120softmax_warp_forwardIN3c108BFloat16EffLi6ELb1ELb0ELi64EEEvPT0_PKT_iiiPKbib, .Lfunc_end178-_ZN12_GLOBAL__N_120softmax_warp_forwardIN3c108BFloat16EffLi6ELb1ELb0ELi64EEEvPT0_PKT_iiiPKbib
                                        ; -- End function
	.section	.AMDGPU.csdata,"",@progbits
; Kernel info:
; codeLenInByte = 1452
; NumSgprs: 20
; NumVgprs: 19
; NumAgprs: 0
; TotalNumVgprs: 19
; ScratchSize: 0
; MemoryBound: 0
; FloatMode: 240
; IeeeMode: 1
; LDSByteSize: 0 bytes/workgroup (compile time only)
; SGPRBlocks: 2
; VGPRBlocks: 2
; NumSGPRsForWavesPerEU: 20
; NumVGPRsForWavesPerEU: 19
; AccumOffset: 20
; Occupancy: 8
; WaveLimiterHint : 0
; COMPUTE_PGM_RSRC2:SCRATCH_EN: 0
; COMPUTE_PGM_RSRC2:USER_SGPR: 6
; COMPUTE_PGM_RSRC2:TRAP_HANDLER: 0
; COMPUTE_PGM_RSRC2:TGID_X_EN: 1
; COMPUTE_PGM_RSRC2:TGID_Y_EN: 0
; COMPUTE_PGM_RSRC2:TGID_Z_EN: 0
; COMPUTE_PGM_RSRC2:TIDIG_COMP_CNT: 1
; COMPUTE_PGM_RSRC3_GFX90A:ACCUM_OFFSET: 4
; COMPUTE_PGM_RSRC3_GFX90A:TG_SPLIT: 0
	.section	.text._ZN12_GLOBAL__N_120softmax_warp_forwardIN3c108BFloat16EffLi6ELb1ELb0ELi32EEEvPT0_PKT_iiiPKbib,"axG",@progbits,_ZN12_GLOBAL__N_120softmax_warp_forwardIN3c108BFloat16EffLi6ELb1ELb0ELi32EEEvPT0_PKT_iiiPKbib,comdat
	.globl	_ZN12_GLOBAL__N_120softmax_warp_forwardIN3c108BFloat16EffLi6ELb1ELb0ELi32EEEvPT0_PKT_iiiPKbib ; -- Begin function _ZN12_GLOBAL__N_120softmax_warp_forwardIN3c108BFloat16EffLi6ELb1ELb0ELi32EEEvPT0_PKT_iiiPKbib
	.p2align	8
	.type	_ZN12_GLOBAL__N_120softmax_warp_forwardIN3c108BFloat16EffLi6ELb1ELb0ELi32EEEvPT0_PKT_iiiPKbib,@function
_ZN12_GLOBAL__N_120softmax_warp_forwardIN3c108BFloat16EffLi6ELb1ELb0ELi32EEEvPT0_PKT_iiiPKbib: ; @_ZN12_GLOBAL__N_120softmax_warp_forwardIN3c108BFloat16EffLi6ELb1ELb0ELi32EEEvPT0_PKT_iiiPKbib
; %bb.0:
	s_load_dword s0, s[4:5], 0x3c
	s_load_dwordx8 s[8:15], s[4:5], 0x0
	v_bfe_u32 v1, v0, 10, 10
	v_and_b32_e32 v8, 0x3ff, v0
	s_waitcnt lgkmcnt(0)
	s_lshr_b32 s0, s0, 16
	s_mul_i32 s6, s6, s0
	v_add_lshl_u32 v1, s6, v1, 1
	v_mad_u64_u32 v[4:5], s[0:1], v1, s13, v[8:9]
	v_ashrrev_i32_e32 v5, 31, v4
	v_sub_u32_e32 v12, s12, v1
	v_lshlrev_b64 v[0:1], 1, v[4:5]
	v_mov_b32_e32 v2, s11
	v_add_co_u32_e32 v6, vcc, s10, v0
	v_cmp_lt_i32_e64 s[2:3], 0, v12
	v_cmp_gt_i32_e64 s[0:1], s14, v8
	v_addc_co_u32_e32 v7, vcc, v2, v1, vcc
	s_and_b64 s[6:7], s[2:3], s[0:1]
	v_mov_b32_e32 v0, 0xff800000
	v_mov_b32_e32 v2, 0xff800000
	s_and_saveexec_b64 s[4:5], s[6:7]
	s_cbranch_execz .LBB179_2
; %bb.1:
	global_load_ushort v1, v[6:7], off
	s_waitcnt vmcnt(0)
	v_lshlrev_b32_e32 v2, 16, v1
.LBB179_2:
	s_or_b64 exec, exec, s[4:5]
	v_add_u32_e32 v1, 32, v8
	v_cmp_gt_i32_e32 vcc, s14, v1
	s_and_b64 s[6:7], s[2:3], vcc
	s_and_saveexec_b64 s[4:5], s[6:7]
	s_cbranch_execz .LBB179_4
; %bb.3:
	global_load_ushort v0, v[6:7], off offset:64
	s_waitcnt vmcnt(0)
	v_lshlrev_b32_e32 v0, 16, v0
.LBB179_4:
	s_or_b64 exec, exec, s[4:5]
	v_cmp_lt_i32_e64 s[4:5], 1, v12
	s_and_b64 s[6:7], s[4:5], s[0:1]
	v_mov_b32_e32 v1, 0xff800000
	v_mov_b32_e32 v3, 0xff800000
	s_and_saveexec_b64 s[10:11], s[6:7]
	s_cbranch_execz .LBB179_6
; %bb.5:
	s_mov_b32 s15, 0
	s_lshl_b64 s[6:7], s[14:15], 1
	v_mov_b32_e32 v3, s7
	v_add_co_u32_e64 v8, s[6:7], s6, v6
	v_addc_co_u32_e64 v9, s[6:7], v7, v3, s[6:7]
	global_load_ushort v3, v[8:9], off
	s_waitcnt vmcnt(0)
	v_lshlrev_b32_e32 v3, 16, v3
.LBB179_6:
	s_or_b64 exec, exec, s[10:11]
	s_and_b64 s[4:5], s[4:5], vcc
	s_and_saveexec_b64 s[6:7], s[4:5]
	s_cbranch_execz .LBB179_8
; %bb.7:
	s_mov_b32 s15, 0
	s_lshl_b64 s[4:5], s[14:15], 1
	v_mov_b32_e32 v1, s5
	v_add_co_u32_e64 v6, s[4:5], s4, v6
	v_addc_co_u32_e64 v7, s[4:5], v7, v1, s[4:5]
	global_load_ushort v1, v[6:7], off offset:64
	s_waitcnt vmcnt(0)
	v_lshlrev_b32_e32 v1, 16, v1
.LBB179_8:
	s_or_b64 exec, exec, s[6:7]
	v_mbcnt_lo_u32_b32 v6, -1, 0
	v_mbcnt_hi_u32_b32 v6, -1, v6
	v_and_b32_e32 v7, 0x60, v6
	v_add_u32_e32 v7, 32, v7
	v_xor_b32_e32 v8, 16, v6
	v_cmp_lt_i32_e64 s[4:5], v8, v7
	v_cndmask_b32_e64 v8, v6, v8, s[4:5]
	v_lshlrev_b32_e32 v13, 2, v8
	v_xor_b32_e32 v8, 8, v6
	v_cmp_lt_i32_e64 s[4:5], v8, v7
	v_cndmask_b32_e64 v8, v6, v8, s[4:5]
	v_cmp_gt_f32_e64 s[4:5], v3, v1
	v_cndmask_b32_e64 v9, v1, v3, s[4:5]
	v_cmp_gt_f32_e64 s[4:5], v2, v0
	ds_bpermute_b32 v10, v13, v9
	v_cndmask_b32_e64 v11, v0, v2, s[4:5]
	ds_bpermute_b32 v15, v13, v11
	v_lshlrev_b32_e32 v14, 2, v8
	v_xor_b32_e32 v8, 4, v6
	v_cmp_lt_i32_e64 s[4:5], v8, v7
	v_cndmask_b32_e64 v8, v6, v8, s[4:5]
	s_waitcnt lgkmcnt(1)
	v_cmp_lt_f32_e64 s[4:5], v9, v10
	v_cndmask_b32_e64 v9, v9, v10, s[4:5]
	s_waitcnt lgkmcnt(0)
	v_cmp_lt_f32_e64 s[4:5], v11, v15
	ds_bpermute_b32 v10, v14, v9
	v_cndmask_b32_e64 v11, v11, v15, s[4:5]
	ds_bpermute_b32 v15, v14, v11
	v_lshlrev_b32_e32 v16, 2, v8
	v_xor_b32_e32 v17, 1, v6
	s_waitcnt lgkmcnt(1)
	v_cmp_lt_f32_e64 s[4:5], v9, v10
	v_cndmask_b32_e64 v8, v9, v10, s[4:5]
	s_waitcnt lgkmcnt(0)
	v_cmp_lt_f32_e64 s[4:5], v11, v15
	ds_bpermute_b32 v9, v16, v8
	v_cndmask_b32_e64 v10, v11, v15, s[4:5]
	ds_bpermute_b32 v11, v16, v10
	s_mov_b32 s6, 0x3fb8aa3b
	s_mov_b32 s7, 0xc2ce8ed0
	s_waitcnt lgkmcnt(1)
	v_cmp_lt_f32_e64 s[4:5], v8, v9
	v_cndmask_b32_e64 v8, v8, v9, s[4:5]
	s_waitcnt lgkmcnt(0)
	v_cmp_lt_f32_e64 s[4:5], v10, v11
	v_cndmask_b32_e64 v9, v10, v11, s[4:5]
	v_xor_b32_e32 v10, 2, v6
	v_cmp_lt_i32_e64 s[4:5], v10, v7
	v_cndmask_b32_e64 v10, v6, v10, s[4:5]
	v_lshlrev_b32_e32 v15, 2, v10
	ds_bpermute_b32 v11, v15, v8
	ds_bpermute_b32 v10, v15, v9
	v_cmp_lt_i32_e64 s[4:5], v17, v7
	v_cndmask_b32_e64 v6, v6, v17, s[4:5]
	v_lshlrev_b32_e32 v17, 2, v6
	s_waitcnt lgkmcnt(1)
	v_cmp_lt_f32_e64 s[4:5], v8, v11
	v_cndmask_b32_e64 v6, v8, v11, s[4:5]
	s_waitcnt lgkmcnt(0)
	v_cmp_lt_f32_e64 s[4:5], v9, v10
	ds_bpermute_b32 v7, v17, v6
	v_cndmask_b32_e64 v8, v9, v10, s[4:5]
	ds_bpermute_b32 v9, v17, v8
	s_mov_b32 s10, 0x42b17218
	s_waitcnt lgkmcnt(1)
	v_cmp_lt_f32_e64 s[4:5], v6, v7
	v_cndmask_b32_e64 v7, v6, v7, s[4:5]
	s_waitcnt lgkmcnt(0)
	v_cmp_lt_f32_e64 s[4:5], v8, v9
	v_cndmask_b32_e64 v6, v8, v9, s[4:5]
	v_pk_add_f32 v[8:9], v[2:3], v[6:7] neg_lo:[0,1] neg_hi:[0,1]
	v_mul_f32_e32 v10, 0x3fb8aa3b, v9
	v_fma_f32 v11, v9, s6, -v10
	v_rndne_f32_e32 v18, v10
	v_fmac_f32_e32 v11, 0x32a5705f, v9
	v_sub_f32_e32 v10, v10, v18
	v_add_f32_e32 v10, v10, v11
	v_exp_f32_e32 v10, v10
	v_cvt_i32_f32_e32 v11, v18
	v_cmp_ngt_f32_e64 s[4:5], s7, v9
	v_ldexp_f32 v10, v10, v11
	v_mul_f32_e32 v11, 0x3fb8aa3b, v8
	v_fma_f32 v18, v8, s6, -v11
	v_rndne_f32_e32 v19, v11
	v_fmac_f32_e32 v18, 0x32a5705f, v8
	v_sub_f32_e32 v11, v11, v19
	v_add_f32_e32 v11, v11, v18
	v_exp_f32_e32 v11, v11
	v_cvt_i32_f32_e32 v18, v19
	v_cndmask_b32_e64 v10, 0, v10, s[4:5]
	v_mov_b32_e32 v19, 0x7f800000
	v_cmp_nlt_f32_e64 s[4:5], s10, v9
	v_cndmask_b32_e64 v9, v19, v10, s[4:5]
	v_ldexp_f32 v18, v11, v18
	v_pk_add_f32 v[10:11], v[0:1], v[6:7] neg_lo:[0,1] neg_hi:[0,1]
	v_mul_f32_e32 v20, 0x3fb8aa3b, v11
	v_fma_f32 v21, v11, s6, -v20
	v_rndne_f32_e32 v22, v20
	v_fmac_f32_e32 v21, 0x32a5705f, v11
	v_sub_f32_e32 v20, v20, v22
	v_add_f32_e32 v20, v20, v21
	v_exp_f32_e32 v20, v20
	v_cvt_i32_f32_e32 v21, v22
	v_cmp_ngt_f32_e64 s[4:5], s7, v8
	v_cndmask_b32_e64 v18, 0, v18, s[4:5]
	v_cmp_nlt_f32_e64 s[4:5], s10, v8
	v_cndmask_b32_e64 v8, v19, v18, s[4:5]
	v_ldexp_f32 v18, v20, v21
	v_mul_f32_e32 v20, 0x3fb8aa3b, v10
	v_fma_f32 v21, v10, s6, -v20
	v_rndne_f32_e32 v22, v20
	v_fmac_f32_e32 v21, 0x32a5705f, v10
	v_sub_f32_e32 v20, v20, v22
	v_add_f32_e32 v20, v20, v21
	v_exp_f32_e32 v20, v20
	v_cvt_i32_f32_e32 v21, v22
	v_cmp_ngt_f32_e64 s[4:5], s7, v11
	v_cndmask_b32_e64 v18, 0, v18, s[4:5]
	v_cmp_nlt_f32_e64 s[4:5], s10, v11
	v_cndmask_b32_e64 v11, v19, v18, s[4:5]
	v_ldexp_f32 v18, v20, v21
	v_cmp_ngt_f32_e64 s[4:5], s7, v10
	v_cndmask_b32_e64 v18, 0, v18, s[4:5]
	v_cmp_nlt_f32_e64 s[4:5], s10, v10
	v_cndmask_b32_e64 v10, v19, v18, s[4:5]
	v_pk_add_f32 v[8:9], v[8:9], v[10:11]
	ds_bpermute_b32 v10, v13, v8
	ds_bpermute_b32 v11, v13, v9
	s_waitcnt lgkmcnt(0)
	v_pk_add_f32 v[8:9], v[8:9], v[10:11]
	ds_bpermute_b32 v10, v14, v8
	ds_bpermute_b32 v11, v14, v9
	s_waitcnt lgkmcnt(0)
	v_pk_add_f32 v[8:9], v[8:9], v[10:11]
	ds_bpermute_b32 v10, v16, v8
	ds_bpermute_b32 v11, v16, v9
	s_waitcnt lgkmcnt(0)
	v_pk_add_f32 v[8:9], v[8:9], v[10:11]
	ds_bpermute_b32 v10, v15, v8
	ds_bpermute_b32 v11, v15, v9
	s_waitcnt lgkmcnt(0)
	v_pk_add_f32 v[8:9], v[8:9], v[10:11]
	ds_bpermute_b32 v10, v17, v8
	ds_bpermute_b32 v11, v17, v9
	s_and_saveexec_b64 s[4:5], s[2:3]
	s_cbranch_execz .LBB179_16
; %bb.9:
	v_lshlrev_b64 v[4:5], 2, v[4:5]
	v_mov_b32_e32 v13, s9
	v_add_co_u32_e64 v4, s[2:3], s8, v4
	v_addc_co_u32_e64 v5, s[2:3], v13, v5, s[2:3]
	s_waitcnt lgkmcnt(0)
	v_pk_add_f32 v[8:9], v[8:9], v[10:11]
	s_and_saveexec_b64 s[6:7], s[0:1]
	s_cbranch_execz .LBB179_12
; %bb.10:
	s_mov_b32 s2, 0x800000
	v_mov_b32_e32 v10, 0x4f800000
	v_cmp_gt_f32_e64 s[2:3], s2, v8
	v_cndmask_b32_e64 v10, 1.0, v10, s[2:3]
	v_mul_f32_e32 v8, v8, v10
	v_log_f32_e32 v8, v8
	s_mov_b32 s4, 0x3f317217
	v_sub_f32_e32 v2, v2, v6
	v_mul_f32_e32 v10, 0x3f317217, v8
	v_fma_f32 v11, v8, s4, -v10
	v_fmac_f32_e32 v11, 0x3377d1cf, v8
	s_mov_b32 s4, 0x7f800000
	v_add_f32_e32 v10, v10, v11
	v_cmp_lt_f32_e64 s[4:5], |v8|, s4
	v_cndmask_b32_e64 v8, v8, v10, s[4:5]
	v_mov_b32_e32 v10, 0x41b17218
	v_cndmask_b32_e64 v10, 0, v10, s[2:3]
	v_sub_f32_e32 v8, v8, v10
	v_sub_f32_e32 v2, v2, v8
	global_store_dword v[4:5], v2, off
	s_and_b64 exec, exec, vcc
	s_cbranch_execz .LBB179_12
; %bb.11:
	v_sub_f32_e32 v0, v0, v6
	v_sub_f32_e32 v0, v0, v8
	global_store_dword v[4:5], v0, off offset:128
.LBB179_12:
	s_or_b64 exec, exec, s[6:7]
	v_cmp_ne_u32_e64 s[2:3], 1, v12
	s_and_b64 exec, exec, s[2:3]
	s_cbranch_execz .LBB179_16
; %bb.13:
	s_and_b64 exec, exec, s[0:1]
	s_cbranch_execz .LBB179_16
; %bb.14:
	s_mov_b32 s0, 0x800000
	v_mov_b32_e32 v0, 0x4f800000
	v_cmp_gt_f32_e64 s[0:1], s0, v9
	v_cndmask_b32_e64 v0, 1.0, v0, s[0:1]
	v_mul_f32_e32 v0, v9, v0
	v_log_f32_e32 v0, v0
	s_mov_b32 s2, 0x3f317217
	s_mov_b32 s15, 0
	v_mul_f32_e32 v2, 0x3f317217, v0
	v_fma_f32 v6, v0, s2, -v2
	v_fmac_f32_e32 v6, 0x3377d1cf, v0
	s_mov_b32 s2, 0x7f800000
	v_add_f32_e32 v2, v2, v6
	v_cmp_lt_f32_e64 s[2:3], |v0|, s2
	v_cndmask_b32_e64 v0, v0, v2, s[2:3]
	v_mov_b32_e32 v2, 0x41b17218
	v_cndmask_b32_e64 v2, 0, v2, s[0:1]
	v_sub_f32_e32 v0, v0, v2
	v_sub_f32_e32 v2, v3, v7
	s_lshl_b64 s[0:1], s[14:15], 2
	v_sub_f32_e32 v6, v2, v0
	v_mov_b32_e32 v3, s1
	v_add_co_u32_e64 v2, s[0:1], s0, v4
	v_addc_co_u32_e64 v3, s[0:1], v5, v3, s[0:1]
	global_store_dword v[2:3], v6, off
	s_and_b64 exec, exec, vcc
	s_cbranch_execz .LBB179_16
; %bb.15:
	s_ashr_i32 s15, s14, 31
	v_sub_f32_e32 v1, v1, v7
	s_lshl_b64 s[0:1], s[14:15], 2
	v_sub_f32_e32 v2, v1, v0
	v_mov_b32_e32 v1, s1
	v_add_co_u32_e32 v0, vcc, s0, v4
	v_addc_co_u32_e32 v1, vcc, v5, v1, vcc
	global_store_dword v[0:1], v2, off offset:128
.LBB179_16:
	s_endpgm
	.section	.rodata,"a",@progbits
	.p2align	6, 0x0
	.amdhsa_kernel _ZN12_GLOBAL__N_120softmax_warp_forwardIN3c108BFloat16EffLi6ELb1ELb0ELi32EEEvPT0_PKT_iiiPKbib
		.amdhsa_group_segment_fixed_size 0
		.amdhsa_private_segment_fixed_size 0
		.amdhsa_kernarg_size 304
		.amdhsa_user_sgpr_count 6
		.amdhsa_user_sgpr_private_segment_buffer 1
		.amdhsa_user_sgpr_dispatch_ptr 0
		.amdhsa_user_sgpr_queue_ptr 0
		.amdhsa_user_sgpr_kernarg_segment_ptr 1
		.amdhsa_user_sgpr_dispatch_id 0
		.amdhsa_user_sgpr_flat_scratch_init 0
		.amdhsa_user_sgpr_kernarg_preload_length 0
		.amdhsa_user_sgpr_kernarg_preload_offset 0
		.amdhsa_user_sgpr_private_segment_size 0
		.amdhsa_uses_dynamic_stack 0
		.amdhsa_system_sgpr_private_segment_wavefront_offset 0
		.amdhsa_system_sgpr_workgroup_id_x 1
		.amdhsa_system_sgpr_workgroup_id_y 0
		.amdhsa_system_sgpr_workgroup_id_z 0
		.amdhsa_system_sgpr_workgroup_info 0
		.amdhsa_system_vgpr_workitem_id 1
		.amdhsa_next_free_vgpr 23
		.amdhsa_next_free_sgpr 16
		.amdhsa_accum_offset 24
		.amdhsa_reserve_vcc 1
		.amdhsa_reserve_flat_scratch 0
		.amdhsa_float_round_mode_32 0
		.amdhsa_float_round_mode_16_64 0
		.amdhsa_float_denorm_mode_32 3
		.amdhsa_float_denorm_mode_16_64 3
		.amdhsa_dx10_clamp 1
		.amdhsa_ieee_mode 1
		.amdhsa_fp16_overflow 0
		.amdhsa_tg_split 0
		.amdhsa_exception_fp_ieee_invalid_op 0
		.amdhsa_exception_fp_denorm_src 0
		.amdhsa_exception_fp_ieee_div_zero 0
		.amdhsa_exception_fp_ieee_overflow 0
		.amdhsa_exception_fp_ieee_underflow 0
		.amdhsa_exception_fp_ieee_inexact 0
		.amdhsa_exception_int_div_zero 0
	.end_amdhsa_kernel
	.section	.text._ZN12_GLOBAL__N_120softmax_warp_forwardIN3c108BFloat16EffLi6ELb1ELb0ELi32EEEvPT0_PKT_iiiPKbib,"axG",@progbits,_ZN12_GLOBAL__N_120softmax_warp_forwardIN3c108BFloat16EffLi6ELb1ELb0ELi32EEEvPT0_PKT_iiiPKbib,comdat
.Lfunc_end179:
	.size	_ZN12_GLOBAL__N_120softmax_warp_forwardIN3c108BFloat16EffLi6ELb1ELb0ELi32EEEvPT0_PKT_iiiPKbib, .Lfunc_end179-_ZN12_GLOBAL__N_120softmax_warp_forwardIN3c108BFloat16EffLi6ELb1ELb0ELi32EEEvPT0_PKT_iiiPKbib
                                        ; -- End function
	.section	.AMDGPU.csdata,"",@progbits
; Kernel info:
; codeLenInByte = 1772
; NumSgprs: 20
; NumVgprs: 23
; NumAgprs: 0
; TotalNumVgprs: 23
; ScratchSize: 0
; MemoryBound: 0
; FloatMode: 240
; IeeeMode: 1
; LDSByteSize: 0 bytes/workgroup (compile time only)
; SGPRBlocks: 2
; VGPRBlocks: 2
; NumSGPRsForWavesPerEU: 20
; NumVGPRsForWavesPerEU: 23
; AccumOffset: 24
; Occupancy: 8
; WaveLimiterHint : 0
; COMPUTE_PGM_RSRC2:SCRATCH_EN: 0
; COMPUTE_PGM_RSRC2:USER_SGPR: 6
; COMPUTE_PGM_RSRC2:TRAP_HANDLER: 0
; COMPUTE_PGM_RSRC2:TGID_X_EN: 1
; COMPUTE_PGM_RSRC2:TGID_Y_EN: 0
; COMPUTE_PGM_RSRC2:TGID_Z_EN: 0
; COMPUTE_PGM_RSRC2:TIDIG_COMP_CNT: 1
; COMPUTE_PGM_RSRC3_GFX90A:ACCUM_OFFSET: 5
; COMPUTE_PGM_RSRC3_GFX90A:TG_SPLIT: 0
	.section	.text._ZN12_GLOBAL__N_120softmax_warp_forwardIN3c108BFloat16EffLi7ELb1ELb0ELi64EEEvPT0_PKT_iiiPKbib,"axG",@progbits,_ZN12_GLOBAL__N_120softmax_warp_forwardIN3c108BFloat16EffLi7ELb1ELb0ELi64EEEvPT0_PKT_iiiPKbib,comdat
	.globl	_ZN12_GLOBAL__N_120softmax_warp_forwardIN3c108BFloat16EffLi7ELb1ELb0ELi64EEEvPT0_PKT_iiiPKbib ; -- Begin function _ZN12_GLOBAL__N_120softmax_warp_forwardIN3c108BFloat16EffLi7ELb1ELb0ELi64EEEvPT0_PKT_iiiPKbib
	.p2align	8
	.type	_ZN12_GLOBAL__N_120softmax_warp_forwardIN3c108BFloat16EffLi7ELb1ELb0ELi64EEEvPT0_PKT_iiiPKbib,@function
_ZN12_GLOBAL__N_120softmax_warp_forwardIN3c108BFloat16EffLi7ELb1ELb0ELi64EEEvPT0_PKT_iiiPKbib: ; @_ZN12_GLOBAL__N_120softmax_warp_forwardIN3c108BFloat16EffLi7ELb1ELb0ELi64EEEvPT0_PKT_iiiPKbib
; %bb.0:
	s_load_dword s0, s[4:5], 0x3c
	s_load_dwordx8 s[8:15], s[4:5], 0x0
	v_bfe_u32 v1, v0, 10, 10
	v_and_b32_e32 v8, 0x3ff, v0
	s_waitcnt lgkmcnt(0)
	s_lshr_b32 s0, s0, 16
	s_mul_i32 s6, s6, s0
	v_add_lshl_u32 v1, s6, v1, 1
	v_mad_u64_u32 v[4:5], s[0:1], v1, s13, v[8:9]
	v_ashrrev_i32_e32 v5, 31, v4
	v_sub_u32_e32 v12, s12, v1
	v_lshlrev_b64 v[0:1], 1, v[4:5]
	v_mov_b32_e32 v2, s11
	v_add_co_u32_e32 v6, vcc, s10, v0
	v_cmp_lt_i32_e64 s[2:3], 0, v12
	v_cmp_gt_i32_e64 s[0:1], s14, v8
	v_addc_co_u32_e32 v7, vcc, v2, v1, vcc
	s_and_b64 s[6:7], s[2:3], s[0:1]
	v_mov_b32_e32 v0, 0xff800000
	v_mov_b32_e32 v2, 0xff800000
	s_and_saveexec_b64 s[4:5], s[6:7]
	s_cbranch_execz .LBB180_2
; %bb.1:
	global_load_ushort v1, v[6:7], off
	s_waitcnt vmcnt(0)
	v_lshlrev_b32_e32 v2, 16, v1
.LBB180_2:
	s_or_b64 exec, exec, s[4:5]
	v_add_u32_e32 v1, 64, v8
	v_cmp_gt_i32_e32 vcc, s14, v1
	s_and_b64 s[6:7], s[2:3], vcc
	s_and_saveexec_b64 s[4:5], s[6:7]
	s_cbranch_execz .LBB180_4
; %bb.3:
	global_load_ushort v0, v[6:7], off offset:128
	s_waitcnt vmcnt(0)
	v_lshlrev_b32_e32 v0, 16, v0
.LBB180_4:
	s_or_b64 exec, exec, s[4:5]
	v_cmp_lt_i32_e64 s[4:5], 1, v12
	s_and_b64 s[6:7], s[4:5], s[0:1]
	v_mov_b32_e32 v1, 0xff800000
	v_mov_b32_e32 v3, 0xff800000
	s_and_saveexec_b64 s[10:11], s[6:7]
	s_cbranch_execz .LBB180_6
; %bb.5:
	s_mov_b32 s15, 0
	s_lshl_b64 s[6:7], s[14:15], 1
	v_mov_b32_e32 v3, s7
	v_add_co_u32_e64 v8, s[6:7], s6, v6
	v_addc_co_u32_e64 v9, s[6:7], v7, v3, s[6:7]
	global_load_ushort v3, v[8:9], off
	s_waitcnt vmcnt(0)
	v_lshlrev_b32_e32 v3, 16, v3
.LBB180_6:
	s_or_b64 exec, exec, s[10:11]
	s_and_b64 s[4:5], s[4:5], vcc
	s_and_saveexec_b64 s[6:7], s[4:5]
	s_cbranch_execz .LBB180_8
; %bb.7:
	s_mov_b32 s15, 0
	s_lshl_b64 s[4:5], s[14:15], 1
	v_mov_b32_e32 v1, s5
	v_add_co_u32_e64 v6, s[4:5], s4, v6
	v_addc_co_u32_e64 v7, s[4:5], v7, v1, s[4:5]
	global_load_ushort v1, v[6:7], off offset:128
	s_waitcnt vmcnt(0)
	v_lshlrev_b32_e32 v1, 16, v1
.LBB180_8:
	s_or_b64 exec, exec, s[6:7]
	v_mbcnt_lo_u32_b32 v6, -1, 0
	v_mbcnt_hi_u32_b32 v6, -1, v6
	v_and_b32_e32 v7, 64, v6
	v_add_u32_e32 v7, 64, v7
	v_xor_b32_e32 v8, 32, v6
	v_cmp_lt_i32_e64 s[4:5], v8, v7
	v_cndmask_b32_e64 v8, v6, v8, s[4:5]
	v_lshlrev_b32_e32 v13, 2, v8
	v_xor_b32_e32 v8, 16, v6
	v_cmp_lt_i32_e64 s[4:5], v8, v7
	v_cndmask_b32_e64 v8, v6, v8, s[4:5]
	v_lshlrev_b32_e32 v14, 2, v8
	v_xor_b32_e32 v8, 8, v6
	v_cmp_lt_i32_e64 s[4:5], v8, v7
	v_cndmask_b32_e64 v8, v6, v8, s[4:5]
	v_cmp_gt_f32_e64 s[4:5], v3, v1
	v_lshlrev_b32_e32 v15, 2, v8
	v_cndmask_b32_e64 v8, v1, v3, s[4:5]
	v_cmp_gt_f32_e64 s[4:5], v2, v0
	ds_bpermute_b32 v9, v13, v8
	v_cndmask_b32_e64 v10, v0, v2, s[4:5]
	ds_bpermute_b32 v11, v13, v10
	v_xor_b32_e32 v16, 4, v6
	v_xor_b32_e32 v18, 1, v6
	s_waitcnt lgkmcnt(1)
	v_cmp_lt_f32_e64 s[4:5], v8, v9
	v_cndmask_b32_e64 v8, v8, v9, s[4:5]
	s_waitcnt lgkmcnt(0)
	v_cmp_lt_f32_e64 s[4:5], v10, v11
	ds_bpermute_b32 v9, v14, v8
	v_cndmask_b32_e64 v10, v10, v11, s[4:5]
	ds_bpermute_b32 v11, v14, v10
	v_cmp_lt_i32_e64 s[4:5], v16, v7
	v_cndmask_b32_e64 v16, v6, v16, s[4:5]
	s_waitcnt lgkmcnt(1)
	v_cmp_lt_f32_e64 s[4:5], v8, v9
	v_cndmask_b32_e64 v8, v8, v9, s[4:5]
	s_waitcnt lgkmcnt(0)
	v_cmp_lt_f32_e64 s[4:5], v10, v11
	ds_bpermute_b32 v9, v15, v8
	v_cndmask_b32_e64 v10, v10, v11, s[4:5]
	ds_bpermute_b32 v11, v15, v10
	v_lshlrev_b32_e32 v16, 2, v16
	s_mov_b32 s6, 0x3fb8aa3b
	s_waitcnt lgkmcnt(1)
	v_cmp_lt_f32_e64 s[4:5], v8, v9
	v_cndmask_b32_e64 v8, v8, v9, s[4:5]
	s_waitcnt lgkmcnt(0)
	v_cmp_lt_f32_e64 s[4:5], v10, v11
	ds_bpermute_b32 v9, v16, v8
	v_cndmask_b32_e64 v10, v10, v11, s[4:5]
	ds_bpermute_b32 v11, v16, v10
	s_mov_b32 s7, 0xc2ce8ed0
	s_mov_b32 s10, 0x42b17218
	s_waitcnt lgkmcnt(1)
	v_cmp_lt_f32_e64 s[4:5], v8, v9
	v_cndmask_b32_e64 v8, v8, v9, s[4:5]
	s_waitcnt lgkmcnt(0)
	v_cmp_lt_f32_e64 s[4:5], v10, v11
	v_cndmask_b32_e64 v9, v10, v11, s[4:5]
	v_xor_b32_e32 v10, 2, v6
	v_cmp_lt_i32_e64 s[4:5], v10, v7
	v_cndmask_b32_e64 v10, v6, v10, s[4:5]
	v_lshlrev_b32_e32 v17, 2, v10
	ds_bpermute_b32 v11, v17, v8
	ds_bpermute_b32 v10, v17, v9
	v_cmp_lt_i32_e64 s[4:5], v18, v7
	v_cndmask_b32_e64 v6, v6, v18, s[4:5]
	v_lshlrev_b32_e32 v18, 2, v6
	s_waitcnt lgkmcnt(1)
	v_cmp_lt_f32_e64 s[4:5], v8, v11
	v_cndmask_b32_e64 v6, v8, v11, s[4:5]
	s_waitcnt lgkmcnt(0)
	v_cmp_lt_f32_e64 s[4:5], v9, v10
	ds_bpermute_b32 v7, v18, v6
	v_cndmask_b32_e64 v8, v9, v10, s[4:5]
	ds_bpermute_b32 v9, v18, v8
	s_waitcnt lgkmcnt(1)
	v_cmp_lt_f32_e64 s[4:5], v6, v7
	v_cndmask_b32_e64 v7, v6, v7, s[4:5]
	s_waitcnt lgkmcnt(0)
	v_cmp_lt_f32_e64 s[4:5], v8, v9
	v_cndmask_b32_e64 v6, v8, v9, s[4:5]
	v_pk_add_f32 v[8:9], v[2:3], v[6:7] neg_lo:[0,1] neg_hi:[0,1]
	v_mul_f32_e32 v10, 0x3fb8aa3b, v9
	v_fma_f32 v11, v9, s6, -v10
	v_rndne_f32_e32 v19, v10
	v_fmac_f32_e32 v11, 0x32a5705f, v9
	v_sub_f32_e32 v10, v10, v19
	v_add_f32_e32 v10, v10, v11
	v_exp_f32_e32 v10, v10
	v_cvt_i32_f32_e32 v11, v19
	v_cmp_ngt_f32_e64 s[4:5], s7, v9
	v_ldexp_f32 v10, v10, v11
	v_mul_f32_e32 v11, 0x3fb8aa3b, v8
	v_fma_f32 v19, v8, s6, -v11
	v_rndne_f32_e32 v20, v11
	v_fmac_f32_e32 v19, 0x32a5705f, v8
	v_sub_f32_e32 v11, v11, v20
	v_add_f32_e32 v11, v11, v19
	v_exp_f32_e32 v11, v11
	v_cvt_i32_f32_e32 v19, v20
	v_cndmask_b32_e64 v10, 0, v10, s[4:5]
	v_mov_b32_e32 v20, 0x7f800000
	v_cmp_nlt_f32_e64 s[4:5], s10, v9
	v_cndmask_b32_e64 v9, v20, v10, s[4:5]
	v_ldexp_f32 v19, v11, v19
	v_pk_add_f32 v[10:11], v[0:1], v[6:7] neg_lo:[0,1] neg_hi:[0,1]
	v_mul_f32_e32 v21, 0x3fb8aa3b, v11
	v_fma_f32 v22, v11, s6, -v21
	v_rndne_f32_e32 v23, v21
	v_fmac_f32_e32 v22, 0x32a5705f, v11
	v_sub_f32_e32 v21, v21, v23
	v_add_f32_e32 v21, v21, v22
	v_exp_f32_e32 v21, v21
	v_cvt_i32_f32_e32 v22, v23
	v_cmp_ngt_f32_e64 s[4:5], s7, v8
	v_cndmask_b32_e64 v19, 0, v19, s[4:5]
	v_cmp_nlt_f32_e64 s[4:5], s10, v8
	v_cndmask_b32_e64 v8, v20, v19, s[4:5]
	v_ldexp_f32 v19, v21, v22
	v_mul_f32_e32 v21, 0x3fb8aa3b, v10
	v_fma_f32 v22, v10, s6, -v21
	v_rndne_f32_e32 v23, v21
	v_fmac_f32_e32 v22, 0x32a5705f, v10
	v_sub_f32_e32 v21, v21, v23
	v_add_f32_e32 v21, v21, v22
	v_exp_f32_e32 v21, v21
	v_cvt_i32_f32_e32 v22, v23
	v_cmp_ngt_f32_e64 s[4:5], s7, v11
	v_cndmask_b32_e64 v19, 0, v19, s[4:5]
	v_cmp_nlt_f32_e64 s[4:5], s10, v11
	v_cndmask_b32_e64 v11, v20, v19, s[4:5]
	v_ldexp_f32 v19, v21, v22
	v_cmp_ngt_f32_e64 s[4:5], s7, v10
	v_cndmask_b32_e64 v19, 0, v19, s[4:5]
	v_cmp_nlt_f32_e64 s[4:5], s10, v10
	v_cndmask_b32_e64 v10, v20, v19, s[4:5]
	v_pk_add_f32 v[8:9], v[8:9], v[10:11]
	ds_bpermute_b32 v10, v13, v8
	ds_bpermute_b32 v11, v13, v9
	s_waitcnt lgkmcnt(0)
	v_pk_add_f32 v[8:9], v[8:9], v[10:11]
	ds_bpermute_b32 v10, v14, v8
	ds_bpermute_b32 v11, v14, v9
	s_waitcnt lgkmcnt(0)
	;; [unrolled: 4-line block ×5, first 2 shown]
	v_pk_add_f32 v[8:9], v[8:9], v[10:11]
	ds_bpermute_b32 v10, v18, v8
	ds_bpermute_b32 v11, v18, v9
	s_and_saveexec_b64 s[4:5], s[2:3]
	s_cbranch_execz .LBB180_16
; %bb.9:
	v_lshlrev_b64 v[4:5], 2, v[4:5]
	v_mov_b32_e32 v13, s9
	v_add_co_u32_e64 v4, s[2:3], s8, v4
	v_addc_co_u32_e64 v5, s[2:3], v13, v5, s[2:3]
	s_waitcnt lgkmcnt(0)
	v_pk_add_f32 v[8:9], v[8:9], v[10:11]
	s_and_saveexec_b64 s[6:7], s[0:1]
	s_cbranch_execz .LBB180_12
; %bb.10:
	s_mov_b32 s2, 0x800000
	v_mov_b32_e32 v10, 0x4f800000
	v_cmp_gt_f32_e64 s[2:3], s2, v8
	v_cndmask_b32_e64 v10, 1.0, v10, s[2:3]
	v_mul_f32_e32 v8, v8, v10
	v_log_f32_e32 v8, v8
	s_mov_b32 s4, 0x3f317217
	v_sub_f32_e32 v2, v2, v6
	v_mul_f32_e32 v10, 0x3f317217, v8
	v_fma_f32 v11, v8, s4, -v10
	v_fmac_f32_e32 v11, 0x3377d1cf, v8
	s_mov_b32 s4, 0x7f800000
	v_add_f32_e32 v10, v10, v11
	v_cmp_lt_f32_e64 s[4:5], |v8|, s4
	v_cndmask_b32_e64 v8, v8, v10, s[4:5]
	v_mov_b32_e32 v10, 0x41b17218
	v_cndmask_b32_e64 v10, 0, v10, s[2:3]
	v_sub_f32_e32 v8, v8, v10
	v_sub_f32_e32 v2, v2, v8
	global_store_dword v[4:5], v2, off
	s_and_b64 exec, exec, vcc
	s_cbranch_execz .LBB180_12
; %bb.11:
	v_sub_f32_e32 v0, v0, v6
	v_sub_f32_e32 v0, v0, v8
	global_store_dword v[4:5], v0, off offset:256
.LBB180_12:
	s_or_b64 exec, exec, s[6:7]
	v_cmp_ne_u32_e64 s[2:3], 1, v12
	s_and_b64 exec, exec, s[2:3]
	s_cbranch_execz .LBB180_16
; %bb.13:
	s_and_b64 exec, exec, s[0:1]
	s_cbranch_execz .LBB180_16
; %bb.14:
	s_mov_b32 s0, 0x800000
	v_mov_b32_e32 v0, 0x4f800000
	v_cmp_gt_f32_e64 s[0:1], s0, v9
	v_cndmask_b32_e64 v0, 1.0, v0, s[0:1]
	v_mul_f32_e32 v0, v9, v0
	v_log_f32_e32 v0, v0
	s_mov_b32 s2, 0x3f317217
	s_mov_b32 s15, 0
	v_mul_f32_e32 v2, 0x3f317217, v0
	v_fma_f32 v6, v0, s2, -v2
	v_fmac_f32_e32 v6, 0x3377d1cf, v0
	s_mov_b32 s2, 0x7f800000
	v_add_f32_e32 v2, v2, v6
	v_cmp_lt_f32_e64 s[2:3], |v0|, s2
	v_cndmask_b32_e64 v0, v0, v2, s[2:3]
	v_mov_b32_e32 v2, 0x41b17218
	v_cndmask_b32_e64 v2, 0, v2, s[0:1]
	v_sub_f32_e32 v0, v0, v2
	v_sub_f32_e32 v2, v3, v7
	s_lshl_b64 s[0:1], s[14:15], 2
	v_sub_f32_e32 v6, v2, v0
	v_mov_b32_e32 v3, s1
	v_add_co_u32_e64 v2, s[0:1], s0, v4
	v_addc_co_u32_e64 v3, s[0:1], v5, v3, s[0:1]
	global_store_dword v[2:3], v6, off
	s_and_b64 exec, exec, vcc
	s_cbranch_execz .LBB180_16
; %bb.15:
	s_ashr_i32 s15, s14, 31
	v_sub_f32_e32 v1, v1, v7
	s_lshl_b64 s[0:1], s[14:15], 2
	v_sub_f32_e32 v2, v1, v0
	v_mov_b32_e32 v1, s1
	v_add_co_u32_e32 v0, vcc, s0, v4
	v_addc_co_u32_e32 v1, vcc, v5, v1, vcc
	global_store_dword v[0:1], v2, off offset:256
.LBB180_16:
	s_endpgm
	.section	.rodata,"a",@progbits
	.p2align	6, 0x0
	.amdhsa_kernel _ZN12_GLOBAL__N_120softmax_warp_forwardIN3c108BFloat16EffLi7ELb1ELb0ELi64EEEvPT0_PKT_iiiPKbib
		.amdhsa_group_segment_fixed_size 0
		.amdhsa_private_segment_fixed_size 0
		.amdhsa_kernarg_size 304
		.amdhsa_user_sgpr_count 6
		.amdhsa_user_sgpr_private_segment_buffer 1
		.amdhsa_user_sgpr_dispatch_ptr 0
		.amdhsa_user_sgpr_queue_ptr 0
		.amdhsa_user_sgpr_kernarg_segment_ptr 1
		.amdhsa_user_sgpr_dispatch_id 0
		.amdhsa_user_sgpr_flat_scratch_init 0
		.amdhsa_user_sgpr_kernarg_preload_length 0
		.amdhsa_user_sgpr_kernarg_preload_offset 0
		.amdhsa_user_sgpr_private_segment_size 0
		.amdhsa_uses_dynamic_stack 0
		.amdhsa_system_sgpr_private_segment_wavefront_offset 0
		.amdhsa_system_sgpr_workgroup_id_x 1
		.amdhsa_system_sgpr_workgroup_id_y 0
		.amdhsa_system_sgpr_workgroup_id_z 0
		.amdhsa_system_sgpr_workgroup_info 0
		.amdhsa_system_vgpr_workitem_id 1
		.amdhsa_next_free_vgpr 24
		.amdhsa_next_free_sgpr 16
		.amdhsa_accum_offset 24
		.amdhsa_reserve_vcc 1
		.amdhsa_reserve_flat_scratch 0
		.amdhsa_float_round_mode_32 0
		.amdhsa_float_round_mode_16_64 0
		.amdhsa_float_denorm_mode_32 3
		.amdhsa_float_denorm_mode_16_64 3
		.amdhsa_dx10_clamp 1
		.amdhsa_ieee_mode 1
		.amdhsa_fp16_overflow 0
		.amdhsa_tg_split 0
		.amdhsa_exception_fp_ieee_invalid_op 0
		.amdhsa_exception_fp_denorm_src 0
		.amdhsa_exception_fp_ieee_div_zero 0
		.amdhsa_exception_fp_ieee_overflow 0
		.amdhsa_exception_fp_ieee_underflow 0
		.amdhsa_exception_fp_ieee_inexact 0
		.amdhsa_exception_int_div_zero 0
	.end_amdhsa_kernel
	.section	.text._ZN12_GLOBAL__N_120softmax_warp_forwardIN3c108BFloat16EffLi7ELb1ELb0ELi64EEEvPT0_PKT_iiiPKbib,"axG",@progbits,_ZN12_GLOBAL__N_120softmax_warp_forwardIN3c108BFloat16EffLi7ELb1ELb0ELi64EEEvPT0_PKT_iiiPKbib,comdat
.Lfunc_end180:
	.size	_ZN12_GLOBAL__N_120softmax_warp_forwardIN3c108BFloat16EffLi7ELb1ELb0ELi64EEEvPT0_PKT_iiiPKbib, .Lfunc_end180-_ZN12_GLOBAL__N_120softmax_warp_forwardIN3c108BFloat16EffLi7ELb1ELb0ELi64EEEvPT0_PKT_iiiPKbib
                                        ; -- End function
	.section	.AMDGPU.csdata,"",@progbits
; Kernel info:
; codeLenInByte = 1876
; NumSgprs: 20
; NumVgprs: 24
; NumAgprs: 0
; TotalNumVgprs: 24
; ScratchSize: 0
; MemoryBound: 0
; FloatMode: 240
; IeeeMode: 1
; LDSByteSize: 0 bytes/workgroup (compile time only)
; SGPRBlocks: 2
; VGPRBlocks: 2
; NumSGPRsForWavesPerEU: 20
; NumVGPRsForWavesPerEU: 24
; AccumOffset: 24
; Occupancy: 8
; WaveLimiterHint : 0
; COMPUTE_PGM_RSRC2:SCRATCH_EN: 0
; COMPUTE_PGM_RSRC2:USER_SGPR: 6
; COMPUTE_PGM_RSRC2:TRAP_HANDLER: 0
; COMPUTE_PGM_RSRC2:TGID_X_EN: 1
; COMPUTE_PGM_RSRC2:TGID_Y_EN: 0
; COMPUTE_PGM_RSRC2:TGID_Z_EN: 0
; COMPUTE_PGM_RSRC2:TIDIG_COMP_CNT: 1
; COMPUTE_PGM_RSRC3_GFX90A:ACCUM_OFFSET: 5
; COMPUTE_PGM_RSRC3_GFX90A:TG_SPLIT: 0
	.section	.text._ZN12_GLOBAL__N_120softmax_warp_forwardIN3c108BFloat16EffLi7ELb1ELb0ELi32EEEvPT0_PKT_iiiPKbib,"axG",@progbits,_ZN12_GLOBAL__N_120softmax_warp_forwardIN3c108BFloat16EffLi7ELb1ELb0ELi32EEEvPT0_PKT_iiiPKbib,comdat
	.globl	_ZN12_GLOBAL__N_120softmax_warp_forwardIN3c108BFloat16EffLi7ELb1ELb0ELi32EEEvPT0_PKT_iiiPKbib ; -- Begin function _ZN12_GLOBAL__N_120softmax_warp_forwardIN3c108BFloat16EffLi7ELb1ELb0ELi32EEEvPT0_PKT_iiiPKbib
	.p2align	8
	.type	_ZN12_GLOBAL__N_120softmax_warp_forwardIN3c108BFloat16EffLi7ELb1ELb0ELi32EEEvPT0_PKT_iiiPKbib,@function
_ZN12_GLOBAL__N_120softmax_warp_forwardIN3c108BFloat16EffLi7ELb1ELb0ELi32EEEvPT0_PKT_iiiPKbib: ; @_ZN12_GLOBAL__N_120softmax_warp_forwardIN3c108BFloat16EffLi7ELb1ELb0ELi32EEEvPT0_PKT_iiiPKbib
; %bb.0:
	s_load_dword s0, s[4:5], 0x3c
	s_load_dwordx8 s[12:19], s[4:5], 0x0
	v_bfe_u32 v1, v0, 10, 10
	v_and_b32_e32 v12, 0x3ff, v0
	v_mov_b32_e32 v4, 0xff800000
	s_waitcnt lgkmcnt(0)
	s_lshr_b32 s0, s0, 16
	s_mul_i32 s6, s6, s0
	v_add_lshl_u32 v1, s6, v1, 1
	v_mad_u64_u32 v[8:9], s[0:1], v1, s17, v[12:13]
	v_ashrrev_i32_e32 v9, 31, v8
	v_sub_u32_e32 v16, s16, v1
	v_lshlrev_b64 v[0:1], 1, v[8:9]
	v_mov_b32_e32 v2, s15
	v_add_co_u32_e32 v10, vcc, s14, v0
	v_cmp_lt_i32_e64 s[6:7], 0, v16
	v_cmp_gt_i32_e64 s[4:5], s18, v12
	v_addc_co_u32_e32 v11, vcc, v2, v1, vcc
	s_and_b64 s[2:3], s[6:7], s[4:5]
	v_mov_b32_e32 v0, 0xff800000
	s_and_saveexec_b64 s[0:1], s[2:3]
	s_cbranch_execz .LBB181_2
; %bb.1:
	global_load_ushort v1, v[10:11], off
	s_waitcnt vmcnt(0)
	v_lshlrev_b32_e32 v4, 16, v1
.LBB181_2:
	s_or_b64 exec, exec, s[0:1]
	v_add_u32_e32 v1, 32, v12
	v_cmp_gt_i32_e32 vcc, s18, v1
	s_and_b64 s[2:3], s[6:7], vcc
	s_and_saveexec_b64 s[0:1], s[2:3]
	s_cbranch_execz .LBB181_4
; %bb.3:
	global_load_ushort v0, v[10:11], off offset:64
	s_waitcnt vmcnt(0)
	v_lshlrev_b32_e32 v0, 16, v0
.LBB181_4:
	s_or_b64 exec, exec, s[0:1]
	v_add_u32_e32 v1, 64, v12
	v_cmp_gt_i32_e64 s[0:1], s18, v1
	s_and_b64 s[8:9], s[6:7], s[0:1]
	v_mov_b32_e32 v2, 0xff800000
	v_mov_b32_e32 v6, 0xff800000
	s_and_saveexec_b64 s[2:3], s[8:9]
	s_cbranch_execz .LBB181_6
; %bb.5:
	global_load_ushort v1, v[10:11], off offset:128
	s_waitcnt vmcnt(0)
	v_lshlrev_b32_e32 v6, 16, v1
.LBB181_6:
	s_or_b64 exec, exec, s[2:3]
	v_add_u32_e32 v1, 0x60, v12
	v_cmp_gt_i32_e64 s[2:3], s18, v1
	s_and_b64 s[10:11], s[6:7], s[2:3]
	s_and_saveexec_b64 s[8:9], s[10:11]
	s_cbranch_execz .LBB181_8
; %bb.7:
	global_load_ushort v1, v[10:11], off offset:192
	s_waitcnt vmcnt(0)
	v_lshlrev_b32_e32 v2, 16, v1
.LBB181_8:
	s_or_b64 exec, exec, s[8:9]
	v_cmp_lt_i32_e64 s[8:9], 1, v16
	s_and_b64 s[10:11], s[8:9], s[4:5]
	v_mov_b32_e32 v1, 0xff800000
	v_mov_b32_e32 v5, 0xff800000
	s_and_saveexec_b64 s[14:15], s[10:11]
	s_cbranch_execz .LBB181_10
; %bb.9:
	s_mov_b32 s19, 0
	s_lshl_b64 s[10:11], s[18:19], 1
	v_mov_b32_e32 v3, s11
	v_add_co_u32_e64 v12, s[10:11], s10, v10
	v_addc_co_u32_e64 v13, s[10:11], v11, v3, s[10:11]
	global_load_ushort v3, v[12:13], off
	s_waitcnt vmcnt(0)
	v_lshlrev_b32_e32 v5, 16, v3
.LBB181_10:
	s_or_b64 exec, exec, s[14:15]
	s_and_b64 s[10:11], s[8:9], vcc
	s_and_saveexec_b64 s[14:15], s[10:11]
	s_cbranch_execz .LBB181_12
; %bb.11:
	s_mov_b32 s19, 0
	s_lshl_b64 s[10:11], s[18:19], 1
	v_mov_b32_e32 v1, s11
	v_add_co_u32_e64 v12, s[10:11], s10, v10
	v_addc_co_u32_e64 v13, s[10:11], v11, v1, s[10:11]
	global_load_ushort v1, v[12:13], off offset:64
	s_waitcnt vmcnt(0)
	v_lshlrev_b32_e32 v1, 16, v1
.LBB181_12:
	s_or_b64 exec, exec, s[14:15]
	s_and_b64 s[10:11], s[8:9], s[0:1]
	v_mov_b32_e32 v3, 0xff800000
	v_mov_b32_e32 v7, 0xff800000
	s_and_saveexec_b64 s[14:15], s[10:11]
	s_cbranch_execz .LBB181_14
; %bb.13:
	s_mov_b32 s19, 0
	s_lshl_b64 s[10:11], s[18:19], 1
	v_mov_b32_e32 v7, s11
	v_add_co_u32_e64 v12, s[10:11], s10, v10
	v_addc_co_u32_e64 v13, s[10:11], v11, v7, s[10:11]
	global_load_ushort v7, v[12:13], off offset:128
	s_waitcnt vmcnt(0)
	v_lshlrev_b32_e32 v7, 16, v7
.LBB181_14:
	s_or_b64 exec, exec, s[14:15]
	s_and_b64 s[8:9], s[8:9], s[2:3]
	s_and_saveexec_b64 s[10:11], s[8:9]
	s_cbranch_execz .LBB181_16
; %bb.15:
	s_mov_b32 s19, 0
	s_lshl_b64 s[8:9], s[18:19], 1
	v_mov_b32_e32 v3, s9
	v_add_co_u32_e64 v10, s[8:9], s8, v10
	v_addc_co_u32_e64 v11, s[8:9], v11, v3, s[8:9]
	global_load_ushort v3, v[10:11], off offset:192
	s_waitcnt vmcnt(0)
	v_lshlrev_b32_e32 v3, 16, v3
.LBB181_16:
	s_or_b64 exec, exec, s[10:11]
	v_mbcnt_lo_u32_b32 v12, -1, 0
	v_mbcnt_hi_u32_b32 v12, -1, v12
	v_cmp_gt_f32_e64 s[8:9], v4, v0
	v_and_b32_e32 v13, 0x60, v12
	v_cndmask_b32_e64 v10, v0, v4, s[8:9]
	v_cmp_gt_f32_e64 s[8:9], v5, v1
	v_add_u32_e32 v13, 32, v13
	v_xor_b32_e32 v14, 16, v12
	v_cndmask_b32_e64 v11, v1, v5, s[8:9]
	v_cmp_lt_i32_e64 s[8:9], v14, v13
	v_cndmask_b32_e64 v14, v12, v14, s[8:9]
	v_lshlrev_b32_e32 v17, 2, v14
	v_xor_b32_e32 v14, 8, v12
	v_cmp_lt_i32_e64 s[8:9], v14, v13
	v_cndmask_b32_e64 v14, v12, v14, s[8:9]
	v_lshlrev_b32_e32 v22, 2, v14
	v_xor_b32_e32 v14, 4, v12
	v_cmp_lt_i32_e64 s[8:9], v14, v13
	v_cndmask_b32_e64 v14, v12, v14, s[8:9]
	v_cmp_gt_f32_e64 s[8:9], v11, v7
	v_cndmask_b32_e64 v11, v7, v11, s[8:9]
	v_cmp_gt_f32_e64 s[8:9], v11, v3
	v_cndmask_b32_e64 v11, v3, v11, s[8:9]
	ds_bpermute_b32 v15, v17, v11
	v_cmp_gt_f32_e64 s[8:9], v10, v6
	v_cndmask_b32_e64 v10, v6, v10, s[8:9]
	v_cmp_gt_f32_e64 s[8:9], v10, v2
	v_cndmask_b32_e64 v10, v2, v10, s[8:9]
	ds_bpermute_b32 v18, v17, v10
	s_waitcnt lgkmcnt(1)
	v_cmp_lt_f32_e64 s[8:9], v11, v15
	v_cndmask_b32_e64 v11, v11, v15, s[8:9]
	v_lshlrev_b32_e32 v23, 2, v14
	v_xor_b32_e32 v14, 2, v12
	ds_bpermute_b32 v15, v22, v11
	v_cmp_lt_i32_e64 s[8:9], v14, v13
	v_cndmask_b32_e64 v14, v12, v14, s[8:9]
	s_waitcnt lgkmcnt(1)
	v_cmp_lt_f32_e64 s[8:9], v10, v18
	v_cndmask_b32_e64 v10, v10, v18, s[8:9]
	ds_bpermute_b32 v18, v22, v10
	s_waitcnt lgkmcnt(1)
	v_cmp_lt_f32_e64 s[8:9], v11, v15
	v_cndmask_b32_e64 v11, v11, v15, s[8:9]
	ds_bpermute_b32 v15, v23, v11
	v_lshlrev_b32_e32 v24, 2, v14
	s_waitcnt lgkmcnt(1)
	v_cmp_lt_f32_e64 s[8:9], v10, v18
	v_cndmask_b32_e64 v10, v10, v18, s[8:9]
	ds_bpermute_b32 v14, v23, v10
	s_waitcnt lgkmcnt(1)
	v_cmp_lt_f32_e64 s[8:9], v11, v15
	v_cndmask_b32_e64 v11, v11, v15, s[8:9]
	ds_bpermute_b32 v15, v24, v11
	s_mov_b32 s10, 0x3fb8aa3b
	s_waitcnt lgkmcnt(1)
	v_cmp_lt_f32_e64 s[8:9], v10, v14
	v_cndmask_b32_e64 v10, v10, v14, s[8:9]
	ds_bpermute_b32 v14, v24, v10
	s_waitcnt lgkmcnt(1)
	v_cmp_lt_f32_e64 s[8:9], v11, v15
	v_cndmask_b32_e64 v11, v11, v15, s[8:9]
	v_xor_b32_e32 v15, 1, v12
	v_cmp_lt_i32_e64 s[8:9], v15, v13
	v_cndmask_b32_e64 v12, v12, v15, s[8:9]
	v_lshlrev_b32_e32 v25, 2, v12
	s_waitcnt lgkmcnt(0)
	v_cmp_lt_f32_e64 s[8:9], v10, v14
	ds_bpermute_b32 v12, v25, v11
	v_cndmask_b32_e64 v10, v10, v14, s[8:9]
	ds_bpermute_b32 v13, v25, v10
	s_mov_b32 s11, 0xc2ce8ed0
	s_mov_b32 s14, 0x42b17218
	s_waitcnt lgkmcnt(1)
	v_cmp_lt_f32_e64 s[8:9], v11, v12
	v_cndmask_b32_e64 v11, v11, v12, s[8:9]
	s_waitcnt lgkmcnt(0)
	v_cmp_lt_f32_e64 s[8:9], v10, v13
	v_cndmask_b32_e64 v10, v10, v13, s[8:9]
	v_pk_add_f32 v[12:13], v[4:5], v[10:11] neg_lo:[0,1] neg_hi:[0,1]
	v_mul_f32_e32 v14, 0x3fb8aa3b, v13
	v_fma_f32 v15, v13, s10, -v14
	v_rndne_f32_e32 v18, v14
	v_fmac_f32_e32 v15, 0x32a5705f, v13
	v_sub_f32_e32 v14, v14, v18
	v_add_f32_e32 v14, v14, v15
	v_exp_f32_e32 v14, v14
	v_cvt_i32_f32_e32 v15, v18
	v_cmp_ngt_f32_e64 s[8:9], s11, v13
	v_mov_b32_e32 v26, 0x7f800000
	v_ldexp_f32 v14, v14, v15
	v_mul_f32_e32 v15, 0x3fb8aa3b, v12
	v_fma_f32 v18, v12, s10, -v15
	v_rndne_f32_e32 v19, v15
	v_fmac_f32_e32 v18, 0x32a5705f, v12
	v_sub_f32_e32 v15, v15, v19
	v_add_f32_e32 v15, v15, v18
	v_exp_f32_e32 v15, v15
	v_cvt_i32_f32_e32 v18, v19
	v_cndmask_b32_e64 v14, 0, v14, s[8:9]
	v_cmp_nlt_f32_e64 s[8:9], s14, v13
	v_cndmask_b32_e64 v13, v26, v14, s[8:9]
	v_ldexp_f32 v18, v15, v18
	v_pk_add_f32 v[14:15], v[0:1], v[10:11] neg_lo:[0,1] neg_hi:[0,1]
	v_mul_f32_e32 v19, 0x3fb8aa3b, v15
	v_fma_f32 v20, v15, s10, -v19
	v_rndne_f32_e32 v21, v19
	v_fmac_f32_e32 v20, 0x32a5705f, v15
	v_sub_f32_e32 v19, v19, v21
	v_add_f32_e32 v19, v19, v20
	v_exp_f32_e32 v19, v19
	v_cvt_i32_f32_e32 v20, v21
	v_cmp_ngt_f32_e64 s[8:9], s11, v12
	v_cndmask_b32_e64 v18, 0, v18, s[8:9]
	v_cmp_nlt_f32_e64 s[8:9], s14, v12
	v_cndmask_b32_e64 v12, v26, v18, s[8:9]
	v_ldexp_f32 v18, v19, v20
	v_mul_f32_e32 v19, 0x3fb8aa3b, v14
	v_fma_f32 v20, v14, s10, -v19
	v_rndne_f32_e32 v21, v19
	v_fmac_f32_e32 v20, 0x32a5705f, v14
	v_sub_f32_e32 v19, v19, v21
	v_add_f32_e32 v19, v19, v20
	v_exp_f32_e32 v19, v19
	v_cvt_i32_f32_e32 v20, v21
	v_cmp_ngt_f32_e64 s[8:9], s11, v15
	v_cndmask_b32_e64 v18, 0, v18, s[8:9]
	v_cmp_nlt_f32_e64 s[8:9], s14, v15
	v_cndmask_b32_e64 v15, v26, v18, s[8:9]
	v_ldexp_f32 v18, v19, v20
	v_cmp_ngt_f32_e64 s[8:9], s11, v14
	v_cndmask_b32_e64 v20, 0, v18, s[8:9]
	v_pk_add_f32 v[18:19], v[6:7], v[10:11] neg_lo:[0,1] neg_hi:[0,1]
	v_mul_f32_e32 v21, 0x3fb8aa3b, v19
	v_fma_f32 v27, v19, s10, -v21
	v_rndne_f32_e32 v28, v21
	v_fmac_f32_e32 v27, 0x32a5705f, v19
	v_sub_f32_e32 v21, v21, v28
	v_add_f32_e32 v21, v21, v27
	v_exp_f32_e32 v21, v21
	v_cvt_i32_f32_e32 v27, v28
	v_cmp_nlt_f32_e64 s[8:9], s14, v14
	v_cndmask_b32_e64 v14, v26, v20, s[8:9]
	v_pk_add_f32 v[12:13], v[12:13], v[14:15]
	v_mul_f32_e32 v15, 0x3fb8aa3b, v18
	v_ldexp_f32 v14, v21, v27
	v_fma_f32 v20, v18, s10, -v15
	v_rndne_f32_e32 v21, v15
	v_fmac_f32_e32 v20, 0x32a5705f, v18
	v_sub_f32_e32 v15, v15, v21
	v_add_f32_e32 v15, v15, v20
	v_exp_f32_e32 v20, v15
	v_cvt_i32_f32_e32 v21, v21
	v_cmp_ngt_f32_e64 s[8:9], s11, v19
	v_cndmask_b32_e64 v14, 0, v14, s[8:9]
	v_cmp_nlt_f32_e64 s[8:9], s14, v19
	v_cndmask_b32_e64 v15, v26, v14, s[8:9]
	v_ldexp_f32 v14, v20, v21
	v_pk_add_f32 v[20:21], v[2:3], v[10:11] neg_lo:[0,1] neg_hi:[0,1]
	v_mul_f32_e32 v19, 0x3fb8aa3b, v21
	v_fma_f32 v27, v21, s10, -v19
	v_rndne_f32_e32 v28, v19
	v_fmac_f32_e32 v27, 0x32a5705f, v21
	v_sub_f32_e32 v19, v19, v28
	v_add_f32_e32 v19, v19, v27
	v_cmp_ngt_f32_e64 s[8:9], s11, v18
	v_exp_f32_e32 v19, v19
	v_cvt_i32_f32_e32 v27, v28
	v_cndmask_b32_e64 v14, 0, v14, s[8:9]
	v_cmp_nlt_f32_e64 s[8:9], s14, v18
	v_cndmask_b32_e64 v14, v26, v14, s[8:9]
	v_pk_add_f32 v[12:13], v[12:13], v[14:15]
	v_mul_f32_e32 v15, 0x3fb8aa3b, v20
	v_ldexp_f32 v14, v19, v27
	v_fma_f32 v18, v20, s10, -v15
	v_rndne_f32_e32 v19, v15
	v_fmac_f32_e32 v18, 0x32a5705f, v20
	v_sub_f32_e32 v15, v15, v19
	v_add_f32_e32 v15, v15, v18
	v_exp_f32_e32 v18, v15
	v_cvt_i32_f32_e32 v19, v19
	v_cmp_ngt_f32_e64 s[8:9], s11, v21
	v_cndmask_b32_e64 v14, 0, v14, s[8:9]
	v_cmp_nlt_f32_e64 s[8:9], s14, v21
	v_cndmask_b32_e64 v15, v26, v14, s[8:9]
	v_ldexp_f32 v14, v18, v19
	v_cmp_ngt_f32_e64 s[8:9], s11, v20
	v_cndmask_b32_e64 v14, 0, v14, s[8:9]
	v_cmp_nlt_f32_e64 s[8:9], s14, v20
	v_cndmask_b32_e64 v14, v26, v14, s[8:9]
	v_pk_add_f32 v[12:13], v[12:13], v[14:15]
	ds_bpermute_b32 v14, v17, v12
	ds_bpermute_b32 v15, v17, v13
	s_waitcnt lgkmcnt(0)
	v_pk_add_f32 v[12:13], v[12:13], v[14:15]
	ds_bpermute_b32 v14, v22, v12
	ds_bpermute_b32 v15, v22, v13
	s_waitcnt lgkmcnt(0)
	;; [unrolled: 4-line block ×4, first 2 shown]
	v_pk_add_f32 v[12:13], v[12:13], v[14:15]
	ds_bpermute_b32 v14, v25, v12
	ds_bpermute_b32 v15, v25, v13
	s_and_saveexec_b64 s[8:9], s[6:7]
	s_cbranch_execz .LBB181_28
; %bb.17:
	v_lshlrev_b64 v[8:9], 2, v[8:9]
	v_mov_b32_e32 v17, s13
	v_add_co_u32_e64 v8, s[6:7], s12, v8
	v_addc_co_u32_e64 v9, s[6:7], v17, v9, s[6:7]
	s_waitcnt lgkmcnt(0)
	v_pk_add_f32 v[12:13], v[12:13], v[14:15]
	s_and_saveexec_b64 s[10:11], s[4:5]
	s_cbranch_execz .LBB181_22
; %bb.18:
	s_mov_b32 s6, 0x800000
	v_mov_b32_e32 v14, 0x4f800000
	v_cmp_gt_f32_e64 s[6:7], s6, v12
	v_cndmask_b32_e64 v14, 1.0, v14, s[6:7]
	v_mul_f32_e32 v12, v12, v14
	v_log_f32_e32 v12, v12
	s_mov_b32 s8, 0x3f317217
	v_sub_f32_e32 v4, v4, v10
	v_mul_f32_e32 v14, 0x3f317217, v12
	v_fma_f32 v15, v12, s8, -v14
	v_fmac_f32_e32 v15, 0x3377d1cf, v12
	s_mov_b32 s8, 0x7f800000
	v_add_f32_e32 v14, v14, v15
	v_cmp_lt_f32_e64 s[8:9], |v12|, s8
	v_cndmask_b32_e64 v12, v12, v14, s[8:9]
	v_mov_b32_e32 v14, 0x41b17218
	v_cndmask_b32_e64 v14, 0, v14, s[6:7]
	v_sub_f32_e32 v12, v12, v14
	v_sub_f32_e32 v4, v4, v12
	global_store_dword v[8:9], v4, off
	s_and_b64 exec, exec, vcc
	s_cbranch_execz .LBB181_22
; %bb.19:
	v_sub_f32_e32 v0, v0, v10
	v_sub_f32_e32 v0, v0, v12
	global_store_dword v[8:9], v0, off offset:128
	s_and_b64 exec, exec, s[0:1]
	s_cbranch_execz .LBB181_22
; %bb.20:
	v_sub_f32_e32 v0, v6, v10
	v_sub_f32_e32 v0, v0, v12
	global_store_dword v[8:9], v0, off offset:256
	s_and_b64 exec, exec, s[2:3]
	s_cbranch_execz .LBB181_22
; %bb.21:
	v_sub_f32_e32 v0, v2, v10
	v_sub_f32_e32 v0, v0, v12
	global_store_dword v[8:9], v0, off offset:384
.LBB181_22:
	s_or_b64 exec, exec, s[10:11]
	v_cmp_ne_u32_e64 s[6:7], 1, v16
	s_and_b64 exec, exec, s[6:7]
	s_cbranch_execz .LBB181_28
; %bb.23:
	s_and_b64 exec, exec, s[4:5]
	s_cbranch_execz .LBB181_28
; %bb.24:
	s_mov_b32 s4, 0x800000
	v_mov_b32_e32 v0, 0x4f800000
	v_cmp_gt_f32_e64 s[4:5], s4, v13
	v_cndmask_b32_e64 v0, 1.0, v0, s[4:5]
	v_mul_f32_e32 v0, v13, v0
	v_log_f32_e32 v0, v0
	s_mov_b32 s6, 0x3f317217
	s_ashr_i32 s19, s18, 31
	v_mul_f32_e32 v2, 0x3f317217, v0
	v_fma_f32 v4, v0, s6, -v2
	v_fmac_f32_e32 v4, 0x3377d1cf, v0
	s_mov_b32 s6, 0x7f800000
	v_add_f32_e32 v2, v2, v4
	v_cmp_lt_f32_e64 s[6:7], |v0|, s6
	v_cndmask_b32_e64 v0, v0, v2, s[6:7]
	v_mov_b32_e32 v2, 0x41b17218
	v_cndmask_b32_e64 v2, 0, v2, s[4:5]
	s_lshl_b64 s[4:5], s[18:19], 2
	v_sub_f32_e32 v0, v0, v2
	v_sub_f32_e32 v2, v5, v11
	v_mov_b32_e32 v5, s5
	v_add_co_u32_e64 v4, s[4:5], s4, v8
	v_sub_f32_e32 v2, v2, v0
	v_addc_co_u32_e64 v5, s[4:5], v9, v5, s[4:5]
	global_store_dword v[4:5], v2, off
	s_and_b64 exec, exec, vcc
	s_cbranch_execz .LBB181_28
; %bb.25:
	v_sub_f32_e32 v1, v1, v11
	v_sub_f32_e32 v1, v1, v0
	global_store_dword v[4:5], v1, off offset:128
	s_and_b64 exec, exec, s[0:1]
	s_cbranch_execz .LBB181_28
; %bb.26:
	v_sub_f32_e32 v1, v7, v11
	v_sub_f32_e32 v1, v1, v0
	global_store_dword v[4:5], v1, off offset:256
	s_and_b64 exec, exec, s[2:3]
	s_cbranch_execz .LBB181_28
; %bb.27:
	v_sub_f32_e32 v1, v3, v11
	v_sub_f32_e32 v0, v1, v0
	global_store_dword v[4:5], v0, off offset:384
.LBB181_28:
	s_endpgm
	.section	.rodata,"a",@progbits
	.p2align	6, 0x0
	.amdhsa_kernel _ZN12_GLOBAL__N_120softmax_warp_forwardIN3c108BFloat16EffLi7ELb1ELb0ELi32EEEvPT0_PKT_iiiPKbib
		.amdhsa_group_segment_fixed_size 0
		.amdhsa_private_segment_fixed_size 0
		.amdhsa_kernarg_size 304
		.amdhsa_user_sgpr_count 6
		.amdhsa_user_sgpr_private_segment_buffer 1
		.amdhsa_user_sgpr_dispatch_ptr 0
		.amdhsa_user_sgpr_queue_ptr 0
		.amdhsa_user_sgpr_kernarg_segment_ptr 1
		.amdhsa_user_sgpr_dispatch_id 0
		.amdhsa_user_sgpr_flat_scratch_init 0
		.amdhsa_user_sgpr_kernarg_preload_length 0
		.amdhsa_user_sgpr_kernarg_preload_offset 0
		.amdhsa_user_sgpr_private_segment_size 0
		.amdhsa_uses_dynamic_stack 0
		.amdhsa_system_sgpr_private_segment_wavefront_offset 0
		.amdhsa_system_sgpr_workgroup_id_x 1
		.amdhsa_system_sgpr_workgroup_id_y 0
		.amdhsa_system_sgpr_workgroup_id_z 0
		.amdhsa_system_sgpr_workgroup_info 0
		.amdhsa_system_vgpr_workitem_id 1
		.amdhsa_next_free_vgpr 29
		.amdhsa_next_free_sgpr 20
		.amdhsa_accum_offset 32
		.amdhsa_reserve_vcc 1
		.amdhsa_reserve_flat_scratch 0
		.amdhsa_float_round_mode_32 0
		.amdhsa_float_round_mode_16_64 0
		.amdhsa_float_denorm_mode_32 3
		.amdhsa_float_denorm_mode_16_64 3
		.amdhsa_dx10_clamp 1
		.amdhsa_ieee_mode 1
		.amdhsa_fp16_overflow 0
		.amdhsa_tg_split 0
		.amdhsa_exception_fp_ieee_invalid_op 0
		.amdhsa_exception_fp_denorm_src 0
		.amdhsa_exception_fp_ieee_div_zero 0
		.amdhsa_exception_fp_ieee_overflow 0
		.amdhsa_exception_fp_ieee_underflow 0
		.amdhsa_exception_fp_ieee_inexact 0
		.amdhsa_exception_int_div_zero 0
	.end_amdhsa_kernel
	.section	.text._ZN12_GLOBAL__N_120softmax_warp_forwardIN3c108BFloat16EffLi7ELb1ELb0ELi32EEEvPT0_PKT_iiiPKbib,"axG",@progbits,_ZN12_GLOBAL__N_120softmax_warp_forwardIN3c108BFloat16EffLi7ELb1ELb0ELi32EEEvPT0_PKT_iiiPKbib,comdat
.Lfunc_end181:
	.size	_ZN12_GLOBAL__N_120softmax_warp_forwardIN3c108BFloat16EffLi7ELb1ELb0ELi32EEEvPT0_PKT_iiiPKbib, .Lfunc_end181-_ZN12_GLOBAL__N_120softmax_warp_forwardIN3c108BFloat16EffLi7ELb1ELb0ELi32EEEvPT0_PKT_iiiPKbib
                                        ; -- End function
	.section	.AMDGPU.csdata,"",@progbits
; Kernel info:
; codeLenInByte = 2524
; NumSgprs: 24
; NumVgprs: 29
; NumAgprs: 0
; TotalNumVgprs: 29
; ScratchSize: 0
; MemoryBound: 0
; FloatMode: 240
; IeeeMode: 1
; LDSByteSize: 0 bytes/workgroup (compile time only)
; SGPRBlocks: 2
; VGPRBlocks: 3
; NumSGPRsForWavesPerEU: 24
; NumVGPRsForWavesPerEU: 29
; AccumOffset: 32
; Occupancy: 8
; WaveLimiterHint : 0
; COMPUTE_PGM_RSRC2:SCRATCH_EN: 0
; COMPUTE_PGM_RSRC2:USER_SGPR: 6
; COMPUTE_PGM_RSRC2:TRAP_HANDLER: 0
; COMPUTE_PGM_RSRC2:TGID_X_EN: 1
; COMPUTE_PGM_RSRC2:TGID_Y_EN: 0
; COMPUTE_PGM_RSRC2:TGID_Z_EN: 0
; COMPUTE_PGM_RSRC2:TIDIG_COMP_CNT: 1
; COMPUTE_PGM_RSRC3_GFX90A:ACCUM_OFFSET: 7
; COMPUTE_PGM_RSRC3_GFX90A:TG_SPLIT: 0
	.section	.text._ZN12_GLOBAL__N_120softmax_warp_forwardIN3c108BFloat16EffLi8ELb1ELb0ELi64EEEvPT0_PKT_iiiPKbib,"axG",@progbits,_ZN12_GLOBAL__N_120softmax_warp_forwardIN3c108BFloat16EffLi8ELb1ELb0ELi64EEEvPT0_PKT_iiiPKbib,comdat
	.globl	_ZN12_GLOBAL__N_120softmax_warp_forwardIN3c108BFloat16EffLi8ELb1ELb0ELi64EEEvPT0_PKT_iiiPKbib ; -- Begin function _ZN12_GLOBAL__N_120softmax_warp_forwardIN3c108BFloat16EffLi8ELb1ELb0ELi64EEEvPT0_PKT_iiiPKbib
	.p2align	8
	.type	_ZN12_GLOBAL__N_120softmax_warp_forwardIN3c108BFloat16EffLi8ELb1ELb0ELi64EEEvPT0_PKT_iiiPKbib,@function
_ZN12_GLOBAL__N_120softmax_warp_forwardIN3c108BFloat16EffLi8ELb1ELb0ELi64EEEvPT0_PKT_iiiPKbib: ; @_ZN12_GLOBAL__N_120softmax_warp_forwardIN3c108BFloat16EffLi8ELb1ELb0ELi64EEEvPT0_PKT_iiiPKbib
; %bb.0:
	s_load_dword s0, s[4:5], 0x3c
	s_load_dwordx8 s[8:15], s[4:5], 0x0
	v_bfe_u32 v1, v0, 10, 10
	v_and_b32_e32 v4, 0x3ff, v0
	v_mov_b32_e32 v7, 0xff800000
	s_waitcnt lgkmcnt(0)
	s_lshr_b32 s0, s0, 16
	s_mul_i32 s6, s6, s0
	v_add_u32_e32 v1, s6, v1
	v_sub_u32_e32 v5, s12, v1
	v_mad_u64_u32 v[0:1], s[0:1], v1, s13, v[4:5]
	v_ashrrev_i32_e32 v1, 31, v0
	v_lshlrev_b64 v[2:3], 1, v[0:1]
	v_mov_b32_e32 v6, s11
	v_add_co_u32_e32 v2, vcc, s10, v2
	v_cmp_lt_i32_e64 s[6:7], 0, v5
	v_cmp_gt_i32_e64 s[4:5], s14, v4
	v_addc_co_u32_e32 v3, vcc, v6, v3, vcc
	s_and_b64 s[2:3], s[6:7], s[4:5]
	v_mov_b32_e32 v9, 0xff800000
	s_and_saveexec_b64 s[0:1], s[2:3]
	s_cbranch_execz .LBB182_2
; %bb.1:
	global_load_ushort v6, v[2:3], off
	s_waitcnt vmcnt(0)
	v_lshlrev_b32_e32 v9, 16, v6
.LBB182_2:
	s_or_b64 exec, exec, s[0:1]
	v_add_u32_e32 v6, 64, v4
	v_cmp_gt_i32_e32 vcc, s14, v6
	s_and_b64 s[2:3], s[6:7], vcc
	s_and_saveexec_b64 s[0:1], s[2:3]
	s_cbranch_execz .LBB182_4
; %bb.3:
	global_load_ushort v6, v[2:3], off offset:128
	s_waitcnt vmcnt(0)
	v_lshlrev_b32_e32 v7, 16, v6
.LBB182_4:
	s_or_b64 exec, exec, s[0:1]
	v_add_u32_e32 v6, 0x80, v4
	v_cmp_gt_i32_e64 s[0:1], s14, v6
	s_and_b64 s[10:11], s[6:7], s[0:1]
	v_mov_b32_e32 v6, 0xff800000
	v_mov_b32_e32 v8, 0xff800000
	s_and_saveexec_b64 s[2:3], s[10:11]
	s_cbranch_execz .LBB182_6
; %bb.5:
	global_load_ushort v8, v[2:3], off offset:256
	s_waitcnt vmcnt(0)
	v_lshlrev_b32_e32 v8, 16, v8
.LBB182_6:
	s_or_b64 exec, exec, s[2:3]
	v_add_u32_e32 v4, 0xc0, v4
	v_cmp_gt_i32_e64 s[2:3], s14, v4
	s_and_b64 s[10:11], s[6:7], s[2:3]
	s_and_saveexec_b64 s[6:7], s[10:11]
	s_cbranch_execz .LBB182_8
; %bb.7:
	global_load_ushort v2, v[2:3], off offset:384
	s_waitcnt vmcnt(0)
	v_lshlrev_b32_e32 v6, 16, v2
.LBB182_8:
	s_or_b64 exec, exec, s[6:7]
	v_cmp_gt_f32_e64 s[6:7], v9, v7
	v_cndmask_b32_e64 v2, v7, v9, s[6:7]
	v_mbcnt_lo_u32_b32 v3, -1, 0
	v_cmp_gt_f32_e64 s[6:7], v2, v8
	v_mbcnt_hi_u32_b32 v3, -1, v3
	v_cndmask_b32_e64 v2, v8, v2, s[6:7]
	v_and_b32_e32 v4, 64, v3
	v_cmp_gt_f32_e64 s[6:7], v2, v6
	v_add_u32_e32 v4, 64, v4
	v_xor_b32_e32 v10, 32, v3
	v_cndmask_b32_e64 v2, v6, v2, s[6:7]
	v_cmp_lt_i32_e64 s[6:7], v10, v4
	v_cndmask_b32_e64 v10, v3, v10, s[6:7]
	v_lshlrev_b32_e32 v10, 2, v10
	ds_bpermute_b32 v11, v10, v2
	s_mov_b32 s10, 0x3fb8aa3b
	s_mov_b32 s11, 0xc2ce8ed0
	;; [unrolled: 1-line block ×3, first 2 shown]
	s_waitcnt lgkmcnt(0)
	v_cmp_lt_f32_e64 s[6:7], v2, v11
	v_cndmask_b32_e64 v2, v2, v11, s[6:7]
	v_xor_b32_e32 v11, 16, v3
	v_cmp_lt_i32_e64 s[6:7], v11, v4
	v_cndmask_b32_e64 v11, v3, v11, s[6:7]
	v_lshlrev_b32_e32 v11, 2, v11
	ds_bpermute_b32 v12, v11, v2
	s_waitcnt lgkmcnt(0)
	v_cmp_lt_f32_e64 s[6:7], v2, v12
	v_cndmask_b32_e64 v2, v2, v12, s[6:7]
	v_xor_b32_e32 v12, 8, v3
	v_cmp_lt_i32_e64 s[6:7], v12, v4
	v_cndmask_b32_e64 v12, v3, v12, s[6:7]
	v_lshlrev_b32_e32 v12, 2, v12
	ds_bpermute_b32 v13, v12, v2
	;; [unrolled: 8-line block ×5, first 2 shown]
	s_waitcnt lgkmcnt(0)
	v_cmp_lt_f32_e64 s[6:7], v2, v3
	v_cndmask_b32_e64 v16, v2, v3, s[6:7]
	v_sub_f32_e32 v2, v9, v16
	v_mul_f32_e32 v3, 0x3fb8aa3b, v2
	v_fma_f32 v4, v2, s10, -v3
	v_rndne_f32_e32 v9, v3
	v_fmac_f32_e32 v4, 0x32a5705f, v2
	v_sub_f32_e32 v3, v3, v9
	v_add_f32_e32 v3, v3, v4
	v_exp_f32_e32 v3, v3
	v_cvt_i32_f32_e32 v4, v9
	v_cmp_ngt_f32_e64 s[6:7], s11, v2
	v_sub_f32_e32 v6, v6, v16
	v_ldexp_f32 v3, v3, v4
	v_cndmask_b32_e64 v4, 0, v3, s[6:7]
	v_sub_f32_e32 v3, v7, v16
	v_mul_f32_e32 v7, 0x3fb8aa3b, v3
	v_fma_f32 v9, v3, s10, -v7
	v_rndne_f32_e32 v17, v7
	v_fmac_f32_e32 v9, 0x32a5705f, v3
	v_sub_f32_e32 v7, v7, v17
	v_add_f32_e32 v7, v7, v9
	v_exp_f32_e32 v7, v7
	v_cvt_i32_f32_e32 v9, v17
	v_mov_b32_e32 v17, 0x7f800000
	v_cmp_nlt_f32_e64 s[6:7], s12, v2
	v_cndmask_b32_e64 v18, v17, v4, s[6:7]
	v_ldexp_f32 v4, v7, v9
	v_cmp_ngt_f32_e64 s[6:7], s11, v3
	v_cndmask_b32_e64 v7, 0, v4, s[6:7]
	v_sub_f32_e32 v4, v8, v16
	v_mul_f32_e32 v8, 0x3fb8aa3b, v4
	v_fma_f32 v9, v4, s10, -v8
	v_rndne_f32_e32 v19, v8
	v_fmac_f32_e32 v9, 0x32a5705f, v4
	v_sub_f32_e32 v8, v8, v19
	v_add_f32_e32 v8, v8, v9
	v_exp_f32_e32 v8, v8
	v_cvt_i32_f32_e32 v9, v19
	v_cmp_nlt_f32_e64 s[6:7], s12, v3
	v_cndmask_b32_e64 v7, v17, v7, s[6:7]
	v_add_f32_e32 v7, v18, v7
	v_ldexp_f32 v8, v8, v9
	v_mul_f32_e32 v9, 0x3fb8aa3b, v6
	v_fma_f32 v16, v6, s10, -v9
	v_rndne_f32_e32 v18, v9
	v_fmac_f32_e32 v16, 0x32a5705f, v6
	v_sub_f32_e32 v9, v9, v18
	v_add_f32_e32 v9, v9, v16
	v_exp_f32_e32 v9, v9
	v_cvt_i32_f32_e32 v16, v18
	v_cmp_ngt_f32_e64 s[6:7], s11, v4
	v_cndmask_b32_e64 v8, 0, v8, s[6:7]
	v_cmp_nlt_f32_e64 s[6:7], s12, v4
	v_cndmask_b32_e64 v8, v17, v8, s[6:7]
	v_add_f32_e32 v7, v7, v8
	v_ldexp_f32 v8, v9, v16
	v_cmp_ngt_f32_e64 s[6:7], s11, v6
	v_cndmask_b32_e64 v8, 0, v8, s[6:7]
	v_cmp_nlt_f32_e64 s[6:7], s12, v6
	v_cndmask_b32_e64 v8, v17, v8, s[6:7]
	v_add_f32_e32 v7, v7, v8
	ds_bpermute_b32 v8, v10, v7
	v_cmp_lt_i32_e64 s[6:7], 0, v5
	s_waitcnt lgkmcnt(0)
	v_add_f32_e32 v7, v7, v8
	ds_bpermute_b32 v8, v11, v7
	s_waitcnt lgkmcnt(0)
	v_add_f32_e32 v7, v7, v8
	ds_bpermute_b32 v8, v12, v7
	;; [unrolled: 3-line block ×5, first 2 shown]
	s_and_saveexec_b64 s[10:11], s[6:7]
	s_cbranch_execz .LBB182_14
; %bb.9:
	s_and_b64 exec, exec, s[4:5]
	s_cbranch_execz .LBB182_14
; %bb.10:
	s_waitcnt lgkmcnt(0)
	v_add_f32_e32 v5, v7, v8
	s_mov_b32 s4, 0x800000
	v_mov_b32_e32 v7, 0x4f800000
	v_cmp_gt_f32_e64 s[4:5], s4, v5
	v_cndmask_b32_e64 v7, 1.0, v7, s[4:5]
	v_mul_f32_e32 v5, v5, v7
	v_log_f32_e32 v5, v5
	s_mov_b32 s6, 0x3f317217
	v_lshlrev_b64 v[0:1], 2, v[0:1]
	v_mul_f32_e32 v7, 0x3f317217, v5
	v_fma_f32 v8, v5, s6, -v7
	v_fmac_f32_e32 v8, 0x3377d1cf, v5
	s_mov_b32 s6, 0x7f800000
	v_add_f32_e32 v7, v7, v8
	v_cmp_lt_f32_e64 s[6:7], |v5|, s6
	v_cndmask_b32_e64 v5, v5, v7, s[6:7]
	v_mov_b32_e32 v7, 0x41b17218
	v_cndmask_b32_e64 v7, 0, v7, s[4:5]
	v_sub_f32_e32 v5, v5, v7
	v_mov_b32_e32 v7, s9
	v_add_co_u32_e64 v0, s[4:5], s8, v0
	v_addc_co_u32_e64 v1, s[4:5], v7, v1, s[4:5]
	v_sub_f32_e32 v2, v2, v5
	global_store_dword v[0:1], v2, off
	s_and_b64 exec, exec, vcc
	s_cbranch_execz .LBB182_14
; %bb.11:
	v_sub_f32_e32 v2, v3, v5
	global_store_dword v[0:1], v2, off offset:256
	s_and_b64 exec, exec, s[0:1]
	s_cbranch_execz .LBB182_14
; %bb.12:
	v_sub_f32_e32 v2, v4, v5
	global_store_dword v[0:1], v2, off offset:512
	s_and_b64 exec, exec, s[2:3]
	s_cbranch_execz .LBB182_14
; %bb.13:
	v_sub_f32_e32 v2, v6, v5
	global_store_dword v[0:1], v2, off offset:768
.LBB182_14:
	s_endpgm
	.section	.rodata,"a",@progbits
	.p2align	6, 0x0
	.amdhsa_kernel _ZN12_GLOBAL__N_120softmax_warp_forwardIN3c108BFloat16EffLi8ELb1ELb0ELi64EEEvPT0_PKT_iiiPKbib
		.amdhsa_group_segment_fixed_size 0
		.amdhsa_private_segment_fixed_size 0
		.amdhsa_kernarg_size 304
		.amdhsa_user_sgpr_count 6
		.amdhsa_user_sgpr_private_segment_buffer 1
		.amdhsa_user_sgpr_dispatch_ptr 0
		.amdhsa_user_sgpr_queue_ptr 0
		.amdhsa_user_sgpr_kernarg_segment_ptr 1
		.amdhsa_user_sgpr_dispatch_id 0
		.amdhsa_user_sgpr_flat_scratch_init 0
		.amdhsa_user_sgpr_kernarg_preload_length 0
		.amdhsa_user_sgpr_kernarg_preload_offset 0
		.amdhsa_user_sgpr_private_segment_size 0
		.amdhsa_uses_dynamic_stack 0
		.amdhsa_system_sgpr_private_segment_wavefront_offset 0
		.amdhsa_system_sgpr_workgroup_id_x 1
		.amdhsa_system_sgpr_workgroup_id_y 0
		.amdhsa_system_sgpr_workgroup_id_z 0
		.amdhsa_system_sgpr_workgroup_info 0
		.amdhsa_system_vgpr_workitem_id 1
		.amdhsa_next_free_vgpr 20
		.amdhsa_next_free_sgpr 16
		.amdhsa_accum_offset 20
		.amdhsa_reserve_vcc 1
		.amdhsa_reserve_flat_scratch 0
		.amdhsa_float_round_mode_32 0
		.amdhsa_float_round_mode_16_64 0
		.amdhsa_float_denorm_mode_32 3
		.amdhsa_float_denorm_mode_16_64 3
		.amdhsa_dx10_clamp 1
		.amdhsa_ieee_mode 1
		.amdhsa_fp16_overflow 0
		.amdhsa_tg_split 0
		.amdhsa_exception_fp_ieee_invalid_op 0
		.amdhsa_exception_fp_denorm_src 0
		.amdhsa_exception_fp_ieee_div_zero 0
		.amdhsa_exception_fp_ieee_overflow 0
		.amdhsa_exception_fp_ieee_underflow 0
		.amdhsa_exception_fp_ieee_inexact 0
		.amdhsa_exception_int_div_zero 0
	.end_amdhsa_kernel
	.section	.text._ZN12_GLOBAL__N_120softmax_warp_forwardIN3c108BFloat16EffLi8ELb1ELb0ELi64EEEvPT0_PKT_iiiPKbib,"axG",@progbits,_ZN12_GLOBAL__N_120softmax_warp_forwardIN3c108BFloat16EffLi8ELb1ELb0ELi64EEEvPT0_PKT_iiiPKbib,comdat
.Lfunc_end182:
	.size	_ZN12_GLOBAL__N_120softmax_warp_forwardIN3c108BFloat16EffLi8ELb1ELb0ELi64EEEvPT0_PKT_iiiPKbib, .Lfunc_end182-_ZN12_GLOBAL__N_120softmax_warp_forwardIN3c108BFloat16EffLi8ELb1ELb0ELi64EEEvPT0_PKT_iiiPKbib
                                        ; -- End function
	.section	.AMDGPU.csdata,"",@progbits
; Kernel info:
; codeLenInByte = 1424
; NumSgprs: 20
; NumVgprs: 20
; NumAgprs: 0
; TotalNumVgprs: 20
; ScratchSize: 0
; MemoryBound: 0
; FloatMode: 240
; IeeeMode: 1
; LDSByteSize: 0 bytes/workgroup (compile time only)
; SGPRBlocks: 2
; VGPRBlocks: 2
; NumSGPRsForWavesPerEU: 20
; NumVGPRsForWavesPerEU: 20
; AccumOffset: 20
; Occupancy: 8
; WaveLimiterHint : 0
; COMPUTE_PGM_RSRC2:SCRATCH_EN: 0
; COMPUTE_PGM_RSRC2:USER_SGPR: 6
; COMPUTE_PGM_RSRC2:TRAP_HANDLER: 0
; COMPUTE_PGM_RSRC2:TGID_X_EN: 1
; COMPUTE_PGM_RSRC2:TGID_Y_EN: 0
; COMPUTE_PGM_RSRC2:TGID_Z_EN: 0
; COMPUTE_PGM_RSRC2:TIDIG_COMP_CNT: 1
; COMPUTE_PGM_RSRC3_GFX90A:ACCUM_OFFSET: 4
; COMPUTE_PGM_RSRC3_GFX90A:TG_SPLIT: 0
	.section	.text._ZN12_GLOBAL__N_120softmax_warp_forwardIN3c108BFloat16EffLi8ELb1ELb0ELi32EEEvPT0_PKT_iiiPKbib,"axG",@progbits,_ZN12_GLOBAL__N_120softmax_warp_forwardIN3c108BFloat16EffLi8ELb1ELb0ELi32EEEvPT0_PKT_iiiPKbib,comdat
	.globl	_ZN12_GLOBAL__N_120softmax_warp_forwardIN3c108BFloat16EffLi8ELb1ELb0ELi32EEEvPT0_PKT_iiiPKbib ; -- Begin function _ZN12_GLOBAL__N_120softmax_warp_forwardIN3c108BFloat16EffLi8ELb1ELb0ELi32EEEvPT0_PKT_iiiPKbib
	.p2align	8
	.type	_ZN12_GLOBAL__N_120softmax_warp_forwardIN3c108BFloat16EffLi8ELb1ELb0ELi32EEEvPT0_PKT_iiiPKbib,@function
_ZN12_GLOBAL__N_120softmax_warp_forwardIN3c108BFloat16EffLi8ELb1ELb0ELi32EEEvPT0_PKT_iiiPKbib: ; @_ZN12_GLOBAL__N_120softmax_warp_forwardIN3c108BFloat16EffLi8ELb1ELb0ELi32EEEvPT0_PKT_iiiPKbib
; %bb.0:
	s_load_dword s0, s[4:5], 0x3c
	s_load_dwordx8 s[16:23], s[4:5], 0x0
	v_bfe_u32 v1, v0, 10, 10
	v_and_b32_e32 v4, 0x3ff, v0
	v_mov_b32_e32 v9, 0xff800000
	s_waitcnt lgkmcnt(0)
	s_lshr_b32 s0, s0, 16
	s_mul_i32 s6, s6, s0
	v_add_u32_e32 v1, s6, v1
	v_sub_u32_e32 v5, s20, v1
	v_mad_u64_u32 v[0:1], s[0:1], v1, s21, v[4:5]
	v_ashrrev_i32_e32 v1, 31, v0
	v_lshlrev_b64 v[2:3], 1, v[0:1]
	v_mov_b32_e32 v6, s19
	v_add_co_u32_e32 v2, vcc, s18, v2
	v_cmp_lt_i32_e64 s[14:15], 0, v5
	v_cmp_gt_i32_e64 s[4:5], s22, v4
	v_addc_co_u32_e32 v3, vcc, v6, v3, vcc
	s_and_b64 s[2:3], s[14:15], s[4:5]
	v_mov_b32_e32 v13, 0xff800000
	s_and_saveexec_b64 s[0:1], s[2:3]
	s_cbranch_execz .LBB183_2
; %bb.1:
	global_load_ushort v6, v[2:3], off
	s_waitcnt vmcnt(0)
	v_lshlrev_b32_e32 v13, 16, v6
.LBB183_2:
	s_or_b64 exec, exec, s[0:1]
	v_add_u32_e32 v6, 32, v4
	v_cmp_gt_i32_e32 vcc, s22, v6
	s_and_b64 s[2:3], s[14:15], vcc
	s_and_saveexec_b64 s[0:1], s[2:3]
	s_cbranch_execz .LBB183_4
; %bb.3:
	global_load_ushort v6, v[2:3], off offset:64
	s_waitcnt vmcnt(0)
	v_lshlrev_b32_e32 v9, 16, v6
.LBB183_4:
	s_or_b64 exec, exec, s[0:1]
	v_add_u32_e32 v6, 64, v4
	v_cmp_gt_i32_e64 s[0:1], s22, v6
	s_and_b64 s[6:7], s[14:15], s[0:1]
	v_mov_b32_e32 v8, 0xff800000
	v_mov_b32_e32 v12, 0xff800000
	s_and_saveexec_b64 s[2:3], s[6:7]
	s_cbranch_execz .LBB183_6
; %bb.5:
	global_load_ushort v6, v[2:3], off offset:128
	s_waitcnt vmcnt(0)
	v_lshlrev_b32_e32 v12, 16, v6
.LBB183_6:
	s_or_b64 exec, exec, s[2:3]
	v_add_u32_e32 v6, 0x60, v4
	v_cmp_gt_i32_e64 s[2:3], s22, v6
	s_and_b64 s[8:9], s[14:15], s[2:3]
	s_and_saveexec_b64 s[6:7], s[8:9]
	s_cbranch_execz .LBB183_8
; %bb.7:
	global_load_ushort v6, v[2:3], off offset:192
	s_waitcnt vmcnt(0)
	v_lshlrev_b32_e32 v8, 16, v6
.LBB183_8:
	s_or_b64 exec, exec, s[6:7]
	v_add_u32_e32 v6, 0x80, v4
	v_cmp_gt_i32_e64 s[6:7], s22, v6
	s_and_b64 s[10:11], s[14:15], s[6:7]
	v_mov_b32_e32 v7, 0xff800000
	v_mov_b32_e32 v11, 0xff800000
	s_and_saveexec_b64 s[8:9], s[10:11]
	s_cbranch_execz .LBB183_10
; %bb.9:
	global_load_ushort v6, v[2:3], off offset:256
	s_waitcnt vmcnt(0)
	v_lshlrev_b32_e32 v11, 16, v6
.LBB183_10:
	s_or_b64 exec, exec, s[8:9]
	v_add_u32_e32 v6, 0xa0, v4
	v_cmp_gt_i32_e64 s[8:9], s22, v6
	s_and_b64 s[12:13], s[14:15], s[8:9]
	;; [unrolled: 24-line block ×3, first 2 shown]
	s_and_saveexec_b64 s[14:15], s[18:19]
	s_cbranch_execz .LBB183_16
; %bb.15:
	global_load_ushort v2, v[2:3], off offset:448
	s_waitcnt vmcnt(0)
	v_lshlrev_b32_e32 v6, 16, v2
.LBB183_16:
	s_or_b64 exec, exec, s[14:15]
	v_cmp_gt_f32_e64 s[14:15], v13, v9
	v_cndmask_b32_e64 v2, v9, v13, s[14:15]
	v_cmp_gt_f32_e64 s[14:15], v2, v12
	v_cndmask_b32_e64 v2, v12, v2, s[14:15]
	;; [unrolled: 2-line block ×5, first 2 shown]
	v_mbcnt_lo_u32_b32 v3, -1, 0
	v_cmp_gt_f32_e64 s[14:15], v2, v10
	v_mbcnt_hi_u32_b32 v3, -1, v3
	v_cndmask_b32_e64 v2, v10, v2, s[14:15]
	v_and_b32_e32 v4, 0x60, v3
	v_cmp_gt_f32_e64 s[14:15], v2, v6
	v_add_u32_e32 v4, 32, v4
	v_xor_b32_e32 v14, 16, v3
	v_cndmask_b32_e64 v2, v6, v2, s[14:15]
	v_cmp_lt_i32_e64 s[14:15], v14, v4
	v_cndmask_b32_e64 v14, v3, v14, s[14:15]
	v_lshlrev_b32_e32 v14, 2, v14
	ds_bpermute_b32 v15, v14, v2
	s_mov_b32 s18, 0x3fb8aa3b
	s_mov_b32 s19, 0xc2ce8ed0
	;; [unrolled: 1-line block ×3, first 2 shown]
	s_waitcnt lgkmcnt(0)
	v_cmp_lt_f32_e64 s[14:15], v2, v15
	v_cndmask_b32_e64 v2, v2, v15, s[14:15]
	v_xor_b32_e32 v15, 8, v3
	v_cmp_lt_i32_e64 s[14:15], v15, v4
	v_cndmask_b32_e64 v15, v3, v15, s[14:15]
	v_lshlrev_b32_e32 v15, 2, v15
	ds_bpermute_b32 v16, v15, v2
	s_waitcnt lgkmcnt(0)
	v_cmp_lt_f32_e64 s[14:15], v2, v16
	v_cndmask_b32_e64 v2, v2, v16, s[14:15]
	v_xor_b32_e32 v16, 4, v3
	v_cmp_lt_i32_e64 s[14:15], v16, v4
	v_cndmask_b32_e64 v16, v3, v16, s[14:15]
	v_lshlrev_b32_e32 v16, 2, v16
	ds_bpermute_b32 v17, v16, v2
	s_waitcnt lgkmcnt(0)
	v_cmp_lt_f32_e64 s[14:15], v2, v17
	v_cndmask_b32_e64 v2, v2, v17, s[14:15]
	v_xor_b32_e32 v17, 2, v3
	v_cmp_lt_i32_e64 s[14:15], v17, v4
	v_cndmask_b32_e64 v17, v3, v17, s[14:15]
	v_lshlrev_b32_e32 v17, 2, v17
	ds_bpermute_b32 v18, v17, v2
	s_waitcnt lgkmcnt(0)
	v_cmp_lt_f32_e64 s[14:15], v2, v18
	v_cndmask_b32_e64 v2, v2, v18, s[14:15]
	v_xor_b32_e32 v18, 1, v3
	v_cmp_lt_i32_e64 s[14:15], v18, v4
	v_cndmask_b32_e64 v3, v3, v18, s[14:15]
	v_lshlrev_b32_e32 v18, 2, v3
	ds_bpermute_b32 v3, v18, v2
	s_waitcnt lgkmcnt(0)
	v_cmp_lt_f32_e64 s[14:15], v2, v3
	v_cndmask_b32_e64 v19, v2, v3, s[14:15]
	v_sub_f32_e32 v2, v13, v19
	v_mul_f32_e32 v3, 0x3fb8aa3b, v2
	v_fma_f32 v4, v2, s18, -v3
	v_rndne_f32_e32 v13, v3
	v_fmac_f32_e32 v4, 0x32a5705f, v2
	v_sub_f32_e32 v3, v3, v13
	v_add_f32_e32 v3, v3, v4
	v_exp_f32_e32 v3, v3
	v_cvt_i32_f32_e32 v4, v13
	v_cmp_ngt_f32_e64 s[14:15], s19, v2
	v_sub_f32_e32 v8, v8, v19
	v_sub_f32_e32 v7, v7, v19
	v_ldexp_f32 v3, v3, v4
	v_cndmask_b32_e64 v4, 0, v3, s[14:15]
	v_sub_f32_e32 v3, v9, v19
	v_mul_f32_e32 v9, 0x3fb8aa3b, v3
	v_fma_f32 v13, v3, s18, -v9
	v_rndne_f32_e32 v20, v9
	v_fmac_f32_e32 v13, 0x32a5705f, v3
	v_sub_f32_e32 v9, v9, v20
	v_add_f32_e32 v9, v9, v13
	v_exp_f32_e32 v9, v9
	v_cvt_i32_f32_e32 v13, v20
	v_mov_b32_e32 v20, 0x7f800000
	v_cmp_nlt_f32_e64 s[14:15], s20, v2
	v_cndmask_b32_e64 v21, v20, v4, s[14:15]
	v_ldexp_f32 v4, v9, v13
	v_cmp_ngt_f32_e64 s[14:15], s19, v3
	v_cndmask_b32_e64 v9, 0, v4, s[14:15]
	v_sub_f32_e32 v4, v12, v19
	v_mul_f32_e32 v12, 0x3fb8aa3b, v4
	v_fma_f32 v13, v4, s18, -v12
	v_rndne_f32_e32 v22, v12
	v_fmac_f32_e32 v13, 0x32a5705f, v4
	v_sub_f32_e32 v12, v12, v22
	v_add_f32_e32 v12, v12, v13
	v_exp_f32_e32 v12, v12
	v_cvt_i32_f32_e32 v13, v22
	v_cmp_nlt_f32_e64 s[14:15], s20, v3
	v_cndmask_b32_e64 v9, v20, v9, s[14:15]
	v_add_f32_e32 v9, v21, v9
	v_ldexp_f32 v12, v12, v13
	v_mul_f32_e32 v13, 0x3fb8aa3b, v8
	v_fma_f32 v21, v8, s18, -v13
	v_rndne_f32_e32 v22, v13
	v_fmac_f32_e32 v21, 0x32a5705f, v8
	v_sub_f32_e32 v13, v13, v22
	v_add_f32_e32 v13, v13, v21
	v_exp_f32_e32 v13, v13
	v_cvt_i32_f32_e32 v21, v22
	v_cmp_ngt_f32_e64 s[14:15], s19, v4
	v_cndmask_b32_e64 v12, 0, v12, s[14:15]
	v_cmp_nlt_f32_e64 s[14:15], s20, v4
	v_cndmask_b32_e64 v12, v20, v12, s[14:15]
	v_add_f32_e32 v12, v9, v12
	v_ldexp_f32 v9, v13, v21
	v_cmp_ngt_f32_e64 s[14:15], s19, v8
	v_cndmask_b32_e64 v13, 0, v9, s[14:15]
	v_sub_f32_e32 v9, v11, v19
	v_mul_f32_e32 v11, 0x3fb8aa3b, v9
	v_fma_f32 v21, v9, s18, -v11
	v_rndne_f32_e32 v22, v11
	v_fmac_f32_e32 v21, 0x32a5705f, v9
	v_sub_f32_e32 v11, v11, v22
	v_add_f32_e32 v11, v11, v21
	v_exp_f32_e32 v11, v11
	v_cvt_i32_f32_e32 v21, v22
	v_cmp_nlt_f32_e64 s[14:15], s20, v8
	v_cndmask_b32_e64 v13, v20, v13, s[14:15]
	v_add_f32_e32 v12, v12, v13
	v_mul_f32_e32 v13, 0x3fb8aa3b, v7
	v_ldexp_f32 v11, v11, v21
	v_fma_f32 v21, v7, s18, -v13
	v_rndne_f32_e32 v22, v13
	v_fmac_f32_e32 v21, 0x32a5705f, v7
	v_sub_f32_e32 v13, v13, v22
	v_add_f32_e32 v13, v13, v21
	v_exp_f32_e32 v13, v13
	v_cvt_i32_f32_e32 v21, v22
	v_cmp_ngt_f32_e64 s[14:15], s19, v9
	v_cndmask_b32_e64 v11, 0, v11, s[14:15]
	v_cmp_nlt_f32_e64 s[14:15], s20, v9
	v_cndmask_b32_e64 v11, v20, v11, s[14:15]
	v_sub_f32_e32 v10, v10, v19
	v_add_f32_e32 v11, v12, v11
	v_ldexp_f32 v12, v13, v21
	v_mul_f32_e32 v13, 0x3fb8aa3b, v10
	v_fma_f32 v21, v10, s18, -v13
	v_rndne_f32_e32 v22, v13
	v_fmac_f32_e32 v21, 0x32a5705f, v10
	v_sub_f32_e32 v13, v13, v22
	v_add_f32_e32 v13, v13, v21
	v_exp_f32_e32 v13, v13
	v_cvt_i32_f32_e32 v21, v22
	v_cmp_ngt_f32_e64 s[14:15], s19, v7
	v_cndmask_b32_e64 v12, 0, v12, s[14:15]
	v_cmp_nlt_f32_e64 s[14:15], s20, v7
	v_cndmask_b32_e64 v12, v20, v12, s[14:15]
	v_sub_f32_e32 v6, v6, v19
	v_add_f32_e32 v11, v11, v12
	v_ldexp_f32 v12, v13, v21
	v_mul_f32_e32 v13, 0x3fb8aa3b, v6
	v_fma_f32 v19, v6, s18, -v13
	v_rndne_f32_e32 v21, v13
	v_fmac_f32_e32 v19, 0x32a5705f, v6
	v_sub_f32_e32 v13, v13, v21
	v_add_f32_e32 v13, v13, v19
	v_exp_f32_e32 v13, v13
	v_cvt_i32_f32_e32 v19, v21
	v_cmp_ngt_f32_e64 s[14:15], s19, v10
	v_cndmask_b32_e64 v12, 0, v12, s[14:15]
	v_cmp_nlt_f32_e64 s[14:15], s20, v10
	v_cndmask_b32_e64 v12, v20, v12, s[14:15]
	v_add_f32_e32 v11, v11, v12
	v_ldexp_f32 v12, v13, v19
	v_cmp_ngt_f32_e64 s[14:15], s19, v6
	v_cndmask_b32_e64 v12, 0, v12, s[14:15]
	v_cmp_nlt_f32_e64 s[14:15], s20, v6
	v_cndmask_b32_e64 v12, v20, v12, s[14:15]
	v_add_f32_e32 v11, v11, v12
	ds_bpermute_b32 v12, v14, v11
	v_cmp_lt_i32_e64 s[14:15], 0, v5
	s_waitcnt lgkmcnt(0)
	v_add_f32_e32 v11, v11, v12
	ds_bpermute_b32 v12, v15, v11
	s_waitcnt lgkmcnt(0)
	v_add_f32_e32 v11, v11, v12
	ds_bpermute_b32 v12, v16, v11
	;; [unrolled: 3-line block ×4, first 2 shown]
	s_and_saveexec_b64 s[18:19], s[14:15]
	s_cbranch_execz .LBB183_26
; %bb.17:
	s_and_b64 exec, exec, s[4:5]
	s_cbranch_execz .LBB183_26
; %bb.18:
	s_waitcnt lgkmcnt(0)
	v_add_f32_e32 v5, v11, v12
	s_mov_b32 s4, 0x800000
	v_mov_b32_e32 v11, 0x4f800000
	v_cmp_gt_f32_e64 s[4:5], s4, v5
	v_cndmask_b32_e64 v11, 1.0, v11, s[4:5]
	v_mul_f32_e32 v5, v5, v11
	v_log_f32_e32 v5, v5
	s_mov_b32 s14, 0x3f317217
	v_lshlrev_b64 v[0:1], 2, v[0:1]
	v_mul_f32_e32 v11, 0x3f317217, v5
	v_fma_f32 v12, v5, s14, -v11
	v_fmac_f32_e32 v12, 0x3377d1cf, v5
	s_mov_b32 s14, 0x7f800000
	v_add_f32_e32 v11, v11, v12
	v_cmp_lt_f32_e64 s[14:15], |v5|, s14
	v_cndmask_b32_e64 v5, v5, v11, s[14:15]
	v_mov_b32_e32 v11, 0x41b17218
	v_cndmask_b32_e64 v11, 0, v11, s[4:5]
	v_sub_f32_e32 v5, v5, v11
	v_mov_b32_e32 v11, s17
	v_add_co_u32_e64 v0, s[4:5], s16, v0
	v_addc_co_u32_e64 v1, s[4:5], v11, v1, s[4:5]
	v_sub_f32_e32 v2, v2, v5
	global_store_dword v[0:1], v2, off
	s_and_b64 exec, exec, vcc
	s_cbranch_execz .LBB183_26
; %bb.19:
	v_sub_f32_e32 v2, v3, v5
	global_store_dword v[0:1], v2, off offset:128
	s_and_b64 exec, exec, s[0:1]
	s_cbranch_execz .LBB183_26
; %bb.20:
	v_sub_f32_e32 v2, v4, v5
	global_store_dword v[0:1], v2, off offset:256
	s_and_b64 exec, exec, s[2:3]
	;; [unrolled: 5-line block ×6, first 2 shown]
	s_cbranch_execz .LBB183_26
; %bb.25:
	v_sub_f32_e32 v2, v6, v5
	global_store_dword v[0:1], v2, off offset:896
.LBB183_26:
	s_endpgm
	.section	.rodata,"a",@progbits
	.p2align	6, 0x0
	.amdhsa_kernel _ZN12_GLOBAL__N_120softmax_warp_forwardIN3c108BFloat16EffLi8ELb1ELb0ELi32EEEvPT0_PKT_iiiPKbib
		.amdhsa_group_segment_fixed_size 0
		.amdhsa_private_segment_fixed_size 0
		.amdhsa_kernarg_size 304
		.amdhsa_user_sgpr_count 6
		.amdhsa_user_sgpr_private_segment_buffer 1
		.amdhsa_user_sgpr_dispatch_ptr 0
		.amdhsa_user_sgpr_queue_ptr 0
		.amdhsa_user_sgpr_kernarg_segment_ptr 1
		.amdhsa_user_sgpr_dispatch_id 0
		.amdhsa_user_sgpr_flat_scratch_init 0
		.amdhsa_user_sgpr_kernarg_preload_length 0
		.amdhsa_user_sgpr_kernarg_preload_offset 0
		.amdhsa_user_sgpr_private_segment_size 0
		.amdhsa_uses_dynamic_stack 0
		.amdhsa_system_sgpr_private_segment_wavefront_offset 0
		.amdhsa_system_sgpr_workgroup_id_x 1
		.amdhsa_system_sgpr_workgroup_id_y 0
		.amdhsa_system_sgpr_workgroup_id_z 0
		.amdhsa_system_sgpr_workgroup_info 0
		.amdhsa_system_vgpr_workitem_id 1
		.amdhsa_next_free_vgpr 23
		.amdhsa_next_free_sgpr 24
		.amdhsa_accum_offset 24
		.amdhsa_reserve_vcc 1
		.amdhsa_reserve_flat_scratch 0
		.amdhsa_float_round_mode_32 0
		.amdhsa_float_round_mode_16_64 0
		.amdhsa_float_denorm_mode_32 3
		.amdhsa_float_denorm_mode_16_64 3
		.amdhsa_dx10_clamp 1
		.amdhsa_ieee_mode 1
		.amdhsa_fp16_overflow 0
		.amdhsa_tg_split 0
		.amdhsa_exception_fp_ieee_invalid_op 0
		.amdhsa_exception_fp_denorm_src 0
		.amdhsa_exception_fp_ieee_div_zero 0
		.amdhsa_exception_fp_ieee_overflow 0
		.amdhsa_exception_fp_ieee_underflow 0
		.amdhsa_exception_fp_ieee_inexact 0
		.amdhsa_exception_int_div_zero 0
	.end_amdhsa_kernel
	.section	.text._ZN12_GLOBAL__N_120softmax_warp_forwardIN3c108BFloat16EffLi8ELb1ELb0ELi32EEEvPT0_PKT_iiiPKbib,"axG",@progbits,_ZN12_GLOBAL__N_120softmax_warp_forwardIN3c108BFloat16EffLi8ELb1ELb0ELi32EEEvPT0_PKT_iiiPKbib,comdat
.Lfunc_end183:
	.size	_ZN12_GLOBAL__N_120softmax_warp_forwardIN3c108BFloat16EffLi8ELb1ELb0ELi32EEEvPT0_PKT_iiiPKbib, .Lfunc_end183-_ZN12_GLOBAL__N_120softmax_warp_forwardIN3c108BFloat16EffLi8ELb1ELb0ELi32EEEvPT0_PKT_iiiPKbib
                                        ; -- End function
	.section	.AMDGPU.csdata,"",@progbits
; Kernel info:
; codeLenInByte = 2092
; NumSgprs: 28
; NumVgprs: 23
; NumAgprs: 0
; TotalNumVgprs: 23
; ScratchSize: 0
; MemoryBound: 0
; FloatMode: 240
; IeeeMode: 1
; LDSByteSize: 0 bytes/workgroup (compile time only)
; SGPRBlocks: 3
; VGPRBlocks: 2
; NumSGPRsForWavesPerEU: 28
; NumVGPRsForWavesPerEU: 23
; AccumOffset: 24
; Occupancy: 8
; WaveLimiterHint : 0
; COMPUTE_PGM_RSRC2:SCRATCH_EN: 0
; COMPUTE_PGM_RSRC2:USER_SGPR: 6
; COMPUTE_PGM_RSRC2:TRAP_HANDLER: 0
; COMPUTE_PGM_RSRC2:TGID_X_EN: 1
; COMPUTE_PGM_RSRC2:TGID_Y_EN: 0
; COMPUTE_PGM_RSRC2:TGID_Z_EN: 0
; COMPUTE_PGM_RSRC2:TIDIG_COMP_CNT: 1
; COMPUTE_PGM_RSRC3_GFX90A:ACCUM_OFFSET: 5
; COMPUTE_PGM_RSRC3_GFX90A:TG_SPLIT: 0
	.section	.text._ZN12_GLOBAL__N_120softmax_warp_forwardIN3c108BFloat16EffLi9ELb1ELb0ELi64EEEvPT0_PKT_iiiPKbib,"axG",@progbits,_ZN12_GLOBAL__N_120softmax_warp_forwardIN3c108BFloat16EffLi9ELb1ELb0ELi64EEEvPT0_PKT_iiiPKbib,comdat
	.globl	_ZN12_GLOBAL__N_120softmax_warp_forwardIN3c108BFloat16EffLi9ELb1ELb0ELi64EEEvPT0_PKT_iiiPKbib ; -- Begin function _ZN12_GLOBAL__N_120softmax_warp_forwardIN3c108BFloat16EffLi9ELb1ELb0ELi64EEEvPT0_PKT_iiiPKbib
	.p2align	8
	.type	_ZN12_GLOBAL__N_120softmax_warp_forwardIN3c108BFloat16EffLi9ELb1ELb0ELi64EEEvPT0_PKT_iiiPKbib,@function
_ZN12_GLOBAL__N_120softmax_warp_forwardIN3c108BFloat16EffLi9ELb1ELb0ELi64EEEvPT0_PKT_iiiPKbib: ; @_ZN12_GLOBAL__N_120softmax_warp_forwardIN3c108BFloat16EffLi9ELb1ELb0ELi64EEEvPT0_PKT_iiiPKbib
; %bb.0:
	s_load_dword s0, s[4:5], 0x3c
	s_load_dwordx8 s[16:23], s[4:5], 0x0
	v_bfe_u32 v1, v0, 10, 10
	v_and_b32_e32 v4, 0x3ff, v0
	v_mov_b32_e32 v9, 0xff800000
	s_waitcnt lgkmcnt(0)
	s_lshr_b32 s0, s0, 16
	s_mul_i32 s6, s6, s0
	v_add_u32_e32 v1, s6, v1
	v_sub_u32_e32 v5, s20, v1
	v_mad_u64_u32 v[0:1], s[0:1], v1, s21, v[4:5]
	v_ashrrev_i32_e32 v1, 31, v0
	v_lshlrev_b64 v[2:3], 1, v[0:1]
	v_mov_b32_e32 v6, s19
	v_add_co_u32_e32 v2, vcc, s18, v2
	v_cmp_lt_i32_e64 s[14:15], 0, v5
	v_cmp_gt_i32_e64 s[4:5], s22, v4
	v_addc_co_u32_e32 v3, vcc, v6, v3, vcc
	s_and_b64 s[2:3], s[14:15], s[4:5]
	v_mov_b32_e32 v13, 0xff800000
	s_and_saveexec_b64 s[0:1], s[2:3]
	s_cbranch_execz .LBB184_2
; %bb.1:
	global_load_ushort v6, v[2:3], off
	s_waitcnt vmcnt(0)
	v_lshlrev_b32_e32 v13, 16, v6
.LBB184_2:
	s_or_b64 exec, exec, s[0:1]
	v_add_u32_e32 v6, 64, v4
	v_cmp_gt_i32_e32 vcc, s22, v6
	s_and_b64 s[2:3], s[14:15], vcc
	s_and_saveexec_b64 s[0:1], s[2:3]
	s_cbranch_execz .LBB184_4
; %bb.3:
	global_load_ushort v6, v[2:3], off offset:128
	s_waitcnt vmcnt(0)
	v_lshlrev_b32_e32 v9, 16, v6
.LBB184_4:
	s_or_b64 exec, exec, s[0:1]
	v_add_u32_e32 v6, 0x80, v4
	v_cmp_gt_i32_e64 s[0:1], s22, v6
	s_and_b64 s[6:7], s[14:15], s[0:1]
	v_mov_b32_e32 v8, 0xff800000
	v_mov_b32_e32 v12, 0xff800000
	s_and_saveexec_b64 s[2:3], s[6:7]
	s_cbranch_execz .LBB184_6
; %bb.5:
	global_load_ushort v6, v[2:3], off offset:256
	s_waitcnt vmcnt(0)
	v_lshlrev_b32_e32 v12, 16, v6
.LBB184_6:
	s_or_b64 exec, exec, s[2:3]
	v_add_u32_e32 v6, 0xc0, v4
	v_cmp_gt_i32_e64 s[2:3], s22, v6
	s_and_b64 s[8:9], s[14:15], s[2:3]
	s_and_saveexec_b64 s[6:7], s[8:9]
	s_cbranch_execz .LBB184_8
; %bb.7:
	global_load_ushort v6, v[2:3], off offset:384
	s_waitcnt vmcnt(0)
	v_lshlrev_b32_e32 v8, 16, v6
.LBB184_8:
	s_or_b64 exec, exec, s[6:7]
	v_add_u32_e32 v6, 0x100, v4
	v_cmp_gt_i32_e64 s[6:7], s22, v6
	s_and_b64 s[10:11], s[14:15], s[6:7]
	v_mov_b32_e32 v7, 0xff800000
	v_mov_b32_e32 v11, 0xff800000
	s_and_saveexec_b64 s[8:9], s[10:11]
	s_cbranch_execz .LBB184_10
; %bb.9:
	global_load_ushort v6, v[2:3], off offset:512
	s_waitcnt vmcnt(0)
	v_lshlrev_b32_e32 v11, 16, v6
.LBB184_10:
	s_or_b64 exec, exec, s[8:9]
	v_add_u32_e32 v6, 0x140, v4
	v_cmp_gt_i32_e64 s[8:9], s22, v6
	s_and_b64 s[12:13], s[14:15], s[8:9]
	;; [unrolled: 24-line block ×3, first 2 shown]
	s_and_saveexec_b64 s[14:15], s[18:19]
	s_cbranch_execz .LBB184_16
; %bb.15:
	global_load_ushort v2, v[2:3], off offset:896
	s_waitcnt vmcnt(0)
	v_lshlrev_b32_e32 v6, 16, v2
.LBB184_16:
	s_or_b64 exec, exec, s[14:15]
	v_cmp_gt_f32_e64 s[14:15], v13, v9
	v_cndmask_b32_e64 v2, v9, v13, s[14:15]
	v_cmp_gt_f32_e64 s[14:15], v2, v12
	v_cndmask_b32_e64 v2, v12, v2, s[14:15]
	;; [unrolled: 2-line block ×5, first 2 shown]
	v_mbcnt_lo_u32_b32 v3, -1, 0
	v_cmp_gt_f32_e64 s[14:15], v2, v10
	v_mbcnt_hi_u32_b32 v3, -1, v3
	v_cndmask_b32_e64 v2, v10, v2, s[14:15]
	v_and_b32_e32 v4, 64, v3
	v_cmp_gt_f32_e64 s[14:15], v2, v6
	v_add_u32_e32 v4, 64, v4
	v_xor_b32_e32 v14, 32, v3
	v_cndmask_b32_e64 v2, v6, v2, s[14:15]
	v_cmp_lt_i32_e64 s[14:15], v14, v4
	v_cndmask_b32_e64 v14, v3, v14, s[14:15]
	v_lshlrev_b32_e32 v14, 2, v14
	ds_bpermute_b32 v15, v14, v2
	s_mov_b32 s18, 0x3fb8aa3b
	s_mov_b32 s19, 0xc2ce8ed0
	;; [unrolled: 1-line block ×3, first 2 shown]
	s_waitcnt lgkmcnt(0)
	v_cmp_lt_f32_e64 s[14:15], v2, v15
	v_cndmask_b32_e64 v2, v2, v15, s[14:15]
	v_xor_b32_e32 v15, 16, v3
	v_cmp_lt_i32_e64 s[14:15], v15, v4
	v_cndmask_b32_e64 v15, v3, v15, s[14:15]
	v_lshlrev_b32_e32 v15, 2, v15
	ds_bpermute_b32 v16, v15, v2
	s_waitcnt lgkmcnt(0)
	v_cmp_lt_f32_e64 s[14:15], v2, v16
	v_cndmask_b32_e64 v2, v2, v16, s[14:15]
	v_xor_b32_e32 v16, 8, v3
	v_cmp_lt_i32_e64 s[14:15], v16, v4
	v_cndmask_b32_e64 v16, v3, v16, s[14:15]
	v_lshlrev_b32_e32 v16, 2, v16
	ds_bpermute_b32 v17, v16, v2
	;; [unrolled: 8-line block ×5, first 2 shown]
	s_waitcnt lgkmcnt(0)
	v_cmp_lt_f32_e64 s[14:15], v2, v3
	v_cndmask_b32_e64 v20, v2, v3, s[14:15]
	v_sub_f32_e32 v2, v13, v20
	v_mul_f32_e32 v3, 0x3fb8aa3b, v2
	v_fma_f32 v4, v2, s18, -v3
	v_rndne_f32_e32 v13, v3
	v_fmac_f32_e32 v4, 0x32a5705f, v2
	v_sub_f32_e32 v3, v3, v13
	v_add_f32_e32 v3, v3, v4
	v_exp_f32_e32 v3, v3
	v_cvt_i32_f32_e32 v4, v13
	v_cmp_ngt_f32_e64 s[14:15], s19, v2
	v_sub_f32_e32 v8, v8, v20
	v_sub_f32_e32 v7, v7, v20
	v_ldexp_f32 v3, v3, v4
	v_cndmask_b32_e64 v4, 0, v3, s[14:15]
	v_sub_f32_e32 v3, v9, v20
	v_mul_f32_e32 v9, 0x3fb8aa3b, v3
	v_fma_f32 v13, v3, s18, -v9
	v_rndne_f32_e32 v21, v9
	v_fmac_f32_e32 v13, 0x32a5705f, v3
	v_sub_f32_e32 v9, v9, v21
	v_add_f32_e32 v9, v9, v13
	v_exp_f32_e32 v9, v9
	v_cvt_i32_f32_e32 v13, v21
	v_mov_b32_e32 v21, 0x7f800000
	v_cmp_nlt_f32_e64 s[14:15], s20, v2
	v_cndmask_b32_e64 v22, v21, v4, s[14:15]
	v_ldexp_f32 v4, v9, v13
	v_cmp_ngt_f32_e64 s[14:15], s19, v3
	v_cndmask_b32_e64 v9, 0, v4, s[14:15]
	v_sub_f32_e32 v4, v12, v20
	v_mul_f32_e32 v12, 0x3fb8aa3b, v4
	v_fma_f32 v13, v4, s18, -v12
	v_rndne_f32_e32 v23, v12
	v_fmac_f32_e32 v13, 0x32a5705f, v4
	v_sub_f32_e32 v12, v12, v23
	v_add_f32_e32 v12, v12, v13
	v_exp_f32_e32 v12, v12
	v_cvt_i32_f32_e32 v13, v23
	v_cmp_nlt_f32_e64 s[14:15], s20, v3
	v_cndmask_b32_e64 v9, v21, v9, s[14:15]
	v_add_f32_e32 v9, v22, v9
	v_ldexp_f32 v12, v12, v13
	v_mul_f32_e32 v13, 0x3fb8aa3b, v8
	v_fma_f32 v22, v8, s18, -v13
	v_rndne_f32_e32 v23, v13
	v_fmac_f32_e32 v22, 0x32a5705f, v8
	v_sub_f32_e32 v13, v13, v23
	v_add_f32_e32 v13, v13, v22
	v_exp_f32_e32 v13, v13
	v_cvt_i32_f32_e32 v22, v23
	v_cmp_ngt_f32_e64 s[14:15], s19, v4
	v_cndmask_b32_e64 v12, 0, v12, s[14:15]
	v_cmp_nlt_f32_e64 s[14:15], s20, v4
	v_cndmask_b32_e64 v12, v21, v12, s[14:15]
	v_add_f32_e32 v12, v9, v12
	v_ldexp_f32 v9, v13, v22
	v_cmp_ngt_f32_e64 s[14:15], s19, v8
	v_cndmask_b32_e64 v13, 0, v9, s[14:15]
	v_sub_f32_e32 v9, v11, v20
	v_mul_f32_e32 v11, 0x3fb8aa3b, v9
	v_fma_f32 v22, v9, s18, -v11
	v_rndne_f32_e32 v23, v11
	v_fmac_f32_e32 v22, 0x32a5705f, v9
	v_sub_f32_e32 v11, v11, v23
	v_add_f32_e32 v11, v11, v22
	v_exp_f32_e32 v11, v11
	v_cvt_i32_f32_e32 v22, v23
	v_cmp_nlt_f32_e64 s[14:15], s20, v8
	v_cndmask_b32_e64 v13, v21, v13, s[14:15]
	v_add_f32_e32 v12, v12, v13
	v_mul_f32_e32 v13, 0x3fb8aa3b, v7
	v_ldexp_f32 v11, v11, v22
	v_fma_f32 v22, v7, s18, -v13
	v_rndne_f32_e32 v23, v13
	v_fmac_f32_e32 v22, 0x32a5705f, v7
	v_sub_f32_e32 v13, v13, v23
	v_add_f32_e32 v13, v13, v22
	v_exp_f32_e32 v13, v13
	v_cvt_i32_f32_e32 v22, v23
	v_cmp_ngt_f32_e64 s[14:15], s19, v9
	v_cndmask_b32_e64 v11, 0, v11, s[14:15]
	v_cmp_nlt_f32_e64 s[14:15], s20, v9
	v_cndmask_b32_e64 v11, v21, v11, s[14:15]
	v_sub_f32_e32 v10, v10, v20
	v_add_f32_e32 v11, v12, v11
	v_ldexp_f32 v12, v13, v22
	v_mul_f32_e32 v13, 0x3fb8aa3b, v10
	v_fma_f32 v22, v10, s18, -v13
	v_rndne_f32_e32 v23, v13
	v_fmac_f32_e32 v22, 0x32a5705f, v10
	v_sub_f32_e32 v13, v13, v23
	v_add_f32_e32 v13, v13, v22
	v_exp_f32_e32 v13, v13
	v_cvt_i32_f32_e32 v22, v23
	v_cmp_ngt_f32_e64 s[14:15], s19, v7
	v_cndmask_b32_e64 v12, 0, v12, s[14:15]
	v_cmp_nlt_f32_e64 s[14:15], s20, v7
	v_cndmask_b32_e64 v12, v21, v12, s[14:15]
	v_sub_f32_e32 v6, v6, v20
	v_add_f32_e32 v11, v11, v12
	v_ldexp_f32 v12, v13, v22
	v_mul_f32_e32 v13, 0x3fb8aa3b, v6
	v_fma_f32 v20, v6, s18, -v13
	v_rndne_f32_e32 v22, v13
	v_fmac_f32_e32 v20, 0x32a5705f, v6
	v_sub_f32_e32 v13, v13, v22
	v_add_f32_e32 v13, v13, v20
	v_exp_f32_e32 v13, v13
	v_cvt_i32_f32_e32 v20, v22
	v_cmp_ngt_f32_e64 s[14:15], s19, v10
	v_cndmask_b32_e64 v12, 0, v12, s[14:15]
	v_cmp_nlt_f32_e64 s[14:15], s20, v10
	v_cndmask_b32_e64 v12, v21, v12, s[14:15]
	v_add_f32_e32 v11, v11, v12
	v_ldexp_f32 v12, v13, v20
	v_cmp_ngt_f32_e64 s[14:15], s19, v6
	v_cndmask_b32_e64 v12, 0, v12, s[14:15]
	v_cmp_nlt_f32_e64 s[14:15], s20, v6
	v_cndmask_b32_e64 v12, v21, v12, s[14:15]
	v_add_f32_e32 v11, v11, v12
	ds_bpermute_b32 v12, v14, v11
	v_cmp_lt_i32_e64 s[14:15], 0, v5
	s_waitcnt lgkmcnt(0)
	v_add_f32_e32 v11, v11, v12
	ds_bpermute_b32 v12, v15, v11
	s_waitcnt lgkmcnt(0)
	v_add_f32_e32 v11, v11, v12
	ds_bpermute_b32 v12, v16, v11
	;; [unrolled: 3-line block ×5, first 2 shown]
	s_and_saveexec_b64 s[18:19], s[14:15]
	s_cbranch_execz .LBB184_26
; %bb.17:
	s_and_b64 exec, exec, s[4:5]
	s_cbranch_execz .LBB184_26
; %bb.18:
	s_waitcnt lgkmcnt(0)
	v_add_f32_e32 v5, v11, v12
	s_mov_b32 s4, 0x800000
	v_mov_b32_e32 v11, 0x4f800000
	v_cmp_gt_f32_e64 s[4:5], s4, v5
	v_cndmask_b32_e64 v11, 1.0, v11, s[4:5]
	v_mul_f32_e32 v5, v5, v11
	v_log_f32_e32 v5, v5
	s_mov_b32 s14, 0x3f317217
	v_lshlrev_b64 v[0:1], 2, v[0:1]
	v_mul_f32_e32 v11, 0x3f317217, v5
	v_fma_f32 v12, v5, s14, -v11
	v_fmac_f32_e32 v12, 0x3377d1cf, v5
	s_mov_b32 s14, 0x7f800000
	v_add_f32_e32 v11, v11, v12
	v_cmp_lt_f32_e64 s[14:15], |v5|, s14
	v_cndmask_b32_e64 v5, v5, v11, s[14:15]
	v_mov_b32_e32 v11, 0x41b17218
	v_cndmask_b32_e64 v11, 0, v11, s[4:5]
	v_sub_f32_e32 v5, v5, v11
	v_mov_b32_e32 v11, s17
	v_add_co_u32_e64 v0, s[4:5], s16, v0
	v_addc_co_u32_e64 v1, s[4:5], v11, v1, s[4:5]
	v_sub_f32_e32 v2, v2, v5
	global_store_dword v[0:1], v2, off
	s_and_b64 exec, exec, vcc
	s_cbranch_execz .LBB184_26
; %bb.19:
	v_sub_f32_e32 v2, v3, v5
	global_store_dword v[0:1], v2, off offset:256
	s_and_b64 exec, exec, s[0:1]
	s_cbranch_execz .LBB184_26
; %bb.20:
	v_sub_f32_e32 v2, v4, v5
	global_store_dword v[0:1], v2, off offset:512
	s_and_b64 exec, exec, s[2:3]
	;; [unrolled: 5-line block ×6, first 2 shown]
	s_cbranch_execz .LBB184_26
; %bb.25:
	v_sub_f32_e32 v2, v6, v5
	global_store_dword v[0:1], v2, off offset:1792
.LBB184_26:
	s_endpgm
	.section	.rodata,"a",@progbits
	.p2align	6, 0x0
	.amdhsa_kernel _ZN12_GLOBAL__N_120softmax_warp_forwardIN3c108BFloat16EffLi9ELb1ELb0ELi64EEEvPT0_PKT_iiiPKbib
		.amdhsa_group_segment_fixed_size 0
		.amdhsa_private_segment_fixed_size 0
		.amdhsa_kernarg_size 304
		.amdhsa_user_sgpr_count 6
		.amdhsa_user_sgpr_private_segment_buffer 1
		.amdhsa_user_sgpr_dispatch_ptr 0
		.amdhsa_user_sgpr_queue_ptr 0
		.amdhsa_user_sgpr_kernarg_segment_ptr 1
		.amdhsa_user_sgpr_dispatch_id 0
		.amdhsa_user_sgpr_flat_scratch_init 0
		.amdhsa_user_sgpr_kernarg_preload_length 0
		.amdhsa_user_sgpr_kernarg_preload_offset 0
		.amdhsa_user_sgpr_private_segment_size 0
		.amdhsa_uses_dynamic_stack 0
		.amdhsa_system_sgpr_private_segment_wavefront_offset 0
		.amdhsa_system_sgpr_workgroup_id_x 1
		.amdhsa_system_sgpr_workgroup_id_y 0
		.amdhsa_system_sgpr_workgroup_id_z 0
		.amdhsa_system_sgpr_workgroup_info 0
		.amdhsa_system_vgpr_workitem_id 1
		.amdhsa_next_free_vgpr 24
		.amdhsa_next_free_sgpr 24
		.amdhsa_accum_offset 24
		.amdhsa_reserve_vcc 1
		.amdhsa_reserve_flat_scratch 0
		.amdhsa_float_round_mode_32 0
		.amdhsa_float_round_mode_16_64 0
		.amdhsa_float_denorm_mode_32 3
		.amdhsa_float_denorm_mode_16_64 3
		.amdhsa_dx10_clamp 1
		.amdhsa_ieee_mode 1
		.amdhsa_fp16_overflow 0
		.amdhsa_tg_split 0
		.amdhsa_exception_fp_ieee_invalid_op 0
		.amdhsa_exception_fp_denorm_src 0
		.amdhsa_exception_fp_ieee_div_zero 0
		.amdhsa_exception_fp_ieee_overflow 0
		.amdhsa_exception_fp_ieee_underflow 0
		.amdhsa_exception_fp_ieee_inexact 0
		.amdhsa_exception_int_div_zero 0
	.end_amdhsa_kernel
	.section	.text._ZN12_GLOBAL__N_120softmax_warp_forwardIN3c108BFloat16EffLi9ELb1ELb0ELi64EEEvPT0_PKT_iiiPKbib,"axG",@progbits,_ZN12_GLOBAL__N_120softmax_warp_forwardIN3c108BFloat16EffLi9ELb1ELb0ELi64EEEvPT0_PKT_iiiPKbib,comdat
.Lfunc_end184:
	.size	_ZN12_GLOBAL__N_120softmax_warp_forwardIN3c108BFloat16EffLi9ELb1ELb0ELi64EEEvPT0_PKT_iiiPKbib, .Lfunc_end184-_ZN12_GLOBAL__N_120softmax_warp_forwardIN3c108BFloat16EffLi9ELb1ELb0ELi64EEEvPT0_PKT_iiiPKbib
                                        ; -- End function
	.section	.AMDGPU.csdata,"",@progbits
; Kernel info:
; codeLenInByte = 2160
; NumSgprs: 28
; NumVgprs: 24
; NumAgprs: 0
; TotalNumVgprs: 24
; ScratchSize: 0
; MemoryBound: 0
; FloatMode: 240
; IeeeMode: 1
; LDSByteSize: 0 bytes/workgroup (compile time only)
; SGPRBlocks: 3
; VGPRBlocks: 2
; NumSGPRsForWavesPerEU: 28
; NumVGPRsForWavesPerEU: 24
; AccumOffset: 24
; Occupancy: 8
; WaveLimiterHint : 0
; COMPUTE_PGM_RSRC2:SCRATCH_EN: 0
; COMPUTE_PGM_RSRC2:USER_SGPR: 6
; COMPUTE_PGM_RSRC2:TRAP_HANDLER: 0
; COMPUTE_PGM_RSRC2:TGID_X_EN: 1
; COMPUTE_PGM_RSRC2:TGID_Y_EN: 0
; COMPUTE_PGM_RSRC2:TGID_Z_EN: 0
; COMPUTE_PGM_RSRC2:TIDIG_COMP_CNT: 1
; COMPUTE_PGM_RSRC3_GFX90A:ACCUM_OFFSET: 5
; COMPUTE_PGM_RSRC3_GFX90A:TG_SPLIT: 0
	.section	.text._ZN12_GLOBAL__N_120softmax_warp_forwardIN3c108BFloat16EffLi9ELb1ELb0ELi32EEEvPT0_PKT_iiiPKbib,"axG",@progbits,_ZN12_GLOBAL__N_120softmax_warp_forwardIN3c108BFloat16EffLi9ELb1ELb0ELi32EEEvPT0_PKT_iiiPKbib,comdat
	.globl	_ZN12_GLOBAL__N_120softmax_warp_forwardIN3c108BFloat16EffLi9ELb1ELb0ELi32EEEvPT0_PKT_iiiPKbib ; -- Begin function _ZN12_GLOBAL__N_120softmax_warp_forwardIN3c108BFloat16EffLi9ELb1ELb0ELi32EEEvPT0_PKT_iiiPKbib
	.p2align	8
	.type	_ZN12_GLOBAL__N_120softmax_warp_forwardIN3c108BFloat16EffLi9ELb1ELb0ELi32EEEvPT0_PKT_iiiPKbib,@function
_ZN12_GLOBAL__N_120softmax_warp_forwardIN3c108BFloat16EffLi9ELb1ELb0ELi32EEEvPT0_PKT_iiiPKbib: ; @_ZN12_GLOBAL__N_120softmax_warp_forwardIN3c108BFloat16EffLi9ELb1ELb0ELi32EEEvPT0_PKT_iiiPKbib
; %bb.0:
	s_load_dword s0, s[4:5], 0x3c
	s_load_dwordx8 s[36:43], s[4:5], 0x0
	v_bfe_u32 v1, v0, 10, 10
	v_and_b32_e32 v4, 0x3ff, v0
	v_mov_b32_e32 v16, 0xff800000
	s_waitcnt lgkmcnt(0)
	s_lshr_b32 s0, s0, 16
	s_mul_i32 s6, s6, s0
	v_add_u32_e32 v1, s6, v1
	v_sub_u32_e32 v5, s40, v1
	v_mad_u64_u32 v[0:1], s[0:1], v1, s41, v[4:5]
	v_ashrrev_i32_e32 v1, 31, v0
	v_lshlrev_b64 v[2:3], 1, v[0:1]
	v_mov_b32_e32 v6, s39
	v_add_co_u32_e32 v2, vcc, s38, v2
	v_cmp_lt_i32_e64 s[30:31], 0, v5
	v_cmp_gt_i32_e64 s[4:5], s42, v4
	v_addc_co_u32_e32 v3, vcc, v6, v3, vcc
	s_and_b64 s[2:3], s[30:31], s[4:5]
	v_mov_b32_e32 v22, 0xff800000
	s_and_saveexec_b64 s[0:1], s[2:3]
	s_cbranch_execz .LBB185_2
; %bb.1:
	global_load_ushort v6, v[2:3], off
	s_waitcnt vmcnt(0)
	v_lshlrev_b32_e32 v22, 16, v6
.LBB185_2:
	s_or_b64 exec, exec, s[0:1]
	v_add_u32_e32 v6, 32, v4
	v_cmp_gt_i32_e32 vcc, s42, v6
	s_and_b64 s[2:3], s[30:31], vcc
	s_and_saveexec_b64 s[0:1], s[2:3]
	s_cbranch_execz .LBB185_4
; %bb.3:
	global_load_ushort v6, v[2:3], off offset:64
	s_waitcnt vmcnt(0)
	v_lshlrev_b32_e32 v16, 16, v6
.LBB185_4:
	s_or_b64 exec, exec, s[0:1]
	v_add_u32_e32 v6, 64, v4
	v_cmp_gt_i32_e64 s[0:1], s42, v6
	s_and_b64 s[6:7], s[30:31], s[0:1]
	v_mov_b32_e32 v14, 0xff800000
	v_mov_b32_e32 v20, 0xff800000
	s_and_saveexec_b64 s[2:3], s[6:7]
	s_cbranch_execz .LBB185_6
; %bb.5:
	global_load_ushort v6, v[2:3], off offset:128
	s_waitcnt vmcnt(0)
	v_lshlrev_b32_e32 v20, 16, v6
.LBB185_6:
	s_or_b64 exec, exec, s[2:3]
	v_add_u32_e32 v6, 0x60, v4
	v_cmp_gt_i32_e64 s[2:3], s42, v6
	s_and_b64 s[8:9], s[30:31], s[2:3]
	s_and_saveexec_b64 s[6:7], s[8:9]
	s_cbranch_execz .LBB185_8
; %bb.7:
	global_load_ushort v6, v[2:3], off offset:192
	s_waitcnt vmcnt(0)
	v_lshlrev_b32_e32 v14, 16, v6
.LBB185_8:
	s_or_b64 exec, exec, s[6:7]
	v_add_u32_e32 v6, 0x80, v4
	v_cmp_gt_i32_e64 s[6:7], s42, v6
	s_and_b64 s[10:11], s[30:31], s[6:7]
	v_mov_b32_e32 v12, 0xff800000
	v_mov_b32_e32 v19, 0xff800000
	s_and_saveexec_b64 s[8:9], s[10:11]
	s_cbranch_execz .LBB185_10
; %bb.9:
	global_load_ushort v6, v[2:3], off offset:256
	s_waitcnt vmcnt(0)
	v_lshlrev_b32_e32 v19, 16, v6
.LBB185_10:
	s_or_b64 exec, exec, s[8:9]
	v_add_u32_e32 v6, 0xa0, v4
	v_cmp_gt_i32_e64 s[8:9], s42, v6
	s_and_b64 s[12:13], s[30:31], s[8:9]
	;; [unrolled: 24-line block ×7, first 2 shown]
	s_and_saveexec_b64 s[30:31], s[34:35]
	s_cbranch_execz .LBB185_32
; %bb.31:
	global_load_ushort v2, v[2:3], off offset:960
	s_waitcnt vmcnt(0)
	v_lshlrev_b32_e32 v6, 16, v2
.LBB185_32:
	s_or_b64 exec, exec, s[30:31]
	v_cmp_gt_f32_e64 s[30:31], v22, v16
	v_cndmask_b32_e64 v2, v16, v22, s[30:31]
	v_cmp_gt_f32_e64 s[30:31], v2, v20
	v_cndmask_b32_e64 v2, v20, v2, s[30:31]
	;; [unrolled: 2-line block ×13, first 2 shown]
	v_mbcnt_lo_u32_b32 v3, -1, 0
	v_cmp_gt_f32_e64 s[30:31], v2, v11
	v_mbcnt_hi_u32_b32 v3, -1, v3
	v_cndmask_b32_e64 v2, v11, v2, s[30:31]
	v_and_b32_e32 v4, 0x60, v3
	v_cmp_gt_f32_e64 s[30:31], v2, v6
	v_add_u32_e32 v25, 32, v4
	v_xor_b32_e32 v4, 16, v3
	v_cndmask_b32_e64 v2, v6, v2, s[30:31]
	v_cmp_lt_i32_e64 s[30:31], v4, v25
	v_cndmask_b32_e64 v4, v3, v4, s[30:31]
	v_lshlrev_b32_e32 v4, 2, v4
	ds_bpermute_b32 v21, v4, v2
	s_mov_b32 s34, 0x3fb8aa3b
	s_mov_b32 s33, 0xc2ce8ed0
	;; [unrolled: 1-line block ×3, first 2 shown]
	s_waitcnt lgkmcnt(0)
	v_cmp_lt_f32_e64 s[30:31], v2, v21
	v_cndmask_b32_e64 v2, v2, v21, s[30:31]
	v_xor_b32_e32 v21, 8, v3
	v_cmp_lt_i32_e64 s[30:31], v21, v25
	v_cndmask_b32_e64 v21, v3, v21, s[30:31]
	v_lshlrev_b32_e32 v21, 2, v21
	ds_bpermute_b32 v23, v21, v2
	s_waitcnt lgkmcnt(0)
	v_cmp_lt_f32_e64 s[30:31], v2, v23
	v_cndmask_b32_e64 v2, v2, v23, s[30:31]
	v_xor_b32_e32 v23, 4, v3
	v_cmp_lt_i32_e64 s[30:31], v23, v25
	v_cndmask_b32_e64 v23, v3, v23, s[30:31]
	v_lshlrev_b32_e32 v23, 2, v23
	ds_bpermute_b32 v24, v23, v2
	;; [unrolled: 8-line block ×4, first 2 shown]
	s_waitcnt lgkmcnt(0)
	v_cmp_lt_f32_e64 s[30:31], v2, v3
	v_cndmask_b32_e64 v26, v2, v3, s[30:31]
	v_sub_f32_e32 v2, v22, v26
	v_mul_f32_e32 v3, 0x3fb8aa3b, v2
	v_fma_f32 v22, v2, s34, -v3
	v_rndne_f32_e32 v27, v3
	v_fmac_f32_e32 v22, 0x32a5705f, v2
	v_sub_f32_e32 v3, v3, v27
	v_add_f32_e32 v3, v3, v22
	v_exp_f32_e32 v3, v3
	v_cvt_i32_f32_e32 v22, v27
	v_cmp_ngt_f32_e64 s[30:31], s33, v2
	v_sub_f32_e32 v14, v14, v26
	v_sub_f32_e32 v19, v19, v26
	v_ldexp_f32 v3, v3, v22
	v_cndmask_b32_e64 v27, 0, v3, s[30:31]
	v_sub_f32_e32 v3, v16, v26
	v_mul_f32_e32 v16, 0x3fb8aa3b, v3
	v_fma_f32 v22, v3, s34, -v16
	v_rndne_f32_e32 v28, v16
	v_fmac_f32_e32 v22, 0x32a5705f, v3
	v_sub_f32_e32 v16, v16, v28
	v_add_f32_e32 v16, v16, v22
	v_exp_f32_e32 v16, v16
	v_cvt_i32_f32_e32 v28, v28
	v_mov_b32_e32 v22, 0x7f800000
	v_cmp_nlt_f32_e64 s[30:31], s35, v2
	v_cndmask_b32_e64 v27, v22, v27, s[30:31]
	v_ldexp_f32 v16, v16, v28
	v_cmp_ngt_f32_e64 s[30:31], s33, v3
	v_cndmask_b32_e64 v28, 0, v16, s[30:31]
	v_sub_f32_e32 v16, v20, v26
	v_mul_f32_e32 v20, 0x3fb8aa3b, v16
	v_fma_f32 v29, v16, s34, -v20
	v_rndne_f32_e32 v30, v20
	v_fmac_f32_e32 v29, 0x32a5705f, v16
	v_sub_f32_e32 v20, v20, v30
	v_add_f32_e32 v20, v20, v29
	v_exp_f32_e32 v20, v20
	v_cvt_i32_f32_e32 v29, v30
	v_cmp_nlt_f32_e64 s[30:31], s35, v3
	v_cndmask_b32_e64 v28, v22, v28, s[30:31]
	v_add_f32_e32 v27, v27, v28
	v_mul_f32_e32 v28, 0x3fb8aa3b, v14
	v_ldexp_f32 v20, v20, v29
	v_fma_f32 v29, v14, s34, -v28
	v_rndne_f32_e32 v30, v28
	v_fmac_f32_e32 v29, 0x32a5705f, v14
	v_sub_f32_e32 v28, v28, v30
	v_add_f32_e32 v28, v28, v29
	v_exp_f32_e32 v28, v28
	v_cvt_i32_f32_e32 v29, v30
	v_cmp_ngt_f32_e64 s[30:31], s33, v16
	v_cndmask_b32_e64 v20, 0, v20, s[30:31]
	v_cmp_nlt_f32_e64 s[30:31], s35, v16
	v_cndmask_b32_e64 v20, v22, v20, s[30:31]
	v_add_f32_e32 v20, v27, v20
	v_ldexp_f32 v27, v28, v29
	v_mul_f32_e32 v28, 0x3fb8aa3b, v19
	v_fma_f32 v29, v19, s34, -v28
	v_rndne_f32_e32 v30, v28
	v_fmac_f32_e32 v29, 0x32a5705f, v19
	v_sub_f32_e32 v28, v28, v30
	v_add_f32_e32 v28, v28, v29
	v_exp_f32_e32 v28, v28
	v_cvt_i32_f32_e32 v29, v30
	v_cmp_ngt_f32_e64 s[30:31], s33, v14
	v_cndmask_b32_e64 v27, 0, v27, s[30:31]
	v_cmp_nlt_f32_e64 s[30:31], s35, v14
	v_cndmask_b32_e64 v27, v22, v27, s[30:31]
	v_sub_f32_e32 v12, v12, v26
	v_add_f32_e32 v20, v20, v27
	v_ldexp_f32 v27, v28, v29
	v_mul_f32_e32 v28, 0x3fb8aa3b, v12
	v_fma_f32 v29, v12, s34, -v28
	v_rndne_f32_e32 v30, v28
	v_fmac_f32_e32 v29, 0x32a5705f, v12
	v_sub_f32_e32 v28, v28, v30
	v_add_f32_e32 v28, v28, v29
	v_exp_f32_e32 v28, v28
	v_cvt_i32_f32_e32 v29, v30
	v_cmp_ngt_f32_e64 s[30:31], s33, v19
	v_cndmask_b32_e64 v27, 0, v27, s[30:31]
	v_cmp_nlt_f32_e64 s[30:31], s35, v19
	v_cndmask_b32_e64 v27, v22, v27, s[30:31]
	v_sub_f32_e32 v18, v18, v26
	;; [unrolled: 15-line block ×10, first 2 shown]
	v_add_f32_e32 v20, v20, v27
	v_ldexp_f32 v27, v28, v29
	v_mul_f32_e32 v28, 0x3fb8aa3b, v11
	v_fma_f32 v29, v11, s34, -v28
	v_rndne_f32_e32 v30, v28
	v_fmac_f32_e32 v29, 0x32a5705f, v11
	v_sub_f32_e32 v28, v28, v30
	v_add_f32_e32 v28, v28, v29
	v_exp_f32_e32 v28, v28
	v_cvt_i32_f32_e32 v29, v30
	v_cmp_ngt_f32_e64 s[30:31], s33, v7
	v_cndmask_b32_e64 v27, 0, v27, s[30:31]
	v_cmp_nlt_f32_e64 s[30:31], s35, v7
	v_sub_f32_e32 v6, v6, v26
	v_cndmask_b32_e64 v27, v22, v27, s[30:31]
	v_mul_f32_e32 v26, 0x3fb8aa3b, v6
	v_add_f32_e32 v20, v20, v27
	v_ldexp_f32 v27, v28, v29
	v_fma_f32 v28, v6, s34, -v26
	v_rndne_f32_e32 v29, v26
	v_fmac_f32_e32 v28, 0x32a5705f, v6
	v_sub_f32_e32 v26, v26, v29
	v_add_f32_e32 v26, v26, v28
	v_exp_f32_e32 v26, v26
	v_cvt_i32_f32_e32 v28, v29
	v_cmp_ngt_f32_e64 s[30:31], s33, v11
	v_cndmask_b32_e64 v27, 0, v27, s[30:31]
	v_cmp_nlt_f32_e64 s[30:31], s35, v11
	v_cndmask_b32_e64 v27, v22, v27, s[30:31]
	v_ldexp_f32 v26, v26, v28
	v_cmp_ngt_f32_e64 s[30:31], s33, v6
	v_cndmask_b32_e64 v26, 0, v26, s[30:31]
	v_cmp_nlt_f32_e64 s[30:31], s35, v6
	v_add_f32_e32 v20, v20, v27
	v_cndmask_b32_e64 v22, v22, v26, s[30:31]
	v_add_f32_e32 v20, v20, v22
	ds_bpermute_b32 v4, v4, v20
	v_cmp_lt_i32_e64 s[30:31], 0, v5
	s_waitcnt lgkmcnt(0)
	v_add_f32_e32 v4, v20, v4
	ds_bpermute_b32 v20, v21, v4
	s_waitcnt lgkmcnt(0)
	v_add_f32_e32 v4, v4, v20
	ds_bpermute_b32 v20, v23, v4
	;; [unrolled: 3-line block ×4, first 2 shown]
	s_and_saveexec_b64 s[34:35], s[30:31]
	s_cbranch_execz .LBB185_50
; %bb.33:
	s_and_b64 exec, exec, s[4:5]
	s_cbranch_execz .LBB185_50
; %bb.34:
	s_waitcnt lgkmcnt(0)
	v_add_f32_e32 v4, v4, v20
	s_mov_b32 s4, 0x800000
	v_mov_b32_e32 v5, 0x4f800000
	v_cmp_gt_f32_e64 s[4:5], s4, v4
	v_cndmask_b32_e64 v5, 1.0, v5, s[4:5]
	v_mul_f32_e32 v4, v4, v5
	v_log_f32_e32 v4, v4
	s_mov_b32 s30, 0x3f317217
	v_lshlrev_b64 v[0:1], 2, v[0:1]
	v_mul_f32_e32 v5, 0x3f317217, v4
	v_fma_f32 v20, v4, s30, -v5
	v_fmac_f32_e32 v20, 0x3377d1cf, v4
	s_mov_b32 s30, 0x7f800000
	v_add_f32_e32 v5, v5, v20
	v_cmp_lt_f32_e64 s[30:31], |v4|, s30
	v_cndmask_b32_e64 v4, v4, v5, s[30:31]
	v_mov_b32_e32 v5, 0x41b17218
	v_cndmask_b32_e64 v5, 0, v5, s[4:5]
	v_sub_f32_e32 v4, v4, v5
	v_mov_b32_e32 v5, s37
	v_add_co_u32_e64 v0, s[4:5], s36, v0
	v_addc_co_u32_e64 v1, s[4:5], v5, v1, s[4:5]
	v_sub_f32_e32 v2, v2, v4
	global_store_dword v[0:1], v2, off
	s_and_b64 exec, exec, vcc
	s_cbranch_execz .LBB185_50
; %bb.35:
	v_sub_f32_e32 v2, v3, v4
	global_store_dword v[0:1], v2, off offset:128
	s_and_b64 exec, exec, s[0:1]
	s_cbranch_execz .LBB185_50
; %bb.36:
	v_sub_f32_e32 v2, v16, v4
	global_store_dword v[0:1], v2, off offset:256
	s_and_b64 exec, exec, s[2:3]
	;; [unrolled: 5-line block ×14, first 2 shown]
	s_cbranch_execz .LBB185_50
; %bb.49:
	v_sub_f32_e32 v2, v6, v4
	global_store_dword v[0:1], v2, off offset:1920
.LBB185_50:
	s_endpgm
	.section	.rodata,"a",@progbits
	.p2align	6, 0x0
	.amdhsa_kernel _ZN12_GLOBAL__N_120softmax_warp_forwardIN3c108BFloat16EffLi9ELb1ELb0ELi32EEEvPT0_PKT_iiiPKbib
		.amdhsa_group_segment_fixed_size 0
		.amdhsa_private_segment_fixed_size 0
		.amdhsa_kernarg_size 304
		.amdhsa_user_sgpr_count 6
		.amdhsa_user_sgpr_private_segment_buffer 1
		.amdhsa_user_sgpr_dispatch_ptr 0
		.amdhsa_user_sgpr_queue_ptr 0
		.amdhsa_user_sgpr_kernarg_segment_ptr 1
		.amdhsa_user_sgpr_dispatch_id 0
		.amdhsa_user_sgpr_flat_scratch_init 0
		.amdhsa_user_sgpr_kernarg_preload_length 0
		.amdhsa_user_sgpr_kernarg_preload_offset 0
		.amdhsa_user_sgpr_private_segment_size 0
		.amdhsa_uses_dynamic_stack 0
		.amdhsa_system_sgpr_private_segment_wavefront_offset 0
		.amdhsa_system_sgpr_workgroup_id_x 1
		.amdhsa_system_sgpr_workgroup_id_y 0
		.amdhsa_system_sgpr_workgroup_id_z 0
		.amdhsa_system_sgpr_workgroup_info 0
		.amdhsa_system_vgpr_workitem_id 1
		.amdhsa_next_free_vgpr 31
		.amdhsa_next_free_sgpr 44
		.amdhsa_accum_offset 32
		.amdhsa_reserve_vcc 1
		.amdhsa_reserve_flat_scratch 0
		.amdhsa_float_round_mode_32 0
		.amdhsa_float_round_mode_16_64 0
		.amdhsa_float_denorm_mode_32 3
		.amdhsa_float_denorm_mode_16_64 3
		.amdhsa_dx10_clamp 1
		.amdhsa_ieee_mode 1
		.amdhsa_fp16_overflow 0
		.amdhsa_tg_split 0
		.amdhsa_exception_fp_ieee_invalid_op 0
		.amdhsa_exception_fp_denorm_src 0
		.amdhsa_exception_fp_ieee_div_zero 0
		.amdhsa_exception_fp_ieee_overflow 0
		.amdhsa_exception_fp_ieee_underflow 0
		.amdhsa_exception_fp_ieee_inexact 0
		.amdhsa_exception_int_div_zero 0
	.end_amdhsa_kernel
	.section	.text._ZN12_GLOBAL__N_120softmax_warp_forwardIN3c108BFloat16EffLi9ELb1ELb0ELi32EEEvPT0_PKT_iiiPKbib,"axG",@progbits,_ZN12_GLOBAL__N_120softmax_warp_forwardIN3c108BFloat16EffLi9ELb1ELb0ELi32EEEvPT0_PKT_iiiPKbib,comdat
.Lfunc_end185:
	.size	_ZN12_GLOBAL__N_120softmax_warp_forwardIN3c108BFloat16EffLi9ELb1ELb0ELi32EEEvPT0_PKT_iiiPKbib, .Lfunc_end185-_ZN12_GLOBAL__N_120softmax_warp_forwardIN3c108BFloat16EffLi9ELb1ELb0ELi32EEEvPT0_PKT_iiiPKbib
                                        ; -- End function
	.section	.AMDGPU.csdata,"",@progbits
; Kernel info:
; codeLenInByte = 3564
; NumSgprs: 48
; NumVgprs: 31
; NumAgprs: 0
; TotalNumVgprs: 31
; ScratchSize: 0
; MemoryBound: 0
; FloatMode: 240
; IeeeMode: 1
; LDSByteSize: 0 bytes/workgroup (compile time only)
; SGPRBlocks: 5
; VGPRBlocks: 3
; NumSGPRsForWavesPerEU: 48
; NumVGPRsForWavesPerEU: 31
; AccumOffset: 32
; Occupancy: 8
; WaveLimiterHint : 0
; COMPUTE_PGM_RSRC2:SCRATCH_EN: 0
; COMPUTE_PGM_RSRC2:USER_SGPR: 6
; COMPUTE_PGM_RSRC2:TRAP_HANDLER: 0
; COMPUTE_PGM_RSRC2:TGID_X_EN: 1
; COMPUTE_PGM_RSRC2:TGID_Y_EN: 0
; COMPUTE_PGM_RSRC2:TGID_Z_EN: 0
; COMPUTE_PGM_RSRC2:TIDIG_COMP_CNT: 1
; COMPUTE_PGM_RSRC3_GFX90A:ACCUM_OFFSET: 7
; COMPUTE_PGM_RSRC3_GFX90A:TG_SPLIT: 0
	.section	.text._ZN12_GLOBAL__N_120softmax_warp_forwardIN3c108BFloat16EffLi10ELb1ELb0ELi64EEEvPT0_PKT_iiiPKbib,"axG",@progbits,_ZN12_GLOBAL__N_120softmax_warp_forwardIN3c108BFloat16EffLi10ELb1ELb0ELi64EEEvPT0_PKT_iiiPKbib,comdat
	.globl	_ZN12_GLOBAL__N_120softmax_warp_forwardIN3c108BFloat16EffLi10ELb1ELb0ELi64EEEvPT0_PKT_iiiPKbib ; -- Begin function _ZN12_GLOBAL__N_120softmax_warp_forwardIN3c108BFloat16EffLi10ELb1ELb0ELi64EEEvPT0_PKT_iiiPKbib
	.p2align	8
	.type	_ZN12_GLOBAL__N_120softmax_warp_forwardIN3c108BFloat16EffLi10ELb1ELb0ELi64EEEvPT0_PKT_iiiPKbib,@function
_ZN12_GLOBAL__N_120softmax_warp_forwardIN3c108BFloat16EffLi10ELb1ELb0ELi64EEEvPT0_PKT_iiiPKbib: ; @_ZN12_GLOBAL__N_120softmax_warp_forwardIN3c108BFloat16EffLi10ELb1ELb0ELi64EEEvPT0_PKT_iiiPKbib
; %bb.0:
	s_load_dword s0, s[4:5], 0x3c
	s_load_dwordx8 s[36:43], s[4:5], 0x0
	v_bfe_u32 v1, v0, 10, 10
	v_and_b32_e32 v4, 0x3ff, v0
	v_mov_b32_e32 v16, 0xff800000
	s_waitcnt lgkmcnt(0)
	s_lshr_b32 s0, s0, 16
	s_mul_i32 s6, s6, s0
	v_add_u32_e32 v1, s6, v1
	v_sub_u32_e32 v5, s40, v1
	v_mad_u64_u32 v[0:1], s[0:1], v1, s41, v[4:5]
	v_ashrrev_i32_e32 v1, 31, v0
	v_lshlrev_b64 v[2:3], 1, v[0:1]
	v_mov_b32_e32 v6, s39
	v_add_co_u32_e32 v2, vcc, s38, v2
	v_cmp_lt_i32_e64 s[30:31], 0, v5
	v_cmp_gt_i32_e64 s[4:5], s42, v4
	v_addc_co_u32_e32 v3, vcc, v6, v3, vcc
	s_and_b64 s[2:3], s[30:31], s[4:5]
	v_mov_b32_e32 v22, 0xff800000
	s_and_saveexec_b64 s[0:1], s[2:3]
	s_cbranch_execz .LBB186_2
; %bb.1:
	global_load_ushort v6, v[2:3], off
	s_waitcnt vmcnt(0)
	v_lshlrev_b32_e32 v22, 16, v6
.LBB186_2:
	s_or_b64 exec, exec, s[0:1]
	v_add_u32_e32 v6, 64, v4
	v_cmp_gt_i32_e32 vcc, s42, v6
	s_and_b64 s[2:3], s[30:31], vcc
	s_and_saveexec_b64 s[0:1], s[2:3]
	s_cbranch_execz .LBB186_4
; %bb.3:
	global_load_ushort v6, v[2:3], off offset:128
	s_waitcnt vmcnt(0)
	v_lshlrev_b32_e32 v16, 16, v6
.LBB186_4:
	s_or_b64 exec, exec, s[0:1]
	v_add_u32_e32 v6, 0x80, v4
	v_cmp_gt_i32_e64 s[0:1], s42, v6
	s_and_b64 s[6:7], s[30:31], s[0:1]
	v_mov_b32_e32 v14, 0xff800000
	v_mov_b32_e32 v20, 0xff800000
	s_and_saveexec_b64 s[2:3], s[6:7]
	s_cbranch_execz .LBB186_6
; %bb.5:
	global_load_ushort v6, v[2:3], off offset:256
	s_waitcnt vmcnt(0)
	v_lshlrev_b32_e32 v20, 16, v6
.LBB186_6:
	s_or_b64 exec, exec, s[2:3]
	v_add_u32_e32 v6, 0xc0, v4
	v_cmp_gt_i32_e64 s[2:3], s42, v6
	s_and_b64 s[8:9], s[30:31], s[2:3]
	s_and_saveexec_b64 s[6:7], s[8:9]
	s_cbranch_execz .LBB186_8
; %bb.7:
	global_load_ushort v6, v[2:3], off offset:384
	s_waitcnt vmcnt(0)
	v_lshlrev_b32_e32 v14, 16, v6
.LBB186_8:
	s_or_b64 exec, exec, s[6:7]
	v_add_u32_e32 v6, 0x100, v4
	v_cmp_gt_i32_e64 s[6:7], s42, v6
	s_and_b64 s[10:11], s[30:31], s[6:7]
	v_mov_b32_e32 v12, 0xff800000
	v_mov_b32_e32 v19, 0xff800000
	s_and_saveexec_b64 s[8:9], s[10:11]
	s_cbranch_execz .LBB186_10
; %bb.9:
	global_load_ushort v6, v[2:3], off offset:512
	s_waitcnt vmcnt(0)
	v_lshlrev_b32_e32 v19, 16, v6
.LBB186_10:
	s_or_b64 exec, exec, s[8:9]
	v_add_u32_e32 v6, 0x140, v4
	v_cmp_gt_i32_e64 s[8:9], s42, v6
	s_and_b64 s[12:13], s[30:31], s[8:9]
	s_and_saveexec_b64 s[10:11], s[12:13]
	s_cbranch_execz .LBB186_12
; %bb.11:
	global_load_ushort v6, v[2:3], off offset:640
	s_waitcnt vmcnt(0)
	v_lshlrev_b32_e32 v12, 16, v6
.LBB186_12:
	s_or_b64 exec, exec, s[10:11]
	v_add_u32_e32 v6, 0x180, v4
	v_cmp_gt_i32_e64 s[10:11], s42, v6
	s_and_b64 s[14:15], s[30:31], s[10:11]
	v_mov_b32_e32 v10, 0xff800000
	v_mov_b32_e32 v18, 0xff800000
	s_and_saveexec_b64 s[12:13], s[14:15]
	s_cbranch_execz .LBB186_14
; %bb.13:
	global_load_ushort v6, v[2:3], off offset:768
	s_waitcnt vmcnt(0)
	v_lshlrev_b32_e32 v18, 16, v6
.LBB186_14:
	s_or_b64 exec, exec, s[12:13]
	v_add_u32_e32 v6, 0x1c0, v4
	v_cmp_gt_i32_e64 s[12:13], s42, v6
	s_and_b64 s[16:17], s[30:31], s[12:13]
	s_and_saveexec_b64 s[14:15], s[16:17]
	s_cbranch_execz .LBB186_16
; %bb.15:
	global_load_ushort v6, v[2:3], off offset:896
	s_waitcnt vmcnt(0)
	v_lshlrev_b32_e32 v10, 16, v6
.LBB186_16:
	s_or_b64 exec, exec, s[14:15]
	v_add_u32_e32 v6, 0x200, v4
	v_cmp_gt_i32_e64 s[14:15], s42, v6
	s_and_b64 s[18:19], s[30:31], s[14:15]
	v_mov_b32_e32 v9, 0xff800000
	v_mov_b32_e32 v17, 0xff800000
	s_and_saveexec_b64 s[16:17], s[18:19]
	s_cbranch_execz .LBB186_18
; %bb.17:
	global_load_ushort v6, v[2:3], off offset:1024
	s_waitcnt vmcnt(0)
	v_lshlrev_b32_e32 v17, 16, v6
.LBB186_18:
	s_or_b64 exec, exec, s[16:17]
	v_add_u32_e32 v6, 0x240, v4
	v_cmp_gt_i32_e64 s[16:17], s42, v6
	s_and_b64 s[20:21], s[30:31], s[16:17]
	s_and_saveexec_b64 s[18:19], s[20:21]
	s_cbranch_execz .LBB186_20
; %bb.19:
	global_load_ushort v6, v[2:3], off offset:1152
	s_waitcnt vmcnt(0)
	v_lshlrev_b32_e32 v9, 16, v6
.LBB186_20:
	s_or_b64 exec, exec, s[18:19]
	v_add_u32_e32 v6, 0x280, v4
	v_cmp_gt_i32_e64 s[18:19], s42, v6
	s_and_b64 s[22:23], s[30:31], s[18:19]
	v_mov_b32_e32 v8, 0xff800000
	v_mov_b32_e32 v15, 0xff800000
	s_and_saveexec_b64 s[20:21], s[22:23]
	s_cbranch_execz .LBB186_22
; %bb.21:
	global_load_ushort v6, v[2:3], off offset:1280
	s_waitcnt vmcnt(0)
	v_lshlrev_b32_e32 v15, 16, v6
.LBB186_22:
	s_or_b64 exec, exec, s[20:21]
	v_add_u32_e32 v6, 0x2c0, v4
	v_cmp_gt_i32_e64 s[20:21], s42, v6
	s_and_b64 s[24:25], s[30:31], s[20:21]
	s_and_saveexec_b64 s[22:23], s[24:25]
	s_cbranch_execz .LBB186_24
; %bb.23:
	global_load_ushort v6, v[2:3], off offset:1408
	s_waitcnt vmcnt(0)
	v_lshlrev_b32_e32 v8, 16, v6
.LBB186_24:
	s_or_b64 exec, exec, s[22:23]
	v_add_u32_e32 v6, 0x300, v4
	v_cmp_gt_i32_e64 s[22:23], s42, v6
	s_and_b64 s[26:27], s[30:31], s[22:23]
	v_mov_b32_e32 v7, 0xff800000
	v_mov_b32_e32 v13, 0xff800000
	s_and_saveexec_b64 s[24:25], s[26:27]
	s_cbranch_execz .LBB186_26
; %bb.25:
	global_load_ushort v6, v[2:3], off offset:1536
	s_waitcnt vmcnt(0)
	v_lshlrev_b32_e32 v13, 16, v6
.LBB186_26:
	s_or_b64 exec, exec, s[24:25]
	v_add_u32_e32 v6, 0x340, v4
	v_cmp_gt_i32_e64 s[24:25], s42, v6
	s_and_b64 s[28:29], s[30:31], s[24:25]
	s_and_saveexec_b64 s[26:27], s[28:29]
	s_cbranch_execz .LBB186_28
; %bb.27:
	global_load_ushort v6, v[2:3], off offset:1664
	s_waitcnt vmcnt(0)
	v_lshlrev_b32_e32 v7, 16, v6
.LBB186_28:
	s_or_b64 exec, exec, s[26:27]
	v_add_u32_e32 v6, 0x380, v4
	v_cmp_gt_i32_e64 s[26:27], s42, v6
	s_and_b64 s[34:35], s[30:31], s[26:27]
	v_mov_b32_e32 v6, 0xff800000
	v_mov_b32_e32 v11, 0xff800000
	s_and_saveexec_b64 s[28:29], s[34:35]
	s_cbranch_execz .LBB186_30
; %bb.29:
	global_load_ushort v11, v[2:3], off offset:1792
	s_waitcnt vmcnt(0)
	v_lshlrev_b32_e32 v11, 16, v11
.LBB186_30:
	s_or_b64 exec, exec, s[28:29]
	v_add_u32_e32 v4, 0x3c0, v4
	v_cmp_gt_i32_e64 s[28:29], s42, v4
	s_and_b64 s[34:35], s[30:31], s[28:29]
	s_and_saveexec_b64 s[30:31], s[34:35]
	s_cbranch_execz .LBB186_32
; %bb.31:
	global_load_ushort v2, v[2:3], off offset:1920
	s_waitcnt vmcnt(0)
	v_lshlrev_b32_e32 v6, 16, v2
.LBB186_32:
	s_or_b64 exec, exec, s[30:31]
	v_cmp_gt_f32_e64 s[30:31], v22, v16
	v_cndmask_b32_e64 v2, v16, v22, s[30:31]
	v_cmp_gt_f32_e64 s[30:31], v2, v20
	v_cndmask_b32_e64 v2, v20, v2, s[30:31]
	;; [unrolled: 2-line block ×13, first 2 shown]
	v_mbcnt_lo_u32_b32 v3, -1, 0
	v_cmp_gt_f32_e64 s[30:31], v2, v11
	v_mbcnt_hi_u32_b32 v3, -1, v3
	v_cndmask_b32_e64 v2, v11, v2, s[30:31]
	v_and_b32_e32 v4, 64, v3
	v_cmp_gt_f32_e64 s[30:31], v2, v6
	v_add_u32_e32 v26, 64, v4
	v_xor_b32_e32 v4, 32, v3
	v_cndmask_b32_e64 v2, v6, v2, s[30:31]
	v_cmp_lt_i32_e64 s[30:31], v4, v26
	v_cndmask_b32_e64 v4, v3, v4, s[30:31]
	v_lshlrev_b32_e32 v4, 2, v4
	ds_bpermute_b32 v21, v4, v2
	s_mov_b32 s34, 0x3fb8aa3b
	s_mov_b32 s33, 0xc2ce8ed0
	s_mov_b32 s35, 0x42b17218
	s_waitcnt lgkmcnt(0)
	v_cmp_lt_f32_e64 s[30:31], v2, v21
	v_cndmask_b32_e64 v2, v2, v21, s[30:31]
	v_xor_b32_e32 v21, 16, v3
	v_cmp_lt_i32_e64 s[30:31], v21, v26
	v_cndmask_b32_e64 v21, v3, v21, s[30:31]
	v_lshlrev_b32_e32 v21, 2, v21
	ds_bpermute_b32 v23, v21, v2
	s_waitcnt lgkmcnt(0)
	v_cmp_lt_f32_e64 s[30:31], v2, v23
	v_cndmask_b32_e64 v2, v2, v23, s[30:31]
	v_xor_b32_e32 v23, 8, v3
	v_cmp_lt_i32_e64 s[30:31], v23, v26
	v_cndmask_b32_e64 v23, v3, v23, s[30:31]
	v_lshlrev_b32_e32 v23, 2, v23
	ds_bpermute_b32 v24, v23, v2
	;; [unrolled: 8-line block ×5, first 2 shown]
	s_waitcnt lgkmcnt(0)
	v_cmp_lt_f32_e64 s[30:31], v2, v3
	v_cndmask_b32_e64 v27, v2, v3, s[30:31]
	v_sub_f32_e32 v2, v22, v27
	v_mul_f32_e32 v3, 0x3fb8aa3b, v2
	v_fma_f32 v22, v2, s34, -v3
	v_rndne_f32_e32 v28, v3
	v_fmac_f32_e32 v22, 0x32a5705f, v2
	v_sub_f32_e32 v3, v3, v28
	v_add_f32_e32 v3, v3, v22
	v_exp_f32_e32 v3, v3
	v_cvt_i32_f32_e32 v22, v28
	v_cmp_ngt_f32_e64 s[30:31], s33, v2
	v_sub_f32_e32 v14, v14, v27
	v_sub_f32_e32 v19, v19, v27
	v_ldexp_f32 v3, v3, v22
	v_cndmask_b32_e64 v28, 0, v3, s[30:31]
	v_sub_f32_e32 v3, v16, v27
	v_mul_f32_e32 v16, 0x3fb8aa3b, v3
	v_fma_f32 v22, v3, s34, -v16
	v_rndne_f32_e32 v29, v16
	v_fmac_f32_e32 v22, 0x32a5705f, v3
	v_sub_f32_e32 v16, v16, v29
	v_add_f32_e32 v16, v16, v22
	v_exp_f32_e32 v16, v16
	v_cvt_i32_f32_e32 v29, v29
	v_mov_b32_e32 v22, 0x7f800000
	v_cmp_nlt_f32_e64 s[30:31], s35, v2
	v_cndmask_b32_e64 v28, v22, v28, s[30:31]
	v_ldexp_f32 v16, v16, v29
	v_cmp_ngt_f32_e64 s[30:31], s33, v3
	v_cndmask_b32_e64 v29, 0, v16, s[30:31]
	v_sub_f32_e32 v16, v20, v27
	v_mul_f32_e32 v20, 0x3fb8aa3b, v16
	v_fma_f32 v30, v16, s34, -v20
	v_rndne_f32_e32 v31, v20
	v_fmac_f32_e32 v30, 0x32a5705f, v16
	v_sub_f32_e32 v20, v20, v31
	v_add_f32_e32 v20, v20, v30
	v_exp_f32_e32 v20, v20
	v_cvt_i32_f32_e32 v30, v31
	v_cmp_nlt_f32_e64 s[30:31], s35, v3
	v_cndmask_b32_e64 v29, v22, v29, s[30:31]
	v_add_f32_e32 v28, v28, v29
	v_mul_f32_e32 v29, 0x3fb8aa3b, v14
	v_ldexp_f32 v20, v20, v30
	v_fma_f32 v30, v14, s34, -v29
	v_rndne_f32_e32 v31, v29
	v_fmac_f32_e32 v30, 0x32a5705f, v14
	v_sub_f32_e32 v29, v29, v31
	v_add_f32_e32 v29, v29, v30
	v_exp_f32_e32 v29, v29
	v_cvt_i32_f32_e32 v30, v31
	v_cmp_ngt_f32_e64 s[30:31], s33, v16
	v_cndmask_b32_e64 v20, 0, v20, s[30:31]
	v_cmp_nlt_f32_e64 s[30:31], s35, v16
	v_cndmask_b32_e64 v20, v22, v20, s[30:31]
	v_add_f32_e32 v20, v28, v20
	v_ldexp_f32 v28, v29, v30
	v_mul_f32_e32 v29, 0x3fb8aa3b, v19
	v_fma_f32 v30, v19, s34, -v29
	v_rndne_f32_e32 v31, v29
	v_fmac_f32_e32 v30, 0x32a5705f, v19
	v_sub_f32_e32 v29, v29, v31
	v_add_f32_e32 v29, v29, v30
	v_exp_f32_e32 v29, v29
	v_cvt_i32_f32_e32 v30, v31
	v_cmp_ngt_f32_e64 s[30:31], s33, v14
	v_cndmask_b32_e64 v28, 0, v28, s[30:31]
	v_cmp_nlt_f32_e64 s[30:31], s35, v14
	v_cndmask_b32_e64 v28, v22, v28, s[30:31]
	v_sub_f32_e32 v12, v12, v27
	v_add_f32_e32 v20, v20, v28
	v_ldexp_f32 v28, v29, v30
	v_mul_f32_e32 v29, 0x3fb8aa3b, v12
	v_fma_f32 v30, v12, s34, -v29
	v_rndne_f32_e32 v31, v29
	v_fmac_f32_e32 v30, 0x32a5705f, v12
	v_sub_f32_e32 v29, v29, v31
	v_add_f32_e32 v29, v29, v30
	v_exp_f32_e32 v29, v29
	v_cvt_i32_f32_e32 v30, v31
	v_cmp_ngt_f32_e64 s[30:31], s33, v19
	v_cndmask_b32_e64 v28, 0, v28, s[30:31]
	v_cmp_nlt_f32_e64 s[30:31], s35, v19
	v_cndmask_b32_e64 v28, v22, v28, s[30:31]
	v_sub_f32_e32 v18, v18, v27
	;; [unrolled: 15-line block ×10, first 2 shown]
	v_add_f32_e32 v20, v20, v28
	v_ldexp_f32 v28, v29, v30
	v_mul_f32_e32 v29, 0x3fb8aa3b, v11
	v_fma_f32 v30, v11, s34, -v29
	v_rndne_f32_e32 v31, v29
	v_fmac_f32_e32 v30, 0x32a5705f, v11
	v_sub_f32_e32 v29, v29, v31
	v_add_f32_e32 v29, v29, v30
	v_exp_f32_e32 v29, v29
	v_cvt_i32_f32_e32 v30, v31
	v_cmp_ngt_f32_e64 s[30:31], s33, v7
	v_cndmask_b32_e64 v28, 0, v28, s[30:31]
	v_cmp_nlt_f32_e64 s[30:31], s35, v7
	v_sub_f32_e32 v6, v6, v27
	v_cndmask_b32_e64 v28, v22, v28, s[30:31]
	v_mul_f32_e32 v27, 0x3fb8aa3b, v6
	v_add_f32_e32 v20, v20, v28
	v_ldexp_f32 v28, v29, v30
	v_fma_f32 v29, v6, s34, -v27
	v_rndne_f32_e32 v30, v27
	v_fmac_f32_e32 v29, 0x32a5705f, v6
	v_sub_f32_e32 v27, v27, v30
	v_add_f32_e32 v27, v27, v29
	v_exp_f32_e32 v27, v27
	v_cvt_i32_f32_e32 v29, v30
	v_cmp_ngt_f32_e64 s[30:31], s33, v11
	v_cndmask_b32_e64 v28, 0, v28, s[30:31]
	v_cmp_nlt_f32_e64 s[30:31], s35, v11
	v_cndmask_b32_e64 v28, v22, v28, s[30:31]
	v_ldexp_f32 v27, v27, v29
	v_cmp_ngt_f32_e64 s[30:31], s33, v6
	v_cndmask_b32_e64 v27, 0, v27, s[30:31]
	v_cmp_nlt_f32_e64 s[30:31], s35, v6
	v_add_f32_e32 v20, v20, v28
	v_cndmask_b32_e64 v22, v22, v27, s[30:31]
	v_add_f32_e32 v20, v20, v22
	ds_bpermute_b32 v4, v4, v20
	v_cmp_lt_i32_e64 s[30:31], 0, v5
	s_waitcnt lgkmcnt(0)
	v_add_f32_e32 v4, v20, v4
	ds_bpermute_b32 v20, v21, v4
	s_waitcnt lgkmcnt(0)
	v_add_f32_e32 v4, v4, v20
	ds_bpermute_b32 v20, v23, v4
	;; [unrolled: 3-line block ×5, first 2 shown]
	s_and_saveexec_b64 s[34:35], s[30:31]
	s_cbranch_execz .LBB186_50
; %bb.33:
	s_and_b64 exec, exec, s[4:5]
	s_cbranch_execz .LBB186_50
; %bb.34:
	s_waitcnt lgkmcnt(0)
	v_add_f32_e32 v4, v4, v20
	s_mov_b32 s4, 0x800000
	v_mov_b32_e32 v5, 0x4f800000
	v_cmp_gt_f32_e64 s[4:5], s4, v4
	v_cndmask_b32_e64 v5, 1.0, v5, s[4:5]
	v_mul_f32_e32 v4, v4, v5
	v_log_f32_e32 v4, v4
	s_mov_b32 s30, 0x3f317217
	v_lshlrev_b64 v[0:1], 2, v[0:1]
	v_mul_f32_e32 v5, 0x3f317217, v4
	v_fma_f32 v20, v4, s30, -v5
	v_fmac_f32_e32 v20, 0x3377d1cf, v4
	s_mov_b32 s30, 0x7f800000
	v_add_f32_e32 v5, v5, v20
	v_cmp_lt_f32_e64 s[30:31], |v4|, s30
	v_cndmask_b32_e64 v4, v4, v5, s[30:31]
	v_mov_b32_e32 v5, 0x41b17218
	v_cndmask_b32_e64 v5, 0, v5, s[4:5]
	v_sub_f32_e32 v4, v4, v5
	v_mov_b32_e32 v5, s37
	v_add_co_u32_e64 v0, s[4:5], s36, v0
	v_addc_co_u32_e64 v1, s[4:5], v5, v1, s[4:5]
	v_sub_f32_e32 v2, v2, v4
	global_store_dword v[0:1], v2, off
	s_and_b64 exec, exec, vcc
	s_cbranch_execz .LBB186_50
; %bb.35:
	v_sub_f32_e32 v2, v3, v4
	global_store_dword v[0:1], v2, off offset:256
	s_and_b64 exec, exec, s[0:1]
	s_cbranch_execz .LBB186_50
; %bb.36:
	v_sub_f32_e32 v2, v16, v4
	global_store_dword v[0:1], v2, off offset:512
	s_and_b64 exec, exec, s[2:3]
	;; [unrolled: 5-line block ×14, first 2 shown]
	s_cbranch_execz .LBB186_50
; %bb.49:
	v_sub_f32_e32 v2, v6, v4
	global_store_dword v[0:1], v2, off offset:3840
.LBB186_50:
	s_endpgm
	.section	.rodata,"a",@progbits
	.p2align	6, 0x0
	.amdhsa_kernel _ZN12_GLOBAL__N_120softmax_warp_forwardIN3c108BFloat16EffLi10ELb1ELb0ELi64EEEvPT0_PKT_iiiPKbib
		.amdhsa_group_segment_fixed_size 0
		.amdhsa_private_segment_fixed_size 0
		.amdhsa_kernarg_size 304
		.amdhsa_user_sgpr_count 6
		.amdhsa_user_sgpr_private_segment_buffer 1
		.amdhsa_user_sgpr_dispatch_ptr 0
		.amdhsa_user_sgpr_queue_ptr 0
		.amdhsa_user_sgpr_kernarg_segment_ptr 1
		.amdhsa_user_sgpr_dispatch_id 0
		.amdhsa_user_sgpr_flat_scratch_init 0
		.amdhsa_user_sgpr_kernarg_preload_length 0
		.amdhsa_user_sgpr_kernarg_preload_offset 0
		.amdhsa_user_sgpr_private_segment_size 0
		.amdhsa_uses_dynamic_stack 0
		.amdhsa_system_sgpr_private_segment_wavefront_offset 0
		.amdhsa_system_sgpr_workgroup_id_x 1
		.amdhsa_system_sgpr_workgroup_id_y 0
		.amdhsa_system_sgpr_workgroup_id_z 0
		.amdhsa_system_sgpr_workgroup_info 0
		.amdhsa_system_vgpr_workitem_id 1
		.amdhsa_next_free_vgpr 32
		.amdhsa_next_free_sgpr 44
		.amdhsa_accum_offset 32
		.amdhsa_reserve_vcc 1
		.amdhsa_reserve_flat_scratch 0
		.amdhsa_float_round_mode_32 0
		.amdhsa_float_round_mode_16_64 0
		.amdhsa_float_denorm_mode_32 3
		.amdhsa_float_denorm_mode_16_64 3
		.amdhsa_dx10_clamp 1
		.amdhsa_ieee_mode 1
		.amdhsa_fp16_overflow 0
		.amdhsa_tg_split 0
		.amdhsa_exception_fp_ieee_invalid_op 0
		.amdhsa_exception_fp_denorm_src 0
		.amdhsa_exception_fp_ieee_div_zero 0
		.amdhsa_exception_fp_ieee_overflow 0
		.amdhsa_exception_fp_ieee_underflow 0
		.amdhsa_exception_fp_ieee_inexact 0
		.amdhsa_exception_int_div_zero 0
	.end_amdhsa_kernel
	.section	.text._ZN12_GLOBAL__N_120softmax_warp_forwardIN3c108BFloat16EffLi10ELb1ELb0ELi64EEEvPT0_PKT_iiiPKbib,"axG",@progbits,_ZN12_GLOBAL__N_120softmax_warp_forwardIN3c108BFloat16EffLi10ELb1ELb0ELi64EEEvPT0_PKT_iiiPKbib,comdat
.Lfunc_end186:
	.size	_ZN12_GLOBAL__N_120softmax_warp_forwardIN3c108BFloat16EffLi10ELb1ELb0ELi64EEEvPT0_PKT_iiiPKbib, .Lfunc_end186-_ZN12_GLOBAL__N_120softmax_warp_forwardIN3c108BFloat16EffLi10ELb1ELb0ELi64EEEvPT0_PKT_iiiPKbib
                                        ; -- End function
	.section	.AMDGPU.csdata,"",@progbits
; Kernel info:
; codeLenInByte = 3632
; NumSgprs: 48
; NumVgprs: 32
; NumAgprs: 0
; TotalNumVgprs: 32
; ScratchSize: 0
; MemoryBound: 0
; FloatMode: 240
; IeeeMode: 1
; LDSByteSize: 0 bytes/workgroup (compile time only)
; SGPRBlocks: 5
; VGPRBlocks: 3
; NumSGPRsForWavesPerEU: 48
; NumVGPRsForWavesPerEU: 32
; AccumOffset: 32
; Occupancy: 8
; WaveLimiterHint : 0
; COMPUTE_PGM_RSRC2:SCRATCH_EN: 0
; COMPUTE_PGM_RSRC2:USER_SGPR: 6
; COMPUTE_PGM_RSRC2:TRAP_HANDLER: 0
; COMPUTE_PGM_RSRC2:TGID_X_EN: 1
; COMPUTE_PGM_RSRC2:TGID_Y_EN: 0
; COMPUTE_PGM_RSRC2:TGID_Z_EN: 0
; COMPUTE_PGM_RSRC2:TIDIG_COMP_CNT: 1
; COMPUTE_PGM_RSRC3_GFX90A:ACCUM_OFFSET: 7
; COMPUTE_PGM_RSRC3_GFX90A:TG_SPLIT: 0
	.section	.text._ZN12_GLOBAL__N_120softmax_warp_forwardIN3c108BFloat16EffLi10ELb1ELb0ELi32EEEvPT0_PKT_iiiPKbib,"axG",@progbits,_ZN12_GLOBAL__N_120softmax_warp_forwardIN3c108BFloat16EffLi10ELb1ELb0ELi32EEEvPT0_PKT_iiiPKbib,comdat
	.globl	_ZN12_GLOBAL__N_120softmax_warp_forwardIN3c108BFloat16EffLi10ELb1ELb0ELi32EEEvPT0_PKT_iiiPKbib ; -- Begin function _ZN12_GLOBAL__N_120softmax_warp_forwardIN3c108BFloat16EffLi10ELb1ELb0ELi32EEEvPT0_PKT_iiiPKbib
	.p2align	8
	.type	_ZN12_GLOBAL__N_120softmax_warp_forwardIN3c108BFloat16EffLi10ELb1ELb0ELi32EEEvPT0_PKT_iiiPKbib,@function
_ZN12_GLOBAL__N_120softmax_warp_forwardIN3c108BFloat16EffLi10ELb1ELb0ELi32EEEvPT0_PKT_iiiPKbib: ; @_ZN12_GLOBAL__N_120softmax_warp_forwardIN3c108BFloat16EffLi10ELb1ELb0ELi32EEEvPT0_PKT_iiiPKbib
; %bb.0:
	s_load_dword s0, s[4:5], 0x3c
	s_load_dwordx8 s[68:75], s[4:5], 0x0
	v_bfe_u32 v1, v0, 10, 10
	v_and_b32_e32 v4, 0x3ff, v0
	v_mov_b32_e32 v32, 0xff800000
	s_waitcnt lgkmcnt(0)
	s_lshr_b32 s0, s0, 16
	s_mul_i32 s6, s6, s0
	v_add_u32_e32 v1, s6, v1
	v_sub_u32_e32 v5, s72, v1
	v_mad_u64_u32 v[0:1], s[0:1], v1, s73, v[4:5]
	v_ashrrev_i32_e32 v1, 31, v0
	v_lshlrev_b64 v[2:3], 1, v[0:1]
	v_mov_b32_e32 v6, s71
	v_add_co_u32_e32 v2, vcc, s70, v2
	v_cmp_lt_i32_e64 s[64:65], 0, v5
	v_cmp_gt_i32_e64 s[4:5], s74, v4
	v_addc_co_u32_e32 v3, vcc, v6, v3, vcc
	s_and_b64 s[2:3], s[64:65], s[4:5]
	v_mov_b32_e32 v40, 0xff800000
	s_and_saveexec_b64 s[0:1], s[2:3]
	s_cbranch_execz .LBB187_2
; %bb.1:
	global_load_ushort v6, v[2:3], off
	s_waitcnt vmcnt(0)
	v_lshlrev_b32_e32 v40, 16, v6
.LBB187_2:
	s_or_b64 exec, exec, s[0:1]
	v_add_u32_e32 v6, 32, v4
	v_cmp_gt_i32_e32 vcc, s74, v6
	s_and_b64 s[2:3], s[64:65], vcc
	s_and_saveexec_b64 s[0:1], s[2:3]
	s_cbranch_execz .LBB187_4
; %bb.3:
	global_load_ushort v6, v[2:3], off offset:64
	s_waitcnt vmcnt(0)
	v_lshlrev_b32_e32 v32, 16, v6
.LBB187_4:
	s_or_b64 exec, exec, s[0:1]
	v_add_u32_e32 v6, 64, v4
	v_cmp_gt_i32_e64 s[0:1], s74, v6
	s_and_b64 s[6:7], s[64:65], s[0:1]
	v_mov_b32_e32 v30, 0xff800000
	v_mov_b32_e32 v38, 0xff800000
	s_and_saveexec_b64 s[2:3], s[6:7]
	s_cbranch_execz .LBB187_6
; %bb.5:
	global_load_ushort v6, v[2:3], off offset:128
	s_waitcnt vmcnt(0)
	v_lshlrev_b32_e32 v38, 16, v6
.LBB187_6:
	s_or_b64 exec, exec, s[2:3]
	v_add_u32_e32 v6, 0x60, v4
	v_cmp_gt_i32_e64 s[2:3], s74, v6
	s_and_b64 s[8:9], s[64:65], s[2:3]
	s_and_saveexec_b64 s[6:7], s[8:9]
	s_cbranch_execz .LBB187_8
; %bb.7:
	global_load_ushort v6, v[2:3], off offset:192
	s_waitcnt vmcnt(0)
	v_lshlrev_b32_e32 v30, 16, v6
.LBB187_8:
	s_or_b64 exec, exec, s[6:7]
	v_add_u32_e32 v6, 0x80, v4
	v_cmp_gt_i32_e64 s[6:7], s74, v6
	s_and_b64 s[10:11], s[64:65], s[6:7]
	v_mov_b32_e32 v28, 0xff800000
	v_mov_b32_e32 v36, 0xff800000
	s_and_saveexec_b64 s[8:9], s[10:11]
	s_cbranch_execz .LBB187_10
; %bb.9:
	global_load_ushort v6, v[2:3], off offset:256
	s_waitcnt vmcnt(0)
	v_lshlrev_b32_e32 v36, 16, v6
.LBB187_10:
	s_or_b64 exec, exec, s[8:9]
	v_add_u32_e32 v6, 0xa0, v4
	v_cmp_gt_i32_e64 s[8:9], s74, v6
	s_and_b64 s[12:13], s[64:65], s[8:9]
	;; [unrolled: 24-line block ×15, first 2 shown]
	s_and_saveexec_b64 s[64:65], s[66:67]
	s_cbranch_execz .LBB187_64
; %bb.63:
	global_load_ushort v2, v[2:3], off offset:1984
	s_waitcnt vmcnt(0)
	v_lshlrev_b32_e32 v6, 16, v2
.LBB187_64:
	s_or_b64 exec, exec, s[64:65]
	v_cmp_gt_f32_e64 s[64:65], v40, v32
	v_cndmask_b32_e64 v2, v32, v40, s[64:65]
	v_cmp_gt_f32_e64 s[64:65], v2, v38
	v_cndmask_b32_e64 v2, v38, v2, s[64:65]
	;; [unrolled: 2-line block ×29, first 2 shown]
	v_mbcnt_lo_u32_b32 v3, -1, 0
	v_cmp_gt_f32_e64 s[64:65], v2, v11
	v_mbcnt_hi_u32_b32 v3, -1, v3
	v_cndmask_b32_e64 v2, v11, v2, s[64:65]
	v_and_b32_e32 v4, 0x60, v3
	v_cmp_gt_f32_e64 s[64:65], v2, v6
	v_add_u32_e32 v41, 32, v4
	v_xor_b32_e32 v4, 16, v3
	v_cndmask_b32_e64 v2, v6, v2, s[64:65]
	v_cmp_lt_i32_e64 s[64:65], v4, v41
	v_cndmask_b32_e64 v4, v3, v4, s[64:65]
	v_lshlrev_b32_e32 v4, 2, v4
	ds_bpermute_b32 v35, v4, v2
	s_mov_b32 s66, 0x3fb8aa3b
	s_mov_b32 s33, 0xc2ce8ed0
	;; [unrolled: 1-line block ×3, first 2 shown]
	s_waitcnt lgkmcnt(0)
	v_cmp_lt_f32_e64 s[64:65], v2, v35
	v_cndmask_b32_e64 v2, v2, v35, s[64:65]
	v_xor_b32_e32 v35, 8, v3
	v_cmp_lt_i32_e64 s[64:65], v35, v41
	v_cndmask_b32_e64 v35, v3, v35, s[64:65]
	v_lshlrev_b32_e32 v35, 2, v35
	ds_bpermute_b32 v37, v35, v2
	s_waitcnt lgkmcnt(0)
	v_cmp_lt_f32_e64 s[64:65], v2, v37
	v_cndmask_b32_e64 v2, v2, v37, s[64:65]
	v_xor_b32_e32 v37, 4, v3
	v_cmp_lt_i32_e64 s[64:65], v37, v41
	v_cndmask_b32_e64 v37, v3, v37, s[64:65]
	v_lshlrev_b32_e32 v37, 2, v37
	ds_bpermute_b32 v39, v37, v2
	;; [unrolled: 8-line block ×4, first 2 shown]
	s_waitcnt lgkmcnt(0)
	v_cmp_lt_f32_e64 s[64:65], v2, v3
	v_cndmask_b32_e64 v42, v2, v3, s[64:65]
	v_sub_f32_e32 v2, v40, v42
	v_mul_f32_e32 v3, 0x3fb8aa3b, v2
	v_fma_f32 v40, v2, s66, -v3
	v_rndne_f32_e32 v43, v3
	v_fmac_f32_e32 v40, 0x32a5705f, v2
	v_sub_f32_e32 v3, v3, v43
	v_add_f32_e32 v3, v3, v40
	v_exp_f32_e32 v3, v3
	v_cvt_i32_f32_e32 v40, v43
	v_cmp_ngt_f32_e64 s[64:65], s33, v2
	v_sub_f32_e32 v30, v30, v42
	v_sub_f32_e32 v36, v36, v42
	v_ldexp_f32 v3, v3, v40
	v_cndmask_b32_e64 v43, 0, v3, s[64:65]
	v_sub_f32_e32 v3, v32, v42
	v_mul_f32_e32 v32, 0x3fb8aa3b, v3
	v_fma_f32 v40, v3, s66, -v32
	v_rndne_f32_e32 v44, v32
	v_fmac_f32_e32 v40, 0x32a5705f, v3
	v_sub_f32_e32 v32, v32, v44
	v_add_f32_e32 v32, v32, v40
	v_exp_f32_e32 v32, v32
	v_cvt_i32_f32_e32 v44, v44
	v_mov_b32_e32 v40, 0x7f800000
	v_cmp_nlt_f32_e64 s[64:65], s67, v2
	v_cndmask_b32_e64 v43, v40, v43, s[64:65]
	v_ldexp_f32 v32, v32, v44
	v_cmp_ngt_f32_e64 s[64:65], s33, v3
	v_cndmask_b32_e64 v44, 0, v32, s[64:65]
	v_sub_f32_e32 v32, v38, v42
	v_mul_f32_e32 v38, 0x3fb8aa3b, v32
	v_fma_f32 v45, v32, s66, -v38
	v_rndne_f32_e32 v46, v38
	v_fmac_f32_e32 v45, 0x32a5705f, v32
	v_sub_f32_e32 v38, v38, v46
	v_add_f32_e32 v38, v38, v45
	v_exp_f32_e32 v38, v38
	v_cvt_i32_f32_e32 v45, v46
	v_cmp_nlt_f32_e64 s[64:65], s67, v3
	v_cndmask_b32_e64 v44, v40, v44, s[64:65]
	v_add_f32_e32 v43, v43, v44
	v_mul_f32_e32 v44, 0x3fb8aa3b, v30
	v_ldexp_f32 v38, v38, v45
	v_fma_f32 v45, v30, s66, -v44
	v_rndne_f32_e32 v46, v44
	v_fmac_f32_e32 v45, 0x32a5705f, v30
	v_sub_f32_e32 v44, v44, v46
	v_add_f32_e32 v44, v44, v45
	v_exp_f32_e32 v44, v44
	v_cvt_i32_f32_e32 v45, v46
	v_cmp_ngt_f32_e64 s[64:65], s33, v32
	v_cndmask_b32_e64 v38, 0, v38, s[64:65]
	v_cmp_nlt_f32_e64 s[64:65], s67, v32
	v_cndmask_b32_e64 v38, v40, v38, s[64:65]
	v_add_f32_e32 v38, v43, v38
	v_ldexp_f32 v43, v44, v45
	v_mul_f32_e32 v44, 0x3fb8aa3b, v36
	v_fma_f32 v45, v36, s66, -v44
	v_rndne_f32_e32 v46, v44
	v_fmac_f32_e32 v45, 0x32a5705f, v36
	v_sub_f32_e32 v44, v44, v46
	v_add_f32_e32 v44, v44, v45
	v_exp_f32_e32 v44, v44
	v_cvt_i32_f32_e32 v45, v46
	v_cmp_ngt_f32_e64 s[64:65], s33, v30
	v_cndmask_b32_e64 v43, 0, v43, s[64:65]
	v_cmp_nlt_f32_e64 s[64:65], s67, v30
	v_cndmask_b32_e64 v43, v40, v43, s[64:65]
	v_sub_f32_e32 v28, v28, v42
	v_add_f32_e32 v38, v38, v43
	v_ldexp_f32 v43, v44, v45
	v_mul_f32_e32 v44, 0x3fb8aa3b, v28
	v_fma_f32 v45, v28, s66, -v44
	v_rndne_f32_e32 v46, v44
	v_fmac_f32_e32 v45, 0x32a5705f, v28
	v_sub_f32_e32 v44, v44, v46
	v_add_f32_e32 v44, v44, v45
	v_exp_f32_e32 v44, v44
	v_cvt_i32_f32_e32 v45, v46
	v_cmp_ngt_f32_e64 s[64:65], s33, v36
	v_cndmask_b32_e64 v43, 0, v43, s[64:65]
	v_cmp_nlt_f32_e64 s[64:65], s67, v36
	v_cndmask_b32_e64 v43, v40, v43, s[64:65]
	v_sub_f32_e32 v34, v34, v42
	;; [unrolled: 15-line block ×26, first 2 shown]
	v_add_f32_e32 v38, v38, v43
	v_ldexp_f32 v43, v44, v45
	v_mul_f32_e32 v44, 0x3fb8aa3b, v11
	v_fma_f32 v45, v11, s66, -v44
	v_rndne_f32_e32 v46, v44
	v_fmac_f32_e32 v45, 0x32a5705f, v11
	v_sub_f32_e32 v44, v44, v46
	v_add_f32_e32 v44, v44, v45
	v_exp_f32_e32 v44, v44
	v_cvt_i32_f32_e32 v45, v46
	v_cmp_ngt_f32_e64 s[64:65], s33, v7
	v_cndmask_b32_e64 v43, 0, v43, s[64:65]
	v_cmp_nlt_f32_e64 s[64:65], s67, v7
	v_sub_f32_e32 v6, v6, v42
	v_cndmask_b32_e64 v43, v40, v43, s[64:65]
	v_mul_f32_e32 v42, 0x3fb8aa3b, v6
	v_add_f32_e32 v38, v38, v43
	v_ldexp_f32 v43, v44, v45
	v_fma_f32 v44, v6, s66, -v42
	v_rndne_f32_e32 v45, v42
	v_fmac_f32_e32 v44, 0x32a5705f, v6
	v_sub_f32_e32 v42, v42, v45
	v_add_f32_e32 v42, v42, v44
	v_exp_f32_e32 v42, v42
	v_cvt_i32_f32_e32 v44, v45
	v_cmp_ngt_f32_e64 s[64:65], s33, v11
	v_cndmask_b32_e64 v43, 0, v43, s[64:65]
	v_cmp_nlt_f32_e64 s[64:65], s67, v11
	v_cndmask_b32_e64 v43, v40, v43, s[64:65]
	v_ldexp_f32 v42, v42, v44
	v_cmp_ngt_f32_e64 s[64:65], s33, v6
	v_cndmask_b32_e64 v42, 0, v42, s[64:65]
	v_cmp_nlt_f32_e64 s[64:65], s67, v6
	v_add_f32_e32 v38, v38, v43
	v_cndmask_b32_e64 v40, v40, v42, s[64:65]
	v_add_f32_e32 v38, v38, v40
	ds_bpermute_b32 v4, v4, v38
	v_cmp_lt_i32_e64 s[64:65], 0, v5
	s_waitcnt lgkmcnt(0)
	v_add_f32_e32 v4, v38, v4
	ds_bpermute_b32 v35, v35, v4
	s_waitcnt lgkmcnt(0)
	v_add_f32_e32 v4, v4, v35
	ds_bpermute_b32 v35, v37, v4
	;; [unrolled: 3-line block ×4, first 2 shown]
	s_and_saveexec_b64 s[66:67], s[64:65]
	s_cbranch_execz .LBB187_98
; %bb.65:
	s_and_b64 exec, exec, s[4:5]
	s_cbranch_execz .LBB187_98
; %bb.66:
	s_waitcnt lgkmcnt(0)
	v_add_f32_e32 v4, v4, v35
	s_mov_b32 s4, 0x800000
	v_mov_b32_e32 v5, 0x4f800000
	v_cmp_gt_f32_e64 s[4:5], s4, v4
	v_cndmask_b32_e64 v5, 1.0, v5, s[4:5]
	v_mul_f32_e32 v4, v4, v5
	v_log_f32_e32 v4, v4
	s_mov_b32 s33, 0x3f317217
	v_lshlrev_b64 v[0:1], 2, v[0:1]
	v_mul_f32_e32 v5, 0x3f317217, v4
	v_fma_f32 v35, v4, s33, -v5
	v_fmac_f32_e32 v35, 0x3377d1cf, v4
	s_mov_b32 s33, 0x7f800000
	v_add_f32_e32 v5, v5, v35
	v_cmp_lt_f32_e64 s[64:65], |v4|, s33
	v_cndmask_b32_e64 v4, v4, v5, s[64:65]
	v_mov_b32_e32 v5, 0x41b17218
	v_cndmask_b32_e64 v5, 0, v5, s[4:5]
	v_sub_f32_e32 v4, v4, v5
	v_mov_b32_e32 v5, s69
	v_add_co_u32_e64 v0, s[4:5], s68, v0
	v_addc_co_u32_e64 v1, s[4:5], v5, v1, s[4:5]
	v_sub_f32_e32 v2, v2, v4
	global_store_dword v[0:1], v2, off
	s_and_b64 exec, exec, vcc
	s_cbranch_execz .LBB187_98
; %bb.67:
	v_sub_f32_e32 v2, v3, v4
	global_store_dword v[0:1], v2, off offset:128
	s_and_b64 exec, exec, s[0:1]
	s_cbranch_execz .LBB187_98
; %bb.68:
	v_sub_f32_e32 v2, v32, v4
	global_store_dword v[0:1], v2, off offset:256
	s_and_b64 exec, exec, s[2:3]
	;; [unrolled: 5-line block ×30, first 2 shown]
	s_cbranch_execz .LBB187_98
; %bb.97:
	v_sub_f32_e32 v2, v6, v4
	global_store_dword v[0:1], v2, off offset:3968
.LBB187_98:
	s_endpgm
	.section	.rodata,"a",@progbits
	.p2align	6, 0x0
	.amdhsa_kernel _ZN12_GLOBAL__N_120softmax_warp_forwardIN3c108BFloat16EffLi10ELb1ELb0ELi32EEEvPT0_PKT_iiiPKbib
		.amdhsa_group_segment_fixed_size 0
		.amdhsa_private_segment_fixed_size 0
		.amdhsa_kernarg_size 304
		.amdhsa_user_sgpr_count 6
		.amdhsa_user_sgpr_private_segment_buffer 1
		.amdhsa_user_sgpr_dispatch_ptr 0
		.amdhsa_user_sgpr_queue_ptr 0
		.amdhsa_user_sgpr_kernarg_segment_ptr 1
		.amdhsa_user_sgpr_dispatch_id 0
		.amdhsa_user_sgpr_flat_scratch_init 0
		.amdhsa_user_sgpr_kernarg_preload_length 0
		.amdhsa_user_sgpr_kernarg_preload_offset 0
		.amdhsa_user_sgpr_private_segment_size 0
		.amdhsa_uses_dynamic_stack 0
		.amdhsa_system_sgpr_private_segment_wavefront_offset 0
		.amdhsa_system_sgpr_workgroup_id_x 1
		.amdhsa_system_sgpr_workgroup_id_y 0
		.amdhsa_system_sgpr_workgroup_id_z 0
		.amdhsa_system_sgpr_workgroup_info 0
		.amdhsa_system_vgpr_workitem_id 1
		.amdhsa_next_free_vgpr 47
		.amdhsa_next_free_sgpr 76
		.amdhsa_accum_offset 48
		.amdhsa_reserve_vcc 1
		.amdhsa_reserve_flat_scratch 0
		.amdhsa_float_round_mode_32 0
		.amdhsa_float_round_mode_16_64 0
		.amdhsa_float_denorm_mode_32 3
		.amdhsa_float_denorm_mode_16_64 3
		.amdhsa_dx10_clamp 1
		.amdhsa_ieee_mode 1
		.amdhsa_fp16_overflow 0
		.amdhsa_tg_split 0
		.amdhsa_exception_fp_ieee_invalid_op 0
		.amdhsa_exception_fp_denorm_src 0
		.amdhsa_exception_fp_ieee_div_zero 0
		.amdhsa_exception_fp_ieee_overflow 0
		.amdhsa_exception_fp_ieee_underflow 0
		.amdhsa_exception_fp_ieee_inexact 0
		.amdhsa_exception_int_div_zero 0
	.end_amdhsa_kernel
	.section	.text._ZN12_GLOBAL__N_120softmax_warp_forwardIN3c108BFloat16EffLi10ELb1ELb0ELi32EEEvPT0_PKT_iiiPKbib,"axG",@progbits,_ZN12_GLOBAL__N_120softmax_warp_forwardIN3c108BFloat16EffLi10ELb1ELb0ELi32EEEvPT0_PKT_iiiPKbib,comdat
.Lfunc_end187:
	.size	_ZN12_GLOBAL__N_120softmax_warp_forwardIN3c108BFloat16EffLi10ELb1ELb0ELi32EEEvPT0_PKT_iiiPKbib, .Lfunc_end187-_ZN12_GLOBAL__N_120softmax_warp_forwardIN3c108BFloat16EffLi10ELb1ELb0ELi32EEEvPT0_PKT_iiiPKbib
                                        ; -- End function
	.section	.AMDGPU.csdata,"",@progbits
; Kernel info:
; codeLenInByte = 6508
; NumSgprs: 80
; NumVgprs: 47
; NumAgprs: 0
; TotalNumVgprs: 47
; ScratchSize: 0
; MemoryBound: 0
; FloatMode: 240
; IeeeMode: 1
; LDSByteSize: 0 bytes/workgroup (compile time only)
; SGPRBlocks: 9
; VGPRBlocks: 5
; NumSGPRsForWavesPerEU: 80
; NumVGPRsForWavesPerEU: 47
; AccumOffset: 48
; Occupancy: 8
; WaveLimiterHint : 0
; COMPUTE_PGM_RSRC2:SCRATCH_EN: 0
; COMPUTE_PGM_RSRC2:USER_SGPR: 6
; COMPUTE_PGM_RSRC2:TRAP_HANDLER: 0
; COMPUTE_PGM_RSRC2:TGID_X_EN: 1
; COMPUTE_PGM_RSRC2:TGID_Y_EN: 0
; COMPUTE_PGM_RSRC2:TGID_Z_EN: 0
; COMPUTE_PGM_RSRC2:TIDIG_COMP_CNT: 1
; COMPUTE_PGM_RSRC3_GFX90A:ACCUM_OFFSET: 11
; COMPUTE_PGM_RSRC3_GFX90A:TG_SPLIT: 0
	.section	.text._ZN12_GLOBAL__N_120softmax_warp_forwardIN3c108BFloat16EffLi11ELb1ELb0ELi64EEEvPT0_PKT_iiiPKbib,"axG",@progbits,_ZN12_GLOBAL__N_120softmax_warp_forwardIN3c108BFloat16EffLi11ELb1ELb0ELi64EEEvPT0_PKT_iiiPKbib,comdat
	.globl	_ZN12_GLOBAL__N_120softmax_warp_forwardIN3c108BFloat16EffLi11ELb1ELb0ELi64EEEvPT0_PKT_iiiPKbib ; -- Begin function _ZN12_GLOBAL__N_120softmax_warp_forwardIN3c108BFloat16EffLi11ELb1ELb0ELi64EEEvPT0_PKT_iiiPKbib
	.p2align	8
	.type	_ZN12_GLOBAL__N_120softmax_warp_forwardIN3c108BFloat16EffLi11ELb1ELb0ELi64EEEvPT0_PKT_iiiPKbib,@function
_ZN12_GLOBAL__N_120softmax_warp_forwardIN3c108BFloat16EffLi11ELb1ELb0ELi64EEEvPT0_PKT_iiiPKbib: ; @_ZN12_GLOBAL__N_120softmax_warp_forwardIN3c108BFloat16EffLi11ELb1ELb0ELi64EEEvPT0_PKT_iiiPKbib
; %bb.0:
	s_load_dword s0, s[4:5], 0x3c
	s_load_dwordx8 s[68:75], s[4:5], 0x0
	v_bfe_u32 v1, v0, 10, 10
	v_and_b32_e32 v4, 0x3ff, v0
	v_mov_b32_e32 v32, 0xff800000
	s_waitcnt lgkmcnt(0)
	s_lshr_b32 s0, s0, 16
	s_mul_i32 s6, s6, s0
	v_add_u32_e32 v1, s6, v1
	v_sub_u32_e32 v5, s72, v1
	v_mad_u64_u32 v[0:1], s[0:1], v1, s73, v[4:5]
	v_ashrrev_i32_e32 v1, 31, v0
	v_lshlrev_b64 v[2:3], 1, v[0:1]
	v_mov_b32_e32 v6, s71
	v_add_co_u32_e32 v2, vcc, s70, v2
	v_cmp_lt_i32_e64 s[64:65], 0, v5
	v_cmp_gt_i32_e64 s[4:5], s74, v4
	v_addc_co_u32_e32 v3, vcc, v6, v3, vcc
	s_and_b64 s[2:3], s[64:65], s[4:5]
	v_mov_b32_e32 v40, 0xff800000
	s_and_saveexec_b64 s[0:1], s[2:3]
	s_cbranch_execz .LBB188_2
; %bb.1:
	global_load_ushort v6, v[2:3], off
	s_waitcnt vmcnt(0)
	v_lshlrev_b32_e32 v40, 16, v6
.LBB188_2:
	s_or_b64 exec, exec, s[0:1]
	v_add_u32_e32 v6, 64, v4
	v_cmp_gt_i32_e32 vcc, s74, v6
	s_and_b64 s[2:3], s[64:65], vcc
	s_and_saveexec_b64 s[0:1], s[2:3]
	s_cbranch_execz .LBB188_4
; %bb.3:
	global_load_ushort v6, v[2:3], off offset:128
	s_waitcnt vmcnt(0)
	v_lshlrev_b32_e32 v32, 16, v6
.LBB188_4:
	s_or_b64 exec, exec, s[0:1]
	v_add_u32_e32 v6, 0x80, v4
	v_cmp_gt_i32_e64 s[0:1], s74, v6
	s_and_b64 s[6:7], s[64:65], s[0:1]
	v_mov_b32_e32 v30, 0xff800000
	v_mov_b32_e32 v38, 0xff800000
	s_and_saveexec_b64 s[2:3], s[6:7]
	s_cbranch_execz .LBB188_6
; %bb.5:
	global_load_ushort v6, v[2:3], off offset:256
	s_waitcnt vmcnt(0)
	v_lshlrev_b32_e32 v38, 16, v6
.LBB188_6:
	s_or_b64 exec, exec, s[2:3]
	v_add_u32_e32 v6, 0xc0, v4
	v_cmp_gt_i32_e64 s[2:3], s74, v6
	s_and_b64 s[8:9], s[64:65], s[2:3]
	s_and_saveexec_b64 s[6:7], s[8:9]
	s_cbranch_execz .LBB188_8
; %bb.7:
	global_load_ushort v6, v[2:3], off offset:384
	s_waitcnt vmcnt(0)
	v_lshlrev_b32_e32 v30, 16, v6
.LBB188_8:
	s_or_b64 exec, exec, s[6:7]
	v_add_u32_e32 v6, 0x100, v4
	v_cmp_gt_i32_e64 s[6:7], s74, v6
	s_and_b64 s[10:11], s[64:65], s[6:7]
	v_mov_b32_e32 v28, 0xff800000
	v_mov_b32_e32 v36, 0xff800000
	s_and_saveexec_b64 s[8:9], s[10:11]
	s_cbranch_execz .LBB188_10
; %bb.9:
	global_load_ushort v6, v[2:3], off offset:512
	s_waitcnt vmcnt(0)
	v_lshlrev_b32_e32 v36, 16, v6
.LBB188_10:
	s_or_b64 exec, exec, s[8:9]
	v_add_u32_e32 v6, 0x140, v4
	v_cmp_gt_i32_e64 s[8:9], s74, v6
	s_and_b64 s[12:13], s[64:65], s[8:9]
	s_and_saveexec_b64 s[10:11], s[12:13]
	s_cbranch_execz .LBB188_12
; %bb.11:
	global_load_ushort v6, v[2:3], off offset:640
	s_waitcnt vmcnt(0)
	v_lshlrev_b32_e32 v28, 16, v6
.LBB188_12:
	s_or_b64 exec, exec, s[10:11]
	v_add_u32_e32 v6, 0x180, v4
	v_cmp_gt_i32_e64 s[10:11], s74, v6
	s_and_b64 s[14:15], s[64:65], s[10:11]
	v_mov_b32_e32 v26, 0xff800000
	v_mov_b32_e32 v34, 0xff800000
	s_and_saveexec_b64 s[12:13], s[14:15]
	s_cbranch_execz .LBB188_14
; %bb.13:
	global_load_ushort v6, v[2:3], off offset:768
	s_waitcnt vmcnt(0)
	v_lshlrev_b32_e32 v34, 16, v6
.LBB188_14:
	s_or_b64 exec, exec, s[12:13]
	v_add_u32_e32 v6, 0x1c0, v4
	v_cmp_gt_i32_e64 s[12:13], s74, v6
	s_and_b64 s[16:17], s[64:65], s[12:13]
	s_and_saveexec_b64 s[14:15], s[16:17]
	s_cbranch_execz .LBB188_16
; %bb.15:
	global_load_ushort v6, v[2:3], off offset:896
	s_waitcnt vmcnt(0)
	v_lshlrev_b32_e32 v26, 16, v6
.LBB188_16:
	s_or_b64 exec, exec, s[14:15]
	v_add_u32_e32 v6, 0x200, v4
	v_cmp_gt_i32_e64 s[14:15], s74, v6
	s_and_b64 s[18:19], s[64:65], s[14:15]
	v_mov_b32_e32 v24, 0xff800000
	v_mov_b32_e32 v33, 0xff800000
	s_and_saveexec_b64 s[16:17], s[18:19]
	s_cbranch_execz .LBB188_18
; %bb.17:
	global_load_ushort v6, v[2:3], off offset:1024
	s_waitcnt vmcnt(0)
	v_lshlrev_b32_e32 v33, 16, v6
.LBB188_18:
	s_or_b64 exec, exec, s[16:17]
	v_add_u32_e32 v6, 0x240, v4
	v_cmp_gt_i32_e64 s[16:17], s74, v6
	s_and_b64 s[20:21], s[64:65], s[16:17]
	s_and_saveexec_b64 s[18:19], s[20:21]
	s_cbranch_execz .LBB188_20
; %bb.19:
	global_load_ushort v6, v[2:3], off offset:1152
	s_waitcnt vmcnt(0)
	v_lshlrev_b32_e32 v24, 16, v6
.LBB188_20:
	s_or_b64 exec, exec, s[18:19]
	v_add_u32_e32 v6, 0x280, v4
	v_cmp_gt_i32_e64 s[18:19], s74, v6
	s_and_b64 s[22:23], s[64:65], s[18:19]
	v_mov_b32_e32 v22, 0xff800000
	v_mov_b32_e32 v31, 0xff800000
	s_and_saveexec_b64 s[20:21], s[22:23]
	s_cbranch_execz .LBB188_22
; %bb.21:
	global_load_ushort v6, v[2:3], off offset:1280
	s_waitcnt vmcnt(0)
	v_lshlrev_b32_e32 v31, 16, v6
.LBB188_22:
	s_or_b64 exec, exec, s[20:21]
	v_add_u32_e32 v6, 0x2c0, v4
	v_cmp_gt_i32_e64 s[20:21], s74, v6
	s_and_b64 s[24:25], s[64:65], s[20:21]
	s_and_saveexec_b64 s[22:23], s[24:25]
	s_cbranch_execz .LBB188_24
; %bb.23:
	global_load_ushort v6, v[2:3], off offset:1408
	s_waitcnt vmcnt(0)
	v_lshlrev_b32_e32 v22, 16, v6
.LBB188_24:
	s_or_b64 exec, exec, s[22:23]
	v_add_u32_e32 v6, 0x300, v4
	v_cmp_gt_i32_e64 s[22:23], s74, v6
	s_and_b64 s[26:27], s[64:65], s[22:23]
	v_mov_b32_e32 v20, 0xff800000
	v_mov_b32_e32 v29, 0xff800000
	s_and_saveexec_b64 s[24:25], s[26:27]
	s_cbranch_execz .LBB188_26
; %bb.25:
	global_load_ushort v6, v[2:3], off offset:1536
	s_waitcnt vmcnt(0)
	v_lshlrev_b32_e32 v29, 16, v6
.LBB188_26:
	s_or_b64 exec, exec, s[24:25]
	v_add_u32_e32 v6, 0x340, v4
	v_cmp_gt_i32_e64 s[24:25], s74, v6
	s_and_b64 s[28:29], s[64:65], s[24:25]
	s_and_saveexec_b64 s[26:27], s[28:29]
	s_cbranch_execz .LBB188_28
; %bb.27:
	global_load_ushort v6, v[2:3], off offset:1664
	s_waitcnt vmcnt(0)
	v_lshlrev_b32_e32 v20, 16, v6
.LBB188_28:
	s_or_b64 exec, exec, s[26:27]
	v_add_u32_e32 v6, 0x380, v4
	v_cmp_gt_i32_e64 s[26:27], s74, v6
	s_and_b64 s[30:31], s[64:65], s[26:27]
	v_mov_b32_e32 v18, 0xff800000
	v_mov_b32_e32 v27, 0xff800000
	s_and_saveexec_b64 s[28:29], s[30:31]
	s_cbranch_execz .LBB188_30
; %bb.29:
	global_load_ushort v6, v[2:3], off offset:1792
	s_waitcnt vmcnt(0)
	v_lshlrev_b32_e32 v27, 16, v6
.LBB188_30:
	s_or_b64 exec, exec, s[28:29]
	v_add_u32_e32 v6, 0x3c0, v4
	v_cmp_gt_i32_e64 s[28:29], s74, v6
	s_and_b64 s[34:35], s[64:65], s[28:29]
	s_and_saveexec_b64 s[30:31], s[34:35]
	s_cbranch_execz .LBB188_32
; %bb.31:
	global_load_ushort v6, v[2:3], off offset:1920
	s_waitcnt vmcnt(0)
	v_lshlrev_b32_e32 v18, 16, v6
.LBB188_32:
	s_or_b64 exec, exec, s[30:31]
	v_or_b32_e32 v6, 0x400, v4
	v_cmp_gt_i32_e64 s[30:31], s74, v6
	s_and_b64 s[36:37], s[64:65], s[30:31]
	v_mov_b32_e32 v16, 0xff800000
	v_mov_b32_e32 v25, 0xff800000
	s_and_saveexec_b64 s[34:35], s[36:37]
	s_cbranch_execz .LBB188_34
; %bb.33:
	global_load_ushort v6, v[2:3], off offset:2048
	s_waitcnt vmcnt(0)
	v_lshlrev_b32_e32 v25, 16, v6
.LBB188_34:
	s_or_b64 exec, exec, s[34:35]
	v_add_u32_e32 v6, 0x440, v4
	v_cmp_gt_i32_e64 s[34:35], s74, v6
	s_and_b64 s[38:39], s[64:65], s[34:35]
	s_and_saveexec_b64 s[36:37], s[38:39]
	s_cbranch_execz .LBB188_36
; %bb.35:
	global_load_ushort v6, v[2:3], off offset:2176
	s_waitcnt vmcnt(0)
	v_lshlrev_b32_e32 v16, 16, v6
.LBB188_36:
	s_or_b64 exec, exec, s[36:37]
	v_add_u32_e32 v6, 0x480, v4
	v_cmp_gt_i32_e64 s[36:37], s74, v6
	s_and_b64 s[40:41], s[64:65], s[36:37]
	v_mov_b32_e32 v14, 0xff800000
	v_mov_b32_e32 v23, 0xff800000
	s_and_saveexec_b64 s[38:39], s[40:41]
	s_cbranch_execz .LBB188_38
; %bb.37:
	global_load_ushort v6, v[2:3], off offset:2304
	s_waitcnt vmcnt(0)
	v_lshlrev_b32_e32 v23, 16, v6
.LBB188_38:
	s_or_b64 exec, exec, s[38:39]
	v_add_u32_e32 v6, 0x4c0, v4
	v_cmp_gt_i32_e64 s[38:39], s74, v6
	s_and_b64 s[42:43], s[64:65], s[38:39]
	s_and_saveexec_b64 s[40:41], s[42:43]
	s_cbranch_execz .LBB188_40
; %bb.39:
	global_load_ushort v6, v[2:3], off offset:2432
	s_waitcnt vmcnt(0)
	v_lshlrev_b32_e32 v14, 16, v6
.LBB188_40:
	s_or_b64 exec, exec, s[40:41]
	v_add_u32_e32 v6, 0x500, v4
	;; [unrolled: 24-line block ×7, first 2 shown]
	v_cmp_gt_i32_e64 s[60:61], s74, v6
	s_and_b64 s[66:67], s[64:65], s[60:61]
	v_mov_b32_e32 v6, 0xff800000
	v_mov_b32_e32 v11, 0xff800000
	s_and_saveexec_b64 s[62:63], s[66:67]
	s_cbranch_execz .LBB188_62
; %bb.61:
	global_load_ushort v11, v[2:3], off offset:3840
	s_waitcnt vmcnt(0)
	v_lshlrev_b32_e32 v11, 16, v11
.LBB188_62:
	s_or_b64 exec, exec, s[62:63]
	v_add_u32_e32 v4, 0x7c0, v4
	v_cmp_gt_i32_e64 s[62:63], s74, v4
	s_and_b64 s[66:67], s[64:65], s[62:63]
	s_and_saveexec_b64 s[64:65], s[66:67]
	s_cbranch_execz .LBB188_64
; %bb.63:
	global_load_ushort v2, v[2:3], off offset:3968
	s_waitcnt vmcnt(0)
	v_lshlrev_b32_e32 v6, 16, v2
.LBB188_64:
	s_or_b64 exec, exec, s[64:65]
	v_cmp_gt_f32_e64 s[64:65], v40, v32
	v_cndmask_b32_e64 v2, v32, v40, s[64:65]
	v_cmp_gt_f32_e64 s[64:65], v2, v38
	v_cndmask_b32_e64 v2, v38, v2, s[64:65]
	;; [unrolled: 2-line block ×29, first 2 shown]
	v_mbcnt_lo_u32_b32 v3, -1, 0
	v_cmp_gt_f32_e64 s[64:65], v2, v11
	v_mbcnt_hi_u32_b32 v3, -1, v3
	v_cndmask_b32_e64 v2, v11, v2, s[64:65]
	v_and_b32_e32 v4, 64, v3
	v_cmp_gt_f32_e64 s[64:65], v2, v6
	v_add_u32_e32 v42, 64, v4
	v_xor_b32_e32 v4, 32, v3
	v_cndmask_b32_e64 v2, v6, v2, s[64:65]
	v_cmp_lt_i32_e64 s[64:65], v4, v42
	v_cndmask_b32_e64 v4, v3, v4, s[64:65]
	v_lshlrev_b32_e32 v4, 2, v4
	ds_bpermute_b32 v35, v4, v2
	s_mov_b32 s66, 0x3fb8aa3b
	s_mov_b32 s33, 0xc2ce8ed0
	;; [unrolled: 1-line block ×3, first 2 shown]
	s_waitcnt lgkmcnt(0)
	v_cmp_lt_f32_e64 s[64:65], v2, v35
	v_cndmask_b32_e64 v2, v2, v35, s[64:65]
	v_xor_b32_e32 v35, 16, v3
	v_cmp_lt_i32_e64 s[64:65], v35, v42
	v_cndmask_b32_e64 v35, v3, v35, s[64:65]
	v_lshlrev_b32_e32 v35, 2, v35
	ds_bpermute_b32 v37, v35, v2
	s_waitcnt lgkmcnt(0)
	v_cmp_lt_f32_e64 s[64:65], v2, v37
	v_cndmask_b32_e64 v2, v2, v37, s[64:65]
	v_xor_b32_e32 v37, 8, v3
	v_cmp_lt_i32_e64 s[64:65], v37, v42
	v_cndmask_b32_e64 v37, v3, v37, s[64:65]
	v_lshlrev_b32_e32 v37, 2, v37
	ds_bpermute_b32 v39, v37, v2
	;; [unrolled: 8-line block ×5, first 2 shown]
	s_waitcnt lgkmcnt(0)
	v_cmp_lt_f32_e64 s[64:65], v2, v3
	v_cndmask_b32_e64 v43, v2, v3, s[64:65]
	v_sub_f32_e32 v2, v40, v43
	v_mul_f32_e32 v3, 0x3fb8aa3b, v2
	v_fma_f32 v40, v2, s66, -v3
	v_rndne_f32_e32 v44, v3
	v_fmac_f32_e32 v40, 0x32a5705f, v2
	v_sub_f32_e32 v3, v3, v44
	v_add_f32_e32 v3, v3, v40
	v_exp_f32_e32 v3, v3
	v_cvt_i32_f32_e32 v40, v44
	v_cmp_ngt_f32_e64 s[64:65], s33, v2
	v_sub_f32_e32 v30, v30, v43
	v_sub_f32_e32 v36, v36, v43
	v_ldexp_f32 v3, v3, v40
	v_cndmask_b32_e64 v44, 0, v3, s[64:65]
	v_sub_f32_e32 v3, v32, v43
	v_mul_f32_e32 v32, 0x3fb8aa3b, v3
	v_fma_f32 v40, v3, s66, -v32
	v_rndne_f32_e32 v45, v32
	v_fmac_f32_e32 v40, 0x32a5705f, v3
	v_sub_f32_e32 v32, v32, v45
	v_add_f32_e32 v32, v32, v40
	v_exp_f32_e32 v32, v32
	v_cvt_i32_f32_e32 v45, v45
	v_mov_b32_e32 v40, 0x7f800000
	v_cmp_nlt_f32_e64 s[64:65], s67, v2
	v_cndmask_b32_e64 v44, v40, v44, s[64:65]
	v_ldexp_f32 v32, v32, v45
	v_cmp_ngt_f32_e64 s[64:65], s33, v3
	v_cndmask_b32_e64 v45, 0, v32, s[64:65]
	v_sub_f32_e32 v32, v38, v43
	v_mul_f32_e32 v38, 0x3fb8aa3b, v32
	v_fma_f32 v46, v32, s66, -v38
	v_rndne_f32_e32 v47, v38
	v_fmac_f32_e32 v46, 0x32a5705f, v32
	v_sub_f32_e32 v38, v38, v47
	v_add_f32_e32 v38, v38, v46
	v_exp_f32_e32 v38, v38
	v_cvt_i32_f32_e32 v46, v47
	v_cmp_nlt_f32_e64 s[64:65], s67, v3
	v_cndmask_b32_e64 v45, v40, v45, s[64:65]
	v_add_f32_e32 v44, v44, v45
	v_mul_f32_e32 v45, 0x3fb8aa3b, v30
	v_ldexp_f32 v38, v38, v46
	v_fma_f32 v46, v30, s66, -v45
	v_rndne_f32_e32 v47, v45
	v_fmac_f32_e32 v46, 0x32a5705f, v30
	v_sub_f32_e32 v45, v45, v47
	v_add_f32_e32 v45, v45, v46
	v_exp_f32_e32 v45, v45
	v_cvt_i32_f32_e32 v46, v47
	v_cmp_ngt_f32_e64 s[64:65], s33, v32
	v_cndmask_b32_e64 v38, 0, v38, s[64:65]
	v_cmp_nlt_f32_e64 s[64:65], s67, v32
	v_cndmask_b32_e64 v38, v40, v38, s[64:65]
	v_add_f32_e32 v38, v44, v38
	v_ldexp_f32 v44, v45, v46
	v_mul_f32_e32 v45, 0x3fb8aa3b, v36
	v_fma_f32 v46, v36, s66, -v45
	v_rndne_f32_e32 v47, v45
	v_fmac_f32_e32 v46, 0x32a5705f, v36
	v_sub_f32_e32 v45, v45, v47
	v_add_f32_e32 v45, v45, v46
	v_exp_f32_e32 v45, v45
	v_cvt_i32_f32_e32 v46, v47
	v_cmp_ngt_f32_e64 s[64:65], s33, v30
	v_cndmask_b32_e64 v44, 0, v44, s[64:65]
	v_cmp_nlt_f32_e64 s[64:65], s67, v30
	v_cndmask_b32_e64 v44, v40, v44, s[64:65]
	v_sub_f32_e32 v28, v28, v43
	v_add_f32_e32 v38, v38, v44
	v_ldexp_f32 v44, v45, v46
	v_mul_f32_e32 v45, 0x3fb8aa3b, v28
	v_fma_f32 v46, v28, s66, -v45
	v_rndne_f32_e32 v47, v45
	v_fmac_f32_e32 v46, 0x32a5705f, v28
	v_sub_f32_e32 v45, v45, v47
	v_add_f32_e32 v45, v45, v46
	v_exp_f32_e32 v45, v45
	v_cvt_i32_f32_e32 v46, v47
	v_cmp_ngt_f32_e64 s[64:65], s33, v36
	v_cndmask_b32_e64 v44, 0, v44, s[64:65]
	v_cmp_nlt_f32_e64 s[64:65], s67, v36
	v_cndmask_b32_e64 v44, v40, v44, s[64:65]
	v_sub_f32_e32 v34, v34, v43
	v_add_f32_e32 v38, v38, v44
	v_ldexp_f32 v44, v45, v46
	v_mul_f32_e32 v45, 0x3fb8aa3b, v34
	v_fma_f32 v46, v34, s66, -v45
	v_rndne_f32_e32 v47, v45
	v_fmac_f32_e32 v46, 0x32a5705f, v34
	v_sub_f32_e32 v45, v45, v47
	v_add_f32_e32 v45, v45, v46
	v_exp_f32_e32 v45, v45
	v_cvt_i32_f32_e32 v46, v47
	v_cmp_ngt_f32_e64 s[64:65], s33, v28
	v_cndmask_b32_e64 v44, 0, v44, s[64:65]
	v_cmp_nlt_f32_e64 s[64:65], s67, v28
	v_cndmask_b32_e64 v44, v40, v44, s[64:65]
	v_sub_f32_e32 v26, v26, v43
	v_add_f32_e32 v38, v38, v44
	v_ldexp_f32 v44, v45, v46
	v_mul_f32_e32 v45, 0x3fb8aa3b, v26
	v_fma_f32 v46, v26, s66, -v45
	v_rndne_f32_e32 v47, v45
	v_fmac_f32_e32 v46, 0x32a5705f, v26
	v_sub_f32_e32 v45, v45, v47
	v_add_f32_e32 v45, v45, v46
	v_exp_f32_e32 v45, v45
	v_cvt_i32_f32_e32 v46, v47
	v_cmp_ngt_f32_e64 s[64:65], s33, v34
	v_cndmask_b32_e64 v44, 0, v44, s[64:65]
	v_cmp_nlt_f32_e64 s[64:65], s67, v34
	v_cndmask_b32_e64 v44, v40, v44, s[64:65]
	v_sub_f32_e32 v33, v33, v43
	v_add_f32_e32 v38, v38, v44
	v_ldexp_f32 v44, v45, v46
	v_mul_f32_e32 v45, 0x3fb8aa3b, v33
	v_fma_f32 v46, v33, s66, -v45
	v_rndne_f32_e32 v47, v45
	v_fmac_f32_e32 v46, 0x32a5705f, v33
	v_sub_f32_e32 v45, v45, v47
	v_add_f32_e32 v45, v45, v46
	v_exp_f32_e32 v45, v45
	v_cvt_i32_f32_e32 v46, v47
	v_cmp_ngt_f32_e64 s[64:65], s33, v26
	v_cndmask_b32_e64 v44, 0, v44, s[64:65]
	v_cmp_nlt_f32_e64 s[64:65], s67, v26
	v_cndmask_b32_e64 v44, v40, v44, s[64:65]
	v_sub_f32_e32 v24, v24, v43
	v_add_f32_e32 v38, v38, v44
	v_ldexp_f32 v44, v45, v46
	v_mul_f32_e32 v45, 0x3fb8aa3b, v24
	v_fma_f32 v46, v24, s66, -v45
	v_rndne_f32_e32 v47, v45
	v_fmac_f32_e32 v46, 0x32a5705f, v24
	v_sub_f32_e32 v45, v45, v47
	v_add_f32_e32 v45, v45, v46
	v_exp_f32_e32 v45, v45
	v_cvt_i32_f32_e32 v46, v47
	v_cmp_ngt_f32_e64 s[64:65], s33, v33
	v_cndmask_b32_e64 v44, 0, v44, s[64:65]
	v_cmp_nlt_f32_e64 s[64:65], s67, v33
	v_cndmask_b32_e64 v44, v40, v44, s[64:65]
	v_sub_f32_e32 v31, v31, v43
	v_add_f32_e32 v38, v38, v44
	v_ldexp_f32 v44, v45, v46
	v_mul_f32_e32 v45, 0x3fb8aa3b, v31
	v_fma_f32 v46, v31, s66, -v45
	v_rndne_f32_e32 v47, v45
	v_fmac_f32_e32 v46, 0x32a5705f, v31
	v_sub_f32_e32 v45, v45, v47
	v_add_f32_e32 v45, v45, v46
	v_exp_f32_e32 v45, v45
	v_cvt_i32_f32_e32 v46, v47
	v_cmp_ngt_f32_e64 s[64:65], s33, v24
	v_cndmask_b32_e64 v44, 0, v44, s[64:65]
	v_cmp_nlt_f32_e64 s[64:65], s67, v24
	v_cndmask_b32_e64 v44, v40, v44, s[64:65]
	v_sub_f32_e32 v22, v22, v43
	v_add_f32_e32 v38, v38, v44
	v_ldexp_f32 v44, v45, v46
	v_mul_f32_e32 v45, 0x3fb8aa3b, v22
	v_fma_f32 v46, v22, s66, -v45
	v_rndne_f32_e32 v47, v45
	v_fmac_f32_e32 v46, 0x32a5705f, v22
	v_sub_f32_e32 v45, v45, v47
	v_add_f32_e32 v45, v45, v46
	v_exp_f32_e32 v45, v45
	v_cvt_i32_f32_e32 v46, v47
	v_cmp_ngt_f32_e64 s[64:65], s33, v31
	v_cndmask_b32_e64 v44, 0, v44, s[64:65]
	v_cmp_nlt_f32_e64 s[64:65], s67, v31
	v_cndmask_b32_e64 v44, v40, v44, s[64:65]
	v_sub_f32_e32 v29, v29, v43
	v_add_f32_e32 v38, v38, v44
	v_ldexp_f32 v44, v45, v46
	v_mul_f32_e32 v45, 0x3fb8aa3b, v29
	v_fma_f32 v46, v29, s66, -v45
	v_rndne_f32_e32 v47, v45
	v_fmac_f32_e32 v46, 0x32a5705f, v29
	v_sub_f32_e32 v45, v45, v47
	v_add_f32_e32 v45, v45, v46
	v_exp_f32_e32 v45, v45
	v_cvt_i32_f32_e32 v46, v47
	v_cmp_ngt_f32_e64 s[64:65], s33, v22
	v_cndmask_b32_e64 v44, 0, v44, s[64:65]
	v_cmp_nlt_f32_e64 s[64:65], s67, v22
	v_cndmask_b32_e64 v44, v40, v44, s[64:65]
	v_sub_f32_e32 v20, v20, v43
	v_add_f32_e32 v38, v38, v44
	v_ldexp_f32 v44, v45, v46
	v_mul_f32_e32 v45, 0x3fb8aa3b, v20
	v_fma_f32 v46, v20, s66, -v45
	v_rndne_f32_e32 v47, v45
	v_fmac_f32_e32 v46, 0x32a5705f, v20
	v_sub_f32_e32 v45, v45, v47
	v_add_f32_e32 v45, v45, v46
	v_exp_f32_e32 v45, v45
	v_cvt_i32_f32_e32 v46, v47
	v_cmp_ngt_f32_e64 s[64:65], s33, v29
	v_cndmask_b32_e64 v44, 0, v44, s[64:65]
	v_cmp_nlt_f32_e64 s[64:65], s67, v29
	v_cndmask_b32_e64 v44, v40, v44, s[64:65]
	v_sub_f32_e32 v27, v27, v43
	v_add_f32_e32 v38, v38, v44
	v_ldexp_f32 v44, v45, v46
	v_mul_f32_e32 v45, 0x3fb8aa3b, v27
	v_fma_f32 v46, v27, s66, -v45
	v_rndne_f32_e32 v47, v45
	v_fmac_f32_e32 v46, 0x32a5705f, v27
	v_sub_f32_e32 v45, v45, v47
	v_add_f32_e32 v45, v45, v46
	v_exp_f32_e32 v45, v45
	v_cvt_i32_f32_e32 v46, v47
	v_cmp_ngt_f32_e64 s[64:65], s33, v20
	v_cndmask_b32_e64 v44, 0, v44, s[64:65]
	v_cmp_nlt_f32_e64 s[64:65], s67, v20
	v_cndmask_b32_e64 v44, v40, v44, s[64:65]
	v_sub_f32_e32 v18, v18, v43
	v_add_f32_e32 v38, v38, v44
	v_ldexp_f32 v44, v45, v46
	v_mul_f32_e32 v45, 0x3fb8aa3b, v18
	v_fma_f32 v46, v18, s66, -v45
	v_rndne_f32_e32 v47, v45
	v_fmac_f32_e32 v46, 0x32a5705f, v18
	v_sub_f32_e32 v45, v45, v47
	v_add_f32_e32 v45, v45, v46
	v_exp_f32_e32 v45, v45
	v_cvt_i32_f32_e32 v46, v47
	v_cmp_ngt_f32_e64 s[64:65], s33, v27
	v_cndmask_b32_e64 v44, 0, v44, s[64:65]
	v_cmp_nlt_f32_e64 s[64:65], s67, v27
	v_cndmask_b32_e64 v44, v40, v44, s[64:65]
	v_sub_f32_e32 v25, v25, v43
	v_add_f32_e32 v38, v38, v44
	v_ldexp_f32 v44, v45, v46
	v_mul_f32_e32 v45, 0x3fb8aa3b, v25
	v_fma_f32 v46, v25, s66, -v45
	v_rndne_f32_e32 v47, v45
	v_fmac_f32_e32 v46, 0x32a5705f, v25
	v_sub_f32_e32 v45, v45, v47
	v_add_f32_e32 v45, v45, v46
	v_exp_f32_e32 v45, v45
	v_cvt_i32_f32_e32 v46, v47
	v_cmp_ngt_f32_e64 s[64:65], s33, v18
	v_cndmask_b32_e64 v44, 0, v44, s[64:65]
	v_cmp_nlt_f32_e64 s[64:65], s67, v18
	v_cndmask_b32_e64 v44, v40, v44, s[64:65]
	v_sub_f32_e32 v16, v16, v43
	v_add_f32_e32 v38, v38, v44
	v_ldexp_f32 v44, v45, v46
	v_mul_f32_e32 v45, 0x3fb8aa3b, v16
	v_fma_f32 v46, v16, s66, -v45
	v_rndne_f32_e32 v47, v45
	v_fmac_f32_e32 v46, 0x32a5705f, v16
	v_sub_f32_e32 v45, v45, v47
	v_add_f32_e32 v45, v45, v46
	v_exp_f32_e32 v45, v45
	v_cvt_i32_f32_e32 v46, v47
	v_cmp_ngt_f32_e64 s[64:65], s33, v25
	v_cndmask_b32_e64 v44, 0, v44, s[64:65]
	v_cmp_nlt_f32_e64 s[64:65], s67, v25
	v_cndmask_b32_e64 v44, v40, v44, s[64:65]
	v_sub_f32_e32 v23, v23, v43
	v_add_f32_e32 v38, v38, v44
	v_ldexp_f32 v44, v45, v46
	v_mul_f32_e32 v45, 0x3fb8aa3b, v23
	v_fma_f32 v46, v23, s66, -v45
	v_rndne_f32_e32 v47, v45
	v_fmac_f32_e32 v46, 0x32a5705f, v23
	v_sub_f32_e32 v45, v45, v47
	v_add_f32_e32 v45, v45, v46
	v_exp_f32_e32 v45, v45
	v_cvt_i32_f32_e32 v46, v47
	v_cmp_ngt_f32_e64 s[64:65], s33, v16
	v_cndmask_b32_e64 v44, 0, v44, s[64:65]
	v_cmp_nlt_f32_e64 s[64:65], s67, v16
	v_cndmask_b32_e64 v44, v40, v44, s[64:65]
	v_sub_f32_e32 v14, v14, v43
	v_add_f32_e32 v38, v38, v44
	v_ldexp_f32 v44, v45, v46
	v_mul_f32_e32 v45, 0x3fb8aa3b, v14
	v_fma_f32 v46, v14, s66, -v45
	v_rndne_f32_e32 v47, v45
	v_fmac_f32_e32 v46, 0x32a5705f, v14
	v_sub_f32_e32 v45, v45, v47
	v_add_f32_e32 v45, v45, v46
	v_exp_f32_e32 v45, v45
	v_cvt_i32_f32_e32 v46, v47
	v_cmp_ngt_f32_e64 s[64:65], s33, v23
	v_cndmask_b32_e64 v44, 0, v44, s[64:65]
	v_cmp_nlt_f32_e64 s[64:65], s67, v23
	v_cndmask_b32_e64 v44, v40, v44, s[64:65]
	v_sub_f32_e32 v21, v21, v43
	v_add_f32_e32 v38, v38, v44
	v_ldexp_f32 v44, v45, v46
	v_mul_f32_e32 v45, 0x3fb8aa3b, v21
	v_fma_f32 v46, v21, s66, -v45
	v_rndne_f32_e32 v47, v45
	v_fmac_f32_e32 v46, 0x32a5705f, v21
	v_sub_f32_e32 v45, v45, v47
	v_add_f32_e32 v45, v45, v46
	v_exp_f32_e32 v45, v45
	v_cvt_i32_f32_e32 v46, v47
	v_cmp_ngt_f32_e64 s[64:65], s33, v14
	v_cndmask_b32_e64 v44, 0, v44, s[64:65]
	v_cmp_nlt_f32_e64 s[64:65], s67, v14
	v_cndmask_b32_e64 v44, v40, v44, s[64:65]
	v_sub_f32_e32 v12, v12, v43
	v_add_f32_e32 v38, v38, v44
	v_ldexp_f32 v44, v45, v46
	v_mul_f32_e32 v45, 0x3fb8aa3b, v12
	v_fma_f32 v46, v12, s66, -v45
	v_rndne_f32_e32 v47, v45
	v_fmac_f32_e32 v46, 0x32a5705f, v12
	v_sub_f32_e32 v45, v45, v47
	v_add_f32_e32 v45, v45, v46
	v_exp_f32_e32 v45, v45
	v_cvt_i32_f32_e32 v46, v47
	v_cmp_ngt_f32_e64 s[64:65], s33, v21
	v_cndmask_b32_e64 v44, 0, v44, s[64:65]
	v_cmp_nlt_f32_e64 s[64:65], s67, v21
	v_cndmask_b32_e64 v44, v40, v44, s[64:65]
	v_sub_f32_e32 v19, v19, v43
	v_add_f32_e32 v38, v38, v44
	v_ldexp_f32 v44, v45, v46
	v_mul_f32_e32 v45, 0x3fb8aa3b, v19
	v_fma_f32 v46, v19, s66, -v45
	v_rndne_f32_e32 v47, v45
	v_fmac_f32_e32 v46, 0x32a5705f, v19
	v_sub_f32_e32 v45, v45, v47
	v_add_f32_e32 v45, v45, v46
	v_exp_f32_e32 v45, v45
	v_cvt_i32_f32_e32 v46, v47
	v_cmp_ngt_f32_e64 s[64:65], s33, v12
	v_cndmask_b32_e64 v44, 0, v44, s[64:65]
	v_cmp_nlt_f32_e64 s[64:65], s67, v12
	v_cndmask_b32_e64 v44, v40, v44, s[64:65]
	v_sub_f32_e32 v10, v10, v43
	v_add_f32_e32 v38, v38, v44
	v_ldexp_f32 v44, v45, v46
	v_mul_f32_e32 v45, 0x3fb8aa3b, v10
	v_fma_f32 v46, v10, s66, -v45
	v_rndne_f32_e32 v47, v45
	v_fmac_f32_e32 v46, 0x32a5705f, v10
	v_sub_f32_e32 v45, v45, v47
	v_add_f32_e32 v45, v45, v46
	v_exp_f32_e32 v45, v45
	v_cvt_i32_f32_e32 v46, v47
	v_cmp_ngt_f32_e64 s[64:65], s33, v19
	v_cndmask_b32_e64 v44, 0, v44, s[64:65]
	v_cmp_nlt_f32_e64 s[64:65], s67, v19
	v_cndmask_b32_e64 v44, v40, v44, s[64:65]
	v_sub_f32_e32 v17, v17, v43
	v_add_f32_e32 v38, v38, v44
	v_ldexp_f32 v44, v45, v46
	v_mul_f32_e32 v45, 0x3fb8aa3b, v17
	v_fma_f32 v46, v17, s66, -v45
	v_rndne_f32_e32 v47, v45
	v_fmac_f32_e32 v46, 0x32a5705f, v17
	v_sub_f32_e32 v45, v45, v47
	v_add_f32_e32 v45, v45, v46
	v_exp_f32_e32 v45, v45
	v_cvt_i32_f32_e32 v46, v47
	v_cmp_ngt_f32_e64 s[64:65], s33, v10
	v_cndmask_b32_e64 v44, 0, v44, s[64:65]
	v_cmp_nlt_f32_e64 s[64:65], s67, v10
	v_cndmask_b32_e64 v44, v40, v44, s[64:65]
	v_sub_f32_e32 v9, v9, v43
	v_add_f32_e32 v38, v38, v44
	v_ldexp_f32 v44, v45, v46
	v_mul_f32_e32 v45, 0x3fb8aa3b, v9
	v_fma_f32 v46, v9, s66, -v45
	v_rndne_f32_e32 v47, v45
	v_fmac_f32_e32 v46, 0x32a5705f, v9
	v_sub_f32_e32 v45, v45, v47
	v_add_f32_e32 v45, v45, v46
	v_exp_f32_e32 v45, v45
	v_cvt_i32_f32_e32 v46, v47
	v_cmp_ngt_f32_e64 s[64:65], s33, v17
	v_cndmask_b32_e64 v44, 0, v44, s[64:65]
	v_cmp_nlt_f32_e64 s[64:65], s67, v17
	v_cndmask_b32_e64 v44, v40, v44, s[64:65]
	v_sub_f32_e32 v15, v15, v43
	v_add_f32_e32 v38, v38, v44
	v_ldexp_f32 v44, v45, v46
	v_mul_f32_e32 v45, 0x3fb8aa3b, v15
	v_fma_f32 v46, v15, s66, -v45
	v_rndne_f32_e32 v47, v45
	v_fmac_f32_e32 v46, 0x32a5705f, v15
	v_sub_f32_e32 v45, v45, v47
	v_add_f32_e32 v45, v45, v46
	v_exp_f32_e32 v45, v45
	v_cvt_i32_f32_e32 v46, v47
	v_cmp_ngt_f32_e64 s[64:65], s33, v9
	v_cndmask_b32_e64 v44, 0, v44, s[64:65]
	v_cmp_nlt_f32_e64 s[64:65], s67, v9
	v_cndmask_b32_e64 v44, v40, v44, s[64:65]
	v_sub_f32_e32 v8, v8, v43
	v_add_f32_e32 v38, v38, v44
	v_ldexp_f32 v44, v45, v46
	v_mul_f32_e32 v45, 0x3fb8aa3b, v8
	v_fma_f32 v46, v8, s66, -v45
	v_rndne_f32_e32 v47, v45
	v_fmac_f32_e32 v46, 0x32a5705f, v8
	v_sub_f32_e32 v45, v45, v47
	v_add_f32_e32 v45, v45, v46
	v_exp_f32_e32 v45, v45
	v_cvt_i32_f32_e32 v46, v47
	v_cmp_ngt_f32_e64 s[64:65], s33, v15
	v_cndmask_b32_e64 v44, 0, v44, s[64:65]
	v_cmp_nlt_f32_e64 s[64:65], s67, v15
	v_cndmask_b32_e64 v44, v40, v44, s[64:65]
	v_sub_f32_e32 v13, v13, v43
	v_add_f32_e32 v38, v38, v44
	v_ldexp_f32 v44, v45, v46
	v_mul_f32_e32 v45, 0x3fb8aa3b, v13
	v_fma_f32 v46, v13, s66, -v45
	v_rndne_f32_e32 v47, v45
	v_fmac_f32_e32 v46, 0x32a5705f, v13
	v_sub_f32_e32 v45, v45, v47
	v_add_f32_e32 v45, v45, v46
	v_exp_f32_e32 v45, v45
	v_cvt_i32_f32_e32 v46, v47
	v_cmp_ngt_f32_e64 s[64:65], s33, v8
	v_cndmask_b32_e64 v44, 0, v44, s[64:65]
	v_cmp_nlt_f32_e64 s[64:65], s67, v8
	v_cndmask_b32_e64 v44, v40, v44, s[64:65]
	v_sub_f32_e32 v7, v7, v43
	v_add_f32_e32 v38, v38, v44
	v_ldexp_f32 v44, v45, v46
	v_mul_f32_e32 v45, 0x3fb8aa3b, v7
	v_fma_f32 v46, v7, s66, -v45
	v_rndne_f32_e32 v47, v45
	v_fmac_f32_e32 v46, 0x32a5705f, v7
	v_sub_f32_e32 v45, v45, v47
	v_add_f32_e32 v45, v45, v46
	v_exp_f32_e32 v45, v45
	v_cvt_i32_f32_e32 v46, v47
	v_cmp_ngt_f32_e64 s[64:65], s33, v13
	v_cndmask_b32_e64 v44, 0, v44, s[64:65]
	v_cmp_nlt_f32_e64 s[64:65], s67, v13
	v_cndmask_b32_e64 v44, v40, v44, s[64:65]
	v_sub_f32_e32 v11, v11, v43
	v_add_f32_e32 v38, v38, v44
	v_ldexp_f32 v44, v45, v46
	v_mul_f32_e32 v45, 0x3fb8aa3b, v11
	v_fma_f32 v46, v11, s66, -v45
	v_rndne_f32_e32 v47, v45
	v_fmac_f32_e32 v46, 0x32a5705f, v11
	v_sub_f32_e32 v45, v45, v47
	v_add_f32_e32 v45, v45, v46
	v_exp_f32_e32 v45, v45
	v_cvt_i32_f32_e32 v46, v47
	v_cmp_ngt_f32_e64 s[64:65], s33, v7
	v_cndmask_b32_e64 v44, 0, v44, s[64:65]
	v_cmp_nlt_f32_e64 s[64:65], s67, v7
	v_sub_f32_e32 v6, v6, v43
	v_cndmask_b32_e64 v44, v40, v44, s[64:65]
	v_mul_f32_e32 v43, 0x3fb8aa3b, v6
	v_add_f32_e32 v38, v38, v44
	v_ldexp_f32 v44, v45, v46
	v_fma_f32 v45, v6, s66, -v43
	v_rndne_f32_e32 v46, v43
	v_fmac_f32_e32 v45, 0x32a5705f, v6
	v_sub_f32_e32 v43, v43, v46
	v_add_f32_e32 v43, v43, v45
	v_exp_f32_e32 v43, v43
	v_cvt_i32_f32_e32 v45, v46
	v_cmp_ngt_f32_e64 s[64:65], s33, v11
	v_cndmask_b32_e64 v44, 0, v44, s[64:65]
	v_cmp_nlt_f32_e64 s[64:65], s67, v11
	v_cndmask_b32_e64 v44, v40, v44, s[64:65]
	v_ldexp_f32 v43, v43, v45
	v_cmp_ngt_f32_e64 s[64:65], s33, v6
	v_cndmask_b32_e64 v43, 0, v43, s[64:65]
	v_cmp_nlt_f32_e64 s[64:65], s67, v6
	v_add_f32_e32 v38, v38, v44
	v_cndmask_b32_e64 v40, v40, v43, s[64:65]
	v_add_f32_e32 v38, v38, v40
	ds_bpermute_b32 v4, v4, v38
	v_cmp_lt_i32_e64 s[64:65], 0, v5
	s_waitcnt lgkmcnt(0)
	v_add_f32_e32 v4, v38, v4
	ds_bpermute_b32 v35, v35, v4
	s_waitcnt lgkmcnt(0)
	v_add_f32_e32 v4, v4, v35
	ds_bpermute_b32 v35, v37, v4
	;; [unrolled: 3-line block ×5, first 2 shown]
	s_and_saveexec_b64 s[66:67], s[64:65]
	s_cbranch_execz .LBB188_98
; %bb.65:
	s_and_b64 exec, exec, s[4:5]
	s_cbranch_execz .LBB188_98
; %bb.66:
	s_waitcnt lgkmcnt(0)
	v_add_f32_e32 v4, v4, v35
	s_mov_b32 s4, 0x800000
	v_mov_b32_e32 v5, 0x4f800000
	v_cmp_gt_f32_e64 s[4:5], s4, v4
	v_cndmask_b32_e64 v5, 1.0, v5, s[4:5]
	v_mul_f32_e32 v4, v4, v5
	v_log_f32_e32 v4, v4
	s_mov_b32 s33, 0x3f317217
	v_lshlrev_b64 v[0:1], 2, v[0:1]
	v_mul_f32_e32 v5, 0x3f317217, v4
	v_fma_f32 v35, v4, s33, -v5
	v_fmac_f32_e32 v35, 0x3377d1cf, v4
	s_mov_b32 s33, 0x7f800000
	v_add_f32_e32 v5, v5, v35
	v_cmp_lt_f32_e64 s[64:65], |v4|, s33
	v_cndmask_b32_e64 v4, v4, v5, s[64:65]
	v_mov_b32_e32 v5, 0x41b17218
	v_cndmask_b32_e64 v5, 0, v5, s[4:5]
	v_sub_f32_e32 v4, v4, v5
	v_mov_b32_e32 v5, s69
	v_add_co_u32_e64 v0, s[4:5], s68, v0
	v_addc_co_u32_e64 v1, s[4:5], v5, v1, s[4:5]
	v_sub_f32_e32 v2, v2, v4
	global_store_dword v[0:1], v2, off
	s_and_b64 exec, exec, vcc
	s_cbranch_execz .LBB188_98
; %bb.67:
	v_sub_f32_e32 v2, v3, v4
	global_store_dword v[0:1], v2, off offset:256
	s_and_b64 exec, exec, s[0:1]
	s_cbranch_execz .LBB188_98
; %bb.68:
	v_sub_f32_e32 v2, v32, v4
	global_store_dword v[0:1], v2, off offset:512
	s_and_b64 exec, exec, s[2:3]
	;; [unrolled: 5-line block ×15, first 2 shown]
	s_cbranch_execz .LBB188_98
; %bb.82:
	v_add_co_u32_e32 v2, vcc, 0x1000, v0
	v_sub_f32_e32 v5, v25, v4
	v_addc_co_u32_e32 v3, vcc, 0, v1, vcc
	global_store_dword v[2:3], v5, off
	s_and_b64 exec, exec, s[34:35]
	s_cbranch_execz .LBB188_98
; %bb.83:
	v_add_co_u32_e32 v2, vcc, 0x1000, v0
	v_sub_f32_e32 v5, v16, v4
	v_addc_co_u32_e32 v3, vcc, 0, v1, vcc
	global_store_dword v[2:3], v5, off offset:256
	s_and_b64 exec, exec, s[36:37]
	s_cbranch_execz .LBB188_98
; %bb.84:
	v_add_co_u32_e32 v2, vcc, 0x1000, v0
	v_sub_f32_e32 v5, v23, v4
	v_addc_co_u32_e32 v3, vcc, 0, v1, vcc
	global_store_dword v[2:3], v5, off offset:512
	;; [unrolled: 7-line block ×15, first 2 shown]
.LBB188_98:
	s_endpgm
	.section	.rodata,"a",@progbits
	.p2align	6, 0x0
	.amdhsa_kernel _ZN12_GLOBAL__N_120softmax_warp_forwardIN3c108BFloat16EffLi11ELb1ELb0ELi64EEEvPT0_PKT_iiiPKbib
		.amdhsa_group_segment_fixed_size 0
		.amdhsa_private_segment_fixed_size 0
		.amdhsa_kernarg_size 304
		.amdhsa_user_sgpr_count 6
		.amdhsa_user_sgpr_private_segment_buffer 1
		.amdhsa_user_sgpr_dispatch_ptr 0
		.amdhsa_user_sgpr_queue_ptr 0
		.amdhsa_user_sgpr_kernarg_segment_ptr 1
		.amdhsa_user_sgpr_dispatch_id 0
		.amdhsa_user_sgpr_flat_scratch_init 0
		.amdhsa_user_sgpr_kernarg_preload_length 0
		.amdhsa_user_sgpr_kernarg_preload_offset 0
		.amdhsa_user_sgpr_private_segment_size 0
		.amdhsa_uses_dynamic_stack 0
		.amdhsa_system_sgpr_private_segment_wavefront_offset 0
		.amdhsa_system_sgpr_workgroup_id_x 1
		.amdhsa_system_sgpr_workgroup_id_y 0
		.amdhsa_system_sgpr_workgroup_id_z 0
		.amdhsa_system_sgpr_workgroup_info 0
		.amdhsa_system_vgpr_workitem_id 1
		.amdhsa_next_free_vgpr 48
		.amdhsa_next_free_sgpr 76
		.amdhsa_accum_offset 48
		.amdhsa_reserve_vcc 1
		.amdhsa_reserve_flat_scratch 0
		.amdhsa_float_round_mode_32 0
		.amdhsa_float_round_mode_16_64 0
		.amdhsa_float_denorm_mode_32 3
		.amdhsa_float_denorm_mode_16_64 3
		.amdhsa_dx10_clamp 1
		.amdhsa_ieee_mode 1
		.amdhsa_fp16_overflow 0
		.amdhsa_tg_split 0
		.amdhsa_exception_fp_ieee_invalid_op 0
		.amdhsa_exception_fp_denorm_src 0
		.amdhsa_exception_fp_ieee_div_zero 0
		.amdhsa_exception_fp_ieee_overflow 0
		.amdhsa_exception_fp_ieee_underflow 0
		.amdhsa_exception_fp_ieee_inexact 0
		.amdhsa_exception_int_div_zero 0
	.end_amdhsa_kernel
	.section	.text._ZN12_GLOBAL__N_120softmax_warp_forwardIN3c108BFloat16EffLi11ELb1ELb0ELi64EEEvPT0_PKT_iiiPKbib,"axG",@progbits,_ZN12_GLOBAL__N_120softmax_warp_forwardIN3c108BFloat16EffLi11ELb1ELb0ELi64EEEvPT0_PKT_iiiPKbib,comdat
.Lfunc_end188:
	.size	_ZN12_GLOBAL__N_120softmax_warp_forwardIN3c108BFloat16EffLi11ELb1ELb0ELi64EEEvPT0_PKT_iiiPKbib, .Lfunc_end188-_ZN12_GLOBAL__N_120softmax_warp_forwardIN3c108BFloat16EffLi11ELb1ELb0ELi64EEEvPT0_PKT_iiiPKbib
                                        ; -- End function
	.section	.AMDGPU.csdata,"",@progbits
; Kernel info:
; codeLenInByte = 6768
; NumSgprs: 80
; NumVgprs: 48
; NumAgprs: 0
; TotalNumVgprs: 48
; ScratchSize: 0
; MemoryBound: 0
; FloatMode: 240
; IeeeMode: 1
; LDSByteSize: 0 bytes/workgroup (compile time only)
; SGPRBlocks: 9
; VGPRBlocks: 5
; NumSGPRsForWavesPerEU: 80
; NumVGPRsForWavesPerEU: 48
; AccumOffset: 48
; Occupancy: 8
; WaveLimiterHint : 0
; COMPUTE_PGM_RSRC2:SCRATCH_EN: 0
; COMPUTE_PGM_RSRC2:USER_SGPR: 6
; COMPUTE_PGM_RSRC2:TRAP_HANDLER: 0
; COMPUTE_PGM_RSRC2:TGID_X_EN: 1
; COMPUTE_PGM_RSRC2:TGID_Y_EN: 0
; COMPUTE_PGM_RSRC2:TGID_Z_EN: 0
; COMPUTE_PGM_RSRC2:TIDIG_COMP_CNT: 1
; COMPUTE_PGM_RSRC3_GFX90A:ACCUM_OFFSET: 11
; COMPUTE_PGM_RSRC3_GFX90A:TG_SPLIT: 0
	.section	.text._ZN12_GLOBAL__N_120softmax_warp_forwardIN3c108BFloat16EffLi11ELb1ELb0ELi32EEEvPT0_PKT_iiiPKbib,"axG",@progbits,_ZN12_GLOBAL__N_120softmax_warp_forwardIN3c108BFloat16EffLi11ELb1ELb0ELi32EEEvPT0_PKT_iiiPKbib,comdat
	.globl	_ZN12_GLOBAL__N_120softmax_warp_forwardIN3c108BFloat16EffLi11ELb1ELb0ELi32EEEvPT0_PKT_iiiPKbib ; -- Begin function _ZN12_GLOBAL__N_120softmax_warp_forwardIN3c108BFloat16EffLi11ELb1ELb0ELi32EEEvPT0_PKT_iiiPKbib
	.p2align	8
	.type	_ZN12_GLOBAL__N_120softmax_warp_forwardIN3c108BFloat16EffLi11ELb1ELb0ELi32EEEvPT0_PKT_iiiPKbib,@function
_ZN12_GLOBAL__N_120softmax_warp_forwardIN3c108BFloat16EffLi11ELb1ELb0ELi32EEEvPT0_PKT_iiiPKbib: ; @_ZN12_GLOBAL__N_120softmax_warp_forwardIN3c108BFloat16EffLi11ELb1ELb0ELi32EEEvPT0_PKT_iiiPKbib
; %bb.0:
	s_load_dword s0, s[4:5], 0x3c
	s_load_dwordx8 s[40:47], s[4:5], 0x0
	v_bfe_u32 v1, v0, 10, 10
	v_and_b32_e32 v4, 0x3ff, v0
	v_mov_b32_e32 v39, 0xff800000
	s_waitcnt lgkmcnt(0)
	s_lshr_b32 s0, s0, 16
	s_mul_i32 s6, s6, s0
	v_add_u32_e32 v1, s6, v1
	v_sub_u32_e32 v5, s44, v1
	v_mad_u64_u32 v[0:1], s[0:1], v1, s45, v[4:5]
	v_ashrrev_i32_e32 v1, 31, v0
	v_lshlrev_b64 v[2:3], 1, v[0:1]
	v_mov_b32_e32 v6, s43
	v_add_co_u32_e32 v2, vcc, s42, v2
	v_addc_co_u32_e32 v3, vcc, v6, v3, vcc
	v_cmp_lt_i32_e32 vcc, 0, v5
	v_cmp_gt_i32_e64 s[4:5], s46, v4
	s_and_b64 s[2:3], vcc, s[4:5]
	v_mov_b32_e32 v74, 0xff800000
	s_and_saveexec_b64 s[0:1], s[2:3]
	s_cbranch_execz .LBB189_2
; %bb.1:
	global_load_ushort v6, v[2:3], off
	s_waitcnt vmcnt(0)
	v_lshlrev_b32_e32 v74, 16, v6
.LBB189_2:
	s_or_b64 exec, exec, s[0:1]
	v_add_u32_e32 v6, 32, v4
	v_cmp_gt_i32_e64 s[38:39], s46, v6
	s_and_b64 s[2:3], vcc, s[38:39]
	s_and_saveexec_b64 s[0:1], s[2:3]
	s_cbranch_execz .LBB189_4
; %bb.3:
	global_load_ushort v6, v[2:3], off offset:64
	s_waitcnt vmcnt(0)
	v_lshlrev_b32_e32 v39, 16, v6
.LBB189_4:
	s_or_b64 exec, exec, s[0:1]
	v_add_u32_e32 v6, 64, v4
	v_cmp_gt_i32_e64 s[0:1], s46, v6
                                        ; implicit-def: $vgpr79 : SGPR spill to VGPR lane
	v_mov_b32_e32 v46, 0xff800000
	v_writelane_b32 v79, s0, 0
	s_and_b64 s[2:3], vcc, s[0:1]
	v_mov_b32_e32 v71, 0xff800000
	v_writelane_b32 v79, s1, 1
	s_and_saveexec_b64 s[0:1], s[2:3]
	s_cbranch_execz .LBB189_6
; %bb.5:
	global_load_ushort v6, v[2:3], off offset:128
	s_waitcnt vmcnt(0)
	v_lshlrev_b32_e32 v71, 16, v6
.LBB189_6:
	s_or_b64 exec, exec, s[0:1]
	v_add_u32_e32 v6, 0x60, v4
	v_cmp_gt_i32_e64 s[0:1], s46, v6
	v_writelane_b32 v79, s0, 2
	s_and_b64 s[2:3], vcc, s[0:1]
	v_writelane_b32 v79, s1, 3
	s_and_saveexec_b64 s[0:1], s[2:3]
	s_cbranch_execz .LBB189_8
; %bb.7:
	global_load_ushort v6, v[2:3], off offset:192
	s_waitcnt vmcnt(0)
	v_lshlrev_b32_e32 v46, 16, v6
.LBB189_8:
	s_or_b64 exec, exec, s[0:1]
	v_add_u32_e32 v6, 0x80, v4
	v_cmp_gt_i32_e64 s[0:1], s46, v6
	v_writelane_b32 v79, s0, 4
	s_and_b64 s[2:3], vcc, s[0:1]
	v_mov_b32_e32 v53, 0xff800000
	v_mov_b32_e32 v49, 0xff800000
	v_writelane_b32 v79, s1, 5
	s_and_saveexec_b64 s[0:1], s[2:3]
	s_cbranch_execz .LBB189_10
; %bb.9:
	global_load_ushort v6, v[2:3], off offset:256
	s_waitcnt vmcnt(0)
	v_lshlrev_b32_e32 v49, 16, v6
.LBB189_10:
	s_or_b64 exec, exec, s[0:1]
	v_add_u32_e32 v6, 0xa0, v4
	v_cmp_gt_i32_e64 s[0:1], s46, v6
	v_writelane_b32 v79, s0, 6
	s_and_b64 s[2:3], vcc, s[0:1]
	v_writelane_b32 v79, s1, 7
	s_and_saveexec_b64 s[0:1], s[2:3]
	s_cbranch_execz .LBB189_12
; %bb.11:
	global_load_ushort v6, v[2:3], off offset:320
	s_waitcnt vmcnt(0)
	v_lshlrev_b32_e32 v53, 16, v6
.LBB189_12:
	s_or_b64 exec, exec, s[0:1]
	v_add_u32_e32 v6, 0xc0, v4
	v_cmp_gt_i32_e64 s[0:1], s46, v6
	v_writelane_b32 v79, s0, 8
	s_and_b64 s[2:3], vcc, s[0:1]
	v_mov_b32_e32 v62, 0xff800000
	;; [unrolled: 28-line block ×9, first 2 shown]
	v_mov_b32_e32 v64, 0xff800000
	v_writelane_b32 v79, s1, 37
	s_and_saveexec_b64 s[0:1], s[2:3]
	s_cbranch_execz .LBB189_42
; %bb.41:
	global_load_ushort v6, v[2:3], off offset:1280
	s_waitcnt vmcnt(0)
	v_lshlrev_b32_e32 v64, 16, v6
.LBB189_42:
	s_or_b64 exec, exec, s[0:1]
	v_add_u32_e32 v6, 0x2a0, v4
	v_cmp_gt_i32_e64 s[44:45], s46, v6
	s_and_b64 s[2:3], vcc, s[44:45]
	s_and_saveexec_b64 s[0:1], s[2:3]
	s_cbranch_execz .LBB189_44
; %bb.43:
	global_load_ushort v6, v[2:3], off offset:1344
	s_waitcnt vmcnt(0)
	v_lshlrev_b32_e32 v54, 16, v6
.LBB189_44:
	s_or_b64 exec, exec, s[0:1]
	v_add_u32_e32 v6, 0x2c0, v4
	v_cmp_gt_i32_e64 s[0:1], s46, v6
	s_and_b64 s[6:7], vcc, s[0:1]
	v_mov_b32_e32 v51, 0xff800000
	v_mov_b32_e32 v60, 0xff800000
	s_and_saveexec_b64 s[2:3], s[6:7]
	s_cbranch_execz .LBB189_46
; %bb.45:
	global_load_ushort v6, v[2:3], off offset:1408
	s_waitcnt vmcnt(0)
	v_lshlrev_b32_e32 v60, 16, v6
.LBB189_46:
	s_or_b64 exec, exec, s[2:3]
	v_add_u32_e32 v6, 0x2e0, v4
	v_cmp_gt_i32_e64 s[2:3], s46, v6
	v_writelane_b32 v79, s2, 38
	s_and_b64 s[6:7], vcc, s[2:3]
	v_writelane_b32 v79, s3, 39
	s_and_saveexec_b64 s[2:3], s[6:7]
	s_cbranch_execz .LBB189_48
; %bb.47:
	global_load_ushort v6, v[2:3], off offset:1472
	s_waitcnt vmcnt(0)
	v_lshlrev_b32_e32 v51, 16, v6
.LBB189_48:
	s_or_b64 exec, exec, s[2:3]
	v_add_u32_e32 v6, 0x300, v4
	v_cmp_gt_i32_e64 s[48:49], s46, v6
	s_and_b64 s[6:7], vcc, s[48:49]
	v_mov_b32_e32 v48, 0xff800000
	v_mov_b32_e32 v57, 0xff800000
	s_and_saveexec_b64 s[2:3], s[6:7]
	s_cbranch_execz .LBB189_50
; %bb.49:
	global_load_ushort v6, v[2:3], off offset:1536
	s_waitcnt vmcnt(0)
	v_lshlrev_b32_e32 v57, 16, v6
.LBB189_50:
	s_or_b64 exec, exec, s[2:3]
	v_add_u32_e32 v6, 0x320, v4
	v_cmp_gt_i32_e64 s[50:51], s46, v6
	s_and_b64 s[6:7], vcc, s[50:51]
	s_and_saveexec_b64 s[2:3], s[6:7]
	s_cbranch_execz .LBB189_52
; %bb.51:
	global_load_ushort v6, v[2:3], off offset:1600
	s_waitcnt vmcnt(0)
	v_lshlrev_b32_e32 v48, 16, v6
.LBB189_52:
	s_or_b64 exec, exec, s[2:3]
	v_add_u32_e32 v6, 0x340, v4
	v_cmp_gt_i32_e64 s[52:53], s46, v6
	s_and_b64 s[6:7], vcc, s[52:53]
	v_mov_b32_e32 v45, 0xff800000
	v_mov_b32_e32 v52, 0xff800000
	s_and_saveexec_b64 s[2:3], s[6:7]
	s_cbranch_execz .LBB189_54
; %bb.53:
	global_load_ushort v6, v[2:3], off offset:1664
	s_waitcnt vmcnt(0)
	v_lshlrev_b32_e32 v52, 16, v6
.LBB189_54:
	s_or_b64 exec, exec, s[2:3]
	v_add_u32_e32 v6, 0x360, v4
	v_cmp_gt_i32_e64 s[54:55], s46, v6
	s_and_b64 s[6:7], vcc, s[54:55]
	;; [unrolled: 24-line block ×4, first 2 shown]
	s_and_saveexec_b64 s[2:3], s[6:7]
	s_cbranch_execz .LBB189_64
; %bb.63:
	global_load_ushort v6, v[2:3], off offset:1984
	s_waitcnt vmcnt(0)
	v_lshlrev_b32_e32 v36, 16, v6
.LBB189_64:
	s_or_b64 exec, exec, s[2:3]
	v_or_b32_e32 v6, 0x400, v4
	v_cmp_gt_i32_e64 s[64:65], s46, v6
	s_and_b64 s[6:7], vcc, s[64:65]
	v_mov_b32_e32 v34, 0xff800000
	v_mov_b32_e32 v43, 0xff800000
	s_and_saveexec_b64 s[2:3], s[6:7]
	s_cbranch_execz .LBB189_66
; %bb.65:
	global_load_ushort v6, v[2:3], off offset:2048
	s_waitcnt vmcnt(0)
	v_lshlrev_b32_e32 v43, 16, v6
.LBB189_66:
	s_or_b64 exec, exec, s[2:3]
	v_add_u32_e32 v6, 0x420, v4
	v_cmp_gt_i32_e64 s[66:67], s46, v6
	s_and_b64 s[6:7], vcc, s[66:67]
	s_and_saveexec_b64 s[2:3], s[6:7]
	s_cbranch_execz .LBB189_68
; %bb.67:
	global_load_ushort v6, v[2:3], off offset:2112
	s_waitcnt vmcnt(0)
	v_lshlrev_b32_e32 v34, 16, v6
.LBB189_68:
	s_or_b64 exec, exec, s[2:3]
	v_add_u32_e32 v6, 0x440, v4
	v_cmp_gt_i32_e64 s[68:69], s46, v6
	s_and_b64 s[6:7], vcc, s[68:69]
	v_mov_b32_e32 v32, 0xff800000
	v_mov_b32_e32 v38, 0xff800000
	s_and_saveexec_b64 s[2:3], s[6:7]
	s_cbranch_execz .LBB189_70
; %bb.69:
	global_load_ushort v6, v[2:3], off offset:2176
	s_waitcnt vmcnt(0)
	v_lshlrev_b32_e32 v38, 16, v6
.LBB189_70:
	s_or_b64 exec, exec, s[2:3]
	v_add_u32_e32 v6, 0x460, v4
	v_cmp_gt_i32_e64 s[70:71], s46, v6
	s_and_b64 s[6:7], vcc, s[70:71]
	s_and_saveexec_b64 s[2:3], s[6:7]
	s_cbranch_execz .LBB189_72
; %bb.71:
	global_load_ushort v6, v[2:3], off offset:2240
	s_waitcnt vmcnt(0)
	v_lshlrev_b32_e32 v32, 16, v6
.LBB189_72:
	s_or_b64 exec, exec, s[2:3]
	v_add_u32_e32 v6, 0x480, v4
	;; [unrolled: 24-line block ×15, first 2 shown]
	v_cmp_gt_i32_e64 s[34:35], s46, v6
	s_and_b64 s[42:43], vcc, s[34:35]
	v_mov_b32_e32 v6, 0xff800000
	v_mov_b32_e32 v9, 0xff800000
	s_and_saveexec_b64 s[36:37], s[42:43]
	s_cbranch_execz .LBB189_126
; %bb.125:
	global_load_ushort v9, v[2:3], off offset:3968
	s_waitcnt vmcnt(0)
	v_lshlrev_b32_e32 v9, 16, v9
.LBB189_126:
	s_or_b64 exec, exec, s[36:37]
	v_add_u32_e32 v4, 0x7e0, v4
	v_cmp_gt_i32_e64 s[36:37], s46, v4
	s_and_b64 s[42:43], vcc, s[36:37]
	s_and_saveexec_b64 s[46:47], s[42:43]
	s_cbranch_execz .LBB189_128
; %bb.127:
	global_load_ushort v2, v[2:3], off offset:4032
	s_waitcnt vmcnt(0)
	v_lshlrev_b32_e32 v6, 16, v2
.LBB189_128:
	s_or_b64 exec, exec, s[46:47]
	v_cmp_gt_f32_e32 vcc, v74, v39
	v_cndmask_b32_e32 v2, v39, v74, vcc
	v_cmp_gt_f32_e32 vcc, v2, v71
	v_cndmask_b32_e32 v2, v71, v2, vcc
	;; [unrolled: 2-line block ×61, first 2 shown]
	v_mbcnt_lo_u32_b32 v3, -1, 0
	v_cmp_gt_f32_e32 vcc, v2, v9
	v_mbcnt_hi_u32_b32 v3, -1, v3
	v_cndmask_b32_e32 v2, v9, v2, vcc
	v_and_b32_e32 v4, 0x60, v3
	v_cmp_gt_f32_e32 vcc, v2, v6
	v_add_u32_e32 v44, 32, v4
	v_xor_b32_e32 v4, 16, v3
	v_cndmask_b32_e32 v2, v6, v2, vcc
	v_cmp_lt_i32_e32 vcc, v4, v44
	v_cndmask_b32_e32 v4, v3, v4, vcc
	v_lshlrev_b32_e32 v4, 2, v4
	ds_bpermute_b32 v37, v4, v2
	s_mov_b32 s33, 0x3fb8aa3b
	s_mov_b32 s46, 0xc2ce8ed0
	;; [unrolled: 1-line block ×3, first 2 shown]
	s_waitcnt lgkmcnt(0)
	v_cmp_lt_f32_e32 vcc, v2, v37
	v_cndmask_b32_e32 v2, v2, v37, vcc
	v_xor_b32_e32 v37, 8, v3
	v_cmp_lt_i32_e32 vcc, v37, v44
	v_cndmask_b32_e32 v37, v3, v37, vcc
	v_lshlrev_b32_e32 v37, 2, v37
	ds_bpermute_b32 v40, v37, v2
	s_waitcnt lgkmcnt(0)
	v_cmp_lt_f32_e32 vcc, v2, v40
	v_cndmask_b32_e32 v2, v2, v40, vcc
	v_xor_b32_e32 v40, 4, v3
	v_cmp_lt_i32_e32 vcc, v40, v44
	v_cndmask_b32_e32 v40, v3, v40, vcc
	v_lshlrev_b32_e32 v40, 2, v40
	ds_bpermute_b32 v42, v40, v2
	;; [unrolled: 8-line block ×4, first 2 shown]
	s_waitcnt lgkmcnt(0)
	v_cmp_lt_f32_e32 vcc, v2, v3
	v_cndmask_b32_e32 v55, v2, v3, vcc
	v_sub_f32_e32 v2, v74, v55
	v_mul_f32_e32 v3, 0x3fb8aa3b, v2
	v_fma_f32 v74, v2, s33, -v3
	v_rndne_f32_e32 v75, v3
	v_fmac_f32_e32 v74, 0x32a5705f, v2
	v_sub_f32_e32 v3, v3, v75
	v_add_f32_e32 v3, v3, v74
	v_exp_f32_e32 v74, v3
	v_sub_f32_e32 v3, v39, v55
	v_mul_f32_e32 v39, 0x3fb8aa3b, v3
	v_fma_f32 v76, v3, s33, -v39
	v_rndne_f32_e32 v77, v39
	v_fmac_f32_e32 v76, 0x32a5705f, v3
	v_sub_f32_e32 v39, v39, v77
	v_add_f32_e32 v39, v39, v76
	v_cvt_i32_f32_e32 v75, v75
	v_exp_f32_e32 v39, v39
	v_cvt_i32_f32_e32 v76, v77
	v_cmp_ngt_f32_e32 vcc, s46, v2
	v_ldexp_f32 v74, v74, v75
	v_cndmask_b32_e32 v74, 0, v74, vcc
	v_ldexp_f32 v75, v39, v76
	v_sub_f32_e32 v39, v71, v55
	v_mul_f32_e32 v71, 0x3fb8aa3b, v39
	v_fma_f32 v76, v39, s33, -v71
	v_rndne_f32_e32 v77, v71
	v_fmac_f32_e32 v76, 0x32a5705f, v39
	v_sub_f32_e32 v71, v71, v77
	v_add_f32_e32 v76, v71, v76
	v_mov_b32_e32 v71, 0x7f800000
	v_cmp_nlt_f32_e32 vcc, s47, v2
	v_exp_f32_e32 v76, v76
	v_cvt_i32_f32_e32 v77, v77
	v_cndmask_b32_e32 v74, v71, v74, vcc
	v_cmp_ngt_f32_e32 vcc, s46, v3
	v_cndmask_b32_e32 v75, 0, v75, vcc
	v_cmp_nlt_f32_e32 vcc, s47, v3
	v_cndmask_b32_e32 v75, v71, v75, vcc
	v_sub_f32_e32 v46, v46, v55
	v_add_f32_e32 v74, v74, v75
	v_ldexp_f32 v75, v76, v77
	v_mul_f32_e32 v76, 0x3fb8aa3b, v46
	v_fma_f32 v77, v46, s33, -v76
	v_rndne_f32_e32 v78, v76
	v_fmac_f32_e32 v77, 0x32a5705f, v46
	v_sub_f32_e32 v76, v76, v78
	v_add_f32_e32 v76, v76, v77
	v_exp_f32_e32 v76, v76
	v_cvt_i32_f32_e32 v77, v78
	v_cmp_ngt_f32_e32 vcc, s46, v39
	v_cndmask_b32_e32 v75, 0, v75, vcc
	v_cmp_nlt_f32_e32 vcc, s47, v39
	v_cndmask_b32_e32 v75, v71, v75, vcc
	v_sub_f32_e32 v49, v49, v55
	v_add_f32_e32 v74, v74, v75
	v_ldexp_f32 v75, v76, v77
	v_mul_f32_e32 v76, 0x3fb8aa3b, v49
	v_fma_f32 v77, v49, s33, -v76
	v_rndne_f32_e32 v78, v76
	v_fmac_f32_e32 v77, 0x32a5705f, v49
	v_sub_f32_e32 v76, v76, v78
	v_add_f32_e32 v76, v76, v77
	v_exp_f32_e32 v76, v76
	v_cvt_i32_f32_e32 v77, v78
	;; [unrolled: 15-line block ×60, first 2 shown]
	v_cmp_ngt_f32_e32 vcc, s46, v7
	v_cndmask_b32_e32 v75, 0, v75, vcc
	v_cmp_nlt_f32_e32 vcc, s47, v7
	v_sub_f32_e32 v6, v6, v55
	v_cndmask_b32_e32 v75, v71, v75, vcc
	v_mul_f32_e32 v55, 0x3fb8aa3b, v6
	v_add_f32_e32 v74, v74, v75
	v_ldexp_f32 v75, v76, v77
	v_fma_f32 v76, v6, s33, -v55
	v_rndne_f32_e32 v77, v55
	v_fmac_f32_e32 v76, 0x32a5705f, v6
	v_sub_f32_e32 v55, v55, v77
	v_add_f32_e32 v55, v55, v76
	v_exp_f32_e32 v55, v55
	v_cvt_i32_f32_e32 v76, v77
	v_cmp_ngt_f32_e32 vcc, s46, v9
	v_cndmask_b32_e32 v75, 0, v75, vcc
	v_cmp_nlt_f32_e32 vcc, s47, v9
	v_cndmask_b32_e32 v75, v71, v75, vcc
	v_ldexp_f32 v55, v55, v76
	v_cmp_ngt_f32_e32 vcc, s46, v6
	v_cndmask_b32_e32 v55, 0, v55, vcc
	v_cmp_nlt_f32_e32 vcc, s47, v6
	v_add_f32_e32 v74, v74, v75
	v_cndmask_b32_e32 v55, v71, v55, vcc
	v_add_f32_e32 v55, v74, v55
	ds_bpermute_b32 v4, v4, v55
	v_cmp_lt_i32_e32 vcc, 0, v5
	s_waitcnt lgkmcnt(0)
	v_add_f32_e32 v4, v55, v4
	ds_bpermute_b32 v37, v37, v4
	s_waitcnt lgkmcnt(0)
	v_add_f32_e32 v4, v4, v37
	ds_bpermute_b32 v37, v40, v4
	s_waitcnt lgkmcnt(0)
	v_add_f32_e32 v4, v4, v37
	ds_bpermute_b32 v37, v42, v4
	s_waitcnt lgkmcnt(0)
	v_add_f32_e32 v4, v4, v37
	ds_bpermute_b32 v37, v44, v4
	s_and_saveexec_b64 s[42:43], vcc
	s_cbranch_execz .LBB189_194
; %bb.129:
	s_and_b64 exec, exec, s[4:5]
	s_cbranch_execz .LBB189_194
; %bb.130:
	s_waitcnt lgkmcnt(0)
	v_add_f32_e32 v4, v4, v37
	s_mov_b32 s4, 0x800000
	v_mov_b32_e32 v5, 0x4f800000
	v_cmp_gt_f32_e32 vcc, s4, v4
	v_cndmask_b32_e32 v5, 1.0, v5, vcc
	v_mul_f32_e32 v4, v4, v5
	v_log_f32_e32 v4, v4
	s_mov_b32 s4, 0x3f317217
	v_lshlrev_b64 v[0:1], 2, v[0:1]
	v_mul_f32_e32 v5, 0x3f317217, v4
	v_fma_f32 v37, v4, s4, -v5
	v_fmac_f32_e32 v37, 0x3377d1cf, v4
	s_mov_b32 s4, 0x7f800000
	v_add_f32_e32 v5, v5, v37
	v_cmp_lt_f32_e64 s[4:5], |v4|, s4
	v_cndmask_b32_e64 v4, v4, v5, s[4:5]
	v_mov_b32_e32 v5, 0x41b17218
	v_cndmask_b32_e32 v5, 0, v5, vcc
	v_sub_f32_e32 v4, v4, v5
	v_mov_b32_e32 v5, s41
	v_add_co_u32_e32 v0, vcc, s40, v0
	v_addc_co_u32_e32 v1, vcc, v5, v1, vcc
	v_sub_f32_e32 v2, v2, v4
	global_store_dword v[0:1], v2, off
	s_and_b64 exec, exec, s[38:39]
	s_cbranch_execz .LBB189_194
; %bb.131:
	v_readlane_b32 s4, v79, 0
	v_sub_f32_e32 v2, v3, v4
	v_readlane_b32 s5, v79, 1
	global_store_dword v[0:1], v2, off offset:128
	s_and_b64 exec, exec, s[4:5]
	s_cbranch_execz .LBB189_194
; %bb.132:
	v_readlane_b32 s4, v79, 2
	v_sub_f32_e32 v2, v39, v4
	v_readlane_b32 s5, v79, 3
	global_store_dword v[0:1], v2, off offset:256
	s_and_b64 exec, exec, s[4:5]
	s_cbranch_execz .LBB189_194
; %bb.133:
	v_readlane_b32 s4, v79, 4
	v_sub_f32_e32 v2, v46, v4
	v_readlane_b32 s5, v79, 5
	global_store_dword v[0:1], v2, off offset:384
	s_and_b64 exec, exec, s[4:5]
	s_cbranch_execz .LBB189_194
; %bb.134:
	v_readlane_b32 s4, v79, 6
	v_sub_f32_e32 v2, v49, v4
	v_readlane_b32 s5, v79, 7
	global_store_dword v[0:1], v2, off offset:512
	s_and_b64 exec, exec, s[4:5]
	s_cbranch_execz .LBB189_194
; %bb.135:
	v_readlane_b32 s4, v79, 8
	v_sub_f32_e32 v2, v53, v4
	v_readlane_b32 s5, v79, 9
	global_store_dword v[0:1], v2, off offset:640
	s_and_b64 exec, exec, s[4:5]
	s_cbranch_execz .LBB189_194
; %bb.136:
	v_readlane_b32 s4, v79, 10
	v_sub_f32_e32 v2, v58, v4
	v_readlane_b32 s5, v79, 11
	global_store_dword v[0:1], v2, off offset:768
	s_and_b64 exec, exec, s[4:5]
	s_cbranch_execz .LBB189_194
; %bb.137:
	v_readlane_b32 s4, v79, 12
	v_sub_f32_e32 v2, v62, v4
	v_readlane_b32 s5, v79, 13
	global_store_dword v[0:1], v2, off offset:896
	s_and_b64 exec, exec, s[4:5]
	s_cbranch_execz .LBB189_194
; %bb.138:
	v_readlane_b32 s4, v79, 14
	v_sub_f32_e32 v2, v68, v4
	v_readlane_b32 s5, v79, 15
	global_store_dword v[0:1], v2, off offset:1024
	s_and_b64 exec, exec, s[4:5]
	s_cbranch_execz .LBB189_194
; %bb.139:
	v_readlane_b32 s4, v79, 16
	v_sub_f32_e32 v2, v67, v4
	v_readlane_b32 s5, v79, 17
	global_store_dword v[0:1], v2, off offset:1152
	s_and_b64 exec, exec, s[4:5]
	s_cbranch_execz .LBB189_194
; %bb.140:
	v_readlane_b32 s4, v79, 18
	v_sub_f32_e32 v2, v73, v4
	v_readlane_b32 s5, v79, 19
	global_store_dword v[0:1], v2, off offset:1280
	s_and_b64 exec, exec, s[4:5]
	s_cbranch_execz .LBB189_194
; %bb.141:
	v_readlane_b32 s4, v79, 20
	v_sub_f32_e32 v2, v65, v4
	v_readlane_b32 s5, v79, 21
	global_store_dword v[0:1], v2, off offset:1408
	s_and_b64 exec, exec, s[4:5]
	s_cbranch_execz .LBB189_194
; %bb.142:
	v_readlane_b32 s4, v79, 22
	v_sub_f32_e32 v2, v72, v4
	v_readlane_b32 s5, v79, 23
	global_store_dword v[0:1], v2, off offset:1536
	s_and_b64 exec, exec, s[4:5]
	s_cbranch_execz .LBB189_194
; %bb.143:
	v_readlane_b32 s4, v79, 24
	v_sub_f32_e32 v2, v63, v4
	v_readlane_b32 s5, v79, 25
	global_store_dword v[0:1], v2, off offset:1664
	s_and_b64 exec, exec, s[4:5]
	s_cbranch_execz .LBB189_194
; %bb.144:
	v_readlane_b32 s4, v79, 26
	v_sub_f32_e32 v2, v70, v4
	v_readlane_b32 s5, v79, 27
	global_store_dword v[0:1], v2, off offset:1792
	s_and_b64 exec, exec, s[4:5]
	s_cbranch_execz .LBB189_194
; %bb.145:
	v_readlane_b32 s4, v79, 28
	v_sub_f32_e32 v2, v61, v4
	v_readlane_b32 s5, v79, 29
	global_store_dword v[0:1], v2, off offset:1920
	s_and_b64 exec, exec, s[4:5]
	s_cbranch_execz .LBB189_194
; %bb.146:
	v_readlane_b32 s4, v79, 30
	v_sub_f32_e32 v2, v69, v4
	v_readlane_b32 s5, v79, 31
	global_store_dword v[0:1], v2, off offset:2048
	s_and_b64 exec, exec, s[4:5]
	s_cbranch_execz .LBB189_194
; %bb.147:
	v_readlane_b32 s4, v79, 32
	v_sub_f32_e32 v2, v59, v4
	v_readlane_b32 s5, v79, 33
	global_store_dword v[0:1], v2, off offset:2176
	s_and_b64 exec, exec, s[4:5]
	s_cbranch_execz .LBB189_194
; %bb.148:
	v_readlane_b32 s4, v79, 34
	v_sub_f32_e32 v2, v66, v4
	v_readlane_b32 s5, v79, 35
	global_store_dword v[0:1], v2, off offset:2304
	s_and_b64 exec, exec, s[4:5]
	s_cbranch_execz .LBB189_194
; %bb.149:
	v_readlane_b32 s4, v79, 36
	v_sub_f32_e32 v2, v56, v4
	v_readlane_b32 s5, v79, 37
	global_store_dword v[0:1], v2, off offset:2432
	s_and_b64 exec, exec, s[4:5]
	s_cbranch_execz .LBB189_194
; %bb.150:
	v_sub_f32_e32 v2, v64, v4
	global_store_dword v[0:1], v2, off offset:2560
	s_and_b64 exec, exec, s[44:45]
	s_cbranch_execz .LBB189_194
; %bb.151:
	v_sub_f32_e32 v2, v54, v4
	global_store_dword v[0:1], v2, off offset:2688
	s_and_b64 exec, exec, s[0:1]
	s_cbranch_execz .LBB189_194
; %bb.152:
	v_readlane_b32 s0, v79, 38
	v_sub_f32_e32 v2, v60, v4
	v_readlane_b32 s1, v79, 39
	global_store_dword v[0:1], v2, off offset:2816
	s_and_b64 exec, exec, s[0:1]
	s_cbranch_execz .LBB189_194
; %bb.153:
	v_sub_f32_e32 v2, v51, v4
	global_store_dword v[0:1], v2, off offset:2944
	s_and_b64 exec, exec, s[48:49]
	s_cbranch_execz .LBB189_194
; %bb.154:
	v_sub_f32_e32 v2, v57, v4
	;; [unrolled: 5-line block ×9, first 2 shown]
	global_store_dword v[0:1], v2, off offset:3968
	s_and_b64 exec, exec, s[64:65]
	s_cbranch_execz .LBB189_194
; %bb.162:
	v_add_co_u32_e32 v2, vcc, 0x1000, v0
	v_sub_f32_e32 v5, v43, v4
	v_addc_co_u32_e32 v3, vcc, 0, v1, vcc
	global_store_dword v[2:3], v5, off
	s_and_b64 exec, exec, s[66:67]
	s_cbranch_execz .LBB189_194
; %bb.163:
	v_add_co_u32_e32 v2, vcc, 0x1000, v0
	v_sub_f32_e32 v5, v34, v4
	v_addc_co_u32_e32 v3, vcc, 0, v1, vcc
	global_store_dword v[2:3], v5, off offset:128
	s_and_b64 exec, exec, s[68:69]
	s_cbranch_execz .LBB189_194
; %bb.164:
	v_add_co_u32_e32 v2, vcc, 0x1000, v0
	v_sub_f32_e32 v5, v38, v4
	v_addc_co_u32_e32 v3, vcc, 0, v1, vcc
	global_store_dword v[2:3], v5, off offset:256
	;; [unrolled: 7-line block ×31, first 2 shown]
.LBB189_194:
	s_endpgm
	.section	.rodata,"a",@progbits
	.p2align	6, 0x0
	.amdhsa_kernel _ZN12_GLOBAL__N_120softmax_warp_forwardIN3c108BFloat16EffLi11ELb1ELb0ELi32EEEvPT0_PKT_iiiPKbib
		.amdhsa_group_segment_fixed_size 0
		.amdhsa_private_segment_fixed_size 0
		.amdhsa_kernarg_size 304
		.amdhsa_user_sgpr_count 6
		.amdhsa_user_sgpr_private_segment_buffer 1
		.amdhsa_user_sgpr_dispatch_ptr 0
		.amdhsa_user_sgpr_queue_ptr 0
		.amdhsa_user_sgpr_kernarg_segment_ptr 1
		.amdhsa_user_sgpr_dispatch_id 0
		.amdhsa_user_sgpr_flat_scratch_init 0
		.amdhsa_user_sgpr_kernarg_preload_length 0
		.amdhsa_user_sgpr_kernarg_preload_offset 0
		.amdhsa_user_sgpr_private_segment_size 0
		.amdhsa_uses_dynamic_stack 0
		.amdhsa_system_sgpr_private_segment_wavefront_offset 0
		.amdhsa_system_sgpr_workgroup_id_x 1
		.amdhsa_system_sgpr_workgroup_id_y 0
		.amdhsa_system_sgpr_workgroup_id_z 0
		.amdhsa_system_sgpr_workgroup_info 0
		.amdhsa_system_vgpr_workitem_id 1
		.amdhsa_next_free_vgpr 80
		.amdhsa_next_free_sgpr 96
		.amdhsa_accum_offset 80
		.amdhsa_reserve_vcc 1
		.amdhsa_reserve_flat_scratch 0
		.amdhsa_float_round_mode_32 0
		.amdhsa_float_round_mode_16_64 0
		.amdhsa_float_denorm_mode_32 3
		.amdhsa_float_denorm_mode_16_64 3
		.amdhsa_dx10_clamp 1
		.amdhsa_ieee_mode 1
		.amdhsa_fp16_overflow 0
		.amdhsa_tg_split 0
		.amdhsa_exception_fp_ieee_invalid_op 0
		.amdhsa_exception_fp_denorm_src 0
		.amdhsa_exception_fp_ieee_div_zero 0
		.amdhsa_exception_fp_ieee_overflow 0
		.amdhsa_exception_fp_ieee_underflow 0
		.amdhsa_exception_fp_ieee_inexact 0
		.amdhsa_exception_int_div_zero 0
	.end_amdhsa_kernel
	.section	.text._ZN12_GLOBAL__N_120softmax_warp_forwardIN3c108BFloat16EffLi11ELb1ELb0ELi32EEEvPT0_PKT_iiiPKbib,"axG",@progbits,_ZN12_GLOBAL__N_120softmax_warp_forwardIN3c108BFloat16EffLi11ELb1ELb0ELi32EEEvPT0_PKT_iiiPKbib,comdat
.Lfunc_end189:
	.size	_ZN12_GLOBAL__N_120softmax_warp_forwardIN3c108BFloat16EffLi11ELb1ELb0ELi32EEEvPT0_PKT_iiiPKbib, .Lfunc_end189-_ZN12_GLOBAL__N_120softmax_warp_forwardIN3c108BFloat16EffLi11ELb1ELb0ELi32EEEvPT0_PKT_iiiPKbib
                                        ; -- End function
	.section	.AMDGPU.csdata,"",@progbits
; Kernel info:
; codeLenInByte = 11788
; NumSgprs: 100
; NumVgprs: 80
; NumAgprs: 0
; TotalNumVgprs: 80
; ScratchSize: 0
; MemoryBound: 0
; FloatMode: 240
; IeeeMode: 1
; LDSByteSize: 0 bytes/workgroup (compile time only)
; SGPRBlocks: 12
; VGPRBlocks: 9
; NumSGPRsForWavesPerEU: 100
; NumVGPRsForWavesPerEU: 80
; AccumOffset: 80
; Occupancy: 6
; WaveLimiterHint : 0
; COMPUTE_PGM_RSRC2:SCRATCH_EN: 0
; COMPUTE_PGM_RSRC2:USER_SGPR: 6
; COMPUTE_PGM_RSRC2:TRAP_HANDLER: 0
; COMPUTE_PGM_RSRC2:TGID_X_EN: 1
; COMPUTE_PGM_RSRC2:TGID_Y_EN: 0
; COMPUTE_PGM_RSRC2:TGID_Z_EN: 0
; COMPUTE_PGM_RSRC2:TIDIG_COMP_CNT: 1
; COMPUTE_PGM_RSRC3_GFX90A:ACCUM_OFFSET: 19
; COMPUTE_PGM_RSRC3_GFX90A:TG_SPLIT: 0
	.section	.text._ZN2at6native12_GLOBAL__N_123cunn_SoftMaxForwardSmemILi8EN3c108BFloat16EffNS1_25LogSoftMaxForwardEpilogueElEEvPT2_PKT0_T4_,"axG",@progbits,_ZN2at6native12_GLOBAL__N_123cunn_SoftMaxForwardSmemILi8EN3c108BFloat16EffNS1_25LogSoftMaxForwardEpilogueElEEvPT2_PKT0_T4_,comdat
	.globl	_ZN2at6native12_GLOBAL__N_123cunn_SoftMaxForwardSmemILi8EN3c108BFloat16EffNS1_25LogSoftMaxForwardEpilogueElEEvPT2_PKT0_T4_ ; -- Begin function _ZN2at6native12_GLOBAL__N_123cunn_SoftMaxForwardSmemILi8EN3c108BFloat16EffNS1_25LogSoftMaxForwardEpilogueElEEvPT2_PKT0_T4_
	.p2align	8
	.type	_ZN2at6native12_GLOBAL__N_123cunn_SoftMaxForwardSmemILi8EN3c108BFloat16EffNS1_25LogSoftMaxForwardEpilogueElEEvPT2_PKT0_T4_,@function
_ZN2at6native12_GLOBAL__N_123cunn_SoftMaxForwardSmemILi8EN3c108BFloat16EffNS1_25LogSoftMaxForwardEpilogueElEEvPT2_PKT0_T4_: ; @_ZN2at6native12_GLOBAL__N_123cunn_SoftMaxForwardSmemILi8EN3c108BFloat16EffNS1_25LogSoftMaxForwardEpilogueElEEvPT2_PKT0_T4_
; %bb.0:
	s_load_dwordx4 s[24:27], s[4:5], 0x0
	s_load_dwordx2 s[28:29], s[4:5], 0x10
	v_mov_b32_e32 v1, 0
	v_lshlrev_b32_e32 v2, 3, v0
	v_mov_b32_e32 v3, v1
	s_mov_b32 s10, 0
	s_waitcnt lgkmcnt(0)
	v_cmp_gt_i64_e32 vcc, s[28:29], v[2:3]
	v_mov_b32_e32 v6, 0xff7fffff
	s_mul_i32 s33, s29, s6
	s_mul_hi_u32 s36, s28, s6
	s_mul_i32 s30, s28, s6
	s_and_saveexec_b64 s[2:3], vcc
	s_cbranch_execz .LBB190_4
; %bb.1:
	s_load_dword s6, s[4:5], 0x24
	s_add_i32 s31, s36, s33
	s_lshl_b64 s[0:1], s[30:31], 1
	v_lshlrev_b32_e32 v4, 4, v0
	v_add_u32_e32 v7, 0, v4
	s_waitcnt lgkmcnt(0)
	s_and_b32 s8, s6, 0xffff
	s_add_u32 s0, s26, s0
	s_addc_u32 s1, s27, s1
	v_mov_b32_e32 v2, s1
	v_add_co_u32_e64 v3, s[0:1], s0, v4
	v_addc_co_u32_e64 v5, s[0:1], 0, v2, s[0:1]
	v_add_co_u32_e64 v2, s[0:1], 8, v3
	v_addc_co_u32_e64 v3, s[0:1], 0, v5, s[0:1]
	s_lshl_b32 s9, s8, 4
	s_mov_b64 s[6:7], 0
	v_mov_b32_e32 v6, 0xff7fffff
	v_mov_b32_e32 v8, s10
	;; [unrolled: 1-line block ×3, first 2 shown]
	v_pk_mov_b32 v[4:5], v[0:1], v[0:1] op_sel:[0,1]
.LBB190_2:                              ; =>This Inner Loop Header: Depth=1
	global_load_dwordx4 v[10:13], v[2:3], off offset:-8
	v_add_co_u32_e64 v4, s[0:1], s8, v4
	v_addc_co_u32_e64 v5, s[0:1], v5, v8, s[0:1]
	v_add_co_u32_e64 v2, s[0:1], s9, v2
	v_addc_co_u32_e64 v3, s[0:1], v3, v9, s[0:1]
	v_lshlrev_b64 v[14:15], 3, v[4:5]
	v_cmp_le_i64_e64 s[0:1], s[28:29], v[14:15]
	s_or_b64 s[6:7], s[0:1], s[6:7]
	s_waitcnt vmcnt(0)
	ds_write_b128 v7, v[10:13]
	v_lshlrev_b32_e32 v14, 16, v10
	v_and_b32_e32 v10, 0xffff0000, v10
	v_lshlrev_b32_e32 v15, 16, v11
	v_and_b32_e32 v11, 0xffff0000, v11
	v_max3_f32 v6, v6, v14, v10
	v_lshlrev_b32_e32 v16, 16, v12
	v_and_b32_e32 v12, 0xffff0000, v12
	v_max3_f32 v6, v6, v15, v11
	;; [unrolled: 3-line block ×3, first 2 shown]
	v_add_u32_e32 v7, s9, v7
	v_max3_f32 v6, v6, v17, v13
	s_andn2_b64 exec, exec, s[6:7]
	s_cbranch_execnz .LBB190_2
; %bb.3:
	s_or_b64 exec, exec, s[6:7]
.LBB190_4:
	s_or_b64 exec, exec, s[2:3]
	v_mbcnt_lo_u32_b32 v2, -1, 0
	v_mbcnt_hi_u32_b32 v4, -1, v2
	v_and_b32_e32 v5, 63, v4
	v_cmp_gt_u32_e64 s[0:1], 32, v5
	v_cndmask_b32_e64 v2, 0, 1, s[0:1]
	v_lshlrev_b32_e32 v2, 5, v2
	v_add_lshl_u32 v7, v2, v4, 2
	ds_bpermute_b32 v2, v7, v6
	v_cmp_gt_u32_e64 s[0:1], 48, v5
	v_cndmask_b32_e64 v3, 0, 1, s[0:1]
	v_lshlrev_b32_e32 v3, 4, v3
	v_add_lshl_u32 v11, v3, v4, 2
	s_waitcnt lgkmcnt(0)
	v_cmp_lt_f32_e64 s[0:1], v6, v2
	v_cndmask_b32_e64 v2, v6, v2, s[0:1]
	ds_bpermute_b32 v3, v11, v2
	v_lshrrev_b32_e32 v16, 4, v0
	s_waitcnt lgkmcnt(0)
	s_barrier
	v_cmp_lt_f32_e64 s[0:1], v2, v3
	v_cndmask_b32_e64 v2, v2, v3, s[0:1]
	v_cmp_gt_u32_e64 s[0:1], 56, v5
	v_cndmask_b32_e64 v3, 0, 1, s[0:1]
	v_lshlrev_b32_e32 v3, 3, v3
	v_add_lshl_u32 v12, v3, v4, 2
	ds_bpermute_b32 v3, v12, v2
	s_waitcnt lgkmcnt(0)
	v_cmp_lt_f32_e64 s[0:1], v2, v3
	v_cndmask_b32_e64 v2, v2, v3, s[0:1]
	v_cmp_gt_u32_e64 s[0:1], 60, v5
	v_cndmask_b32_e64 v3, 0, 1, s[0:1]
	v_lshlrev_b32_e32 v3, 2, v3
	v_add_lshl_u32 v13, v3, v4, 2
	ds_bpermute_b32 v3, v13, v2
	s_waitcnt lgkmcnt(0)
	v_cmp_lt_f32_e64 s[0:1], v2, v3
	v_cndmask_b32_e64 v2, v2, v3, s[0:1]
	v_cmp_gt_u32_e64 s[0:1], 62, v5
	v_cndmask_b32_e64 v3, 0, 1, s[0:1]
	v_lshlrev_b32_e32 v3, 1, v3
	v_add_lshl_u32 v14, v3, v4, 2
	ds_bpermute_b32 v6, v14, v2
	s_lshl_b32 s0, s28, 1
	s_add_i32 s31, s0, 0
	v_and_b32_e32 v3, 63, v0
	s_waitcnt lgkmcnt(0)
	v_cmp_lt_f32_e64 s[0:1], v2, v6
	v_cndmask_b32_e64 v2, v2, v6, s[0:1]
	v_cmp_ne_u32_e64 s[0:1], 63, v5
	v_addc_co_u32_e64 v4, s[0:1], 0, v4, s[0:1]
	v_lshlrev_b32_e32 v15, 2, v4
	ds_bpermute_b32 v4, v15, v2
	v_cmp_eq_u32_e64 s[0:1], 0, v3
	s_and_saveexec_b64 s[6:7], s[0:1]
	s_cbranch_execz .LBB190_6
; %bb.5:
	s_waitcnt lgkmcnt(0)
	v_cmp_lt_f32_e64 s[2:3], v2, v4
	v_add_u32_e32 v5, s31, v16
	v_cndmask_b32_e64 v2, v2, v4, s[2:3]
	ds_write_b32 v5, v2
.LBB190_6:
	s_or_b64 exec, exec, s[6:7]
	s_waitcnt lgkmcnt(0)
	s_barrier
	s_load_dword s10, s[4:5], 0x24
	v_mov_b32_e32 v2, 0xff7fffff
	v_lshl_add_u32 v17, v3, 2, s31
	s_waitcnt lgkmcnt(0)
	s_bfe_u32 s2, s10, 0xa0006
	v_cmp_gt_u32_e64 s[2:3], s2, v0
	s_and_saveexec_b64 s[4:5], s[2:3]
	s_cbranch_execnz .LBB190_24
; %bb.7:
	s_or_b64 exec, exec, s[4:5]
	v_cmp_gt_u32_e64 s[4:5], 64, v0
	s_and_saveexec_b64 s[8:9], s[4:5]
	s_cbranch_execnz .LBB190_25
.LBB190_8:
	s_or_b64 exec, exec, s[8:9]
	v_cmp_eq_u32_e64 s[6:7], 0, v0
	s_and_saveexec_b64 s[8:9], s[6:7]
	s_cbranch_execz .LBB190_10
.LBB190_9:
	v_mov_b32_e32 v3, s31
	s_waitcnt lgkmcnt(0)
	ds_write_b32 v3, v2
.LBB190_10:
	s_or_b64 exec, exec, s[8:9]
	s_waitcnt lgkmcnt(0)
	v_mov_b32_e32 v2, s31
	s_barrier
	ds_read_b32 v6, v2
	s_and_b32 s37, s10, 0xffff
	v_mov_b32_e32 v18, 0
	v_lshl_add_u32 v10, v0, 4, 0
	s_and_saveexec_b64 s[26:27], vcc
	s_cbranch_execz .LBB190_14
; %bb.11:
	s_mov_b32 s8, 0
	v_lshl_add_u32 v19, v0, 4, 0
	s_lshl_b32 s38, s37, 4
	s_mov_b64 s[34:35], 0
	v_mov_b32_e32 v18, 0
	s_mov_b32 s39, 0x3fb8aa3b
	s_mov_b32 s40, 0xc2ce8ed0
	;; [unrolled: 1-line block ×3, first 2 shown]
	v_mov_b32_e32 v20, 0x7f800000
	v_mov_b32_e32 v21, s8
	v_pk_mov_b32 v[8:9], v[0:1], v[0:1] op_sel:[0,1]
.LBB190_12:                             ; =>This Inner Loop Header: Depth=1
	ds_read_b128 v[2:5], v19
	v_add_co_u32_e64 v8, s[8:9], s37, v8
	v_addc_co_u32_e64 v9, s[8:9], v9, v21, s[8:9]
	v_lshlrev_b64 v[22:23], 3, v[8:9]
	v_cmp_le_i64_e64 s[8:9], s[28:29], v[22:23]
	s_waitcnt lgkmcnt(0)
	v_lshlrev_b32_e32 v22, 16, v2
	v_and_b32_e32 v2, 0xffff0000, v2
	v_lshlrev_b32_e32 v23, 16, v3
	v_and_b32_e32 v3, 0xffff0000, v3
	v_lshlrev_b32_e32 v24, 16, v4
	v_and_b32_e32 v4, 0xffff0000, v4
	v_lshlrev_b32_e32 v25, 16, v5
	v_and_b32_e32 v5, 0xffff0000, v5
	v_sub_f32_e32 v22, v22, v6
	v_sub_f32_e32 v2, v2, v6
	;; [unrolled: 1-line block ×8, first 2 shown]
	v_mul_f32_e32 v26, 0x3fb8aa3b, v22
	v_mul_f32_e32 v27, 0x3fb8aa3b, v2
	;; [unrolled: 1-line block ×8, first 2 shown]
	v_fma_f32 v34, v22, s39, -v26
	v_rndne_f32_e32 v35, v26
	v_fma_f32 v36, v2, s39, -v27
	v_rndne_f32_e32 v37, v27
	;; [unrolled: 2-line block ×8, first 2 shown]
	v_fmac_f32_e32 v34, 0x32a5705f, v22
	v_sub_f32_e32 v26, v26, v35
	v_fmac_f32_e32 v36, 0x32a5705f, v2
	v_sub_f32_e32 v27, v27, v37
	;; [unrolled: 2-line block ×8, first 2 shown]
	v_add_f32_e32 v26, v26, v34
	v_cvt_i32_f32_e32 v35, v35
	v_add_f32_e32 v27, v27, v36
	v_add_f32_e32 v28, v28, v38
	v_add_f32_e32 v29, v29, v40
	v_add_f32_e32 v30, v30, v42
	v_add_f32_e32 v31, v31, v44
	v_add_f32_e32 v32, v32, v46
	v_add_f32_e32 v33, v33, v48
	v_exp_f32_e32 v26, v26
	v_cvt_i32_f32_e32 v37, v37
	v_cvt_i32_f32_e32 v39, v39
	;; [unrolled: 1-line block ×7, first 2 shown]
	v_exp_f32_e32 v27, v27
	v_exp_f32_e32 v28, v28
	;; [unrolled: 1-line block ×7, first 2 shown]
	v_ldexp_f32 v26, v26, v35
	v_cmp_ngt_f32_e64 s[22:23], s40, v22
	s_or_b64 s[34:35], s[8:9], s[34:35]
	v_ldexp_f32 v27, v27, v37
	v_cmp_ngt_f32_e64 s[8:9], s40, v2
	v_ldexp_f32 v28, v28, v39
	v_cmp_ngt_f32_e64 s[10:11], s40, v23
	;; [unrolled: 2-line block ×7, first 2 shown]
	v_cndmask_b32_e64 v26, 0, v26, s[22:23]
	v_cmp_nlt_f32_e64 s[22:23], s41, v22
	v_cndmask_b32_e64 v27, 0, v27, s[8:9]
	v_cmp_nlt_f32_e64 s[8:9], s41, v2
	;; [unrolled: 2-line block ×8, first 2 shown]
	v_cndmask_b32_e64 v5, v20, v26, s[22:23]
	v_cndmask_b32_e64 v22, v20, v27, s[8:9]
	v_add_f32_e32 v5, v18, v5
	v_cndmask_b32_e64 v2, v20, v2, s[10:11]
	v_add_f32_e32 v5, v5, v22
	;; [unrolled: 2-line block ×7, first 2 shown]
	v_add_u32_e32 v19, s38, v19
	v_add_f32_e32 v18, v2, v25
	s_andn2_b64 exec, exec, s[34:35]
	s_cbranch_execnz .LBB190_12
; %bb.13:
	s_or_b64 exec, exec, s[34:35]
.LBB190_14:
	s_or_b64 exec, exec, s[26:27]
	ds_bpermute_b32 v2, v7, v18
	s_waitcnt lgkmcnt(0)
	s_barrier
	v_add_f32_e32 v2, v18, v2
	ds_bpermute_b32 v3, v11, v2
	s_waitcnt lgkmcnt(0)
	v_add_f32_e32 v2, v2, v3
	ds_bpermute_b32 v3, v12, v2
	s_waitcnt lgkmcnt(0)
	;; [unrolled: 3-line block ×4, first 2 shown]
	v_add_f32_e32 v2, v2, v3
	ds_bpermute_b32 v3, v15, v2
	s_and_saveexec_b64 s[8:9], s[0:1]
	s_cbranch_execz .LBB190_16
; %bb.15:
	v_add_u32_e32 v4, s31, v16
	s_waitcnt lgkmcnt(0)
	v_add_f32_e32 v2, v2, v3
	ds_write_b32 v4, v2
.LBB190_16:
	s_or_b64 exec, exec, s[8:9]
	v_mov_b32_e32 v2, 0
	s_waitcnt lgkmcnt(0)
	s_barrier
	s_and_saveexec_b64 s[0:1], s[2:3]
	s_cbranch_execnz .LBB190_26
; %bb.17:
	s_or_b64 exec, exec, s[0:1]
	s_and_saveexec_b64 s[0:1], s[4:5]
	s_cbranch_execnz .LBB190_27
.LBB190_18:
	s_or_b64 exec, exec, s[0:1]
	s_and_saveexec_b64 s[0:1], s[6:7]
	s_cbranch_execz .LBB190_20
.LBB190_19:
	v_mov_b32_e32 v3, s31
	s_waitcnt lgkmcnt(0)
	ds_write_b32 v3, v2
.LBB190_20:
	s_or_b64 exec, exec, s[0:1]
	s_waitcnt lgkmcnt(0)
	s_barrier
	s_and_saveexec_b64 s[0:1], vcc
	s_cbranch_execz .LBB190_23
; %bb.21:
	v_mov_b32_e32 v2, s31
	ds_read_b32 v2, v2
	s_mov_b32 s0, 0x800000
	v_mov_b32_e32 v3, 0x4f800000
	s_mov_b32 s1, 0x7f800000
	s_add_i32 s31, s36, s33
	s_waitcnt lgkmcnt(0)
	v_cmp_gt_f32_e32 vcc, s0, v2
	v_cndmask_b32_e32 v3, 1.0, v3, vcc
	v_mul_f32_e32 v2, v2, v3
	v_log_f32_e32 v2, v2
	s_mov_b32 s0, 0x3f317217
	s_lshl_b32 s2, s37, 4
	s_mov_b32 s4, 0
	v_mul_f32_e32 v3, 0x3f317217, v2
	v_fma_f32 v4, v2, s0, -v3
	v_fmac_f32_e32 v4, 0x3377d1cf, v2
	v_add_f32_e32 v3, v3, v4
	v_cmp_lt_f32_e64 s[0:1], |v2|, s1
	v_cndmask_b32_e64 v2, v2, v3, s[0:1]
	s_lshl_b64 s[0:1], s[30:31], 2
	s_add_u32 s0, s24, s0
	v_mov_b32_e32 v3, 0x41b17218
	v_lshlrev_b32_e32 v4, 5, v0
	s_addc_u32 s1, s25, s1
	v_cndmask_b32_e32 v3, 0, v3, vcc
	v_mov_b32_e32 v5, s1
	v_add_co_u32_e32 v4, vcc, s0, v4
	v_addc_co_u32_e32 v5, vcc, 0, v5, vcc
	v_sub_f32_e32 v2, v2, v3
	v_add_co_u32_e32 v4, vcc, 16, v4
	v_mov_b32_e32 v7, v6
	v_mov_b32_e32 v3, v2
	v_addc_co_u32_e32 v5, vcc, 0, v5, vcc
	s_lshl_b32 s3, s37, 5
	s_mov_b64 s[0:1], 0
	v_mov_b32_e32 v8, s4
	v_mov_b32_e32 v9, s4
.LBB190_22:                             ; =>This Inner Loop Header: Depth=1
	ds_read_b128 v[12:15], v10
	v_add_co_u32_e32 v0, vcc, s37, v0
	v_addc_co_u32_e32 v1, vcc, v1, v8, vcc
	v_lshlrev_b64 v[16:17], 3, v[0:1]
	v_cmp_le_i64_e32 vcc, s[28:29], v[16:17]
	s_waitcnt lgkmcnt(0)
	v_and_b32_e32 v17, 0xffff0000, v12
	v_lshlrev_b32_e32 v16, 16, v12
	v_and_b32_e32 v19, 0xffff0000, v13
	v_lshlrev_b32_e32 v18, 16, v13
	;; [unrolled: 2-line block ×4, first 2 shown]
	v_pk_add_f32 v[14:15], v[16:17], v[6:7] neg_lo:[0,1] neg_hi:[0,1]
	v_pk_add_f32 v[16:17], v[18:19], v[6:7] neg_lo:[0,1] neg_hi:[0,1]
	;; [unrolled: 1-line block ×6, first 2 shown]
	s_or_b64 s[0:1], vcc, s[0:1]
	v_pk_add_f32 v[16:17], v[18:19], v[2:3] neg_lo:[0,1] neg_hi:[0,1]
	v_pk_add_f32 v[18:19], v[20:21], v[2:3] neg_lo:[0,1] neg_hi:[0,1]
	global_store_dwordx4 v[4:5], v[12:15], off offset:-16
	global_store_dwordx4 v[4:5], v[16:19], off
	v_add_co_u32_e32 v4, vcc, s3, v4
	v_add_u32_e32 v10, s2, v10
	v_addc_co_u32_e32 v5, vcc, v5, v9, vcc
	s_andn2_b64 exec, exec, s[0:1]
	s_cbranch_execnz .LBB190_22
.LBB190_23:
	s_endpgm
.LBB190_24:
	ds_read_b32 v2, v17
	s_or_b64 exec, exec, s[4:5]
	v_cmp_gt_u32_e64 s[4:5], 64, v0
	s_and_saveexec_b64 s[8:9], s[4:5]
	s_cbranch_execz .LBB190_8
.LBB190_25:
	s_waitcnt lgkmcnt(0)
	ds_bpermute_b32 v3, v7, v2
	s_waitcnt lgkmcnt(0)
	v_cmp_lt_f32_e64 s[6:7], v2, v3
	v_cndmask_b32_e64 v2, v2, v3, s[6:7]
	ds_bpermute_b32 v3, v11, v2
	s_waitcnt lgkmcnt(0)
	v_cmp_lt_f32_e64 s[6:7], v2, v3
	v_cndmask_b32_e64 v2, v2, v3, s[6:7]
	;; [unrolled: 4-line block ×6, first 2 shown]
	s_or_b64 exec, exec, s[8:9]
	v_cmp_eq_u32_e64 s[6:7], 0, v0
	s_and_saveexec_b64 s[8:9], s[6:7]
	s_cbranch_execnz .LBB190_9
	s_branch .LBB190_10
.LBB190_26:
	ds_read_b32 v2, v17
	s_or_b64 exec, exec, s[0:1]
	s_and_saveexec_b64 s[0:1], s[4:5]
	s_cbranch_execz .LBB190_18
.LBB190_27:
	s_waitcnt lgkmcnt(0)
	ds_bpermute_b32 v3, v7, v2
	s_waitcnt lgkmcnt(0)
	v_add_f32_e32 v2, v2, v3
	ds_bpermute_b32 v3, v11, v2
	s_waitcnt lgkmcnt(0)
	v_add_f32_e32 v2, v2, v3
	;; [unrolled: 3-line block ×6, first 2 shown]
	s_or_b64 exec, exec, s[0:1]
	s_and_saveexec_b64 s[0:1], s[6:7]
	s_cbranch_execnz .LBB190_19
	s_branch .LBB190_20
	.section	.rodata,"a",@progbits
	.p2align	6, 0x0
	.amdhsa_kernel _ZN2at6native12_GLOBAL__N_123cunn_SoftMaxForwardSmemILi8EN3c108BFloat16EffNS1_25LogSoftMaxForwardEpilogueElEEvPT2_PKT0_T4_
		.amdhsa_group_segment_fixed_size 0
		.amdhsa_private_segment_fixed_size 0
		.amdhsa_kernarg_size 280
		.amdhsa_user_sgpr_count 6
		.amdhsa_user_sgpr_private_segment_buffer 1
		.amdhsa_user_sgpr_dispatch_ptr 0
		.amdhsa_user_sgpr_queue_ptr 0
		.amdhsa_user_sgpr_kernarg_segment_ptr 1
		.amdhsa_user_sgpr_dispatch_id 0
		.amdhsa_user_sgpr_flat_scratch_init 0
		.amdhsa_user_sgpr_kernarg_preload_length 0
		.amdhsa_user_sgpr_kernarg_preload_offset 0
		.amdhsa_user_sgpr_private_segment_size 0
		.amdhsa_uses_dynamic_stack 0
		.amdhsa_system_sgpr_private_segment_wavefront_offset 0
		.amdhsa_system_sgpr_workgroup_id_x 1
		.amdhsa_system_sgpr_workgroup_id_y 0
		.amdhsa_system_sgpr_workgroup_id_z 0
		.amdhsa_system_sgpr_workgroup_info 0
		.amdhsa_system_vgpr_workitem_id 0
		.amdhsa_next_free_vgpr 50
		.amdhsa_next_free_sgpr 42
		.amdhsa_accum_offset 52
		.amdhsa_reserve_vcc 1
		.amdhsa_reserve_flat_scratch 0
		.amdhsa_float_round_mode_32 0
		.amdhsa_float_round_mode_16_64 0
		.amdhsa_float_denorm_mode_32 3
		.amdhsa_float_denorm_mode_16_64 3
		.amdhsa_dx10_clamp 1
		.amdhsa_ieee_mode 1
		.amdhsa_fp16_overflow 0
		.amdhsa_tg_split 0
		.amdhsa_exception_fp_ieee_invalid_op 0
		.amdhsa_exception_fp_denorm_src 0
		.amdhsa_exception_fp_ieee_div_zero 0
		.amdhsa_exception_fp_ieee_overflow 0
		.amdhsa_exception_fp_ieee_underflow 0
		.amdhsa_exception_fp_ieee_inexact 0
		.amdhsa_exception_int_div_zero 0
	.end_amdhsa_kernel
	.section	.text._ZN2at6native12_GLOBAL__N_123cunn_SoftMaxForwardSmemILi8EN3c108BFloat16EffNS1_25LogSoftMaxForwardEpilogueElEEvPT2_PKT0_T4_,"axG",@progbits,_ZN2at6native12_GLOBAL__N_123cunn_SoftMaxForwardSmemILi8EN3c108BFloat16EffNS1_25LogSoftMaxForwardEpilogueElEEvPT2_PKT0_T4_,comdat
.Lfunc_end190:
	.size	_ZN2at6native12_GLOBAL__N_123cunn_SoftMaxForwardSmemILi8EN3c108BFloat16EffNS1_25LogSoftMaxForwardEpilogueElEEvPT2_PKT0_T4_, .Lfunc_end190-_ZN2at6native12_GLOBAL__N_123cunn_SoftMaxForwardSmemILi8EN3c108BFloat16EffNS1_25LogSoftMaxForwardEpilogueElEEvPT2_PKT0_T4_
                                        ; -- End function
	.section	.AMDGPU.csdata,"",@progbits
; Kernel info:
; codeLenInByte = 2788
; NumSgprs: 46
; NumVgprs: 50
; NumAgprs: 0
; TotalNumVgprs: 50
; ScratchSize: 0
; MemoryBound: 0
; FloatMode: 240
; IeeeMode: 1
; LDSByteSize: 0 bytes/workgroup (compile time only)
; SGPRBlocks: 5
; VGPRBlocks: 6
; NumSGPRsForWavesPerEU: 46
; NumVGPRsForWavesPerEU: 50
; AccumOffset: 52
; Occupancy: 8
; WaveLimiterHint : 0
; COMPUTE_PGM_RSRC2:SCRATCH_EN: 0
; COMPUTE_PGM_RSRC2:USER_SGPR: 6
; COMPUTE_PGM_RSRC2:TRAP_HANDLER: 0
; COMPUTE_PGM_RSRC2:TGID_X_EN: 1
; COMPUTE_PGM_RSRC2:TGID_Y_EN: 0
; COMPUTE_PGM_RSRC2:TGID_Z_EN: 0
; COMPUTE_PGM_RSRC2:TIDIG_COMP_CNT: 0
; COMPUTE_PGM_RSRC3_GFX90A:ACCUM_OFFSET: 12
; COMPUTE_PGM_RSRC3_GFX90A:TG_SPLIT: 0
	.section	.text._ZN2at6native12_GLOBAL__N_119cunn_SoftMaxForwardILi8EN3c108BFloat16EffNS1_25LogSoftMaxForwardEpilogueEEEvPT2_PKT0_i,"axG",@progbits,_ZN2at6native12_GLOBAL__N_119cunn_SoftMaxForwardILi8EN3c108BFloat16EffNS1_25LogSoftMaxForwardEpilogueEEEvPT2_PKT0_i,comdat
	.globl	_ZN2at6native12_GLOBAL__N_119cunn_SoftMaxForwardILi8EN3c108BFloat16EffNS1_25LogSoftMaxForwardEpilogueEEEvPT2_PKT0_i ; -- Begin function _ZN2at6native12_GLOBAL__N_119cunn_SoftMaxForwardILi8EN3c108BFloat16EffNS1_25LogSoftMaxForwardEpilogueEEEvPT2_PKT0_i
	.p2align	8
	.type	_ZN2at6native12_GLOBAL__N_119cunn_SoftMaxForwardILi8EN3c108BFloat16EffNS1_25LogSoftMaxForwardEpilogueEEEvPT2_PKT0_i,@function
_ZN2at6native12_GLOBAL__N_119cunn_SoftMaxForwardILi8EN3c108BFloat16EffNS1_25LogSoftMaxForwardEpilogueEEEvPT2_PKT0_i: ; @_ZN2at6native12_GLOBAL__N_119cunn_SoftMaxForwardILi8EN3c108BFloat16EffNS1_25LogSoftMaxForwardEpilogueEEEvPT2_PKT0_i
; %bb.0:
	s_load_dword s33, s[4:5], 0x10
	s_load_dwordx4 s[24:27], s[4:5], 0x0
	s_mov_b32 s29, 0
	s_waitcnt lgkmcnt(0)
	s_ashr_i32 s0, s33, 31
	s_mul_hi_u32 s1, s33, s6
	s_mul_i32 s0, s0, s6
	s_add_i32 s31, s1, s0
	s_mul_i32 s30, s33, s6
	s_lshl_b64 s[0:1], s[30:31], 1
	s_add_u32 s26, s26, s0
	s_addc_u32 s27, s27, s1
	s_bfe_u32 s28, s26, 0x30001
	s_cmp_lg_u32 s28, 0
	s_cselect_b64 s[12:13], -1, 0
	s_and_b64 vcc, exec, s[12:13]
	s_cbranch_vccz .LBB191_25
; %bb.1:
	s_lshl_b64 s[0:1], s[28:29], 1
	s_sub_u32 s8, s26, s0
	s_subb_u32 s9, s27, s1
	s_add_i32 s7, s28, s33
	v_cmp_le_u32_e32 vcc, s28, v0
	v_cmp_gt_i32_e64 s[0:1], s7, v0
	s_and_b64 s[2:3], vcc, s[0:1]
	v_mov_b32_e32 v4, 0xff7fffff
	s_and_saveexec_b64 s[0:1], s[2:3]
	s_cbranch_execz .LBB191_3
; %bb.2:
	v_lshlrev_b32_e32 v1, 1, v0
	global_load_ushort v1, v1, s[8:9]
	s_waitcnt vmcnt(0)
	v_lshlrev_b32_e32 v1, 16, v1
	v_max_f32_e32 v1, v1, v1
	v_max_f32_e32 v4, 0xff7fffff, v1
.LBB191_3:
	s_or_b64 exec, exec, s[0:1]
	s_load_dword s0, s[4:5], 0x24
	s_add_u32 s2, s4, 24
	s_addc_u32 s3, s5, 0
	s_waitcnt lgkmcnt(0)
	s_and_b32 s0, s0, 0xffff
	v_mov_b32_e32 v1, s0
	s_lshl_b32 s0, s0, 1
	v_sub_u32_e64 v1, s7, v1 clamp
	s_add_u32 s0, s8, s0
	v_readfirstlane_b32 s7, v1
	s_addc_u32 s1, s9, 0
	s_branch .LBB191_5
.LBB191_4:
	s_add_u32 s2, s4, 24
	s_addc_u32 s3, s5, 0
	v_mov_b32_e32 v4, 0xff7fffff
	s_mov_b32 s7, s33
	s_mov_b64 s[0:1], s[26:27]
.LBB191_5:
	s_load_dword s8, s[2:3], 0x0
	v_mov_b32_e32 v1, 0
	s_waitcnt lgkmcnt(0)
	s_cmp_lt_u32 s6, s8
	s_cselect_b32 s8, 12, 18
	s_add_u32 s2, s2, s8
	s_addc_u32 s3, s3, 0
	global_load_ushort v5, v1, s[2:3]
	s_waitcnt vmcnt(0)
	v_readfirstlane_b32 s2, v5
	s_lshl_b32 s2, s2, 3
	v_cvt_f32_u32_e32 v1, s2
	s_sub_i32 s3, 0, s2
	v_rcp_iflag_f32_e32 v1, v1
	v_mul_f32_e32 v1, 0x4f7ffffe, v1
	v_cvt_u32_f32_e32 v1, v1
	v_readfirstlane_b32 s8, v1
	s_mul_i32 s3, s3, s8
	s_mul_hi_u32 s3, s8, s3
	s_add_i32 s8, s8, s3
	s_mul_hi_u32 s3, s7, s8
	s_mul_i32 s3, s3, s2
	s_sub_i32 s3, s7, s3
	s_sub_i32 s8, s3, s2
	s_cmp_ge_u32 s3, s2
	s_cselect_b32 s3, s8, s3
	s_sub_i32 s8, s3, s2
	s_cmp_ge_u32 s3, s2
	s_cselect_b32 s2, s8, s3
	s_sub_i32 s10, s7, s2
	v_lshlrev_b32_e32 v1, 3, v0
	v_cmp_gt_i32_e32 vcc, s10, v1
	s_and_saveexec_b64 s[2:3], vcc
	s_cbranch_execz .LBB191_9
; %bb.6:
	s_mov_b64 s[8:9], 0
	v_mov_b32_e32 v6, s1
	v_mov_b32_e32 v2, v0
.LBB191_7:                              ; =>This Inner Loop Header: Depth=1
	v_ashrrev_i32_e32 v3, 31, v2
	v_lshlrev_b64 v[8:9], 4, v[2:3]
	v_add_co_u32_e32 v8, vcc, s0, v8
	v_addc_co_u32_e32 v9, vcc, v6, v9, vcc
	global_load_dwordx4 v[8:11], v[8:9], off
	v_add_u32_e32 v2, v2, v5
	v_lshlrev_b32_e32 v3, 3, v2
	v_cmp_le_i32_e32 vcc, s10, v3
	s_or_b64 s[8:9], vcc, s[8:9]
	s_waitcnt vmcnt(0)
	v_lshlrev_b32_e32 v3, 16, v8
	v_and_b32_e32 v7, 0xffff0000, v8
	v_lshlrev_b32_e32 v8, 16, v9
	v_and_b32_e32 v9, 0xffff0000, v9
	v_max3_f32 v3, v4, v3, v7
	v_lshlrev_b32_e32 v12, 16, v10
	v_and_b32_e32 v10, 0xffff0000, v10
	v_max3_f32 v3, v3, v8, v9
	;; [unrolled: 3-line block ×3, first 2 shown]
	v_max3_f32 v4, v3, v13, v11
	s_andn2_b64 exec, exec, s[8:9]
	s_cbranch_execnz .LBB191_7
; %bb.8:
	s_or_b64 exec, exec, s[8:9]
.LBB191_9:
	s_or_b64 exec, exec, s[2:3]
	v_add_u32_e32 v2, s10, v0
	v_cmp_gt_i32_e32 vcc, s7, v2
	s_and_saveexec_b64 s[2:3], vcc
	s_cbranch_execz .LBB191_13
; %bb.10:
	s_mov_b64 s[8:9], 0
	v_mov_b32_e32 v6, s1
.LBB191_11:                             ; =>This Inner Loop Header: Depth=1
	v_ashrrev_i32_e32 v3, 31, v2
	v_lshlrev_b64 v[8:9], 1, v[2:3]
	v_add_co_u32_e32 v8, vcc, s0, v8
	v_addc_co_u32_e32 v9, vcc, v6, v9, vcc
	global_load_ushort v3, v[8:9], off
	v_add_u32_e32 v2, v2, v5
	v_max_f32_e32 v4, v4, v4
	v_cmp_le_i32_e32 vcc, s7, v2
	s_or_b64 s[8:9], vcc, s[8:9]
	s_waitcnt vmcnt(0)
	v_lshlrev_b32_e32 v3, 16, v3
	v_max_f32_e32 v3, v3, v3
	v_max_f32_e32 v4, v4, v3
	s_andn2_b64 exec, exec, s[8:9]
	s_cbranch_execnz .LBB191_11
; %bb.12:
	s_or_b64 exec, exec, s[8:9]
.LBB191_13:
	s_or_b64 exec, exec, s[2:3]
	v_mbcnt_lo_u32_b32 v2, -1, 0
	v_mbcnt_hi_u32_b32 v5, -1, v2
	v_and_b32_e32 v6, 63, v5
	v_cmp_gt_u32_e32 vcc, 32, v6
	v_cndmask_b32_e64 v2, 0, 1, vcc
	v_lshlrev_b32_e32 v2, 5, v2
	v_add_lshl_u32 v3, v2, v5, 2
	ds_bpermute_b32 v2, v3, v4
	v_cmp_gt_u32_e32 vcc, 48, v6
	v_cndmask_b32_e64 v7, 0, 1, vcc
	v_lshrrev_b32_e32 v14, 4, v0
	s_waitcnt lgkmcnt(0)
	v_cmp_lt_f32_e32 vcc, v4, v2
	v_cndmask_b32_e32 v2, v4, v2, vcc
	v_lshlrev_b32_e32 v4, 4, v7
	v_add_lshl_u32 v9, v4, v5, 2
	ds_bpermute_b32 v4, v9, v2
	s_barrier
	s_waitcnt lgkmcnt(0)
	v_cmp_lt_f32_e32 vcc, v2, v4
	v_cndmask_b32_e32 v2, v2, v4, vcc
	v_cmp_gt_u32_e32 vcc, 56, v6
	v_cndmask_b32_e64 v4, 0, 1, vcc
	v_lshlrev_b32_e32 v4, 3, v4
	v_add_lshl_u32 v10, v4, v5, 2
	ds_bpermute_b32 v4, v10, v2
	s_waitcnt lgkmcnt(0)
	v_cmp_lt_f32_e32 vcc, v2, v4
	v_cndmask_b32_e32 v2, v2, v4, vcc
	v_cmp_gt_u32_e32 vcc, 60, v6
	v_cndmask_b32_e64 v4, 0, 1, vcc
	v_lshlrev_b32_e32 v4, 2, v4
	v_add_lshl_u32 v11, v4, v5, 2
	ds_bpermute_b32 v4, v11, v2
	;; [unrolled: 8-line block ×3, first 2 shown]
	v_and_b32_e32 v4, 63, v0
	v_cmp_eq_u32_e64 s[2:3], 0, v4
	s_waitcnt lgkmcnt(0)
	v_cmp_lt_f32_e32 vcc, v2, v7
	v_cndmask_b32_e32 v2, v2, v7, vcc
	v_cmp_ne_u32_e32 vcc, 63, v6
	v_addc_co_u32_e32 v5, vcc, 0, v5, vcc
	v_lshlrev_b32_e32 v13, 2, v5
	ds_bpermute_b32 v5, v13, v2
	s_and_saveexec_b64 s[0:1], s[2:3]
	s_cbranch_execz .LBB191_15
; %bb.14:
	s_waitcnt lgkmcnt(0)
	v_cmp_lt_f32_e32 vcc, v2, v5
	v_add_u32_e32 v6, 0, v14
	v_cndmask_b32_e32 v2, v2, v5, vcc
	ds_write_b32 v6, v2
.LBB191_15:
	s_or_b64 exec, exec, s[0:1]
	s_waitcnt lgkmcnt(0)
	s_barrier
	s_load_dword s7, s[4:5], 0x24
	s_add_u32 s14, s4, 24
	s_addc_u32 s15, s5, 0
	v_mov_b32_e32 v2, 0xff7fffff
	v_lshl_add_u32 v15, v4, 2, 0
	s_waitcnt lgkmcnt(0)
	s_bfe_u32 s0, s7, 0xa0006
	v_cmp_gt_u32_e64 s[4:5], s0, v0
	s_and_saveexec_b64 s[0:1], s[4:5]
	s_cbranch_execnz .LBB191_23
; %bb.16:
	s_or_b64 exec, exec, s[0:1]
	v_cmp_gt_u32_e64 s[10:11], 64, v0
	s_and_saveexec_b64 s[0:1], s[10:11]
	s_cbranch_execnz .LBB191_24
.LBB191_17:
	s_or_b64 exec, exec, s[0:1]
	v_cmp_eq_u32_e64 s[8:9], 0, v0
	s_and_saveexec_b64 s[0:1], s[8:9]
	s_cbranch_execz .LBB191_19
.LBB191_18:
	v_mov_b32_e32 v4, 0
	s_waitcnt lgkmcnt(0)
	ds_write_b32 v4, v2
.LBB191_19:
	s_or_b64 exec, exec, s[0:1]
	v_mov_b32_e32 v16, 0
	s_waitcnt lgkmcnt(0)
	s_barrier
	ds_read_b32 v2, v16
	v_cndmask_b32_e64 v4, 0, 1, s[12:13]
	s_and_b32 s40, s7, 0xffff
	v_cmp_ne_u32_e64 s[0:1], 1, v4
	s_andn2_b64 vcc, exec, s[12:13]
	s_mov_b32 s29, 0
	s_cbranch_vccnz .LBB191_26
; %bb.20:
	s_lshl_b64 s[12:13], s[28:29], 1
	s_sub_u32 s16, s26, s12
	s_subb_u32 s17, s27, s13
	s_add_i32 s7, s28, s33
	v_cmp_le_u32_e32 vcc, s28, v0
	v_cmp_gt_i32_e64 s[12:13], s7, v0
	s_and_b64 s[18:19], vcc, s[12:13]
	v_mov_b32_e32 v16, 0
	s_and_saveexec_b64 s[12:13], s[18:19]
	s_cbranch_execz .LBB191_22
; %bb.21:
	v_lshlrev_b32_e32 v4, 1, v0
	global_load_ushort v4, v4, s[16:17]
	s_mov_b32 s18, 0x3fb8aa3b
	s_mov_b32 s19, 0x42b17218
	s_waitcnt vmcnt(0)
	v_lshlrev_b32_e32 v4, 16, v4
	s_waitcnt lgkmcnt(0)
	v_sub_f32_e32 v4, v4, v2
	v_mul_f32_e32 v5, 0x3fb8aa3b, v4
	v_fma_f32 v6, v4, s18, -v5
	v_rndne_f32_e32 v7, v5
	v_fmac_f32_e32 v6, 0x32a5705f, v4
	v_sub_f32_e32 v5, v5, v7
	v_add_f32_e32 v5, v5, v6
	v_cvt_i32_f32_e32 v7, v7
	v_exp_f32_e32 v5, v5
	s_mov_b32 s18, 0xc2ce8ed0
	v_cmp_ngt_f32_e32 vcc, s18, v4
	v_mov_b32_e32 v6, 0x7f800000
	v_ldexp_f32 v5, v5, v7
	v_cndmask_b32_e32 v5, 0, v5, vcc
	v_cmp_nlt_f32_e32 vcc, s19, v4
	v_cndmask_b32_e32 v16, v6, v5, vcc
.LBB191_22:
	s_or_b64 exec, exec, s[12:13]
	v_mov_b32_e32 v4, s40
	v_sub_u32_e64 v4, s7, v4 clamp
	s_lshl_b32 s7, s40, 1
	s_add_u32 s34, s16, s7
	v_readfirstlane_b32 s29, v4
	s_addc_u32 s35, s17, 0
	s_branch .LBB191_27
.LBB191_23:
	ds_read_b32 v2, v15
	s_or_b64 exec, exec, s[0:1]
	v_cmp_gt_u32_e64 s[10:11], 64, v0
	s_and_saveexec_b64 s[0:1], s[10:11]
	s_cbranch_execz .LBB191_17
.LBB191_24:
	s_waitcnt lgkmcnt(0)
	ds_bpermute_b32 v4, v3, v2
	s_waitcnt lgkmcnt(0)
	v_cmp_lt_f32_e32 vcc, v2, v4
	v_cndmask_b32_e32 v2, v2, v4, vcc
	ds_bpermute_b32 v4, v9, v2
	s_waitcnt lgkmcnt(0)
	v_cmp_lt_f32_e32 vcc, v2, v4
	v_cndmask_b32_e32 v2, v2, v4, vcc
	;; [unrolled: 4-line block ×6, first 2 shown]
	s_or_b64 exec, exec, s[0:1]
	v_cmp_eq_u32_e64 s[8:9], 0, v0
	s_and_saveexec_b64 s[0:1], s[8:9]
	s_cbranch_execnz .LBB191_18
	s_branch .LBB191_19
.LBB191_25:
                                        ; implicit-def: $sgpr0_sgpr1
                                        ; implicit-def: $sgpr7
                                        ; implicit-def: $vgpr4
                                        ; implicit-def: $sgpr2_sgpr3
	s_cbranch_execnz .LBB191_4
	s_branch .LBB191_5
.LBB191_26:
	s_mov_b64 s[34:35], s[26:27]
	s_mov_b32 s29, s33
.LBB191_27:
	s_load_dword s7, s[14:15], 0x0
	v_mov_b32_e32 v4, 0
	s_waitcnt lgkmcnt(0)
	s_cmp_lt_u32 s6, s7
	s_cselect_b32 s6, 12, 18
	s_add_u32 s6, s14, s6
	s_addc_u32 s7, s15, 0
	global_load_ushort v8, v4, s[6:7]
	s_waitcnt vmcnt(0)
	v_readfirstlane_b32 s6, v8
	s_lshl_b32 s41, s6, 3
	v_cvt_f32_u32_e32 v4, s41
	s_sub_i32 s6, 0, s41
	v_rcp_iflag_f32_e32 v4, v4
	v_mul_f32_e32 v4, 0x4f7ffffe, v4
	v_cvt_u32_f32_e32 v4, v4
	v_readfirstlane_b32 s42, v4
	s_mul_i32 s6, s6, s42
	s_mul_hi_u32 s6, s42, s6
	s_add_i32 s42, s42, s6
	s_mul_hi_u32 s6, s29, s42
	s_mul_i32 s6, s6, s41
	s_sub_i32 s6, s29, s6
	s_sub_i32 s7, s6, s41
	s_cmp_ge_u32 s6, s41
	s_cselect_b32 s6, s7, s6
	s_sub_i32 s7, s6, s41
	s_cmp_ge_u32 s6, s41
	s_cselect_b32 s6, s7, s6
	s_sub_i32 s43, s29, s6
	v_cmp_gt_i32_e32 vcc, s43, v1
	s_and_saveexec_b64 s[36:37], vcc
	s_cbranch_execz .LBB191_31
; %bb.28:
	s_mov_b64 s[38:39], 0
	v_mov_b32_e32 v17, s35
	s_mov_b32 s44, 0x3fb8aa3b
	s_mov_b32 s45, 0xc2ce8ed0
	;; [unrolled: 1-line block ×3, first 2 shown]
	v_mov_b32_e32 v18, 0x7f800000
	v_mov_b32_e32 v4, v0
.LBB191_29:                             ; =>This Inner Loop Header: Depth=1
	v_ashrrev_i32_e32 v5, 31, v4
	v_lshlrev_b64 v[6:7], 4, v[4:5]
	v_add_co_u32_e32 v6, vcc, s34, v6
	v_addc_co_u32_e32 v7, vcc, v17, v7, vcc
	global_load_dwordx4 v[20:23], v[6:7], off
	v_add_u32_e32 v4, v4, v8
	v_lshlrev_b32_e32 v5, 3, v4
	v_cmp_le_i32_e32 vcc, s43, v5
	s_or_b64 s[38:39], vcc, s[38:39]
	s_waitcnt vmcnt(0)
	v_lshlrev_b32_e32 v5, 16, v20
	v_and_b32_e32 v6, 0xffff0000, v20
	v_sub_f32_e32 v5, v5, v2
	v_lshlrev_b32_e32 v7, 16, v21
	v_and_b32_e32 v19, 0xffff0000, v21
	v_lshlrev_b32_e32 v20, 16, v22
	v_and_b32_e32 v21, 0xffff0000, v22
	;; [unrolled: 2-line block ×3, first 2 shown]
	v_sub_f32_e32 v6, v6, v2
	v_mul_f32_e32 v24, 0x3fb8aa3b, v5
	v_sub_f32_e32 v7, v7, v2
	v_sub_f32_e32 v19, v19, v2
	;; [unrolled: 1-line block ×6, first 2 shown]
	v_mul_f32_e32 v25, 0x3fb8aa3b, v6
	v_fma_f32 v32, v5, s44, -v24
	v_rndne_f32_e32 v33, v24
	v_mul_f32_e32 v26, 0x3fb8aa3b, v7
	v_mul_f32_e32 v27, 0x3fb8aa3b, v19
	;; [unrolled: 1-line block ×6, first 2 shown]
	v_fma_f32 v34, v6, s44, -v25
	v_rndne_f32_e32 v35, v25
	v_fmac_f32_e32 v32, 0x32a5705f, v5
	v_sub_f32_e32 v24, v24, v33
	v_fma_f32 v36, v7, s44, -v26
	v_rndne_f32_e32 v37, v26
	v_fma_f32 v38, v19, s44, -v27
	v_rndne_f32_e32 v39, v27
	;; [unrolled: 2-line block ×6, first 2 shown]
	v_fmac_f32_e32 v34, 0x32a5705f, v6
	v_sub_f32_e32 v25, v25, v35
	v_add_f32_e32 v24, v24, v32
	v_cvt_i32_f32_e32 v33, v33
	v_fmac_f32_e32 v36, 0x32a5705f, v7
	v_sub_f32_e32 v26, v26, v37
	v_fmac_f32_e32 v38, 0x32a5705f, v19
	v_sub_f32_e32 v27, v27, v39
	v_fmac_f32_e32 v40, 0x32a5705f, v20
	v_sub_f32_e32 v28, v28, v41
	v_fmac_f32_e32 v42, 0x32a5705f, v21
	v_sub_f32_e32 v29, v29, v43
	v_fmac_f32_e32 v44, 0x32a5705f, v22
	v_sub_f32_e32 v30, v30, v45
	v_fmac_f32_e32 v46, 0x32a5705f, v23
	v_sub_f32_e32 v31, v31, v47
	v_add_f32_e32 v25, v25, v34
	v_exp_f32_e32 v24, v24
	v_cvt_i32_f32_e32 v35, v35
	v_add_f32_e32 v26, v26, v36
	v_add_f32_e32 v27, v27, v38
	;; [unrolled: 1-line block ×6, first 2 shown]
	v_exp_f32_e32 v25, v25
	v_cvt_i32_f32_e32 v37, v37
	v_cvt_i32_f32_e32 v39, v39
	;; [unrolled: 1-line block ×6, first 2 shown]
	v_exp_f32_e32 v26, v26
	v_exp_f32_e32 v27, v27
	;; [unrolled: 1-line block ×6, first 2 shown]
	v_ldexp_f32 v24, v24, v33
	v_cmp_ngt_f32_e64 s[22:23], s45, v5
	v_ldexp_f32 v25, v25, v35
	v_cmp_ngt_f32_e32 vcc, s45, v6
	v_cndmask_b32_e64 v24, 0, v24, s[22:23]
	v_cmp_nlt_f32_e64 s[22:23], s46, v5
	v_ldexp_f32 v26, v26, v37
	v_cmp_ngt_f32_e64 s[6:7], s45, v7
	v_ldexp_f32 v27, v27, v39
	v_cmp_ngt_f32_e64 s[12:13], s45, v19
	;; [unrolled: 2-line block ×6, first 2 shown]
	v_cndmask_b32_e32 v25, 0, v25, vcc
	v_cmp_nlt_f32_e32 vcc, s46, v6
	v_cndmask_b32_e64 v5, v18, v24, s[22:23]
	v_cndmask_b32_e64 v6, 0, v26, s[6:7]
	v_cmp_nlt_f32_e64 s[6:7], s46, v7
	v_cndmask_b32_e64 v7, 0, v27, s[12:13]
	v_cmp_nlt_f32_e64 s[12:13], s46, v19
	v_cndmask_b32_e64 v19, 0, v28, s[14:15]
	v_cmp_nlt_f32_e64 s[14:15], s46, v20
	v_cndmask_b32_e64 v20, 0, v29, s[16:17]
	v_cmp_nlt_f32_e64 s[16:17], s46, v21
	v_cndmask_b32_e64 v21, 0, v30, s[18:19]
	v_cmp_nlt_f32_e64 s[18:19], s46, v22
	v_cndmask_b32_e64 v22, 0, v31, s[20:21]
	v_cmp_nlt_f32_e64 s[20:21], s46, v23
	v_cndmask_b32_e32 v23, v18, v25, vcc
	v_add_f32_e32 v5, v16, v5
	v_cndmask_b32_e64 v6, v18, v6, s[6:7]
	v_add_f32_e32 v5, v5, v23
	v_cndmask_b32_e64 v7, v18, v7, s[12:13]
	;; [unrolled: 2-line block ×6, first 2 shown]
	v_add_f32_e32 v5, v5, v21
	v_add_f32_e32 v16, v5, v22
	s_andn2_b64 exec, exec, s[38:39]
	s_cbranch_execnz .LBB191_29
; %bb.30:
	s_or_b64 exec, exec, s[38:39]
.LBB191_31:
	s_or_b64 exec, exec, s[36:37]
	v_add_u32_e32 v4, s43, v0
	v_cmp_gt_i32_e32 vcc, s29, v4
	s_and_saveexec_b64 s[12:13], vcc
	s_cbranch_execz .LBB191_35
; %bb.32:
	s_mov_b64 s[14:15], 0
	v_mov_b32_e32 v6, s35
	s_mov_b32 s16, 0x3fb8aa3b
	s_mov_b32 s17, 0xc2ce8ed0
	;; [unrolled: 1-line block ×3, first 2 shown]
	v_mov_b32_e32 v7, 0x7f800000
.LBB191_33:                             ; =>This Inner Loop Header: Depth=1
	v_ashrrev_i32_e32 v5, 31, v4
	v_lshlrev_b64 v[18:19], 1, v[4:5]
	v_add_co_u32_e32 v18, vcc, s34, v18
	v_addc_co_u32_e32 v19, vcc, v6, v19, vcc
	global_load_ushort v5, v[18:19], off
	v_add_u32_e32 v4, v4, v8
	v_cmp_le_i32_e32 vcc, s29, v4
	s_or_b64 s[14:15], vcc, s[14:15]
	s_waitcnt vmcnt(0)
	v_lshlrev_b32_e32 v5, 16, v5
	v_sub_f32_e32 v5, v5, v2
	v_mul_f32_e32 v17, 0x3fb8aa3b, v5
	v_fma_f32 v18, v5, s16, -v17
	v_rndne_f32_e32 v19, v17
	v_fmac_f32_e32 v18, 0x32a5705f, v5
	v_sub_f32_e32 v17, v17, v19
	v_add_f32_e32 v17, v17, v18
	v_cvt_i32_f32_e32 v19, v19
	v_exp_f32_e32 v17, v17
	v_cmp_ngt_f32_e64 s[6:7], s17, v5
	v_ldexp_f32 v17, v17, v19
	v_cndmask_b32_e64 v17, 0, v17, s[6:7]
	v_cmp_nlt_f32_e64 s[6:7], s18, v5
	v_cndmask_b32_e64 v5, v7, v17, s[6:7]
	v_add_f32_e32 v16, v16, v5
	s_andn2_b64 exec, exec, s[14:15]
	s_cbranch_execnz .LBB191_33
; %bb.34:
	s_or_b64 exec, exec, s[14:15]
.LBB191_35:
	s_or_b64 exec, exec, s[12:13]
	ds_bpermute_b32 v4, v3, v16
	s_waitcnt lgkmcnt(0)
	s_barrier
	v_add_f32_e32 v4, v16, v4
	ds_bpermute_b32 v5, v9, v4
	s_waitcnt lgkmcnt(0)
	v_add_f32_e32 v4, v4, v5
	ds_bpermute_b32 v5, v10, v4
	s_waitcnt lgkmcnt(0)
	;; [unrolled: 3-line block ×4, first 2 shown]
	v_add_f32_e32 v4, v4, v5
	ds_bpermute_b32 v5, v13, v4
	s_and_saveexec_b64 s[6:7], s[2:3]
	s_cbranch_execz .LBB191_37
; %bb.36:
	v_add_u32_e32 v6, 0, v14
	s_waitcnt lgkmcnt(0)
	v_add_f32_e32 v4, v4, v5
	ds_write_b32 v6, v4
.LBB191_37:
	s_or_b64 exec, exec, s[6:7]
	v_mov_b32_e32 v4, 0
	s_waitcnt lgkmcnt(0)
	s_barrier
	s_and_saveexec_b64 s[2:3], s[4:5]
	s_cbranch_execnz .LBB191_58
; %bb.38:
	s_or_b64 exec, exec, s[2:3]
	s_and_saveexec_b64 s[2:3], s[10:11]
	s_cbranch_execnz .LBB191_59
.LBB191_39:
	s_or_b64 exec, exec, s[2:3]
	s_and_saveexec_b64 s[2:3], s[8:9]
	s_cbranch_execz .LBB191_41
.LBB191_40:
	v_mov_b32_e32 v3, 0
	s_waitcnt lgkmcnt(0)
	ds_write_b32 v3, v4
.LBB191_41:
	s_or_b64 exec, exec, s[2:3]
	v_mov_b32_e32 v3, 0
	s_waitcnt lgkmcnt(0)
	s_barrier
	ds_read_b32 v3, v3
	s_lshl_b64 s[2:3], s[30:31], 2
	s_add_u32 s6, s24, s2
	s_mov_b32 s2, 0x800000
	v_mov_b32_e32 v4, 0x4f800000
	s_waitcnt lgkmcnt(0)
	v_cmp_gt_f32_e32 vcc, s2, v3
	v_cndmask_b32_e32 v4, 1.0, v4, vcc
	v_mul_f32_e32 v3, v3, v4
	v_log_f32_e32 v3, v3
	s_mov_b32 s2, 0x3f317217
	s_addc_u32 s7, s25, s3
	s_bfe_u32 s4, s6, 0x20002
	v_mul_f32_e32 v4, 0x3f317217, v3
	v_fma_f32 v5, v3, s2, -v4
	v_fmac_f32_e32 v5, 0x3377d1cf, v3
	s_mov_b32 s2, 0x7f800000
	v_add_f32_e32 v4, v4, v5
	v_cmp_lt_f32_e64 s[2:3], |v3|, s2
	v_cndmask_b32_e64 v3, v3, v4, s[2:3]
	v_mov_b32_e32 v4, 0x41b17218
	v_cndmask_b32_e32 v4, 0, v4, vcc
	v_sub_f32_e32 v4, v3, v4
	s_cmp_lg_u32 s28, s4
	s_mov_b64 s[2:3], -1
	s_cbranch_scc0 .LBB191_46
; %bb.42:
	v_cmp_gt_i32_e32 vcc, s33, v0
	s_and_saveexec_b64 s[2:3], vcc
	s_cbranch_execz .LBB191_45
; %bb.43:
	s_mov_b64 s[4:5], 0
	v_mov_b32_e32 v3, s27
	v_mov_b32_e32 v5, s7
	;; [unrolled: 1-line block ×3, first 2 shown]
.LBB191_44:                             ; =>This Inner Loop Header: Depth=1
	v_ashrrev_i32_e32 v7, 31, v6
	v_lshlrev_b64 v[10:11], 1, v[6:7]
	v_add_co_u32_e32 v10, vcc, s26, v10
	v_addc_co_u32_e32 v11, vcc, v3, v11, vcc
	global_load_ushort v9, v[10:11], off
	v_lshlrev_b64 v[10:11], 2, v[6:7]
	v_add_co_u32_e32 v10, vcc, s6, v10
	v_add_u32_e32 v6, s40, v6
	v_addc_co_u32_e32 v11, vcc, v5, v11, vcc
	v_cmp_le_i32_e32 vcc, s33, v6
	s_or_b64 s[4:5], vcc, s[4:5]
	s_waitcnt vmcnt(0)
	v_lshlrev_b32_e32 v7, 16, v9
	v_sub_f32_e32 v7, v7, v2
	v_sub_f32_e32 v7, v7, v4
	global_store_dword v[10:11], v7, off
	s_andn2_b64 exec, exec, s[4:5]
	s_cbranch_execnz .LBB191_44
.LBB191_45:
	s_or_b64 exec, exec, s[2:3]
	s_mov_b64 s[2:3], 0
.LBB191_46:
	s_andn2_b64 vcc, exec, s[2:3]
	s_cbranch_vccnz .LBB191_57
; %bb.47:
	s_and_b64 vcc, exec, s[0:1]
	s_cbranch_vccnz .LBB191_51
; %bb.48:
	s_mov_b32 s29, 0
	s_lshl_b64 s[0:1], s[28:29], 1
	s_sub_u32 s2, s26, s0
	s_subb_u32 s3, s27, s1
	s_lshl_b64 s[0:1], s[28:29], 2
	s_sub_u32 s4, s6, s0
	s_subb_u32 s5, s7, s1
	s_add_i32 s6, s28, s33
	v_cmp_le_u32_e32 vcc, s28, v0
	v_cmp_gt_i32_e64 s[0:1], s6, v0
	s_and_b64 s[8:9], vcc, s[0:1]
	s_and_saveexec_b64 s[0:1], s[8:9]
	s_cbranch_execz .LBB191_50
; %bb.49:
	v_lshlrev_b32_e32 v3, 1, v0
	global_load_ushort v3, v3, s[2:3]
	v_lshlrev_b32_e32 v5, 2, v0
	s_waitcnt vmcnt(0)
	v_lshlrev_b32_e32 v3, 16, v3
	v_sub_f32_e32 v3, v3, v2
	v_sub_f32_e32 v3, v3, v4
	global_store_dword v5, v3, s[4:5]
.LBB191_50:
	s_or_b64 exec, exec, s[0:1]
	s_lshl_b32 s0, s40, 1
	s_add_u32 s26, s2, s0
	v_mov_b32_e32 v3, s40
	s_addc_u32 s27, s3, 0
	s_lshl_b32 s0, s40, 2
	v_sub_u32_e64 v3, s6, v3 clamp
	s_add_u32 s6, s4, s0
	v_readfirstlane_b32 s33, v3
	s_addc_u32 s7, s5, 0
.LBB191_51:
	s_mul_hi_u32 s0, s33, s42
	s_mul_i32 s0, s0, s41
	s_sub_i32 s0, s33, s0
	s_sub_i32 s1, s0, s41
	s_cmp_ge_u32 s0, s41
	s_cselect_b32 s0, s1, s0
	s_sub_i32 s1, s0, s41
	s_cmp_ge_u32 s0, s41
	s_cselect_b32 s0, s1, s0
	s_sub_i32 s4, s33, s0
	v_cmp_gt_i32_e32 vcc, s4, v1
	s_and_saveexec_b64 s[0:1], vcc
	s_cbranch_execz .LBB191_54
; %bb.52:
	v_mov_b32_e32 v3, v2
	v_mov_b32_e32 v5, v4
	s_mov_b64 s[2:3], 0
	v_mov_b32_e32 v1, s27
	v_mov_b32_e32 v9, s7
	;; [unrolled: 1-line block ×3, first 2 shown]
.LBB191_53:                             ; =>This Inner Loop Header: Depth=1
	v_ashrrev_i32_e32 v7, 31, v6
	v_lshlrev_b64 v[10:11], 4, v[6:7]
	v_add_co_u32_e32 v10, vcc, s26, v10
	v_addc_co_u32_e32 v11, vcc, v1, v11, vcc
	global_load_dwordx4 v[10:13], v[10:11], off
	v_lshlrev_b64 v[14:15], 5, v[6:7]
	v_add_u32_e32 v6, v6, v8
	v_add_co_u32_e32 v18, vcc, s6, v14
	v_addc_co_u32_e32 v19, vcc, v9, v15, vcc
	v_lshlrev_b32_e32 v7, 3, v6
	v_cmp_le_i32_e32 vcc, s4, v7
	s_or_b64 s[2:3], vcc, s[2:3]
	s_waitcnt vmcnt(0)
	v_and_b32_e32 v15, 0xffff0000, v10
	v_lshlrev_b32_e32 v14, 16, v10
	v_and_b32_e32 v17, 0xffff0000, v11
	v_lshlrev_b32_e32 v16, 16, v11
	;; [unrolled: 2-line block ×4, first 2 shown]
	v_pk_add_f32 v[12:13], v[14:15], v[2:3] neg_lo:[0,1] neg_hi:[0,1]
	v_pk_add_f32 v[14:15], v[16:17], v[2:3] neg_lo:[0,1] neg_hi:[0,1]
	;; [unrolled: 1-line block ×8, first 2 shown]
	global_store_dwordx4 v[18:19], v[10:13], off
	global_store_dwordx4 v[18:19], v[14:17], off offset:16
	s_andn2_b64 exec, exec, s[2:3]
	s_cbranch_execnz .LBB191_53
.LBB191_54:
	s_or_b64 exec, exec, s[0:1]
	v_add_u32_e32 v0, s4, v0
	v_cmp_gt_i32_e32 vcc, s33, v0
	s_and_saveexec_b64 s[0:1], vcc
	s_cbranch_execz .LBB191_57
; %bb.55:
	s_mov_b64 s[0:1], 0
	v_mov_b32_e32 v3, s27
	v_mov_b32_e32 v5, s7
.LBB191_56:                             ; =>This Inner Loop Header: Depth=1
	v_ashrrev_i32_e32 v1, 31, v0
	v_lshlrev_b64 v[6:7], 1, v[0:1]
	v_add_co_u32_e32 v6, vcc, s26, v6
	v_addc_co_u32_e32 v7, vcc, v3, v7, vcc
	global_load_ushort v9, v[6:7], off
	v_lshlrev_b64 v[6:7], 2, v[0:1]
	v_add_co_u32_e32 v6, vcc, s6, v6
	v_add_u32_e32 v0, v0, v8
	v_addc_co_u32_e32 v7, vcc, v5, v7, vcc
	v_cmp_le_i32_e32 vcc, s33, v0
	s_or_b64 s[0:1], vcc, s[0:1]
	s_waitcnt vmcnt(0)
	v_lshlrev_b32_e32 v1, 16, v9
	v_sub_f32_e32 v1, v1, v2
	v_sub_f32_e32 v1, v1, v4
	global_store_dword v[6:7], v1, off
	s_andn2_b64 exec, exec, s[0:1]
	s_cbranch_execnz .LBB191_56
.LBB191_57:
	s_endpgm
.LBB191_58:
	ds_read_b32 v4, v15
	s_or_b64 exec, exec, s[2:3]
	s_and_saveexec_b64 s[2:3], s[10:11]
	s_cbranch_execz .LBB191_39
.LBB191_59:
	s_waitcnt lgkmcnt(0)
	ds_bpermute_b32 v3, v3, v4
	s_waitcnt lgkmcnt(0)
	v_add_f32_e32 v3, v4, v3
	ds_bpermute_b32 v4, v9, v3
	s_waitcnt lgkmcnt(0)
	v_add_f32_e32 v3, v3, v4
	;; [unrolled: 3-line block ×6, first 2 shown]
	s_or_b64 exec, exec, s[2:3]
	s_and_saveexec_b64 s[2:3], s[8:9]
	s_cbranch_execnz .LBB191_40
	s_branch .LBB191_41
	.section	.rodata,"a",@progbits
	.p2align	6, 0x0
	.amdhsa_kernel _ZN2at6native12_GLOBAL__N_119cunn_SoftMaxForwardILi8EN3c108BFloat16EffNS1_25LogSoftMaxForwardEpilogueEEEvPT2_PKT0_i
		.amdhsa_group_segment_fixed_size 0
		.amdhsa_private_segment_fixed_size 0
		.amdhsa_kernarg_size 280
		.amdhsa_user_sgpr_count 6
		.amdhsa_user_sgpr_private_segment_buffer 1
		.amdhsa_user_sgpr_dispatch_ptr 0
		.amdhsa_user_sgpr_queue_ptr 0
		.amdhsa_user_sgpr_kernarg_segment_ptr 1
		.amdhsa_user_sgpr_dispatch_id 0
		.amdhsa_user_sgpr_flat_scratch_init 0
		.amdhsa_user_sgpr_kernarg_preload_length 0
		.amdhsa_user_sgpr_kernarg_preload_offset 0
		.amdhsa_user_sgpr_private_segment_size 0
		.amdhsa_uses_dynamic_stack 0
		.amdhsa_system_sgpr_private_segment_wavefront_offset 0
		.amdhsa_system_sgpr_workgroup_id_x 1
		.amdhsa_system_sgpr_workgroup_id_y 0
		.amdhsa_system_sgpr_workgroup_id_z 0
		.amdhsa_system_sgpr_workgroup_info 0
		.amdhsa_system_vgpr_workitem_id 0
		.amdhsa_next_free_vgpr 48
		.amdhsa_next_free_sgpr 47
		.amdhsa_accum_offset 48
		.amdhsa_reserve_vcc 1
		.amdhsa_reserve_flat_scratch 0
		.amdhsa_float_round_mode_32 0
		.amdhsa_float_round_mode_16_64 0
		.amdhsa_float_denorm_mode_32 3
		.amdhsa_float_denorm_mode_16_64 3
		.amdhsa_dx10_clamp 1
		.amdhsa_ieee_mode 1
		.amdhsa_fp16_overflow 0
		.amdhsa_tg_split 0
		.amdhsa_exception_fp_ieee_invalid_op 0
		.amdhsa_exception_fp_denorm_src 0
		.amdhsa_exception_fp_ieee_div_zero 0
		.amdhsa_exception_fp_ieee_overflow 0
		.amdhsa_exception_fp_ieee_underflow 0
		.amdhsa_exception_fp_ieee_inexact 0
		.amdhsa_exception_int_div_zero 0
	.end_amdhsa_kernel
	.section	.text._ZN2at6native12_GLOBAL__N_119cunn_SoftMaxForwardILi8EN3c108BFloat16EffNS1_25LogSoftMaxForwardEpilogueEEEvPT2_PKT0_i,"axG",@progbits,_ZN2at6native12_GLOBAL__N_119cunn_SoftMaxForwardILi8EN3c108BFloat16EffNS1_25LogSoftMaxForwardEpilogueEEEvPT2_PKT0_i,comdat
.Lfunc_end191:
	.size	_ZN2at6native12_GLOBAL__N_119cunn_SoftMaxForwardILi8EN3c108BFloat16EffNS1_25LogSoftMaxForwardEpilogueEEEvPT2_PKT0_i, .Lfunc_end191-_ZN2at6native12_GLOBAL__N_119cunn_SoftMaxForwardILi8EN3c108BFloat16EffNS1_25LogSoftMaxForwardEpilogueEEEvPT2_PKT0_i
                                        ; -- End function
	.section	.AMDGPU.csdata,"",@progbits
; Kernel info:
; codeLenInByte = 3952
; NumSgprs: 51
; NumVgprs: 48
; NumAgprs: 0
; TotalNumVgprs: 48
; ScratchSize: 0
; MemoryBound: 0
; FloatMode: 240
; IeeeMode: 1
; LDSByteSize: 0 bytes/workgroup (compile time only)
; SGPRBlocks: 6
; VGPRBlocks: 5
; NumSGPRsForWavesPerEU: 51
; NumVGPRsForWavesPerEU: 48
; AccumOffset: 48
; Occupancy: 8
; WaveLimiterHint : 0
; COMPUTE_PGM_RSRC2:SCRATCH_EN: 0
; COMPUTE_PGM_RSRC2:USER_SGPR: 6
; COMPUTE_PGM_RSRC2:TRAP_HANDLER: 0
; COMPUTE_PGM_RSRC2:TGID_X_EN: 1
; COMPUTE_PGM_RSRC2:TGID_Y_EN: 0
; COMPUTE_PGM_RSRC2:TGID_Z_EN: 0
; COMPUTE_PGM_RSRC2:TIDIG_COMP_CNT: 0
; COMPUTE_PGM_RSRC3_GFX90A:ACCUM_OFFSET: 11
; COMPUTE_PGM_RSRC3_GFX90A:TG_SPLIT: 0
	.section	.text._ZN2at6native12_GLOBAL__N_126cunn_SpatialSoftMaxForwardIdddiNS1_25LogSoftMaxForwardEpilogueEEEvPT1_PKT_T2_S9_S9_,"axG",@progbits,_ZN2at6native12_GLOBAL__N_126cunn_SpatialSoftMaxForwardIdddiNS1_25LogSoftMaxForwardEpilogueEEEvPT1_PKT_T2_S9_S9_,comdat
	.globl	_ZN2at6native12_GLOBAL__N_126cunn_SpatialSoftMaxForwardIdddiNS1_25LogSoftMaxForwardEpilogueEEEvPT1_PKT_T2_S9_S9_ ; -- Begin function _ZN2at6native12_GLOBAL__N_126cunn_SpatialSoftMaxForwardIdddiNS1_25LogSoftMaxForwardEpilogueEEEvPT1_PKT_T2_S9_S9_
	.p2align	8
	.type	_ZN2at6native12_GLOBAL__N_126cunn_SpatialSoftMaxForwardIdddiNS1_25LogSoftMaxForwardEpilogueEEEvPT1_PKT_T2_S9_S9_,@function
_ZN2at6native12_GLOBAL__N_126cunn_SpatialSoftMaxForwardIdddiNS1_25LogSoftMaxForwardEpilogueEEEvPT1_PKT_T2_S9_S9_: ; @_ZN2at6native12_GLOBAL__N_126cunn_SpatialSoftMaxForwardIdddiNS1_25LogSoftMaxForwardEpilogueEEEvPT1_PKT_T2_S9_S9_
; %bb.0:
	s_load_dwordx4 s[8:11], s[4:5], 0x10
	s_waitcnt lgkmcnt(0)
	s_cmp_ge_i32 s6, s8
	s_cbranch_scc1 .LBB192_40
; %bb.1:
	s_load_dword s0, s[4:5], 0x2c
	s_load_dwordx4 s[12:15], s[4:5], 0x0
	s_load_dwordx2 s[18:19], s[4:5], 0x20
	s_add_u32 s16, s4, 32
	s_addc_u32 s17, s5, 0
	v_and_b32_e32 v40, 0x3ff, v0
	s_waitcnt lgkmcnt(0)
	s_lshr_b32 s4, s0, 16
	s_mul_i32 s5, s7, s4
	s_mul_i32 s7, s19, s4
	;; [unrolled: 1-line block ×3, first 2 shown]
	v_bfe_u32 v38, v0, 10, 10
	v_add_u32_e32 v0, s4, v40
	v_add_u32_e32 v39, s5, v38
	v_mul_lo_u32 v0, s10, v0
	s_mul_i32 s11, s18, s10
	s_mov_b32 s20, -1
	s_mov_b32 s22, 0x652b82fe
	s_mov_b32 s24, 0xfefa39ef
	;; [unrolled: 1-line block ×8, first 2 shown]
	v_cmp_gt_i32_e64 s[0:1], s10, v39
	v_cmp_gt_i32_e64 s[2:3], s9, v40
	v_add3_u32 v41, v38, v0, s5
	s_mul_i32 s11, s11, s9
	s_mov_b32 s21, 0xffefffff
	s_mov_b32 s23, 0x3ff71547
	;; [unrolled: 1-line block ×11, first 2 shown]
	s_movk_i32 s19, 0x204
	v_mov_b32_e32 v0, 0xfca7ab0c
	v_mov_b32_e32 v1, 0x3e928af3
	;; [unrolled: 1-line block ×35, first 2 shown]
	s_branch .LBB192_3
.LBB192_2:                              ;   in Loop: Header=BB192_3 Depth=1
	s_or_b64 exec, exec, s[44:45]
	s_add_i32 s6, s18, s6
	s_cmp_ge_i32 s6, s8
	v_add_u32_e32 v41, s11, v41
	s_cbranch_scc1 .LBB192_40
.LBB192_3:                              ; =>This Loop Header: Depth=1
                                        ;     Child Loop BB192_7 Depth 2
                                        ;       Child Loop BB192_12 Depth 3
                                        ;       Child Loop BB192_15 Depth 3
	;; [unrolled: 1-line block ×8, first 2 shown]
	s_and_saveexec_b64 s[44:45], s[0:1]
	s_cbranch_execz .LBB192_2
; %bb.4:                                ;   in Loop: Header=BB192_3 Depth=1
	s_load_dword s4, s[16:17], 0xc
	s_mov_b64 s[46:47], 0
	v_mov_b32_e32 v48, v41
	v_mov_b32_e32 v49, v39
	s_waitcnt lgkmcnt(0)
	s_and_b32 s33, s4, 0xffff
	v_mul_u32_u24_e32 v19, s33, v38
	s_cmp_lt_u32 s33, 2
	v_lshl_add_u32 v46, v19, 3, 0
	s_mul_i32 s54, s10, s33
	s_cselect_b64 s[48:49], -1, 0
	v_lshl_add_u32 v47, v40, 3, v46
	s_branch .LBB192_7
.LBB192_5:                              ;   in Loop: Header=BB192_7 Depth=2
	s_or_b64 exec, exec, s[50:51]
.LBB192_6:                              ;   in Loop: Header=BB192_7 Depth=2
	v_add_u32_e32 v49, s7, v49
	v_cmp_le_i32_e32 vcc, s10, v49
	s_or_b64 s[46:47], vcc, s[46:47]
	v_add_u32_e32 v48, s7, v48
	s_andn2_b64 exec, exec, s[46:47]
	s_cbranch_execz .LBB192_2
.LBB192_7:                              ;   Parent Loop BB192_3 Depth=1
                                        ; =>  This Loop Header: Depth=2
                                        ;       Child Loop BB192_12 Depth 3
                                        ;       Child Loop BB192_15 Depth 3
                                        ;       Child Loop BB192_18 Depth 3
                                        ;       Child Loop BB192_23 Depth 3
                                        ;       Child Loop BB192_27 Depth 3
                                        ;       Child Loop BB192_31 Depth 3
                                        ;       Child Loop BB192_35 Depth 3
                                        ;       Child Loop BB192_39 Depth 3
	s_mov_b64 s[4:5], -1
	s_and_b64 vcc, exec, s[48:49]
	s_cbranch_vccz .LBB192_20
; %bb.8:                                ;   in Loop: Header=BB192_7 Depth=2
	v_pk_mov_b32 v[32:33], s[20:21], s[20:21] op_sel:[0,1]
	s_and_saveexec_b64 s[4:5], s[2:3]
	s_cbranch_execnz .LBB192_11
; %bb.9:                                ;   in Loop: Header=BB192_7 Depth=2
	s_or_b64 exec, exec, s[4:5]
	v_pk_mov_b32 v[34:35], 0, 0
	s_and_saveexec_b64 s[50:51], s[2:3]
	s_cbranch_execnz .LBB192_14
.LBB192_10:                             ;   in Loop: Header=BB192_7 Depth=2
	s_or_b64 exec, exec, s[50:51]
	s_and_saveexec_b64 s[50:51], s[2:3]
	s_cbranch_execnz .LBB192_17
	s_branch .LBB192_19
.LBB192_11:                             ;   in Loop: Header=BB192_7 Depth=2
	s_mov_b64 s[50:51], 0
	v_pk_mov_b32 v[32:33], s[20:21], s[20:21] op_sel:[0,1]
	v_mov_b32_e32 v34, v48
	v_mov_b32_e32 v19, v40
.LBB192_12:                             ;   Parent Loop BB192_3 Depth=1
                                        ;     Parent Loop BB192_7 Depth=2
                                        ; =>    This Inner Loop Header: Depth=3
	v_ashrrev_i32_e32 v35, 31, v34
	v_lshlrev_b64 v[36:37], 3, v[34:35]
	v_mov_b32_e32 v50, s15
	v_add_co_u32_e32 v36, vcc, s14, v36
	v_addc_co_u32_e32 v37, vcc, v50, v37, vcc
	global_load_dwordx2 v[36:37], v[36:37], off
	v_add_u32_e32 v19, s33, v19
	v_cmp_le_i32_e32 vcc, s9, v19
	s_or_b64 s[50:51], vcc, s[50:51]
	v_add_u32_e32 v34, s54, v34
	s_waitcnt vmcnt(0)
	v_cmp_lt_f64_e32 vcc, v[32:33], v[36:37]
	v_cndmask_b32_e32 v33, v33, v37, vcc
	v_cndmask_b32_e32 v32, v32, v36, vcc
	s_andn2_b64 exec, exec, s[50:51]
	s_cbranch_execnz .LBB192_12
; %bb.13:                               ;   in Loop: Header=BB192_7 Depth=2
	s_or_b64 exec, exec, s[50:51]
	s_or_b64 exec, exec, s[4:5]
	v_pk_mov_b32 v[34:35], 0, 0
	s_and_saveexec_b64 s[50:51], s[2:3]
	s_cbranch_execz .LBB192_10
.LBB192_14:                             ;   in Loop: Header=BB192_7 Depth=2
	s_mov_b64 s[52:53], 0
	v_pk_mov_b32 v[34:35], 0, 0
	v_mov_b32_e32 v36, v48
	v_mov_b32_e32 v19, v40
.LBB192_15:                             ;   Parent Loop BB192_3 Depth=1
                                        ;     Parent Loop BB192_7 Depth=2
                                        ; =>    This Inner Loop Header: Depth=3
	v_ashrrev_i32_e32 v37, 31, v36
	v_lshlrev_b64 v[50:51], 3, v[36:37]
	v_add_co_u32_e32 v50, vcc, s14, v50
	v_mov_b32_e32 v37, s15
	v_addc_co_u32_e32 v51, vcc, v37, v51, vcc
	global_load_dwordx2 v[50:51], v[50:51], off
	v_pk_mov_b32 v[56:57], v[0:1], v[0:1] op_sel:[0,1]
	v_pk_mov_b32 v[58:59], v[2:3], v[2:3] op_sel:[0,1]
	v_add_u32_e32 v19, s33, v19
	v_add_u32_e32 v36, s54, v36
	s_waitcnt vmcnt(0)
	v_add_f64 v[50:51], v[50:51], -v[32:33]
	v_mul_f64 v[52:53], v[50:51], s[22:23]
	v_rndne_f64_e32 v[52:53], v[52:53]
	v_fma_f64 v[54:55], s[24:25], v[52:53], v[50:51]
	v_fmac_f64_e32 v[54:55], s[26:27], v[52:53]
	v_fmac_f64_e32 v[56:57], s[28:29], v[54:55]
	;; [unrolled: 1-line block ×3, first 2 shown]
	v_pk_mov_b32 v[56:57], v[4:5], v[4:5] op_sel:[0,1]
	v_fmac_f64_e32 v[56:57], v[54:55], v[58:59]
	v_pk_mov_b32 v[58:59], v[6:7], v[6:7] op_sel:[0,1]
	v_fmac_f64_e32 v[58:59], v[54:55], v[56:57]
	;; [unrolled: 2-line block ×7, first 2 shown]
	v_fma_f64 v[56:57], v[54:55], v[56:57], 1.0
	v_fma_f64 v[54:55], v[54:55], v[56:57], 1.0
	v_cvt_i32_f64_e32 v37, v[52:53]
	v_ldexp_f64 v[52:53], v[54:55], v37
	v_cmp_nlt_f64_e32 vcc, s[30:31], v[50:51]
	v_cmp_ngt_f64_e64 s[4:5], s[34:35], v[50:51]
	v_cndmask_b32_e32 v37, v42, v53, vcc
	s_and_b64 vcc, s[4:5], vcc
	v_cndmask_b32_e32 v50, 0, v52, vcc
	v_cndmask_b32_e64 v51, 0, v37, s[4:5]
	v_cmp_le_i32_e32 vcc, s9, v19
	v_add_f64 v[34:35], v[34:35], v[50:51]
	s_or_b64 s[52:53], vcc, s[52:53]
	s_andn2_b64 exec, exec, s[52:53]
	s_cbranch_execnz .LBB192_15
; %bb.16:                               ;   in Loop: Header=BB192_7 Depth=2
	s_or_b64 exec, exec, s[52:53]
	s_or_b64 exec, exec, s[50:51]
	s_and_saveexec_b64 s[50:51], s[2:3]
	s_cbranch_execz .LBB192_19
.LBB192_17:                             ;   in Loop: Header=BB192_7 Depth=2
	v_frexp_mant_f64_e32 v[36:37], v[34:35]
	v_cmp_gt_f64_e32 vcc, s[36:37], v[36:37]
	v_cndmask_b32_e64 v19, v43, 2.0, vcc
	v_frexp_exp_i32_f64_e32 v50, v[34:35]
	v_mul_f64 v[36:37], v[36:37], v[18:19]
	v_subbrev_co_u32_e32 v19, vcc, 0, v50, vcc
	v_add_f64 v[50:51], v[36:37], 1.0
	v_rcp_f64_e32 v[52:53], v[50:51]
	v_add_f64 v[56:57], v[50:51], -1.0
	v_add_f64 v[54:55], v[36:37], -1.0
	v_add_f64 v[36:37], v[36:37], -v[56:57]
	v_fma_f64 v[56:57], -v[50:51], v[52:53], 1.0
	v_fmac_f64_e32 v[52:53], v[56:57], v[52:53]
	v_fma_f64 v[56:57], -v[50:51], v[52:53], 1.0
	v_fmac_f64_e32 v[52:53], v[56:57], v[52:53]
	v_mul_f64 v[56:57], v[54:55], v[52:53]
	v_mul_f64 v[58:59], v[50:51], v[56:57]
	v_fma_f64 v[50:51], v[56:57], v[50:51], -v[58:59]
	v_fmac_f64_e32 v[50:51], v[56:57], v[36:37]
	v_add_f64 v[36:37], v[58:59], v[50:51]
	v_add_f64 v[60:61], v[54:55], -v[36:37]
	v_add_f64 v[58:59], v[36:37], -v[58:59]
	;; [unrolled: 1-line block ×5, first 2 shown]
	v_add_f64 v[36:37], v[50:51], v[36:37]
	v_add_f64 v[36:37], v[60:61], v[36:37]
	v_mul_f64 v[36:37], v[52:53], v[36:37]
	v_add_f64 v[50:51], v[56:57], v[36:37]
	v_add_f64 v[52:53], v[50:51], -v[56:57]
	v_add_f64 v[36:37], v[36:37], -v[52:53]
	v_mul_f64 v[52:53], v[50:51], v[50:51]
	v_pk_mov_b32 v[54:55], v[20:21], v[20:21] op_sel:[0,1]
	v_fmac_f64_e32 v[54:55], s[38:39], v[52:53]
	v_pk_mov_b32 v[56:57], v[22:23], v[22:23] op_sel:[0,1]
	v_fmac_f64_e32 v[56:57], v[52:53], v[54:55]
	;; [unrolled: 2-line block ×6, first 2 shown]
	v_ldexp_f64 v[54:55], v[50:51], 1
	v_mul_f64 v[50:51], v[50:51], v[52:53]
	v_mul_f64 v[50:51], v[50:51], v[56:57]
	v_add_f64 v[52:53], v[54:55], v[50:51]
	v_add_f64 v[54:55], v[52:53], -v[54:55]
	v_ldexp_f64 v[36:37], v[36:37], 1
	v_add_f64 v[50:51], v[50:51], -v[54:55]
	v_add_f64 v[36:37], v[36:37], v[50:51]
	v_add_f64 v[50:51], v[52:53], v[36:37]
	v_add_f64 v[52:53], v[50:51], -v[52:53]
	v_add_f64 v[36:37], v[36:37], -v[52:53]
	v_cvt_f64_i32_e32 v[52:53], v19
	s_mov_b32 s40, s24
	v_mul_f64 v[54:55], v[52:53], s[40:41]
	v_fma_f64 v[56:57], v[52:53], s[40:41], -v[54:55]
	s_mov_b32 s42, s26
	v_fmac_f64_e32 v[56:57], s[42:43], v[52:53]
	v_add_f64 v[52:53], v[54:55], v[56:57]
	v_add_f64 v[54:55], v[52:53], -v[54:55]
	v_add_f64 v[54:55], v[56:57], -v[54:55]
	v_add_f64 v[56:57], v[52:53], v[50:51]
	v_add_f64 v[58:59], v[56:57], -v[52:53]
	v_add_f64 v[60:61], v[56:57], -v[58:59]
	;; [unrolled: 1-line block ×4, first 2 shown]
	v_add_f64 v[50:51], v[50:51], v[52:53]
	v_add_f64 v[52:53], v[54:55], v[36:37]
	v_add_f64 v[58:59], v[52:53], -v[54:55]
	v_add_f64 v[60:61], v[52:53], -v[58:59]
	v_add_f64 v[50:51], v[52:53], v[50:51]
	v_add_f64 v[54:55], v[54:55], -v[60:61]
	v_add_f64 v[36:37], v[36:37], -v[58:59]
	v_add_f64 v[52:53], v[56:57], v[50:51]
	v_add_f64 v[36:37], v[36:37], v[54:55]
	v_add_f64 v[54:55], v[52:53], -v[56:57]
	v_add_f64 v[50:51], v[50:51], -v[54:55]
	v_add_f64 v[36:37], v[36:37], v[50:51]
	v_add_f64 v[36:37], v[52:53], v[36:37]
	v_cmp_class_f64_e64 vcc, v[34:35], s19
	v_cndmask_b32_e32 v19, v36, v34, vcc
	v_cndmask_b32_e32 v36, v37, v35, vcc
	v_cmp_ngt_f64_e32 vcc, 0, v[34:35]
	v_cndmask_b32_e32 v37, v44, v36, vcc
	v_cmp_nge_f64_e32 vcc, 0, v[34:35]
	v_cndmask_b32_e32 v36, 0, v19, vcc
	v_cmp_neq_f64_e32 vcc, 0, v[34:35]
	v_cndmask_b32_e32 v37, v45, v37, vcc
	s_mov_b64 s[52:53], 0
	v_mov_b32_e32 v34, v48
	v_mov_b32_e32 v19, v40
.LBB192_18:                             ;   Parent Loop BB192_3 Depth=1
                                        ;     Parent Loop BB192_7 Depth=2
                                        ; =>    This Inner Loop Header: Depth=3
	v_ashrrev_i32_e32 v35, 31, v34
	v_lshlrev_b64 v[50:51], 3, v[34:35]
	v_mov_b32_e32 v35, s15
	v_add_co_u32_e32 v52, vcc, s14, v50
	v_addc_co_u32_e32 v53, vcc, v35, v51, vcc
	global_load_dwordx2 v[52:53], v[52:53], off
	v_add_u32_e32 v19, s33, v19
	v_mov_b32_e32 v35, s13
	v_cmp_le_i32_e32 vcc, s9, v19
	v_add_co_u32_e64 v50, s[4:5], s12, v50
	v_addc_co_u32_e64 v51, s[4:5], v35, v51, s[4:5]
	s_or_b64 s[52:53], vcc, s[52:53]
	v_add_u32_e32 v34, s54, v34
	s_waitcnt vmcnt(0)
	v_add_f64 v[52:53], v[52:53], -v[32:33]
	v_add_f64 v[52:53], v[52:53], -v[36:37]
	global_store_dwordx2 v[50:51], v[52:53], off
	s_andn2_b64 exec, exec, s[52:53]
	s_cbranch_execnz .LBB192_18
.LBB192_19:                             ;   in Loop: Header=BB192_7 Depth=2
	s_or_b64 exec, exec, s[50:51]
	s_mov_b64 s[4:5], 0
.LBB192_20:                             ;   in Loop: Header=BB192_7 Depth=2
	s_and_b64 vcc, exec, s[4:5]
	s_cbranch_vccz .LBB192_6
; %bb.21:                               ;   in Loop: Header=BB192_7 Depth=2
	v_pk_mov_b32 v[32:33], s[20:21], s[20:21] op_sel:[0,1]
	s_and_saveexec_b64 s[4:5], s[2:3]
	s_cbranch_execz .LBB192_25
; %bb.22:                               ;   in Loop: Header=BB192_7 Depth=2
	s_mov_b64 s[50:51], 0
	v_pk_mov_b32 v[32:33], s[20:21], s[20:21] op_sel:[0,1]
	v_mov_b32_e32 v34, v48
	v_mov_b32_e32 v19, v40
.LBB192_23:                             ;   Parent Loop BB192_3 Depth=1
                                        ;     Parent Loop BB192_7 Depth=2
                                        ; =>    This Inner Loop Header: Depth=3
	v_ashrrev_i32_e32 v35, 31, v34
	v_lshlrev_b64 v[36:37], 3, v[34:35]
	v_mov_b32_e32 v50, s15
	v_add_co_u32_e32 v36, vcc, s14, v36
	v_addc_co_u32_e32 v37, vcc, v50, v37, vcc
	global_load_dwordx2 v[36:37], v[36:37], off
	v_add_u32_e32 v19, s33, v19
	v_cmp_le_i32_e32 vcc, s9, v19
	s_or_b64 s[50:51], vcc, s[50:51]
	v_add_u32_e32 v34, s54, v34
	s_waitcnt vmcnt(0)
	v_cmp_lt_f64_e32 vcc, v[32:33], v[36:37]
	v_cndmask_b32_e32 v33, v33, v37, vcc
	v_cndmask_b32_e32 v32, v32, v36, vcc
	s_andn2_b64 exec, exec, s[50:51]
	s_cbranch_execnz .LBB192_23
; %bb.24:                               ;   in Loop: Header=BB192_7 Depth=2
	s_or_b64 exec, exec, s[50:51]
.LBB192_25:                             ;   in Loop: Header=BB192_7 Depth=2
	s_or_b64 exec, exec, s[4:5]
	s_mov_b32 s40, s33
	s_barrier
	ds_write_b64 v47, v[32:33]
	s_branch .LBB192_27
.LBB192_26:                             ;   in Loop: Header=BB192_27 Depth=3
	s_or_b64 exec, exec, s[4:5]
	s_cmp_gt_u32 s40, 3
	s_mov_b32 s40, s42
	s_cbranch_scc0 .LBB192_29
.LBB192_27:                             ;   Parent Loop BB192_3 Depth=1
                                        ;     Parent Loop BB192_7 Depth=2
                                        ; =>    This Inner Loop Header: Depth=3
	s_lshr_b32 s42, s40, 1
	v_cmp_gt_u32_e32 vcc, s42, v40
	s_waitcnt lgkmcnt(0)
	s_barrier
	s_and_saveexec_b64 s[4:5], vcc
	s_cbranch_execz .LBB192_26
; %bb.28:                               ;   in Loop: Header=BB192_27 Depth=3
	v_lshl_add_u32 v19, s42, 3, v47
	ds_read_b64 v[32:33], v47
	ds_read_b64 v[34:35], v19
	s_waitcnt lgkmcnt(0)
	v_cmp_lt_f64_e32 vcc, v[32:33], v[34:35]
	v_cndmask_b32_e32 v33, v33, v35, vcc
	v_cndmask_b32_e32 v32, v32, v34, vcc
	ds_write_b64 v47, v[32:33]
	s_branch .LBB192_26
.LBB192_29:                             ;   in Loop: Header=BB192_7 Depth=2
	s_waitcnt lgkmcnt(0)
	s_barrier
	ds_read_b64 v[32:33], v46
	v_pk_mov_b32 v[34:35], 0, 0
	s_and_saveexec_b64 s[50:51], s[2:3]
	s_cbranch_execz .LBB192_33
; %bb.30:                               ;   in Loop: Header=BB192_7 Depth=2
	s_mov_b64 s[52:53], 0
	v_pk_mov_b32 v[34:35], 0, 0
	v_mov_b32_e32 v36, v48
	v_mov_b32_e32 v19, v40
.LBB192_31:                             ;   Parent Loop BB192_3 Depth=1
                                        ;     Parent Loop BB192_7 Depth=2
                                        ; =>    This Inner Loop Header: Depth=3
	v_ashrrev_i32_e32 v37, 31, v36
	v_lshlrev_b64 v[50:51], 3, v[36:37]
	v_add_co_u32_e32 v50, vcc, s14, v50
	v_mov_b32_e32 v37, s15
	v_addc_co_u32_e32 v51, vcc, v37, v51, vcc
	global_load_dwordx2 v[50:51], v[50:51], off
	v_pk_mov_b32 v[56:57], v[0:1], v[0:1] op_sel:[0,1]
	v_pk_mov_b32 v[58:59], v[2:3], v[2:3] op_sel:[0,1]
	v_add_u32_e32 v19, s33, v19
	v_add_u32_e32 v36, s54, v36
	s_waitcnt vmcnt(0) lgkmcnt(0)
	v_add_f64 v[50:51], v[50:51], -v[32:33]
	v_mul_f64 v[52:53], v[50:51], s[22:23]
	v_rndne_f64_e32 v[52:53], v[52:53]
	v_fma_f64 v[54:55], s[24:25], v[52:53], v[50:51]
	v_fmac_f64_e32 v[54:55], s[26:27], v[52:53]
	v_fmac_f64_e32 v[56:57], s[28:29], v[54:55]
	;; [unrolled: 1-line block ×3, first 2 shown]
	v_pk_mov_b32 v[56:57], v[4:5], v[4:5] op_sel:[0,1]
	v_fmac_f64_e32 v[56:57], v[54:55], v[58:59]
	v_pk_mov_b32 v[58:59], v[6:7], v[6:7] op_sel:[0,1]
	v_fmac_f64_e32 v[58:59], v[54:55], v[56:57]
	;; [unrolled: 2-line block ×7, first 2 shown]
	v_fma_f64 v[56:57], v[54:55], v[56:57], 1.0
	v_fma_f64 v[54:55], v[54:55], v[56:57], 1.0
	v_cvt_i32_f64_e32 v37, v[52:53]
	v_ldexp_f64 v[52:53], v[54:55], v37
	v_cmp_nlt_f64_e32 vcc, s[30:31], v[50:51]
	v_cmp_ngt_f64_e64 s[4:5], s[34:35], v[50:51]
	v_cndmask_b32_e32 v37, v42, v53, vcc
	s_and_b64 vcc, s[4:5], vcc
	v_cndmask_b32_e32 v50, 0, v52, vcc
	v_cndmask_b32_e64 v51, 0, v37, s[4:5]
	v_cmp_le_i32_e32 vcc, s9, v19
	v_add_f64 v[34:35], v[34:35], v[50:51]
	s_or_b64 s[52:53], vcc, s[52:53]
	s_andn2_b64 exec, exec, s[52:53]
	s_cbranch_execnz .LBB192_31
; %bb.32:                               ;   in Loop: Header=BB192_7 Depth=2
	s_or_b64 exec, exec, s[52:53]
.LBB192_33:                             ;   in Loop: Header=BB192_7 Depth=2
	s_or_b64 exec, exec, s[50:51]
	s_mov_b32 s40, s33
	s_waitcnt lgkmcnt(0)
	s_barrier
	ds_write_b64 v47, v[34:35]
	s_branch .LBB192_35
.LBB192_34:                             ;   in Loop: Header=BB192_35 Depth=3
	s_or_b64 exec, exec, s[4:5]
	s_cmp_gt_u32 s40, 3
	s_mov_b32 s40, s42
	s_cbranch_scc0 .LBB192_37
.LBB192_35:                             ;   Parent Loop BB192_3 Depth=1
                                        ;     Parent Loop BB192_7 Depth=2
                                        ; =>    This Inner Loop Header: Depth=3
	s_lshr_b32 s42, s40, 1
	v_cmp_gt_u32_e32 vcc, s42, v40
	s_waitcnt lgkmcnt(0)
	s_barrier
	s_and_saveexec_b64 s[4:5], vcc
	s_cbranch_execz .LBB192_34
; %bb.36:                               ;   in Loop: Header=BB192_35 Depth=3
	v_lshl_add_u32 v19, s42, 3, v47
	ds_read_b64 v[34:35], v47
	ds_read_b64 v[36:37], v19
	s_waitcnt lgkmcnt(0)
	v_add_f64 v[34:35], v[34:35], v[36:37]
	ds_write_b64 v47, v[34:35]
	s_branch .LBB192_34
.LBB192_37:                             ;   in Loop: Header=BB192_7 Depth=2
	s_waitcnt lgkmcnt(0)
	s_barrier
	s_and_saveexec_b64 s[50:51], s[2:3]
	s_cbranch_execz .LBB192_5
; %bb.38:                               ;   in Loop: Header=BB192_7 Depth=2
	ds_read_b64 v[36:37], v46
	s_mov_b32 s40, s24
	s_mov_b32 s42, s26
	s_mov_b64 s[52:53], 0
	s_waitcnt lgkmcnt(0)
	v_frexp_mant_f64_e32 v[34:35], v[36:37]
	v_cmp_gt_f64_e32 vcc, s[36:37], v[34:35]
	v_cndmask_b32_e64 v19, v43, 2.0, vcc
	v_frexp_exp_i32_f64_e32 v50, v[36:37]
	v_mul_f64 v[34:35], v[34:35], v[18:19]
	v_subbrev_co_u32_e32 v19, vcc, 0, v50, vcc
	v_add_f64 v[50:51], v[34:35], 1.0
	v_rcp_f64_e32 v[52:53], v[50:51]
	v_add_f64 v[56:57], v[50:51], -1.0
	v_add_f64 v[54:55], v[34:35], -1.0
	v_add_f64 v[34:35], v[34:35], -v[56:57]
	v_fma_f64 v[56:57], -v[50:51], v[52:53], 1.0
	v_fmac_f64_e32 v[52:53], v[56:57], v[52:53]
	v_fma_f64 v[56:57], -v[50:51], v[52:53], 1.0
	v_fmac_f64_e32 v[52:53], v[56:57], v[52:53]
	v_mul_f64 v[56:57], v[54:55], v[52:53]
	v_mul_f64 v[58:59], v[50:51], v[56:57]
	v_fma_f64 v[50:51], v[56:57], v[50:51], -v[58:59]
	v_fmac_f64_e32 v[50:51], v[56:57], v[34:35]
	v_add_f64 v[34:35], v[58:59], v[50:51]
	v_add_f64 v[60:61], v[54:55], -v[34:35]
	v_add_f64 v[58:59], v[34:35], -v[58:59]
	;; [unrolled: 1-line block ×5, first 2 shown]
	v_add_f64 v[34:35], v[50:51], v[34:35]
	v_add_f64 v[34:35], v[60:61], v[34:35]
	v_mul_f64 v[34:35], v[52:53], v[34:35]
	v_add_f64 v[50:51], v[56:57], v[34:35]
	v_add_f64 v[52:53], v[50:51], -v[56:57]
	v_add_f64 v[34:35], v[34:35], -v[52:53]
	v_mul_f64 v[52:53], v[50:51], v[50:51]
	v_pk_mov_b32 v[54:55], v[20:21], v[20:21] op_sel:[0,1]
	v_fmac_f64_e32 v[54:55], s[38:39], v[52:53]
	v_pk_mov_b32 v[56:57], v[22:23], v[22:23] op_sel:[0,1]
	v_fmac_f64_e32 v[56:57], v[52:53], v[54:55]
	;; [unrolled: 2-line block ×6, first 2 shown]
	v_ldexp_f64 v[54:55], v[50:51], 1
	v_mul_f64 v[50:51], v[50:51], v[52:53]
	v_mul_f64 v[50:51], v[50:51], v[56:57]
	v_add_f64 v[52:53], v[54:55], v[50:51]
	v_add_f64 v[54:55], v[52:53], -v[54:55]
	v_ldexp_f64 v[34:35], v[34:35], 1
	v_add_f64 v[50:51], v[50:51], -v[54:55]
	v_add_f64 v[34:35], v[34:35], v[50:51]
	v_add_f64 v[50:51], v[52:53], v[34:35]
	v_add_f64 v[52:53], v[50:51], -v[52:53]
	v_add_f64 v[34:35], v[34:35], -v[52:53]
	v_cvt_f64_i32_e32 v[52:53], v19
	v_mul_f64 v[54:55], v[52:53], s[40:41]
	v_fma_f64 v[56:57], v[52:53], s[40:41], -v[54:55]
	v_fmac_f64_e32 v[56:57], s[42:43], v[52:53]
	v_add_f64 v[52:53], v[54:55], v[56:57]
	v_add_f64 v[54:55], v[52:53], -v[54:55]
	v_add_f64 v[54:55], v[56:57], -v[54:55]
	v_add_f64 v[56:57], v[52:53], v[50:51]
	v_add_f64 v[58:59], v[56:57], -v[52:53]
	v_add_f64 v[60:61], v[56:57], -v[58:59]
	;; [unrolled: 1-line block ×4, first 2 shown]
	v_add_f64 v[50:51], v[50:51], v[52:53]
	v_add_f64 v[52:53], v[54:55], v[34:35]
	v_add_f64 v[58:59], v[52:53], -v[54:55]
	v_add_f64 v[60:61], v[52:53], -v[58:59]
	v_add_f64 v[50:51], v[52:53], v[50:51]
	v_add_f64 v[54:55], v[54:55], -v[60:61]
	v_add_f64 v[34:35], v[34:35], -v[58:59]
	v_add_f64 v[52:53], v[56:57], v[50:51]
	v_add_f64 v[34:35], v[34:35], v[54:55]
	v_add_f64 v[54:55], v[52:53], -v[56:57]
	v_add_f64 v[50:51], v[50:51], -v[54:55]
	v_add_f64 v[34:35], v[34:35], v[50:51]
	v_add_f64 v[34:35], v[52:53], v[34:35]
	v_cmp_class_f64_e64 vcc, v[36:37], s19
	v_cndmask_b32_e32 v19, v34, v36, vcc
	v_cndmask_b32_e32 v34, v35, v37, vcc
	v_cmp_ngt_f64_e32 vcc, 0, v[36:37]
	v_cndmask_b32_e32 v35, v44, v34, vcc
	v_cmp_nge_f64_e32 vcc, 0, v[36:37]
	v_cndmask_b32_e32 v34, 0, v19, vcc
	v_cmp_neq_f64_e32 vcc, 0, v[36:37]
	v_cndmask_b32_e32 v35, v45, v35, vcc
	v_mov_b32_e32 v36, v48
	v_mov_b32_e32 v19, v40
.LBB192_39:                             ;   Parent Loop BB192_3 Depth=1
                                        ;     Parent Loop BB192_7 Depth=2
                                        ; =>    This Inner Loop Header: Depth=3
	v_ashrrev_i32_e32 v37, 31, v36
	v_lshlrev_b64 v[50:51], 3, v[36:37]
	v_mov_b32_e32 v37, s15
	v_add_co_u32_e32 v52, vcc, s14, v50
	v_addc_co_u32_e32 v53, vcc, v37, v51, vcc
	global_load_dwordx2 v[52:53], v[52:53], off
	v_add_u32_e32 v19, s33, v19
	v_mov_b32_e32 v37, s13
	v_cmp_le_i32_e32 vcc, s9, v19
	v_add_co_u32_e64 v50, s[4:5], s12, v50
	v_addc_co_u32_e64 v51, s[4:5], v37, v51, s[4:5]
	s_or_b64 s[52:53], vcc, s[52:53]
	v_add_u32_e32 v36, s54, v36
	s_waitcnt vmcnt(0)
	v_add_f64 v[52:53], v[52:53], -v[32:33]
	v_add_f64 v[52:53], v[52:53], -v[34:35]
	global_store_dwordx2 v[50:51], v[52:53], off
	s_andn2_b64 exec, exec, s[52:53]
	s_cbranch_execnz .LBB192_39
	s_branch .LBB192_5
.LBB192_40:
	s_endpgm
	.section	.rodata,"a",@progbits
	.p2align	6, 0x0
	.amdhsa_kernel _ZN2at6native12_GLOBAL__N_126cunn_SpatialSoftMaxForwardIdddiNS1_25LogSoftMaxForwardEpilogueEEEvPT1_PKT_T2_S9_S9_
		.amdhsa_group_segment_fixed_size 0
		.amdhsa_private_segment_fixed_size 0
		.amdhsa_kernarg_size 288
		.amdhsa_user_sgpr_count 6
		.amdhsa_user_sgpr_private_segment_buffer 1
		.amdhsa_user_sgpr_dispatch_ptr 0
		.amdhsa_user_sgpr_queue_ptr 0
		.amdhsa_user_sgpr_kernarg_segment_ptr 1
		.amdhsa_user_sgpr_dispatch_id 0
		.amdhsa_user_sgpr_flat_scratch_init 0
		.amdhsa_user_sgpr_kernarg_preload_length 0
		.amdhsa_user_sgpr_kernarg_preload_offset 0
		.amdhsa_user_sgpr_private_segment_size 0
		.amdhsa_uses_dynamic_stack 0
		.amdhsa_system_sgpr_private_segment_wavefront_offset 0
		.amdhsa_system_sgpr_workgroup_id_x 1
		.amdhsa_system_sgpr_workgroup_id_y 1
		.amdhsa_system_sgpr_workgroup_id_z 0
		.amdhsa_system_sgpr_workgroup_info 0
		.amdhsa_system_vgpr_workitem_id 1
		.amdhsa_next_free_vgpr 62
		.amdhsa_next_free_sgpr 55
		.amdhsa_accum_offset 64
		.amdhsa_reserve_vcc 1
		.amdhsa_reserve_flat_scratch 0
		.amdhsa_float_round_mode_32 0
		.amdhsa_float_round_mode_16_64 0
		.amdhsa_float_denorm_mode_32 3
		.amdhsa_float_denorm_mode_16_64 3
		.amdhsa_dx10_clamp 1
		.amdhsa_ieee_mode 1
		.amdhsa_fp16_overflow 0
		.amdhsa_tg_split 0
		.amdhsa_exception_fp_ieee_invalid_op 0
		.amdhsa_exception_fp_denorm_src 0
		.amdhsa_exception_fp_ieee_div_zero 0
		.amdhsa_exception_fp_ieee_overflow 0
		.amdhsa_exception_fp_ieee_underflow 0
		.amdhsa_exception_fp_ieee_inexact 0
		.amdhsa_exception_int_div_zero 0
	.end_amdhsa_kernel
	.section	.text._ZN2at6native12_GLOBAL__N_126cunn_SpatialSoftMaxForwardIdddiNS1_25LogSoftMaxForwardEpilogueEEEvPT1_PKT_T2_S9_S9_,"axG",@progbits,_ZN2at6native12_GLOBAL__N_126cunn_SpatialSoftMaxForwardIdddiNS1_25LogSoftMaxForwardEpilogueEEEvPT1_PKT_T2_S9_S9_,comdat
.Lfunc_end192:
	.size	_ZN2at6native12_GLOBAL__N_126cunn_SpatialSoftMaxForwardIdddiNS1_25LogSoftMaxForwardEpilogueEEEvPT1_PKT_T2_S9_S9_, .Lfunc_end192-_ZN2at6native12_GLOBAL__N_126cunn_SpatialSoftMaxForwardIdddiNS1_25LogSoftMaxForwardEpilogueEEEvPT1_PKT_T2_S9_S9_
                                        ; -- End function
	.section	.AMDGPU.csdata,"",@progbits
; Kernel info:
; codeLenInByte = 3372
; NumSgprs: 59
; NumVgprs: 62
; NumAgprs: 0
; TotalNumVgprs: 62
; ScratchSize: 0
; MemoryBound: 0
; FloatMode: 240
; IeeeMode: 1
; LDSByteSize: 0 bytes/workgroup (compile time only)
; SGPRBlocks: 7
; VGPRBlocks: 7
; NumSGPRsForWavesPerEU: 59
; NumVGPRsForWavesPerEU: 62
; AccumOffset: 64
; Occupancy: 8
; WaveLimiterHint : 0
; COMPUTE_PGM_RSRC2:SCRATCH_EN: 0
; COMPUTE_PGM_RSRC2:USER_SGPR: 6
; COMPUTE_PGM_RSRC2:TRAP_HANDLER: 0
; COMPUTE_PGM_RSRC2:TGID_X_EN: 1
; COMPUTE_PGM_RSRC2:TGID_Y_EN: 1
; COMPUTE_PGM_RSRC2:TGID_Z_EN: 0
; COMPUTE_PGM_RSRC2:TIDIG_COMP_CNT: 1
; COMPUTE_PGM_RSRC3_GFX90A:ACCUM_OFFSET: 15
; COMPUTE_PGM_RSRC3_GFX90A:TG_SPLIT: 0
	.section	.text._ZN2at6native12_GLOBAL__N_126cunn_SpatialSoftMaxForwardIdddlNS1_25LogSoftMaxForwardEpilogueEEEvPT1_PKT_T2_S9_S9_,"axG",@progbits,_ZN2at6native12_GLOBAL__N_126cunn_SpatialSoftMaxForwardIdddlNS1_25LogSoftMaxForwardEpilogueEEEvPT1_PKT_T2_S9_S9_,comdat
	.globl	_ZN2at6native12_GLOBAL__N_126cunn_SpatialSoftMaxForwardIdddlNS1_25LogSoftMaxForwardEpilogueEEEvPT1_PKT_T2_S9_S9_ ; -- Begin function _ZN2at6native12_GLOBAL__N_126cunn_SpatialSoftMaxForwardIdddlNS1_25LogSoftMaxForwardEpilogueEEEvPT1_PKT_T2_S9_S9_
	.p2align	8
	.type	_ZN2at6native12_GLOBAL__N_126cunn_SpatialSoftMaxForwardIdddlNS1_25LogSoftMaxForwardEpilogueEEEvPT1_PKT_T2_S9_S9_,@function
_ZN2at6native12_GLOBAL__N_126cunn_SpatialSoftMaxForwardIdddlNS1_25LogSoftMaxForwardEpilogueEEEvPT1_PKT_T2_S9_S9_: ; @_ZN2at6native12_GLOBAL__N_126cunn_SpatialSoftMaxForwardIdddlNS1_25LogSoftMaxForwardEpilogueEEEvPT1_PKT_T2_S9_S9_
; %bb.0:
	s_load_dwordx8 s[8:15], s[4:5], 0x0
	s_mov_b32 s0, s7
	s_mov_b32 s7, 0
	s_waitcnt lgkmcnt(0)
	v_pk_mov_b32 v[2:3], s[12:13], s[12:13] op_sel:[0,1]
	v_cmp_ge_i64_e32 vcc, s[6:7], v[2:3]
	s_cbranch_vccnz .LBB193_40
; %bb.1:
	s_load_dword s1, s[4:5], 0x34
	s_load_dwordx4 s[16:19], s[4:5], 0x20
	s_add_u32 s20, s4, 40
	v_bfe_u32 v58, v0, 10, 10
	s_addc_u32 s21, s5, 0
	s_waitcnt lgkmcnt(0)
	s_lshr_b32 s4, s1, 16
	v_and_b32_e32 v0, 0x3ff, v0
	s_mul_i32 s0, s0, s4
	s_mul_i32 s22, s19, s4
	v_mad_u64_u32 v[6:7], s[4:5], s16, v0, 0
	v_mov_b32_e32 v8, v7
	v_mad_u64_u32 v[8:9], s[4:5], s17, v0, v[8:9]
	s_mul_i32 s4, s16, s15
	s_mul_hi_u32 s5, s16, s14
	v_mov_b32_e32 v4, 0
	s_add_i32 s4, s5, s4
	s_mul_i32 s5, s17, s14
	v_add_u32_e32 v2, s0, v58
	v_mov_b32_e32 v3, v4
	s_add_i32 s19, s4, s5
	s_mul_i32 s24, s16, s14
	v_mov_b32_e32 v5, s6
	v_mov_b32_e32 v7, v8
	s_mul_i32 s25, s19, s6
	v_mad_u64_u32 v[8:9], s[4:5], s24, v5, v[2:3]
	v_add_u32_e32 v9, s25, v9
	v_lshlrev_b64 v[6:7], 3, v[6:7]
	v_lshlrev_b64 v[8:9], 3, v[8:9]
	v_add_co_u32_e32 v6, vcc, v6, v8
	v_addc_co_u32_e32 v7, vcc, v7, v9, vcc
	s_mul_i32 s19, s19, s18
	s_mul_hi_u32 s4, s24, s18
	v_mov_b32_e32 v1, v4
	v_mov_b32_e32 v8, s11
	v_add_co_u32_e32 v6, vcc, s10, v6
	s_add_i32 s5, s4, s19
	s_mul_i32 s4, s24, s18
	v_addc_co_u32_e32 v7, vcc, v8, v7, vcc
	s_lshl_b64 s[24:25], s[4:5], 3
	s_mul_i32 s19, s15, s6
	v_mad_u64_u32 v[8:9], s[4:5], s14, v5, v[0:1]
	v_add_u32_e32 v5, s19, v9
	v_mul_lo_u32 v5, s16, v5
	v_mad_u64_u32 v[10:11], s[4:5], s16, v8, v[2:3]
	v_mul_lo_u32 v8, s17, v8
	v_add3_u32 v11, v8, v11, v5
	v_lshlrev_b64 v[10:11], 3, v[10:11]
	v_mov_b32_e32 v5, s11
	v_add_co_u32_e32 v8, vcc, s10, v10
	v_addc_co_u32_e32 v9, vcc, v5, v11, vcc
	s_mov_b32 s23, s7
	v_mov_b32_e32 v5, s9
	v_add_co_u32_e32 v10, vcc, s8, v10
	s_mov_b32 s8, -1
	s_mov_b32 s10, 0x652b82fe
	s_mov_b32 s30, 0xfefa39ef
	;; [unrolled: 1-line block ×8, first 2 shown]
	v_cmp_gt_i64_e64 s[0:1], s[16:17], v[2:3]
	v_cmp_gt_i64_e64 s[2:3], s[14:15], v[0:1]
	s_lshl_b64 s[26:27], s[22:23], 3
	s_lshl_b64 s[28:29], s[16:17], 3
	v_addc_co_u32_e32 v11, vcc, v5, v11, vcc
	s_mov_b32 s9, 0xffefffff
	s_mov_b32 s11, 0x3ff71547
	;; [unrolled: 1-line block ×11, first 2 shown]
	s_movk_i32 s19, 0x204
	v_mov_b32_e32 v12, 0xfca7ab0c
	v_mov_b32_e32 v13, 0x3e928af3
	;; [unrolled: 1-line block ×34, first 2 shown]
	s_mov_b64 s[50:51], s[6:7]
	s_branch .LBB193_3
.LBB193_2:                              ;   in Loop: Header=BB193_3 Depth=1
	s_or_b64 exec, exec, s[52:53]
	v_mov_b32_e32 v5, s25
	v_add_co_u32_e32 v6, vcc, s24, v6
	v_addc_co_u32_e32 v7, vcc, v7, v5, vcc
	v_add_co_u32_e32 v8, vcc, s24, v8
	v_addc_co_u32_e32 v9, vcc, v9, v5, vcc
	s_add_u32 s50, s50, s18
	v_add_co_u32_e32 v10, vcc, s24, v10
	s_addc_u32 s51, s51, 0
	v_addc_co_u32_e32 v11, vcc, v11, v5, vcc
	v_pk_mov_b32 v[42:43], s[12:13], s[12:13] op_sel:[0,1]
	v_cmp_ge_i64_e32 vcc, s[50:51], v[42:43]
	s_cbranch_vccnz .LBB193_40
.LBB193_3:                              ; =>This Loop Header: Depth=1
                                        ;     Child Loop BB193_7 Depth 2
                                        ;       Child Loop BB193_12 Depth 3
                                        ;       Child Loop BB193_15 Depth 3
	;; [unrolled: 1-line block ×8, first 2 shown]
	s_and_saveexec_b64 s[52:53], s[0:1]
	s_cbranch_execz .LBB193_2
; %bb.4:                                ;   in Loop: Header=BB193_3 Depth=1
	s_load_dword s4, s[20:21], 0xc
	s_mov_b64 s[56:57], 0
	v_mov_b32_e32 v65, s7
	v_pk_mov_b32 v[42:43], v[10:11], v[10:11] op_sel:[0,1]
	v_pk_mov_b32 v[44:45], v[8:9], v[8:9] op_sel:[0,1]
	s_waitcnt lgkmcnt(0)
	s_and_b32 s6, s4, 0xffff
	v_cmp_lt_u16_e64 s[54:55], s4, 2
	v_mul_u32_u24_e32 v5, s6, v58
	s_mul_i32 s4, s29, s6
	s_mul_hi_u32 s5, s28, s6
	v_lshl_add_u32 v63, v5, 3, 0
	s_add_i32 s33, s5, s4
	v_lshl_add_u32 v64, v0, 3, v63
	s_mul_i32 s64, s28, s6
	v_mov_b32_e32 v66, s33
	v_pk_mov_b32 v[46:47], v[6:7], v[6:7] op_sel:[0,1]
	v_pk_mov_b32 v[48:49], v[2:3], v[2:3] op_sel:[0,1]
	s_branch .LBB193_7
.LBB193_5:                              ;   in Loop: Header=BB193_7 Depth=2
	s_or_b64 exec, exec, s[58:59]
.LBB193_6:                              ;   in Loop: Header=BB193_7 Depth=2
	v_mov_b32_e32 v5, s23
	v_add_co_u32_e32 v48, vcc, s22, v48
	v_addc_co_u32_e32 v49, vcc, v49, v5, vcc
	v_mov_b32_e32 v5, s27
	v_add_co_u32_e32 v46, vcc, s26, v46
	v_addc_co_u32_e32 v47, vcc, v47, v5, vcc
	v_add_co_u32_e32 v44, vcc, s26, v44
	v_addc_co_u32_e32 v45, vcc, v45, v5, vcc
	v_cmp_le_i64_e32 vcc, s[16:17], v[48:49]
	s_or_b64 s[56:57], vcc, s[56:57]
	v_add_co_u32_e32 v42, vcc, s26, v42
	v_addc_co_u32_e32 v43, vcc, v43, v5, vcc
	s_andn2_b64 exec, exec, s[56:57]
	s_cbranch_execz .LBB193_2
.LBB193_7:                              ;   Parent Loop BB193_3 Depth=1
                                        ; =>  This Loop Header: Depth=2
                                        ;       Child Loop BB193_12 Depth 3
                                        ;       Child Loop BB193_15 Depth 3
	;; [unrolled: 1-line block ×8, first 2 shown]
	s_mov_b64 s[4:5], -1
	s_and_b64 vcc, exec, s[54:55]
	s_cbranch_vccz .LBB193_20
; %bb.8:                                ;   in Loop: Header=BB193_7 Depth=2
	v_pk_mov_b32 v[50:51], s[8:9], s[8:9] op_sel:[0,1]
	s_and_saveexec_b64 s[4:5], s[2:3]
	s_cbranch_execnz .LBB193_11
; %bb.9:                                ;   in Loop: Header=BB193_7 Depth=2
	s_or_b64 exec, exec, s[4:5]
	v_pk_mov_b32 v[52:53], 0, 0
	s_and_saveexec_b64 s[58:59], s[2:3]
	s_cbranch_execnz .LBB193_14
.LBB193_10:                             ;   in Loop: Header=BB193_7 Depth=2
	s_or_b64 exec, exec, s[58:59]
	s_and_saveexec_b64 s[58:59], s[2:3]
	s_cbranch_execnz .LBB193_17
	s_branch .LBB193_19
.LBB193_11:                             ;   in Loop: Header=BB193_7 Depth=2
	s_mov_b64 s[58:59], 0
	v_pk_mov_b32 v[50:51], s[8:9], s[8:9] op_sel:[0,1]
	v_pk_mov_b32 v[52:53], v[46:47], v[46:47] op_sel:[0,1]
	;; [unrolled: 1-line block ×3, first 2 shown]
.LBB193_12:                             ;   Parent Loop BB193_3 Depth=1
                                        ;     Parent Loop BB193_7 Depth=2
                                        ; =>    This Inner Loop Header: Depth=3
	global_load_dwordx2 v[56:57], v[52:53], off
	v_add_co_u32_e32 v54, vcc, s6, v54
	v_addc_co_u32_e32 v55, vcc, v55, v65, vcc
	v_add_co_u32_e32 v52, vcc, s64, v52
	v_addc_co_u32_e32 v53, vcc, v53, v66, vcc
	v_cmp_le_i64_e32 vcc, s[14:15], v[54:55]
	s_or_b64 s[58:59], vcc, s[58:59]
	s_waitcnt vmcnt(0)
	v_cmp_lt_f64_e32 vcc, v[50:51], v[56:57]
	v_cndmask_b32_e32 v51, v51, v57, vcc
	v_cndmask_b32_e32 v50, v50, v56, vcc
	s_andn2_b64 exec, exec, s[58:59]
	s_cbranch_execnz .LBB193_12
; %bb.13:                               ;   in Loop: Header=BB193_7 Depth=2
	s_or_b64 exec, exec, s[58:59]
	s_or_b64 exec, exec, s[4:5]
	v_pk_mov_b32 v[52:53], 0, 0
	s_and_saveexec_b64 s[58:59], s[2:3]
	s_cbranch_execz .LBB193_10
.LBB193_14:                             ;   in Loop: Header=BB193_7 Depth=2
	s_mov_b64 s[60:61], 0
	v_pk_mov_b32 v[52:53], 0, 0
	v_pk_mov_b32 v[54:55], v[46:47], v[46:47] op_sel:[0,1]
	v_pk_mov_b32 v[56:57], v[0:1], v[0:1] op_sel:[0,1]
.LBB193_15:                             ;   Parent Loop BB193_3 Depth=1
                                        ;     Parent Loop BB193_7 Depth=2
                                        ; =>    This Inner Loop Header: Depth=3
	global_load_dwordx2 v[68:69], v[54:55], off
	v_pk_mov_b32 v[74:75], v[12:13], v[12:13] op_sel:[0,1]
	v_pk_mov_b32 v[76:77], v[14:15], v[14:15] op_sel:[0,1]
	s_waitcnt vmcnt(0)
	v_add_f64 v[68:69], v[68:69], -v[50:51]
	v_mul_f64 v[70:71], v[68:69], s[10:11]
	v_rndne_f64_e32 v[70:71], v[70:71]
	v_fma_f64 v[72:73], s[30:31], v[70:71], v[68:69]
	v_fmac_f64_e32 v[72:73], s[34:35], v[70:71]
	v_fmac_f64_e32 v[74:75], s[36:37], v[72:73]
	;; [unrolled: 1-line block ×3, first 2 shown]
	v_pk_mov_b32 v[74:75], v[16:17], v[16:17] op_sel:[0,1]
	v_fmac_f64_e32 v[74:75], v[72:73], v[76:77]
	v_pk_mov_b32 v[76:77], v[18:19], v[18:19] op_sel:[0,1]
	v_fmac_f64_e32 v[76:77], v[72:73], v[74:75]
	;; [unrolled: 2-line block ×7, first 2 shown]
	v_fma_f64 v[74:75], v[72:73], v[74:75], 1.0
	v_fma_f64 v[72:73], v[72:73], v[74:75], 1.0
	v_cvt_i32_f64_e32 v5, v[70:71]
	v_ldexp_f64 v[70:71], v[72:73], v5
	v_cmp_nlt_f64_e32 vcc, s[38:39], v[68:69]
	v_cmp_ngt_f64_e64 s[4:5], s[40:41], v[68:69]
	v_cndmask_b32_e32 v5, v59, v71, vcc
	s_and_b64 vcc, s[4:5], vcc
	v_cndmask_b32_e32 v68, 0, v70, vcc
	v_cndmask_b32_e64 v69, 0, v5, s[4:5]
	v_add_co_u32_e32 v56, vcc, s6, v56
	v_mov_b32_e32 v5, s7
	v_addc_co_u32_e32 v57, vcc, v57, v5, vcc
	v_add_co_u32_e32 v54, vcc, s64, v54
	v_mov_b32_e32 v5, s33
	v_addc_co_u32_e32 v55, vcc, v55, v5, vcc
	v_cmp_le_i64_e32 vcc, s[14:15], v[56:57]
	v_add_f64 v[52:53], v[52:53], v[68:69]
	s_or_b64 s[60:61], vcc, s[60:61]
	s_andn2_b64 exec, exec, s[60:61]
	s_cbranch_execnz .LBB193_15
; %bb.16:                               ;   in Loop: Header=BB193_7 Depth=2
	s_or_b64 exec, exec, s[60:61]
	s_or_b64 exec, exec, s[58:59]
	s_and_saveexec_b64 s[58:59], s[2:3]
	s_cbranch_execz .LBB193_19
.LBB193_17:                             ;   in Loop: Header=BB193_7 Depth=2
	v_frexp_mant_f64_e32 v[54:55], v[52:53]
	v_cmp_gt_f64_e32 vcc, s[42:43], v[54:55]
	v_cndmask_b32_e64 v5, v60, 2.0, vcc
	v_frexp_exp_i32_f64_e32 v56, v[52:53]
	v_mul_f64 v[54:55], v[54:55], v[4:5]
	v_subbrev_co_u32_e32 v5, vcc, 0, v56, vcc
	v_add_f64 v[56:57], v[54:55], 1.0
	v_rcp_f64_e32 v[68:69], v[56:57]
	v_add_f64 v[72:73], v[56:57], -1.0
	v_add_f64 v[70:71], v[54:55], -1.0
	v_add_f64 v[54:55], v[54:55], -v[72:73]
	v_fma_f64 v[72:73], -v[56:57], v[68:69], 1.0
	v_fmac_f64_e32 v[68:69], v[72:73], v[68:69]
	v_fma_f64 v[72:73], -v[56:57], v[68:69], 1.0
	v_fmac_f64_e32 v[68:69], v[72:73], v[68:69]
	v_mul_f64 v[72:73], v[70:71], v[68:69]
	v_mul_f64 v[74:75], v[56:57], v[72:73]
	v_fma_f64 v[56:57], v[72:73], v[56:57], -v[74:75]
	v_fmac_f64_e32 v[56:57], v[72:73], v[54:55]
	v_add_f64 v[54:55], v[74:75], v[56:57]
	v_add_f64 v[76:77], v[70:71], -v[54:55]
	v_add_f64 v[74:75], v[54:55], -v[74:75]
	;; [unrolled: 1-line block ×5, first 2 shown]
	v_add_f64 v[54:55], v[56:57], v[54:55]
	v_add_f64 v[54:55], v[76:77], v[54:55]
	v_mul_f64 v[54:55], v[68:69], v[54:55]
	v_add_f64 v[56:57], v[72:73], v[54:55]
	v_add_f64 v[68:69], v[56:57], -v[72:73]
	v_add_f64 v[54:55], v[54:55], -v[68:69]
	v_mul_f64 v[68:69], v[56:57], v[56:57]
	v_pk_mov_b32 v[70:71], v[30:31], v[30:31] op_sel:[0,1]
	v_fmac_f64_e32 v[70:71], s[44:45], v[68:69]
	v_pk_mov_b32 v[72:73], v[32:33], v[32:33] op_sel:[0,1]
	v_fmac_f64_e32 v[72:73], v[68:69], v[70:71]
	;; [unrolled: 2-line block ×6, first 2 shown]
	v_ldexp_f64 v[70:71], v[56:57], 1
	v_mul_f64 v[56:57], v[56:57], v[68:69]
	v_mul_f64 v[56:57], v[56:57], v[72:73]
	v_add_f64 v[68:69], v[70:71], v[56:57]
	v_add_f64 v[70:71], v[68:69], -v[70:71]
	v_ldexp_f64 v[54:55], v[54:55], 1
	v_add_f64 v[56:57], v[56:57], -v[70:71]
	v_add_f64 v[54:55], v[54:55], v[56:57]
	v_add_f64 v[56:57], v[68:69], v[54:55]
	v_add_f64 v[68:69], v[56:57], -v[68:69]
	v_add_f64 v[54:55], v[54:55], -v[68:69]
	v_cvt_f64_i32_e32 v[68:69], v5
	s_mov_b32 s46, s30
	v_mul_f64 v[70:71], v[68:69], s[46:47]
	v_fma_f64 v[72:73], v[68:69], s[46:47], -v[70:71]
	s_mov_b32 s48, s34
	v_fmac_f64_e32 v[72:73], s[48:49], v[68:69]
	v_add_f64 v[68:69], v[70:71], v[72:73]
	v_add_f64 v[70:71], v[68:69], -v[70:71]
	v_add_f64 v[70:71], v[72:73], -v[70:71]
	v_add_f64 v[72:73], v[68:69], v[56:57]
	v_add_f64 v[74:75], v[72:73], -v[68:69]
	v_add_f64 v[76:77], v[72:73], -v[74:75]
	;; [unrolled: 1-line block ×4, first 2 shown]
	v_add_f64 v[56:57], v[56:57], v[68:69]
	v_add_f64 v[68:69], v[70:71], v[54:55]
	v_add_f64 v[74:75], v[68:69], -v[70:71]
	v_add_f64 v[76:77], v[68:69], -v[74:75]
	v_add_f64 v[56:57], v[68:69], v[56:57]
	v_add_f64 v[70:71], v[70:71], -v[76:77]
	v_add_f64 v[54:55], v[54:55], -v[74:75]
	v_add_f64 v[68:69], v[72:73], v[56:57]
	v_add_f64 v[54:55], v[54:55], v[70:71]
	v_add_f64 v[70:71], v[68:69], -v[72:73]
	v_add_f64 v[56:57], v[56:57], -v[70:71]
	v_add_f64 v[54:55], v[54:55], v[56:57]
	v_add_f64 v[54:55], v[68:69], v[54:55]
	v_cmp_class_f64_e64 vcc, v[52:53], s19
	v_cndmask_b32_e32 v5, v54, v52, vcc
	v_cndmask_b32_e32 v54, v55, v53, vcc
	v_cmp_ngt_f64_e32 vcc, 0, v[52:53]
	v_cndmask_b32_e32 v55, v61, v54, vcc
	v_cmp_nge_f64_e32 vcc, 0, v[52:53]
	v_cndmask_b32_e32 v54, 0, v5, vcc
	v_cmp_neq_f64_e32 vcc, 0, v[52:53]
	v_cndmask_b32_e32 v55, v62, v55, vcc
	s_mov_b64 s[60:61], 0
	s_mov_b64 s[62:63], 0
	v_pk_mov_b32 v[52:53], v[0:1], v[0:1] op_sel:[0,1]
.LBB193_18:                             ;   Parent Loop BB193_3 Depth=1
                                        ;     Parent Loop BB193_7 Depth=2
                                        ; =>    This Inner Loop Header: Depth=3
	v_mov_b32_e32 v5, s63
	v_add_co_u32_e32 v56, vcc, s62, v44
	v_addc_co_u32_e32 v57, vcc, v45, v5, vcc
	global_load_dwordx2 v[56:57], v[56:57], off
	v_mov_b32_e32 v67, s7
	v_add_co_u32_e32 v52, vcc, s6, v52
	v_add_co_u32_e64 v68, s[4:5], s62, v42
	s_add_u32 s62, s62, s64
	v_addc_co_u32_e32 v53, vcc, v53, v67, vcc
	s_addc_u32 s63, s63, s33
	v_cmp_le_i64_e32 vcc, s[14:15], v[52:53]
	v_addc_co_u32_e64 v69, s[4:5], v43, v5, s[4:5]
	s_or_b64 s[60:61], vcc, s[60:61]
	s_waitcnt vmcnt(0)
	v_add_f64 v[56:57], v[56:57], -v[50:51]
	v_add_f64 v[56:57], v[56:57], -v[54:55]
	global_store_dwordx2 v[68:69], v[56:57], off
	s_andn2_b64 exec, exec, s[60:61]
	s_cbranch_execnz .LBB193_18
.LBB193_19:                             ;   in Loop: Header=BB193_7 Depth=2
	s_or_b64 exec, exec, s[58:59]
	s_mov_b64 s[4:5], 0
.LBB193_20:                             ;   in Loop: Header=BB193_7 Depth=2
	s_and_b64 vcc, exec, s[4:5]
	s_cbranch_vccz .LBB193_6
; %bb.21:                               ;   in Loop: Header=BB193_7 Depth=2
	v_pk_mov_b32 v[50:51], s[8:9], s[8:9] op_sel:[0,1]
	s_and_saveexec_b64 s[58:59], s[2:3]
	s_cbranch_execz .LBB193_25
; %bb.22:                               ;   in Loop: Header=BB193_7 Depth=2
	s_mov_b64 s[60:61], 0
	v_pk_mov_b32 v[50:51], s[8:9], s[8:9] op_sel:[0,1]
	v_pk_mov_b32 v[52:53], v[46:47], v[46:47] op_sel:[0,1]
	;; [unrolled: 1-line block ×3, first 2 shown]
.LBB193_23:                             ;   Parent Loop BB193_3 Depth=1
                                        ;     Parent Loop BB193_7 Depth=2
                                        ; =>    This Inner Loop Header: Depth=3
	global_load_dwordx2 v[56:57], v[52:53], off
	v_mov_b32_e32 v5, s7
	v_mov_b32_e32 v67, s33
	v_add_co_u32_e32 v52, vcc, s64, v52
	v_add_co_u32_e64 v54, s[4:5], s6, v54
	v_addc_co_u32_e64 v55, s[4:5], v55, v5, s[4:5]
	v_addc_co_u32_e32 v53, vcc, v53, v67, vcc
	v_cmp_le_i64_e32 vcc, s[14:15], v[54:55]
	s_or_b64 s[60:61], vcc, s[60:61]
	s_waitcnt vmcnt(0)
	v_cmp_lt_f64_e32 vcc, v[50:51], v[56:57]
	v_cndmask_b32_e32 v51, v51, v57, vcc
	v_cndmask_b32_e32 v50, v50, v56, vcc
	s_andn2_b64 exec, exec, s[60:61]
	s_cbranch_execnz .LBB193_23
; %bb.24:                               ;   in Loop: Header=BB193_7 Depth=2
	s_or_b64 exec, exec, s[60:61]
.LBB193_25:                             ;   in Loop: Header=BB193_7 Depth=2
	s_or_b64 exec, exec, s[58:59]
	s_mov_b32 s46, s6
	s_barrier
	ds_write_b64 v64, v[50:51]
	s_branch .LBB193_27
.LBB193_26:                             ;   in Loop: Header=BB193_27 Depth=3
	s_or_b64 exec, exec, s[4:5]
	s_cmp_gt_u32 s46, 3
	s_mov_b32 s46, s48
	s_cbranch_scc0 .LBB193_29
.LBB193_27:                             ;   Parent Loop BB193_3 Depth=1
                                        ;     Parent Loop BB193_7 Depth=2
                                        ; =>    This Inner Loop Header: Depth=3
	s_lshr_b32 s48, s46, 1
	v_cmp_gt_u32_e32 vcc, s48, v0
	s_waitcnt lgkmcnt(0)
	s_barrier
	s_and_saveexec_b64 s[4:5], vcc
	s_cbranch_execz .LBB193_26
; %bb.28:                               ;   in Loop: Header=BB193_27 Depth=3
	v_lshl_add_u32 v5, s48, 3, v64
	ds_read_b64 v[50:51], v64
	ds_read_b64 v[52:53], v5
	s_waitcnt lgkmcnt(0)
	v_cmp_lt_f64_e32 vcc, v[50:51], v[52:53]
	v_cndmask_b32_e32 v51, v51, v53, vcc
	v_cndmask_b32_e32 v50, v50, v52, vcc
	ds_write_b64 v64, v[50:51]
	s_branch .LBB193_26
.LBB193_29:                             ;   in Loop: Header=BB193_7 Depth=2
	s_waitcnt lgkmcnt(0)
	s_barrier
	ds_read_b64 v[50:51], v63
	v_pk_mov_b32 v[52:53], 0, 0
	s_and_saveexec_b64 s[58:59], s[2:3]
	s_cbranch_execz .LBB193_33
; %bb.30:                               ;   in Loop: Header=BB193_7 Depth=2
	s_mov_b64 s[60:61], 0
	v_pk_mov_b32 v[52:53], 0, 0
	v_pk_mov_b32 v[54:55], v[46:47], v[46:47] op_sel:[0,1]
	v_pk_mov_b32 v[56:57], v[0:1], v[0:1] op_sel:[0,1]
.LBB193_31:                             ;   Parent Loop BB193_3 Depth=1
                                        ;     Parent Loop BB193_7 Depth=2
                                        ; =>    This Inner Loop Header: Depth=3
	global_load_dwordx2 v[68:69], v[54:55], off
	v_pk_mov_b32 v[74:75], v[12:13], v[12:13] op_sel:[0,1]
	v_pk_mov_b32 v[76:77], v[14:15], v[14:15] op_sel:[0,1]
	s_waitcnt vmcnt(0) lgkmcnt(0)
	v_add_f64 v[68:69], v[68:69], -v[50:51]
	v_mul_f64 v[70:71], v[68:69], s[10:11]
	v_rndne_f64_e32 v[70:71], v[70:71]
	v_fma_f64 v[72:73], s[30:31], v[70:71], v[68:69]
	v_fmac_f64_e32 v[72:73], s[34:35], v[70:71]
	v_fmac_f64_e32 v[74:75], s[36:37], v[72:73]
	;; [unrolled: 1-line block ×3, first 2 shown]
	v_pk_mov_b32 v[74:75], v[16:17], v[16:17] op_sel:[0,1]
	v_fmac_f64_e32 v[74:75], v[72:73], v[76:77]
	v_pk_mov_b32 v[76:77], v[18:19], v[18:19] op_sel:[0,1]
	v_fmac_f64_e32 v[76:77], v[72:73], v[74:75]
	v_pk_mov_b32 v[74:75], v[20:21], v[20:21] op_sel:[0,1]
	v_fmac_f64_e32 v[74:75], v[72:73], v[76:77]
	v_pk_mov_b32 v[76:77], v[22:23], v[22:23] op_sel:[0,1]
	v_fmac_f64_e32 v[76:77], v[72:73], v[74:75]
	v_pk_mov_b32 v[74:75], v[24:25], v[24:25] op_sel:[0,1]
	v_fmac_f64_e32 v[74:75], v[72:73], v[76:77]
	v_pk_mov_b32 v[76:77], v[26:27], v[26:27] op_sel:[0,1]
	v_fmac_f64_e32 v[76:77], v[72:73], v[74:75]
	v_pk_mov_b32 v[74:75], v[28:29], v[28:29] op_sel:[0,1]
	v_fmac_f64_e32 v[74:75], v[72:73], v[76:77]
	v_fma_f64 v[74:75], v[72:73], v[74:75], 1.0
	v_fma_f64 v[72:73], v[72:73], v[74:75], 1.0
	v_cvt_i32_f64_e32 v5, v[70:71]
	v_ldexp_f64 v[70:71], v[72:73], v5
	v_cmp_nlt_f64_e32 vcc, s[38:39], v[68:69]
	v_cmp_ngt_f64_e64 s[4:5], s[40:41], v[68:69]
	v_cndmask_b32_e32 v5, v59, v71, vcc
	s_and_b64 vcc, s[4:5], vcc
	v_cndmask_b32_e32 v68, 0, v70, vcc
	v_cndmask_b32_e64 v69, 0, v5, s[4:5]
	v_add_co_u32_e32 v56, vcc, s6, v56
	v_mov_b32_e32 v5, s7
	v_addc_co_u32_e32 v57, vcc, v57, v5, vcc
	v_add_co_u32_e32 v54, vcc, s64, v54
	v_mov_b32_e32 v5, s33
	v_addc_co_u32_e32 v55, vcc, v55, v5, vcc
	v_cmp_le_i64_e32 vcc, s[14:15], v[56:57]
	v_add_f64 v[52:53], v[52:53], v[68:69]
	s_or_b64 s[60:61], vcc, s[60:61]
	s_andn2_b64 exec, exec, s[60:61]
	s_cbranch_execnz .LBB193_31
; %bb.32:                               ;   in Loop: Header=BB193_7 Depth=2
	s_or_b64 exec, exec, s[60:61]
.LBB193_33:                             ;   in Loop: Header=BB193_7 Depth=2
	s_or_b64 exec, exec, s[58:59]
	s_mov_b32 s46, s6
	s_waitcnt lgkmcnt(0)
	s_barrier
	ds_write_b64 v64, v[52:53]
	s_branch .LBB193_35
.LBB193_34:                             ;   in Loop: Header=BB193_35 Depth=3
	s_or_b64 exec, exec, s[4:5]
	s_cmp_gt_u32 s46, 3
	s_mov_b32 s46, s48
	s_cbranch_scc0 .LBB193_37
.LBB193_35:                             ;   Parent Loop BB193_3 Depth=1
                                        ;     Parent Loop BB193_7 Depth=2
                                        ; =>    This Inner Loop Header: Depth=3
	s_lshr_b32 s48, s46, 1
	v_cmp_gt_u32_e32 vcc, s48, v0
	s_waitcnt lgkmcnt(0)
	s_barrier
	s_and_saveexec_b64 s[4:5], vcc
	s_cbranch_execz .LBB193_34
; %bb.36:                               ;   in Loop: Header=BB193_35 Depth=3
	v_lshl_add_u32 v5, s48, 3, v64
	ds_read_b64 v[52:53], v64
	ds_read_b64 v[54:55], v5
	s_waitcnt lgkmcnt(0)
	v_add_f64 v[52:53], v[52:53], v[54:55]
	ds_write_b64 v64, v[52:53]
	s_branch .LBB193_34
.LBB193_37:                             ;   in Loop: Header=BB193_7 Depth=2
	s_waitcnt lgkmcnt(0)
	s_barrier
	s_and_saveexec_b64 s[58:59], s[2:3]
	s_cbranch_execz .LBB193_5
; %bb.38:                               ;   in Loop: Header=BB193_7 Depth=2
	ds_read_b64 v[54:55], v63
	s_mov_b32 s46, s30
	s_mov_b32 s48, s34
	s_mov_b64 s[60:61], 0
	s_mov_b64 s[62:63], 0
	s_waitcnt lgkmcnt(0)
	v_frexp_mant_f64_e32 v[52:53], v[54:55]
	v_cmp_gt_f64_e32 vcc, s[42:43], v[52:53]
	v_cndmask_b32_e64 v5, v60, 2.0, vcc
	v_frexp_exp_i32_f64_e32 v56, v[54:55]
	v_mul_f64 v[52:53], v[52:53], v[4:5]
	v_subbrev_co_u32_e32 v5, vcc, 0, v56, vcc
	v_add_f64 v[56:57], v[52:53], 1.0
	v_rcp_f64_e32 v[68:69], v[56:57]
	v_add_f64 v[72:73], v[56:57], -1.0
	v_add_f64 v[70:71], v[52:53], -1.0
	v_add_f64 v[52:53], v[52:53], -v[72:73]
	v_fma_f64 v[72:73], -v[56:57], v[68:69], 1.0
	v_fmac_f64_e32 v[68:69], v[72:73], v[68:69]
	v_fma_f64 v[72:73], -v[56:57], v[68:69], 1.0
	v_fmac_f64_e32 v[68:69], v[72:73], v[68:69]
	v_mul_f64 v[72:73], v[70:71], v[68:69]
	v_mul_f64 v[74:75], v[56:57], v[72:73]
	v_fma_f64 v[56:57], v[72:73], v[56:57], -v[74:75]
	v_fmac_f64_e32 v[56:57], v[72:73], v[52:53]
	v_add_f64 v[52:53], v[74:75], v[56:57]
	v_add_f64 v[76:77], v[70:71], -v[52:53]
	v_add_f64 v[74:75], v[52:53], -v[74:75]
	;; [unrolled: 1-line block ×5, first 2 shown]
	v_add_f64 v[52:53], v[56:57], v[52:53]
	v_add_f64 v[52:53], v[76:77], v[52:53]
	v_mul_f64 v[52:53], v[68:69], v[52:53]
	v_add_f64 v[56:57], v[72:73], v[52:53]
	v_add_f64 v[68:69], v[56:57], -v[72:73]
	v_add_f64 v[52:53], v[52:53], -v[68:69]
	v_mul_f64 v[68:69], v[56:57], v[56:57]
	v_pk_mov_b32 v[70:71], v[30:31], v[30:31] op_sel:[0,1]
	v_fmac_f64_e32 v[70:71], s[44:45], v[68:69]
	v_pk_mov_b32 v[72:73], v[32:33], v[32:33] op_sel:[0,1]
	v_fmac_f64_e32 v[72:73], v[68:69], v[70:71]
	v_pk_mov_b32 v[70:71], v[34:35], v[34:35] op_sel:[0,1]
	v_fmac_f64_e32 v[70:71], v[68:69], v[72:73]
	v_pk_mov_b32 v[72:73], v[36:37], v[36:37] op_sel:[0,1]
	v_fmac_f64_e32 v[72:73], v[68:69], v[70:71]
	v_pk_mov_b32 v[70:71], v[38:39], v[38:39] op_sel:[0,1]
	v_fmac_f64_e32 v[70:71], v[68:69], v[72:73]
	v_pk_mov_b32 v[72:73], v[40:41], v[40:41] op_sel:[0,1]
	v_fmac_f64_e32 v[72:73], v[68:69], v[70:71]
	v_ldexp_f64 v[70:71], v[56:57], 1
	v_mul_f64 v[56:57], v[56:57], v[68:69]
	v_mul_f64 v[56:57], v[56:57], v[72:73]
	v_add_f64 v[68:69], v[70:71], v[56:57]
	v_add_f64 v[70:71], v[68:69], -v[70:71]
	v_ldexp_f64 v[52:53], v[52:53], 1
	v_add_f64 v[56:57], v[56:57], -v[70:71]
	v_add_f64 v[52:53], v[52:53], v[56:57]
	v_add_f64 v[56:57], v[68:69], v[52:53]
	v_add_f64 v[68:69], v[56:57], -v[68:69]
	v_add_f64 v[52:53], v[52:53], -v[68:69]
	v_cvt_f64_i32_e32 v[68:69], v5
	v_mul_f64 v[70:71], v[68:69], s[46:47]
	v_fma_f64 v[72:73], v[68:69], s[46:47], -v[70:71]
	v_fmac_f64_e32 v[72:73], s[48:49], v[68:69]
	v_add_f64 v[68:69], v[70:71], v[72:73]
	v_add_f64 v[70:71], v[68:69], -v[70:71]
	v_add_f64 v[70:71], v[72:73], -v[70:71]
	v_add_f64 v[72:73], v[68:69], v[56:57]
	v_add_f64 v[74:75], v[72:73], -v[68:69]
	v_add_f64 v[76:77], v[72:73], -v[74:75]
	;; [unrolled: 1-line block ×4, first 2 shown]
	v_add_f64 v[56:57], v[56:57], v[68:69]
	v_add_f64 v[68:69], v[70:71], v[52:53]
	v_add_f64 v[74:75], v[68:69], -v[70:71]
	v_add_f64 v[76:77], v[68:69], -v[74:75]
	v_add_f64 v[56:57], v[68:69], v[56:57]
	v_add_f64 v[70:71], v[70:71], -v[76:77]
	v_add_f64 v[52:53], v[52:53], -v[74:75]
	v_add_f64 v[68:69], v[72:73], v[56:57]
	v_add_f64 v[52:53], v[52:53], v[70:71]
	v_add_f64 v[70:71], v[68:69], -v[72:73]
	v_add_f64 v[56:57], v[56:57], -v[70:71]
	v_add_f64 v[52:53], v[52:53], v[56:57]
	v_add_f64 v[52:53], v[68:69], v[52:53]
	v_cmp_class_f64_e64 vcc, v[54:55], s19
	v_cndmask_b32_e32 v5, v52, v54, vcc
	v_cndmask_b32_e32 v52, v53, v55, vcc
	v_cmp_ngt_f64_e32 vcc, 0, v[54:55]
	v_cndmask_b32_e32 v53, v61, v52, vcc
	v_cmp_nge_f64_e32 vcc, 0, v[54:55]
	v_cndmask_b32_e32 v52, 0, v5, vcc
	v_cmp_neq_f64_e32 vcc, 0, v[54:55]
	v_cndmask_b32_e32 v53, v62, v53, vcc
	v_pk_mov_b32 v[54:55], v[0:1], v[0:1] op_sel:[0,1]
.LBB193_39:                             ;   Parent Loop BB193_3 Depth=1
                                        ;     Parent Loop BB193_7 Depth=2
                                        ; =>    This Inner Loop Header: Depth=3
	v_mov_b32_e32 v5, s63
	v_add_co_u32_e32 v56, vcc, s62, v44
	v_addc_co_u32_e32 v57, vcc, v45, v5, vcc
	global_load_dwordx2 v[56:57], v[56:57], off
	v_mov_b32_e32 v67, s7
	v_add_co_u32_e32 v54, vcc, s6, v54
	v_add_co_u32_e64 v68, s[4:5], s62, v42
	s_add_u32 s62, s62, s64
	v_addc_co_u32_e32 v55, vcc, v55, v67, vcc
	s_addc_u32 s63, s63, s33
	v_cmp_le_i64_e32 vcc, s[14:15], v[54:55]
	v_addc_co_u32_e64 v69, s[4:5], v43, v5, s[4:5]
	s_or_b64 s[60:61], vcc, s[60:61]
	s_waitcnt vmcnt(0)
	v_add_f64 v[56:57], v[56:57], -v[50:51]
	v_add_f64 v[56:57], v[56:57], -v[52:53]
	global_store_dwordx2 v[68:69], v[56:57], off
	s_andn2_b64 exec, exec, s[60:61]
	s_cbranch_execnz .LBB193_39
	s_branch .LBB193_5
.LBB193_40:
	s_endpgm
	.section	.rodata,"a",@progbits
	.p2align	6, 0x0
	.amdhsa_kernel _ZN2at6native12_GLOBAL__N_126cunn_SpatialSoftMaxForwardIdddlNS1_25LogSoftMaxForwardEpilogueEEEvPT1_PKT_T2_S9_S9_
		.amdhsa_group_segment_fixed_size 0
		.amdhsa_private_segment_fixed_size 0
		.amdhsa_kernarg_size 296
		.amdhsa_user_sgpr_count 6
		.amdhsa_user_sgpr_private_segment_buffer 1
		.amdhsa_user_sgpr_dispatch_ptr 0
		.amdhsa_user_sgpr_queue_ptr 0
		.amdhsa_user_sgpr_kernarg_segment_ptr 1
		.amdhsa_user_sgpr_dispatch_id 0
		.amdhsa_user_sgpr_flat_scratch_init 0
		.amdhsa_user_sgpr_kernarg_preload_length 0
		.amdhsa_user_sgpr_kernarg_preload_offset 0
		.amdhsa_user_sgpr_private_segment_size 0
		.amdhsa_uses_dynamic_stack 0
		.amdhsa_system_sgpr_private_segment_wavefront_offset 0
		.amdhsa_system_sgpr_workgroup_id_x 1
		.amdhsa_system_sgpr_workgroup_id_y 1
		.amdhsa_system_sgpr_workgroup_id_z 0
		.amdhsa_system_sgpr_workgroup_info 0
		.amdhsa_system_vgpr_workitem_id 1
		.amdhsa_next_free_vgpr 78
		.amdhsa_next_free_sgpr 65
		.amdhsa_accum_offset 80
		.amdhsa_reserve_vcc 1
		.amdhsa_reserve_flat_scratch 0
		.amdhsa_float_round_mode_32 0
		.amdhsa_float_round_mode_16_64 0
		.amdhsa_float_denorm_mode_32 3
		.amdhsa_float_denorm_mode_16_64 3
		.amdhsa_dx10_clamp 1
		.amdhsa_ieee_mode 1
		.amdhsa_fp16_overflow 0
		.amdhsa_tg_split 0
		.amdhsa_exception_fp_ieee_invalid_op 0
		.amdhsa_exception_fp_denorm_src 0
		.amdhsa_exception_fp_ieee_div_zero 0
		.amdhsa_exception_fp_ieee_overflow 0
		.amdhsa_exception_fp_ieee_underflow 0
		.amdhsa_exception_fp_ieee_inexact 0
		.amdhsa_exception_int_div_zero 0
	.end_amdhsa_kernel
	.section	.text._ZN2at6native12_GLOBAL__N_126cunn_SpatialSoftMaxForwardIdddlNS1_25LogSoftMaxForwardEpilogueEEEvPT1_PKT_T2_S9_S9_,"axG",@progbits,_ZN2at6native12_GLOBAL__N_126cunn_SpatialSoftMaxForwardIdddlNS1_25LogSoftMaxForwardEpilogueEEEvPT1_PKT_T2_S9_S9_,comdat
.Lfunc_end193:
	.size	_ZN2at6native12_GLOBAL__N_126cunn_SpatialSoftMaxForwardIdddlNS1_25LogSoftMaxForwardEpilogueEEEvPT1_PKT_T2_S9_S9_, .Lfunc_end193-_ZN2at6native12_GLOBAL__N_126cunn_SpatialSoftMaxForwardIdddlNS1_25LogSoftMaxForwardEpilogueEEEvPT1_PKT_T2_S9_S9_
                                        ; -- End function
	.section	.AMDGPU.csdata,"",@progbits
; Kernel info:
; codeLenInByte = 3688
; NumSgprs: 69
; NumVgprs: 78
; NumAgprs: 0
; TotalNumVgprs: 78
; ScratchSize: 0
; MemoryBound: 0
; FloatMode: 240
; IeeeMode: 1
; LDSByteSize: 0 bytes/workgroup (compile time only)
; SGPRBlocks: 8
; VGPRBlocks: 9
; NumSGPRsForWavesPerEU: 69
; NumVGPRsForWavesPerEU: 78
; AccumOffset: 80
; Occupancy: 6
; WaveLimiterHint : 0
; COMPUTE_PGM_RSRC2:SCRATCH_EN: 0
; COMPUTE_PGM_RSRC2:USER_SGPR: 6
; COMPUTE_PGM_RSRC2:TRAP_HANDLER: 0
; COMPUTE_PGM_RSRC2:TGID_X_EN: 1
; COMPUTE_PGM_RSRC2:TGID_Y_EN: 1
; COMPUTE_PGM_RSRC2:TGID_Z_EN: 0
; COMPUTE_PGM_RSRC2:TIDIG_COMP_CNT: 1
; COMPUTE_PGM_RSRC3_GFX90A:ACCUM_OFFSET: 19
; COMPUTE_PGM_RSRC3_GFX90A:TG_SPLIT: 0
	.section	.text._ZN2at6native12_GLOBAL__N_126cunn_SpatialSoftMaxForwardIfffiNS1_25LogSoftMaxForwardEpilogueEEEvPT1_PKT_T2_S9_S9_,"axG",@progbits,_ZN2at6native12_GLOBAL__N_126cunn_SpatialSoftMaxForwardIfffiNS1_25LogSoftMaxForwardEpilogueEEEvPT1_PKT_T2_S9_S9_,comdat
	.globl	_ZN2at6native12_GLOBAL__N_126cunn_SpatialSoftMaxForwardIfffiNS1_25LogSoftMaxForwardEpilogueEEEvPT1_PKT_T2_S9_S9_ ; -- Begin function _ZN2at6native12_GLOBAL__N_126cunn_SpatialSoftMaxForwardIfffiNS1_25LogSoftMaxForwardEpilogueEEEvPT1_PKT_T2_S9_S9_
	.p2align	8
	.type	_ZN2at6native12_GLOBAL__N_126cunn_SpatialSoftMaxForwardIfffiNS1_25LogSoftMaxForwardEpilogueEEEvPT1_PKT_T2_S9_S9_,@function
_ZN2at6native12_GLOBAL__N_126cunn_SpatialSoftMaxForwardIfffiNS1_25LogSoftMaxForwardEpilogueEEEvPT1_PKT_T2_S9_S9_: ; @_ZN2at6native12_GLOBAL__N_126cunn_SpatialSoftMaxForwardIfffiNS1_25LogSoftMaxForwardEpilogueEEEvPT1_PKT_T2_S9_S9_
; %bb.0:
	s_load_dwordx4 s[8:11], s[4:5], 0x10
	s_waitcnt lgkmcnt(0)
	s_cmp_ge_i32 s6, s8
	s_cbranch_scc1 .LBB194_40
; %bb.1:
	s_load_dword s0, s[4:5], 0x2c
	s_load_dwordx4 s[12:15], s[4:5], 0x0
	s_load_dwordx2 s[18:19], s[4:5], 0x20
	s_add_u32 s16, s4, 32
	s_addc_u32 s17, s5, 0
	v_and_b32_e32 v4, 0x3ff, v0
	s_waitcnt lgkmcnt(0)
	s_lshr_b32 s4, s0, 16
	s_mul_i32 s5, s7, s4
	s_mul_i32 s7, s19, s4
	;; [unrolled: 1-line block ×3, first 2 shown]
	v_bfe_u32 v2, v0, 10, 10
	v_add_u32_e32 v0, s4, v4
	v_add_u32_e32 v3, s5, v2
	v_mul_lo_u32 v0, s10, v0
	s_mul_i32 s11, s18, s10
	v_cmp_gt_i32_e64 s[0:1], s10, v3
	v_cmp_gt_i32_e64 s[2:3], s9, v4
	v_add3_u32 v5, v2, v0, s5
	s_mul_i32 s11, s11, s9
	s_mov_b32 s19, 0x3fb8aa3b
	s_mov_b32 s30, 0xc2ce8ed0
	;; [unrolled: 1-line block ×6, first 2 shown]
	v_mov_b32_e32 v6, 0x7f800000
	v_mov_b32_e32 v7, 0x4f800000
	;; [unrolled: 1-line block ×3, first 2 shown]
	s_branch .LBB194_3
.LBB194_2:                              ;   in Loop: Header=BB194_3 Depth=1
	s_or_b64 exec, exec, s[20:21]
	s_add_i32 s6, s18, s6
	s_cmp_ge_i32 s6, s8
	v_add_u32_e32 v5, s11, v5
	s_cbranch_scc1 .LBB194_40
.LBB194_3:                              ; =>This Loop Header: Depth=1
                                        ;     Child Loop BB194_7 Depth 2
                                        ;       Child Loop BB194_12 Depth 3
                                        ;       Child Loop BB194_15 Depth 3
	;; [unrolled: 1-line block ×8, first 2 shown]
	s_and_saveexec_b64 s[20:21], s[0:1]
	s_cbranch_execz .LBB194_2
; %bb.4:                                ;   in Loop: Header=BB194_3 Depth=1
	s_load_dword s4, s[16:17], 0xc
	s_mov_b64 s[22:23], 0
	v_mov_b32_e32 v11, v5
	v_mov_b32_e32 v12, v3
	s_waitcnt lgkmcnt(0)
	s_and_b32 s36, s4, 0xffff
	v_mul_u32_u24_e32 v0, s36, v2
	s_cmp_lt_u32 s36, 2
	v_lshl_add_u32 v9, v0, 2, 0
	s_mul_i32 s37, s10, s36
	s_cselect_b64 s[24:25], -1, 0
	v_lshl_add_u32 v10, v4, 2, v9
	s_branch .LBB194_7
.LBB194_5:                              ;   in Loop: Header=BB194_7 Depth=2
	s_or_b64 exec, exec, s[26:27]
.LBB194_6:                              ;   in Loop: Header=BB194_7 Depth=2
	v_add_u32_e32 v12, s7, v12
	v_cmp_le_i32_e32 vcc, s10, v12
	s_or_b64 s[22:23], vcc, s[22:23]
	v_add_u32_e32 v11, s7, v11
	s_andn2_b64 exec, exec, s[22:23]
	s_cbranch_execz .LBB194_2
.LBB194_7:                              ;   Parent Loop BB194_3 Depth=1
                                        ; =>  This Loop Header: Depth=2
                                        ;       Child Loop BB194_12 Depth 3
                                        ;       Child Loop BB194_15 Depth 3
	;; [unrolled: 1-line block ×8, first 2 shown]
	s_mov_b64 s[4:5], -1
	s_and_b64 vcc, exec, s[24:25]
	s_cbranch_vccz .LBB194_20
; %bb.8:                                ;   in Loop: Header=BB194_7 Depth=2
	v_mov_b32_e32 v13, 0xff7fffff
	s_and_saveexec_b64 s[4:5], s[2:3]
	s_cbranch_execnz .LBB194_11
; %bb.9:                                ;   in Loop: Header=BB194_7 Depth=2
	s_or_b64 exec, exec, s[4:5]
	v_mov_b32_e32 v14, 0
	s_and_saveexec_b64 s[4:5], s[2:3]
	s_cbranch_execnz .LBB194_14
.LBB194_10:                             ;   in Loop: Header=BB194_7 Depth=2
	s_or_b64 exec, exec, s[4:5]
	s_and_saveexec_b64 s[26:27], s[2:3]
	s_cbranch_execnz .LBB194_17
	s_branch .LBB194_19
.LBB194_11:                             ;   in Loop: Header=BB194_7 Depth=2
	s_mov_b64 s[26:27], 0
	v_mov_b32_e32 v13, 0xff7fffff
	v_mov_b32_e32 v0, v11
	;; [unrolled: 1-line block ×3, first 2 shown]
.LBB194_12:                             ;   Parent Loop BB194_3 Depth=1
                                        ;     Parent Loop BB194_7 Depth=2
                                        ; =>    This Inner Loop Header: Depth=3
	v_ashrrev_i32_e32 v1, 31, v0
	v_lshlrev_b64 v[16:17], 2, v[0:1]
	v_mov_b32_e32 v15, s15
	v_add_co_u32_e32 v16, vcc, s14, v16
	v_addc_co_u32_e32 v17, vcc, v15, v17, vcc
	global_load_dword v1, v[16:17], off
	v_add_u32_e32 v14, s36, v14
	v_cmp_le_i32_e32 vcc, s9, v14
	s_or_b64 s[26:27], vcc, s[26:27]
	v_add_u32_e32 v0, s37, v0
	s_waitcnt vmcnt(0)
	v_cmp_lt_f32_e32 vcc, v13, v1
	v_cndmask_b32_e32 v13, v13, v1, vcc
	s_andn2_b64 exec, exec, s[26:27]
	s_cbranch_execnz .LBB194_12
; %bb.13:                               ;   in Loop: Header=BB194_7 Depth=2
	s_or_b64 exec, exec, s[26:27]
	s_or_b64 exec, exec, s[4:5]
	v_mov_b32_e32 v14, 0
	s_and_saveexec_b64 s[4:5], s[2:3]
	s_cbranch_execz .LBB194_10
.LBB194_14:                             ;   in Loop: Header=BB194_7 Depth=2
	s_mov_b64 s[26:27], 0
	v_mov_b32_e32 v14, 0
	v_mov_b32_e32 v0, v11
	;; [unrolled: 1-line block ×3, first 2 shown]
.LBB194_15:                             ;   Parent Loop BB194_3 Depth=1
                                        ;     Parent Loop BB194_7 Depth=2
                                        ; =>    This Inner Loop Header: Depth=3
	v_ashrrev_i32_e32 v1, 31, v0
	v_lshlrev_b64 v[16:17], 2, v[0:1]
	v_mov_b32_e32 v1, s15
	v_add_co_u32_e32 v16, vcc, s14, v16
	v_addc_co_u32_e32 v17, vcc, v1, v17, vcc
	global_load_dword v1, v[16:17], off
	v_add_u32_e32 v15, s36, v15
	v_cmp_le_i32_e32 vcc, s9, v15
	s_or_b64 s[26:27], vcc, s[26:27]
	v_add_u32_e32 v0, s37, v0
	s_waitcnt vmcnt(0)
	v_sub_f32_e32 v1, v1, v13
	v_mul_f32_e32 v16, 0x3fb8aa3b, v1
	v_fma_f32 v17, v1, s19, -v16
	v_rndne_f32_e32 v18, v16
	v_fmac_f32_e32 v17, 0x32a5705f, v1
	v_sub_f32_e32 v16, v16, v18
	v_add_f32_e32 v16, v16, v17
	v_cvt_i32_f32_e32 v18, v18
	v_exp_f32_e32 v16, v16
	v_cmp_ngt_f32_e32 vcc, s30, v1
	v_ldexp_f32 v16, v16, v18
	v_cndmask_b32_e32 v16, 0, v16, vcc
	v_cmp_nlt_f32_e32 vcc, s31, v1
	v_cndmask_b32_e32 v1, v6, v16, vcc
	v_add_f32_e32 v14, v14, v1
	s_andn2_b64 exec, exec, s[26:27]
	s_cbranch_execnz .LBB194_15
; %bb.16:                               ;   in Loop: Header=BB194_7 Depth=2
	s_or_b64 exec, exec, s[26:27]
	s_or_b64 exec, exec, s[4:5]
	s_and_saveexec_b64 s[26:27], s[2:3]
	s_cbranch_execz .LBB194_19
.LBB194_17:                             ;   in Loop: Header=BB194_7 Depth=2
	v_cmp_gt_f32_e32 vcc, s34, v14
	v_cndmask_b32_e32 v0, 1.0, v7, vcc
	v_mul_f32_e32 v0, v14, v0
	v_log_f32_e32 v0, v0
	v_cndmask_b32_e32 v1, 0, v8, vcc
	s_mov_b64 s[28:29], 0
	v_mul_f32_e32 v14, 0x3f317217, v0
	v_fma_f32 v15, v0, s35, -v14
	v_fmac_f32_e32 v15, 0x3377d1cf, v0
	v_add_f32_e32 v14, v14, v15
	v_cmp_lt_f32_e64 vcc, |v0|, s33
	v_cndmask_b32_e32 v0, v0, v14, vcc
	v_sub_f32_e32 v14, v0, v1
	v_mov_b32_e32 v0, v11
	v_mov_b32_e32 v15, v4
.LBB194_18:                             ;   Parent Loop BB194_3 Depth=1
                                        ;     Parent Loop BB194_7 Depth=2
                                        ; =>    This Inner Loop Header: Depth=3
	v_ashrrev_i32_e32 v1, 31, v0
	v_lshlrev_b64 v[16:17], 2, v[0:1]
	v_mov_b32_e32 v1, s15
	v_add_co_u32_e32 v18, vcc, s14, v16
	v_addc_co_u32_e32 v19, vcc, v1, v17, vcc
	global_load_dword v1, v[18:19], off
	v_add_u32_e32 v15, s36, v15
	v_mov_b32_e32 v18, s13
	v_cmp_le_i32_e32 vcc, s9, v15
	v_add_co_u32_e64 v16, s[4:5], s12, v16
	v_addc_co_u32_e64 v17, s[4:5], v18, v17, s[4:5]
	s_or_b64 s[28:29], vcc, s[28:29]
	v_add_u32_e32 v0, s37, v0
	s_waitcnt vmcnt(0)
	v_sub_f32_e32 v1, v1, v13
	v_sub_f32_e32 v1, v1, v14
	global_store_dword v[16:17], v1, off
	s_andn2_b64 exec, exec, s[28:29]
	s_cbranch_execnz .LBB194_18
.LBB194_19:                             ;   in Loop: Header=BB194_7 Depth=2
	s_or_b64 exec, exec, s[26:27]
	s_mov_b64 s[4:5], 0
.LBB194_20:                             ;   in Loop: Header=BB194_7 Depth=2
	s_and_b64 vcc, exec, s[4:5]
	s_cbranch_vccz .LBB194_6
; %bb.21:                               ;   in Loop: Header=BB194_7 Depth=2
	v_mov_b32_e32 v13, 0xff7fffff
	s_and_saveexec_b64 s[4:5], s[2:3]
	s_cbranch_execz .LBB194_25
; %bb.22:                               ;   in Loop: Header=BB194_7 Depth=2
	s_mov_b64 s[26:27], 0
	v_mov_b32_e32 v13, 0xff7fffff
	v_mov_b32_e32 v0, v11
	;; [unrolled: 1-line block ×3, first 2 shown]
.LBB194_23:                             ;   Parent Loop BB194_3 Depth=1
                                        ;     Parent Loop BB194_7 Depth=2
                                        ; =>    This Inner Loop Header: Depth=3
	v_ashrrev_i32_e32 v1, 31, v0
	v_lshlrev_b64 v[16:17], 2, v[0:1]
	v_mov_b32_e32 v15, s15
	v_add_co_u32_e32 v16, vcc, s14, v16
	v_addc_co_u32_e32 v17, vcc, v15, v17, vcc
	global_load_dword v1, v[16:17], off
	v_add_u32_e32 v14, s36, v14
	v_cmp_le_i32_e32 vcc, s9, v14
	s_or_b64 s[26:27], vcc, s[26:27]
	v_add_u32_e32 v0, s37, v0
	s_waitcnt vmcnt(0)
	v_cmp_lt_f32_e32 vcc, v13, v1
	v_cndmask_b32_e32 v13, v13, v1, vcc
	s_andn2_b64 exec, exec, s[26:27]
	s_cbranch_execnz .LBB194_23
; %bb.24:                               ;   in Loop: Header=BB194_7 Depth=2
	s_or_b64 exec, exec, s[26:27]
.LBB194_25:                             ;   in Loop: Header=BB194_7 Depth=2
	s_or_b64 exec, exec, s[4:5]
	s_mov_b32 s26, s36
	s_barrier
	ds_write_b32 v10, v13
	s_branch .LBB194_27
.LBB194_26:                             ;   in Loop: Header=BB194_27 Depth=3
	s_or_b64 exec, exec, s[4:5]
	s_cmp_gt_u32 s26, 3
	s_mov_b32 s26, s27
	s_cbranch_scc0 .LBB194_29
.LBB194_27:                             ;   Parent Loop BB194_3 Depth=1
                                        ;     Parent Loop BB194_7 Depth=2
                                        ; =>    This Inner Loop Header: Depth=3
	s_lshr_b32 s27, s26, 1
	v_cmp_gt_u32_e32 vcc, s27, v4
	s_waitcnt lgkmcnt(0)
	s_barrier
	s_and_saveexec_b64 s[4:5], vcc
	s_cbranch_execz .LBB194_26
; %bb.28:                               ;   in Loop: Header=BB194_27 Depth=3
	v_lshl_add_u32 v0, s27, 2, v10
	ds_read_b32 v1, v10
	ds_read_b32 v0, v0
	s_waitcnt lgkmcnt(0)
	v_cmp_lt_f32_e32 vcc, v1, v0
	v_cndmask_b32_e32 v0, v1, v0, vcc
	ds_write_b32 v10, v0
	s_branch .LBB194_26
.LBB194_29:                             ;   in Loop: Header=BB194_7 Depth=2
	s_waitcnt lgkmcnt(0)
	s_barrier
	ds_read_b32 v13, v9
	v_mov_b32_e32 v14, 0
	s_and_saveexec_b64 s[4:5], s[2:3]
	s_cbranch_execz .LBB194_33
; %bb.30:                               ;   in Loop: Header=BB194_7 Depth=2
	s_mov_b64 s[26:27], 0
	v_mov_b32_e32 v14, 0
	v_mov_b32_e32 v0, v11
	v_mov_b32_e32 v15, v4
.LBB194_31:                             ;   Parent Loop BB194_3 Depth=1
                                        ;     Parent Loop BB194_7 Depth=2
                                        ; =>    This Inner Loop Header: Depth=3
	v_ashrrev_i32_e32 v1, 31, v0
	v_lshlrev_b64 v[16:17], 2, v[0:1]
	v_mov_b32_e32 v1, s15
	v_add_co_u32_e32 v16, vcc, s14, v16
	v_addc_co_u32_e32 v17, vcc, v1, v17, vcc
	global_load_dword v1, v[16:17], off
	v_add_u32_e32 v15, s36, v15
	v_cmp_le_i32_e32 vcc, s9, v15
	s_or_b64 s[26:27], vcc, s[26:27]
	v_add_u32_e32 v0, s37, v0
	s_waitcnt vmcnt(0) lgkmcnt(0)
	v_sub_f32_e32 v1, v1, v13
	v_mul_f32_e32 v16, 0x3fb8aa3b, v1
	v_fma_f32 v17, v1, s19, -v16
	v_rndne_f32_e32 v18, v16
	v_fmac_f32_e32 v17, 0x32a5705f, v1
	v_sub_f32_e32 v16, v16, v18
	v_add_f32_e32 v16, v16, v17
	v_cvt_i32_f32_e32 v18, v18
	v_exp_f32_e32 v16, v16
	v_cmp_ngt_f32_e32 vcc, s30, v1
	v_ldexp_f32 v16, v16, v18
	v_cndmask_b32_e32 v16, 0, v16, vcc
	v_cmp_nlt_f32_e32 vcc, s31, v1
	v_cndmask_b32_e32 v1, v6, v16, vcc
	v_add_f32_e32 v14, v14, v1
	s_andn2_b64 exec, exec, s[26:27]
	s_cbranch_execnz .LBB194_31
; %bb.32:                               ;   in Loop: Header=BB194_7 Depth=2
	s_or_b64 exec, exec, s[26:27]
.LBB194_33:                             ;   in Loop: Header=BB194_7 Depth=2
	s_or_b64 exec, exec, s[4:5]
	s_mov_b32 s26, s36
	s_waitcnt lgkmcnt(0)
	s_barrier
	ds_write_b32 v10, v14
	s_branch .LBB194_35
.LBB194_34:                             ;   in Loop: Header=BB194_35 Depth=3
	s_or_b64 exec, exec, s[4:5]
	s_cmp_gt_u32 s26, 3
	s_mov_b32 s26, s27
	s_cbranch_scc0 .LBB194_37
.LBB194_35:                             ;   Parent Loop BB194_3 Depth=1
                                        ;     Parent Loop BB194_7 Depth=2
                                        ; =>    This Inner Loop Header: Depth=3
	s_lshr_b32 s27, s26, 1
	v_cmp_gt_u32_e32 vcc, s27, v4
	s_waitcnt lgkmcnt(0)
	s_barrier
	s_and_saveexec_b64 s[4:5], vcc
	s_cbranch_execz .LBB194_34
; %bb.36:                               ;   in Loop: Header=BB194_35 Depth=3
	v_lshl_add_u32 v0, s27, 2, v10
	ds_read_b32 v1, v10
	ds_read_b32 v0, v0
	s_waitcnt lgkmcnt(0)
	v_add_f32_e32 v0, v1, v0
	ds_write_b32 v10, v0
	s_branch .LBB194_34
.LBB194_37:                             ;   in Loop: Header=BB194_7 Depth=2
	s_waitcnt lgkmcnt(0)
	s_barrier
	s_and_saveexec_b64 s[26:27], s[2:3]
	s_cbranch_execz .LBB194_5
; %bb.38:                               ;   in Loop: Header=BB194_7 Depth=2
	ds_read_b32 v0, v9
	s_mov_b64 s[28:29], 0
	s_waitcnt lgkmcnt(0)
	v_cmp_gt_f32_e32 vcc, s34, v0
	v_cndmask_b32_e32 v1, 1.0, v7, vcc
	v_mul_f32_e32 v0, v0, v1
	v_log_f32_e32 v1, v0
	v_cndmask_b32_e32 v14, 0, v8, vcc
	v_mov_b32_e32 v0, v11
	v_mul_f32_e32 v15, 0x3f317217, v1
	v_fma_f32 v16, v1, s35, -v15
	v_fmac_f32_e32 v16, 0x3377d1cf, v1
	v_add_f32_e32 v15, v15, v16
	v_cmp_lt_f32_e64 vcc, |v1|, s33
	v_cndmask_b32_e32 v1, v1, v15, vcc
	v_sub_f32_e32 v14, v1, v14
	v_mov_b32_e32 v15, v4
.LBB194_39:                             ;   Parent Loop BB194_3 Depth=1
                                        ;     Parent Loop BB194_7 Depth=2
                                        ; =>    This Inner Loop Header: Depth=3
	v_ashrrev_i32_e32 v1, 31, v0
	v_lshlrev_b64 v[16:17], 2, v[0:1]
	v_mov_b32_e32 v1, s15
	v_add_co_u32_e32 v18, vcc, s14, v16
	v_addc_co_u32_e32 v19, vcc, v1, v17, vcc
	global_load_dword v1, v[18:19], off
	v_add_u32_e32 v15, s36, v15
	v_mov_b32_e32 v18, s13
	v_cmp_le_i32_e32 vcc, s9, v15
	v_add_co_u32_e64 v16, s[4:5], s12, v16
	v_addc_co_u32_e64 v17, s[4:5], v18, v17, s[4:5]
	s_or_b64 s[28:29], vcc, s[28:29]
	v_add_u32_e32 v0, s37, v0
	s_waitcnt vmcnt(0)
	v_sub_f32_e32 v1, v1, v13
	v_sub_f32_e32 v1, v1, v14
	global_store_dword v[16:17], v1, off
	s_andn2_b64 exec, exec, s[28:29]
	s_cbranch_execnz .LBB194_39
	s_branch .LBB194_5
.LBB194_40:
	s_endpgm
	.section	.rodata,"a",@progbits
	.p2align	6, 0x0
	.amdhsa_kernel _ZN2at6native12_GLOBAL__N_126cunn_SpatialSoftMaxForwardIfffiNS1_25LogSoftMaxForwardEpilogueEEEvPT1_PKT_T2_S9_S9_
		.amdhsa_group_segment_fixed_size 0
		.amdhsa_private_segment_fixed_size 0
		.amdhsa_kernarg_size 288
		.amdhsa_user_sgpr_count 6
		.amdhsa_user_sgpr_private_segment_buffer 1
		.amdhsa_user_sgpr_dispatch_ptr 0
		.amdhsa_user_sgpr_queue_ptr 0
		.amdhsa_user_sgpr_kernarg_segment_ptr 1
		.amdhsa_user_sgpr_dispatch_id 0
		.amdhsa_user_sgpr_flat_scratch_init 0
		.amdhsa_user_sgpr_kernarg_preload_length 0
		.amdhsa_user_sgpr_kernarg_preload_offset 0
		.amdhsa_user_sgpr_private_segment_size 0
		.amdhsa_uses_dynamic_stack 0
		.amdhsa_system_sgpr_private_segment_wavefront_offset 0
		.amdhsa_system_sgpr_workgroup_id_x 1
		.amdhsa_system_sgpr_workgroup_id_y 1
		.amdhsa_system_sgpr_workgroup_id_z 0
		.amdhsa_system_sgpr_workgroup_info 0
		.amdhsa_system_vgpr_workitem_id 1
		.amdhsa_next_free_vgpr 20
		.amdhsa_next_free_sgpr 38
		.amdhsa_accum_offset 20
		.amdhsa_reserve_vcc 1
		.amdhsa_reserve_flat_scratch 0
		.amdhsa_float_round_mode_32 0
		.amdhsa_float_round_mode_16_64 0
		.amdhsa_float_denorm_mode_32 3
		.amdhsa_float_denorm_mode_16_64 3
		.amdhsa_dx10_clamp 1
		.amdhsa_ieee_mode 1
		.amdhsa_fp16_overflow 0
		.amdhsa_tg_split 0
		.amdhsa_exception_fp_ieee_invalid_op 0
		.amdhsa_exception_fp_denorm_src 0
		.amdhsa_exception_fp_ieee_div_zero 0
		.amdhsa_exception_fp_ieee_overflow 0
		.amdhsa_exception_fp_ieee_underflow 0
		.amdhsa_exception_fp_ieee_inexact 0
		.amdhsa_exception_int_div_zero 0
	.end_amdhsa_kernel
	.section	.text._ZN2at6native12_GLOBAL__N_126cunn_SpatialSoftMaxForwardIfffiNS1_25LogSoftMaxForwardEpilogueEEEvPT1_PKT_T2_S9_S9_,"axG",@progbits,_ZN2at6native12_GLOBAL__N_126cunn_SpatialSoftMaxForwardIfffiNS1_25LogSoftMaxForwardEpilogueEEEvPT1_PKT_T2_S9_S9_,comdat
.Lfunc_end194:
	.size	_ZN2at6native12_GLOBAL__N_126cunn_SpatialSoftMaxForwardIfffiNS1_25LogSoftMaxForwardEpilogueEEEvPT1_PKT_T2_S9_S9_, .Lfunc_end194-_ZN2at6native12_GLOBAL__N_126cunn_SpatialSoftMaxForwardIfffiNS1_25LogSoftMaxForwardEpilogueEEEvPT1_PKT_T2_S9_S9_
                                        ; -- End function
	.section	.AMDGPU.csdata,"",@progbits
; Kernel info:
; codeLenInByte = 1584
; NumSgprs: 42
; NumVgprs: 20
; NumAgprs: 0
; TotalNumVgprs: 20
; ScratchSize: 0
; MemoryBound: 0
; FloatMode: 240
; IeeeMode: 1
; LDSByteSize: 0 bytes/workgroup (compile time only)
; SGPRBlocks: 5
; VGPRBlocks: 2
; NumSGPRsForWavesPerEU: 42
; NumVGPRsForWavesPerEU: 20
; AccumOffset: 20
; Occupancy: 8
; WaveLimiterHint : 0
; COMPUTE_PGM_RSRC2:SCRATCH_EN: 0
; COMPUTE_PGM_RSRC2:USER_SGPR: 6
; COMPUTE_PGM_RSRC2:TRAP_HANDLER: 0
; COMPUTE_PGM_RSRC2:TGID_X_EN: 1
; COMPUTE_PGM_RSRC2:TGID_Y_EN: 1
; COMPUTE_PGM_RSRC2:TGID_Z_EN: 0
; COMPUTE_PGM_RSRC2:TIDIG_COMP_CNT: 1
; COMPUTE_PGM_RSRC3_GFX90A:ACCUM_OFFSET: 4
; COMPUTE_PGM_RSRC3_GFX90A:TG_SPLIT: 0
	.section	.text._ZN2at6native12_GLOBAL__N_126cunn_SpatialSoftMaxForwardIffflNS1_25LogSoftMaxForwardEpilogueEEEvPT1_PKT_T2_S9_S9_,"axG",@progbits,_ZN2at6native12_GLOBAL__N_126cunn_SpatialSoftMaxForwardIffflNS1_25LogSoftMaxForwardEpilogueEEEvPT1_PKT_T2_S9_S9_,comdat
	.globl	_ZN2at6native12_GLOBAL__N_126cunn_SpatialSoftMaxForwardIffflNS1_25LogSoftMaxForwardEpilogueEEEvPT1_PKT_T2_S9_S9_ ; -- Begin function _ZN2at6native12_GLOBAL__N_126cunn_SpatialSoftMaxForwardIffflNS1_25LogSoftMaxForwardEpilogueEEEvPT1_PKT_T2_S9_S9_
	.p2align	8
	.type	_ZN2at6native12_GLOBAL__N_126cunn_SpatialSoftMaxForwardIffflNS1_25LogSoftMaxForwardEpilogueEEEvPT1_PKT_T2_S9_S9_,@function
_ZN2at6native12_GLOBAL__N_126cunn_SpatialSoftMaxForwardIffflNS1_25LogSoftMaxForwardEpilogueEEEvPT1_PKT_T2_S9_S9_: ; @_ZN2at6native12_GLOBAL__N_126cunn_SpatialSoftMaxForwardIffflNS1_25LogSoftMaxForwardEpilogueEEEvPT1_PKT_T2_S9_S9_
; %bb.0:
	s_load_dwordx8 s[8:15], s[4:5], 0x0
	s_mov_b32 s0, s7
	s_mov_b32 s7, 0
	s_waitcnt lgkmcnt(0)
	v_pk_mov_b32 v[2:3], s[12:13], s[12:13] op_sel:[0,1]
	v_cmp_ge_i64_e32 vcc, s[6:7], v[2:3]
	s_cbranch_vccnz .LBB195_40
; %bb.1:
	s_load_dword s1, s[4:5], 0x34
	s_load_dwordx4 s[16:19], s[4:5], 0x20
	s_add_u32 s20, s4, 40
	v_bfe_u32 v22, v0, 10, 10
	s_addc_u32 s21, s5, 0
	s_waitcnt lgkmcnt(0)
	s_lshr_b32 s4, s1, 16
	v_and_b32_e32 v0, 0x3ff, v0
	s_mul_i32 s0, s0, s4
	s_mul_i32 s22, s19, s4
	v_mad_u64_u32 v[4:5], s[4:5], s16, v0, 0
	v_mov_b32_e32 v6, v5
	v_mad_u64_u32 v[6:7], s[4:5], s17, v0, v[6:7]
	s_mul_i32 s4, s16, s15
	s_mul_hi_u32 s5, s16, s14
	s_add_i32 s4, s5, s4
	s_mul_i32 s5, s17, s14
	v_add_u32_e32 v2, s0, v22
	v_mov_b32_e32 v3, 0
	s_add_i32 s19, s4, s5
	s_mul_i32 s24, s16, s14
	v_mov_b32_e32 v8, s6
	v_mov_b32_e32 v5, v6
	s_mul_i32 s25, s19, s6
	v_mad_u64_u32 v[6:7], s[4:5], s24, v8, v[2:3]
	v_add_u32_e32 v7, s25, v7
	v_lshlrev_b64 v[4:5], 2, v[4:5]
	v_lshlrev_b64 v[6:7], 2, v[6:7]
	v_add_co_u32_e32 v4, vcc, v4, v6
	v_addc_co_u32_e32 v5, vcc, v5, v7, vcc
	s_mul_i32 s19, s19, s18
	s_mul_hi_u32 s4, s24, s18
	v_mov_b32_e32 v1, v3
	v_mov_b32_e32 v6, s11
	v_add_co_u32_e32 v4, vcc, s10, v4
	s_add_i32 s5, s4, s19
	s_mul_i32 s4, s24, s18
	v_addc_co_u32_e32 v5, vcc, v6, v5, vcc
	s_lshl_b64 s[24:25], s[4:5], 2
	s_mul_i32 s19, s15, s6
	v_mad_u64_u32 v[6:7], s[4:5], s14, v8, v[0:1]
	v_add_u32_e32 v7, s19, v7
	v_mul_lo_u32 v7, s16, v7
	v_mad_u64_u32 v[8:9], s[4:5], s16, v6, v[2:3]
	v_mul_lo_u32 v6, s17, v6
	v_add3_u32 v9, v6, v9, v7
	v_lshlrev_b64 v[8:9], 2, v[8:9]
	v_mov_b32_e32 v7, s11
	v_add_co_u32_e32 v6, vcc, s10, v8
	v_addc_co_u32_e32 v7, vcc, v7, v9, vcc
	s_mov_b32 s23, s7
	v_mov_b32_e32 v10, s9
	v_add_co_u32_e32 v8, vcc, s8, v8
	v_cmp_gt_i64_e64 s[0:1], s[16:17], v[2:3]
	v_cmp_gt_i64_e64 s[2:3], s[14:15], v[0:1]
	s_lshl_b64 s[26:27], s[22:23], 2
	s_lshl_b64 s[28:29], s[16:17], 2
	v_addc_co_u32_e32 v9, vcc, v10, v9, vcc
	s_mov_b32 s19, 0x3fb8aa3b
	s_mov_b32 s33, 0xc2ce8ed0
	s_mov_b32 s42, 0x42b17218
	s_mov_b32 s43, 0x7f800000
	s_mov_b32 s44, 0x800000
	s_mov_b32 s45, 0x3f317217
	v_mov_b32_e32 v23, 0x7f800000
	v_mov_b32_e32 v24, 0x4f800000
	;; [unrolled: 1-line block ×3, first 2 shown]
	s_mov_b64 s[8:9], s[6:7]
	s_branch .LBB195_3
.LBB195_2:                              ;   in Loop: Header=BB195_3 Depth=1
	s_or_b64 exec, exec, s[10:11]
	v_mov_b32_e32 v10, s25
	v_add_co_u32_e32 v4, vcc, s24, v4
	v_addc_co_u32_e32 v5, vcc, v5, v10, vcc
	v_add_co_u32_e32 v6, vcc, s24, v6
	v_addc_co_u32_e32 v7, vcc, v7, v10, vcc
	s_add_u32 s8, s8, s18
	v_add_co_u32_e32 v8, vcc, s24, v8
	s_addc_u32 s9, s9, 0
	v_addc_co_u32_e32 v9, vcc, v9, v10, vcc
	v_pk_mov_b32 v[10:11], s[12:13], s[12:13] op_sel:[0,1]
	v_cmp_ge_i64_e32 vcc, s[8:9], v[10:11]
	s_cbranch_vccnz .LBB195_40
.LBB195_3:                              ; =>This Loop Header: Depth=1
                                        ;     Child Loop BB195_7 Depth 2
                                        ;       Child Loop BB195_12 Depth 3
                                        ;       Child Loop BB195_15 Depth 3
	;; [unrolled: 1-line block ×8, first 2 shown]
	s_and_saveexec_b64 s[10:11], s[0:1]
	s_cbranch_execz .LBB195_2
; %bb.4:                                ;   in Loop: Header=BB195_3 Depth=1
	s_load_dword s4, s[20:21], 0xc
	s_mov_b64 s[34:35], 0
	v_mov_b32_e32 v28, s7
	v_pk_mov_b32 v[12:13], v[6:7], v[6:7] op_sel:[0,1]
	v_pk_mov_b32 v[14:15], v[4:5], v[4:5] op_sel:[0,1]
	s_waitcnt lgkmcnt(0)
	s_and_b32 s6, s4, 0xffff
	v_cmp_lt_u16_e64 s[30:31], s4, 2
	v_mul_u32_u24_e32 v10, s6, v22
	s_mul_i32 s4, s29, s6
	s_mul_hi_u32 s5, s28, s6
	v_lshl_add_u32 v26, v10, 2, 0
	s_add_i32 s46, s5, s4
	v_lshl_add_u32 v27, v0, 2, v26
	s_mul_i32 s47, s28, s6
	v_mov_b32_e32 v29, s46
	v_pk_mov_b32 v[10:11], v[8:9], v[8:9] op_sel:[0,1]
	v_pk_mov_b32 v[16:17], v[2:3], v[2:3] op_sel:[0,1]
	s_branch .LBB195_7
.LBB195_5:                              ;   in Loop: Header=BB195_7 Depth=2
	s_or_b64 exec, exec, s[36:37]
.LBB195_6:                              ;   in Loop: Header=BB195_7 Depth=2
	v_mov_b32_e32 v18, s23
	v_add_co_u32_e32 v16, vcc, s22, v16
	v_addc_co_u32_e32 v17, vcc, v17, v18, vcc
	v_mov_b32_e32 v18, s27
	v_add_co_u32_e32 v14, vcc, s26, v14
	v_addc_co_u32_e32 v15, vcc, v15, v18, vcc
	v_add_co_u32_e32 v12, vcc, s26, v12
	v_addc_co_u32_e32 v13, vcc, v13, v18, vcc
	v_cmp_le_i64_e32 vcc, s[16:17], v[16:17]
	s_or_b64 s[34:35], vcc, s[34:35]
	v_add_co_u32_e32 v10, vcc, s26, v10
	v_addc_co_u32_e32 v11, vcc, v11, v18, vcc
	s_andn2_b64 exec, exec, s[34:35]
	s_cbranch_execz .LBB195_2
.LBB195_7:                              ;   Parent Loop BB195_3 Depth=1
                                        ; =>  This Loop Header: Depth=2
                                        ;       Child Loop BB195_12 Depth 3
                                        ;       Child Loop BB195_15 Depth 3
                                        ;       Child Loop BB195_18 Depth 3
                                        ;       Child Loop BB195_23 Depth 3
                                        ;       Child Loop BB195_27 Depth 3
                                        ;       Child Loop BB195_31 Depth 3
                                        ;       Child Loop BB195_35 Depth 3
                                        ;       Child Loop BB195_39 Depth 3
	s_mov_b64 s[4:5], -1
	s_and_b64 vcc, exec, s[30:31]
	s_cbranch_vccz .LBB195_20
; %bb.8:                                ;   in Loop: Header=BB195_7 Depth=2
	v_mov_b32_e32 v30, 0xff7fffff
	s_and_saveexec_b64 s[4:5], s[2:3]
	s_cbranch_execnz .LBB195_11
; %bb.9:                                ;   in Loop: Header=BB195_7 Depth=2
	s_or_b64 exec, exec, s[4:5]
	v_mov_b32_e32 v31, 0
	s_and_saveexec_b64 s[36:37], s[2:3]
	s_cbranch_execnz .LBB195_14
.LBB195_10:                             ;   in Loop: Header=BB195_7 Depth=2
	s_or_b64 exec, exec, s[36:37]
	s_and_saveexec_b64 s[36:37], s[2:3]
	s_cbranch_execnz .LBB195_17
	s_branch .LBB195_19
.LBB195_11:                             ;   in Loop: Header=BB195_7 Depth=2
	s_mov_b64 s[36:37], 0
	v_mov_b32_e32 v30, 0xff7fffff
	v_pk_mov_b32 v[18:19], v[14:15], v[14:15] op_sel:[0,1]
	v_pk_mov_b32 v[20:21], v[0:1], v[0:1] op_sel:[0,1]
.LBB195_12:                             ;   Parent Loop BB195_3 Depth=1
                                        ;     Parent Loop BB195_7 Depth=2
                                        ; =>    This Inner Loop Header: Depth=3
	global_load_dword v31, v[18:19], off
	v_add_co_u32_e32 v20, vcc, s6, v20
	v_addc_co_u32_e32 v21, vcc, v21, v28, vcc
	v_add_co_u32_e32 v18, vcc, s47, v18
	v_addc_co_u32_e32 v19, vcc, v19, v29, vcc
	v_cmp_le_i64_e32 vcc, s[14:15], v[20:21]
	s_or_b64 s[36:37], vcc, s[36:37]
	s_waitcnt vmcnt(0)
	v_cmp_lt_f32_e32 vcc, v30, v31
	v_cndmask_b32_e32 v30, v30, v31, vcc
	s_andn2_b64 exec, exec, s[36:37]
	s_cbranch_execnz .LBB195_12
; %bb.13:                               ;   in Loop: Header=BB195_7 Depth=2
	s_or_b64 exec, exec, s[36:37]
	s_or_b64 exec, exec, s[4:5]
	v_mov_b32_e32 v31, 0
	s_and_saveexec_b64 s[36:37], s[2:3]
	s_cbranch_execz .LBB195_10
.LBB195_14:                             ;   in Loop: Header=BB195_7 Depth=2
	s_mov_b64 s[38:39], 0
	v_mov_b32_e32 v31, 0
	v_pk_mov_b32 v[18:19], v[14:15], v[14:15] op_sel:[0,1]
	v_pk_mov_b32 v[20:21], v[0:1], v[0:1] op_sel:[0,1]
.LBB195_15:                             ;   Parent Loop BB195_3 Depth=1
                                        ;     Parent Loop BB195_7 Depth=2
                                        ; =>    This Inner Loop Header: Depth=3
	global_load_dword v32, v[18:19], off
	v_mov_b32_e32 v33, s7
	v_add_co_u32_e64 v20, s[4:5], s6, v20
	v_mov_b32_e32 v34, s46
	v_add_co_u32_e32 v18, vcc, s47, v18
	v_addc_co_u32_e64 v21, s[4:5], v21, v33, s[4:5]
	v_addc_co_u32_e32 v19, vcc, v19, v34, vcc
	v_cmp_le_i64_e32 vcc, s[14:15], v[20:21]
	s_or_b64 s[38:39], vcc, s[38:39]
	s_waitcnt vmcnt(0)
	v_sub_f32_e32 v32, v32, v30
	v_mul_f32_e32 v33, 0x3fb8aa3b, v32
	v_fma_f32 v34, v32, s19, -v33
	v_rndne_f32_e32 v35, v33
	v_fmac_f32_e32 v34, 0x32a5705f, v32
	v_sub_f32_e32 v33, v33, v35
	v_add_f32_e32 v33, v33, v34
	v_cvt_i32_f32_e32 v35, v35
	v_exp_f32_e32 v33, v33
	v_cmp_ngt_f32_e32 vcc, s33, v32
	v_ldexp_f32 v33, v33, v35
	v_cndmask_b32_e32 v33, 0, v33, vcc
	v_cmp_nlt_f32_e32 vcc, s42, v32
	v_cndmask_b32_e32 v32, v23, v33, vcc
	v_add_f32_e32 v31, v31, v32
	s_andn2_b64 exec, exec, s[38:39]
	s_cbranch_execnz .LBB195_15
; %bb.16:                               ;   in Loop: Header=BB195_7 Depth=2
	s_or_b64 exec, exec, s[38:39]
	s_or_b64 exec, exec, s[36:37]
	s_and_saveexec_b64 s[36:37], s[2:3]
	s_cbranch_execz .LBB195_19
.LBB195_17:                             ;   in Loop: Header=BB195_7 Depth=2
	v_cmp_gt_f32_e32 vcc, s44, v31
	v_cndmask_b32_e32 v18, 1.0, v24, vcc
	v_mul_f32_e32 v18, v31, v18
	v_log_f32_e32 v18, v18
	v_cndmask_b32_e32 v19, 0, v25, vcc
	s_mov_b64 s[38:39], 0
	s_mov_b64 s[40:41], 0
	v_mul_f32_e32 v20, 0x3f317217, v18
	v_fma_f32 v21, v18, s45, -v20
	v_fmac_f32_e32 v21, 0x3377d1cf, v18
	v_add_f32_e32 v20, v20, v21
	v_cmp_lt_f32_e64 vcc, |v18|, s43
	v_cndmask_b32_e32 v18, v18, v20, vcc
	v_sub_f32_e32 v20, v18, v19
	v_pk_mov_b32 v[18:19], v[0:1], v[0:1] op_sel:[0,1]
.LBB195_18:                             ;   Parent Loop BB195_3 Depth=1
                                        ;     Parent Loop BB195_7 Depth=2
                                        ; =>    This Inner Loop Header: Depth=3
	v_mov_b32_e32 v21, s41
	v_add_co_u32_e32 v32, vcc, s40, v12
	v_addc_co_u32_e32 v33, vcc, v13, v21, vcc
	global_load_dword v31, v[32:33], off
	v_mov_b32_e32 v34, s7
	v_add_co_u32_e32 v18, vcc, s6, v18
	v_add_co_u32_e64 v32, s[4:5], s40, v10
	s_add_u32 s40, s40, s47
	v_addc_co_u32_e32 v19, vcc, v19, v34, vcc
	v_addc_co_u32_e64 v33, s[4:5], v11, v21, s[4:5]
	s_addc_u32 s41, s41, s46
	v_cmp_le_i64_e32 vcc, s[14:15], v[18:19]
	s_or_b64 s[38:39], vcc, s[38:39]
	s_waitcnt vmcnt(0)
	v_sub_f32_e32 v21, v31, v30
	v_sub_f32_e32 v21, v21, v20
	global_store_dword v[32:33], v21, off
	s_andn2_b64 exec, exec, s[38:39]
	s_cbranch_execnz .LBB195_18
.LBB195_19:                             ;   in Loop: Header=BB195_7 Depth=2
	s_or_b64 exec, exec, s[36:37]
	s_mov_b64 s[4:5], 0
.LBB195_20:                             ;   in Loop: Header=BB195_7 Depth=2
	s_and_b64 vcc, exec, s[4:5]
	s_cbranch_vccz .LBB195_6
; %bb.21:                               ;   in Loop: Header=BB195_7 Depth=2
	v_mov_b32_e32 v30, 0xff7fffff
	s_and_saveexec_b64 s[36:37], s[2:3]
	s_cbranch_execz .LBB195_25
; %bb.22:                               ;   in Loop: Header=BB195_7 Depth=2
	s_mov_b64 s[38:39], 0
	v_mov_b32_e32 v30, 0xff7fffff
	v_pk_mov_b32 v[18:19], v[14:15], v[14:15] op_sel:[0,1]
	v_pk_mov_b32 v[20:21], v[0:1], v[0:1] op_sel:[0,1]
.LBB195_23:                             ;   Parent Loop BB195_3 Depth=1
                                        ;     Parent Loop BB195_7 Depth=2
                                        ; =>    This Inner Loop Header: Depth=3
	global_load_dword v31, v[18:19], off
	v_mov_b32_e32 v32, s7
	v_mov_b32_e32 v33, s46
	v_add_co_u32_e32 v18, vcc, s47, v18
	v_add_co_u32_e64 v20, s[4:5], s6, v20
	v_addc_co_u32_e64 v21, s[4:5], v21, v32, s[4:5]
	v_addc_co_u32_e32 v19, vcc, v19, v33, vcc
	v_cmp_le_i64_e32 vcc, s[14:15], v[20:21]
	s_or_b64 s[38:39], vcc, s[38:39]
	s_waitcnt vmcnt(0)
	v_cmp_lt_f32_e32 vcc, v30, v31
	v_cndmask_b32_e32 v30, v30, v31, vcc
	s_andn2_b64 exec, exec, s[38:39]
	s_cbranch_execnz .LBB195_23
; %bb.24:                               ;   in Loop: Header=BB195_7 Depth=2
	s_or_b64 exec, exec, s[38:39]
.LBB195_25:                             ;   in Loop: Header=BB195_7 Depth=2
	s_or_b64 exec, exec, s[36:37]
	s_mov_b32 s36, s6
	s_barrier
	ds_write_b32 v27, v30
	s_branch .LBB195_27
.LBB195_26:                             ;   in Loop: Header=BB195_27 Depth=3
	s_or_b64 exec, exec, s[4:5]
	s_cmp_gt_u32 s36, 3
	s_mov_b32 s36, s37
	s_cbranch_scc0 .LBB195_29
.LBB195_27:                             ;   Parent Loop BB195_3 Depth=1
                                        ;     Parent Loop BB195_7 Depth=2
                                        ; =>    This Inner Loop Header: Depth=3
	s_lshr_b32 s37, s36, 1
	v_cmp_gt_u32_e32 vcc, s37, v0
	s_waitcnt lgkmcnt(0)
	s_barrier
	s_and_saveexec_b64 s[4:5], vcc
	s_cbranch_execz .LBB195_26
; %bb.28:                               ;   in Loop: Header=BB195_27 Depth=3
	v_lshl_add_u32 v18, s37, 2, v27
	ds_read_b32 v19, v27
	ds_read_b32 v18, v18
	s_waitcnt lgkmcnt(0)
	v_cmp_lt_f32_e32 vcc, v19, v18
	v_cndmask_b32_e32 v18, v19, v18, vcc
	ds_write_b32 v27, v18
	s_branch .LBB195_26
.LBB195_29:                             ;   in Loop: Header=BB195_7 Depth=2
	s_waitcnt lgkmcnt(0)
	s_barrier
	ds_read_b32 v30, v26
	v_mov_b32_e32 v31, 0
	s_and_saveexec_b64 s[36:37], s[2:3]
	s_cbranch_execz .LBB195_33
; %bb.30:                               ;   in Loop: Header=BB195_7 Depth=2
	s_mov_b64 s[38:39], 0
	v_mov_b32_e32 v31, 0
	v_pk_mov_b32 v[18:19], v[14:15], v[14:15] op_sel:[0,1]
	v_pk_mov_b32 v[20:21], v[0:1], v[0:1] op_sel:[0,1]
.LBB195_31:                             ;   Parent Loop BB195_3 Depth=1
                                        ;     Parent Loop BB195_7 Depth=2
                                        ; =>    This Inner Loop Header: Depth=3
	global_load_dword v32, v[18:19], off
	v_mov_b32_e32 v33, s7
	v_add_co_u32_e64 v20, s[4:5], s6, v20
	v_mov_b32_e32 v34, s46
	v_add_co_u32_e32 v18, vcc, s47, v18
	v_addc_co_u32_e64 v21, s[4:5], v21, v33, s[4:5]
	v_addc_co_u32_e32 v19, vcc, v19, v34, vcc
	v_cmp_le_i64_e32 vcc, s[14:15], v[20:21]
	s_or_b64 s[38:39], vcc, s[38:39]
	s_waitcnt vmcnt(0) lgkmcnt(0)
	v_sub_f32_e32 v32, v32, v30
	v_mul_f32_e32 v33, 0x3fb8aa3b, v32
	v_fma_f32 v34, v32, s19, -v33
	v_rndne_f32_e32 v35, v33
	v_fmac_f32_e32 v34, 0x32a5705f, v32
	v_sub_f32_e32 v33, v33, v35
	v_add_f32_e32 v33, v33, v34
	v_cvt_i32_f32_e32 v35, v35
	v_exp_f32_e32 v33, v33
	v_cmp_ngt_f32_e32 vcc, s33, v32
	v_ldexp_f32 v33, v33, v35
	v_cndmask_b32_e32 v33, 0, v33, vcc
	v_cmp_nlt_f32_e32 vcc, s42, v32
	v_cndmask_b32_e32 v32, v23, v33, vcc
	v_add_f32_e32 v31, v31, v32
	s_andn2_b64 exec, exec, s[38:39]
	s_cbranch_execnz .LBB195_31
; %bb.32:                               ;   in Loop: Header=BB195_7 Depth=2
	s_or_b64 exec, exec, s[38:39]
.LBB195_33:                             ;   in Loop: Header=BB195_7 Depth=2
	s_or_b64 exec, exec, s[36:37]
	s_mov_b32 s36, s6
	s_waitcnt lgkmcnt(0)
	s_barrier
	ds_write_b32 v27, v31
	s_branch .LBB195_35
.LBB195_34:                             ;   in Loop: Header=BB195_35 Depth=3
	s_or_b64 exec, exec, s[4:5]
	s_cmp_gt_u32 s36, 3
	s_mov_b32 s36, s37
	s_cbranch_scc0 .LBB195_37
.LBB195_35:                             ;   Parent Loop BB195_3 Depth=1
                                        ;     Parent Loop BB195_7 Depth=2
                                        ; =>    This Inner Loop Header: Depth=3
	s_lshr_b32 s37, s36, 1
	v_cmp_gt_u32_e32 vcc, s37, v0
	s_waitcnt lgkmcnt(0)
	s_barrier
	s_and_saveexec_b64 s[4:5], vcc
	s_cbranch_execz .LBB195_34
; %bb.36:                               ;   in Loop: Header=BB195_35 Depth=3
	v_lshl_add_u32 v18, s37, 2, v27
	ds_read_b32 v19, v27
	ds_read_b32 v18, v18
	s_waitcnt lgkmcnt(0)
	v_add_f32_e32 v18, v19, v18
	ds_write_b32 v27, v18
	s_branch .LBB195_34
.LBB195_37:                             ;   in Loop: Header=BB195_7 Depth=2
	s_waitcnt lgkmcnt(0)
	s_barrier
	s_and_saveexec_b64 s[36:37], s[2:3]
	s_cbranch_execz .LBB195_5
; %bb.38:                               ;   in Loop: Header=BB195_7 Depth=2
	ds_read_b32 v18, v26
	s_mov_b64 s[38:39], 0
	s_mov_b64 s[40:41], 0
	s_waitcnt lgkmcnt(0)
	v_cmp_gt_f32_e32 vcc, s44, v18
	v_cndmask_b32_e32 v19, 1.0, v24, vcc
	v_mul_f32_e32 v18, v18, v19
	v_log_f32_e32 v18, v18
	v_cndmask_b32_e32 v19, 0, v25, vcc
	v_mul_f32_e32 v20, 0x3f317217, v18
	v_fma_f32 v21, v18, s45, -v20
	v_fmac_f32_e32 v21, 0x3377d1cf, v18
	v_add_f32_e32 v20, v20, v21
	v_cmp_lt_f32_e64 vcc, |v18|, s43
	v_cndmask_b32_e32 v18, v18, v20, vcc
	v_sub_f32_e32 v20, v18, v19
	v_pk_mov_b32 v[18:19], v[0:1], v[0:1] op_sel:[0,1]
.LBB195_39:                             ;   Parent Loop BB195_3 Depth=1
                                        ;     Parent Loop BB195_7 Depth=2
                                        ; =>    This Inner Loop Header: Depth=3
	v_mov_b32_e32 v21, s41
	v_add_co_u32_e32 v32, vcc, s40, v12
	v_addc_co_u32_e32 v33, vcc, v13, v21, vcc
	global_load_dword v31, v[32:33], off
	v_mov_b32_e32 v34, s7
	v_add_co_u32_e32 v18, vcc, s6, v18
	v_add_co_u32_e64 v32, s[4:5], s40, v10
	s_add_u32 s40, s40, s47
	v_addc_co_u32_e32 v19, vcc, v19, v34, vcc
	v_addc_co_u32_e64 v33, s[4:5], v11, v21, s[4:5]
	s_addc_u32 s41, s41, s46
	v_cmp_le_i64_e32 vcc, s[14:15], v[18:19]
	s_or_b64 s[38:39], vcc, s[38:39]
	s_waitcnt vmcnt(0)
	v_sub_f32_e32 v21, v31, v30
	v_sub_f32_e32 v21, v21, v20
	global_store_dword v[32:33], v21, off
	s_andn2_b64 exec, exec, s[38:39]
	s_cbranch_execnz .LBB195_39
	s_branch .LBB195_5
.LBB195_40:
	s_endpgm
	.section	.rodata,"a",@progbits
	.p2align	6, 0x0
	.amdhsa_kernel _ZN2at6native12_GLOBAL__N_126cunn_SpatialSoftMaxForwardIffflNS1_25LogSoftMaxForwardEpilogueEEEvPT1_PKT_T2_S9_S9_
		.amdhsa_group_segment_fixed_size 0
		.amdhsa_private_segment_fixed_size 0
		.amdhsa_kernarg_size 296
		.amdhsa_user_sgpr_count 6
		.amdhsa_user_sgpr_private_segment_buffer 1
		.amdhsa_user_sgpr_dispatch_ptr 0
		.amdhsa_user_sgpr_queue_ptr 0
		.amdhsa_user_sgpr_kernarg_segment_ptr 1
		.amdhsa_user_sgpr_dispatch_id 0
		.amdhsa_user_sgpr_flat_scratch_init 0
		.amdhsa_user_sgpr_kernarg_preload_length 0
		.amdhsa_user_sgpr_kernarg_preload_offset 0
		.amdhsa_user_sgpr_private_segment_size 0
		.amdhsa_uses_dynamic_stack 0
		.amdhsa_system_sgpr_private_segment_wavefront_offset 0
		.amdhsa_system_sgpr_workgroup_id_x 1
		.amdhsa_system_sgpr_workgroup_id_y 1
		.amdhsa_system_sgpr_workgroup_id_z 0
		.amdhsa_system_sgpr_workgroup_info 0
		.amdhsa_system_vgpr_workitem_id 1
		.amdhsa_next_free_vgpr 36
		.amdhsa_next_free_sgpr 48
		.amdhsa_accum_offset 36
		.amdhsa_reserve_vcc 1
		.amdhsa_reserve_flat_scratch 0
		.amdhsa_float_round_mode_32 0
		.amdhsa_float_round_mode_16_64 0
		.amdhsa_float_denorm_mode_32 3
		.amdhsa_float_denorm_mode_16_64 3
		.amdhsa_dx10_clamp 1
		.amdhsa_ieee_mode 1
		.amdhsa_fp16_overflow 0
		.amdhsa_tg_split 0
		.amdhsa_exception_fp_ieee_invalid_op 0
		.amdhsa_exception_fp_denorm_src 0
		.amdhsa_exception_fp_ieee_div_zero 0
		.amdhsa_exception_fp_ieee_overflow 0
		.amdhsa_exception_fp_ieee_underflow 0
		.amdhsa_exception_fp_ieee_inexact 0
		.amdhsa_exception_int_div_zero 0
	.end_amdhsa_kernel
	.section	.text._ZN2at6native12_GLOBAL__N_126cunn_SpatialSoftMaxForwardIffflNS1_25LogSoftMaxForwardEpilogueEEEvPT1_PKT_T2_S9_S9_,"axG",@progbits,_ZN2at6native12_GLOBAL__N_126cunn_SpatialSoftMaxForwardIffflNS1_25LogSoftMaxForwardEpilogueEEEvPT1_PKT_T2_S9_S9_,comdat
.Lfunc_end195:
	.size	_ZN2at6native12_GLOBAL__N_126cunn_SpatialSoftMaxForwardIffflNS1_25LogSoftMaxForwardEpilogueEEEvPT1_PKT_T2_S9_S9_, .Lfunc_end195-_ZN2at6native12_GLOBAL__N_126cunn_SpatialSoftMaxForwardIffflNS1_25LogSoftMaxForwardEpilogueEEEvPT1_PKT_T2_S9_S9_
                                        ; -- End function
	.section	.AMDGPU.csdata,"",@progbits
; Kernel info:
; codeLenInByte = 1916
; NumSgprs: 52
; NumVgprs: 36
; NumAgprs: 0
; TotalNumVgprs: 36
; ScratchSize: 0
; MemoryBound: 0
; FloatMode: 240
; IeeeMode: 1
; LDSByteSize: 0 bytes/workgroup (compile time only)
; SGPRBlocks: 6
; VGPRBlocks: 4
; NumSGPRsForWavesPerEU: 52
; NumVGPRsForWavesPerEU: 36
; AccumOffset: 36
; Occupancy: 8
; WaveLimiterHint : 0
; COMPUTE_PGM_RSRC2:SCRATCH_EN: 0
; COMPUTE_PGM_RSRC2:USER_SGPR: 6
; COMPUTE_PGM_RSRC2:TRAP_HANDLER: 0
; COMPUTE_PGM_RSRC2:TGID_X_EN: 1
; COMPUTE_PGM_RSRC2:TGID_Y_EN: 1
; COMPUTE_PGM_RSRC2:TGID_Z_EN: 0
; COMPUTE_PGM_RSRC2:TIDIG_COMP_CNT: 1
; COMPUTE_PGM_RSRC3_GFX90A:ACCUM_OFFSET: 8
; COMPUTE_PGM_RSRC3_GFX90A:TG_SPLIT: 0
	.section	.text._ZN2at6native12_GLOBAL__N_126cunn_SpatialSoftMaxForwardIN3c104HalfEfS4_iNS1_25LogSoftMaxForwardEpilogueEEEvPT1_PKT_T2_SB_SB_,"axG",@progbits,_ZN2at6native12_GLOBAL__N_126cunn_SpatialSoftMaxForwardIN3c104HalfEfS4_iNS1_25LogSoftMaxForwardEpilogueEEEvPT1_PKT_T2_SB_SB_,comdat
	.globl	_ZN2at6native12_GLOBAL__N_126cunn_SpatialSoftMaxForwardIN3c104HalfEfS4_iNS1_25LogSoftMaxForwardEpilogueEEEvPT1_PKT_T2_SB_SB_ ; -- Begin function _ZN2at6native12_GLOBAL__N_126cunn_SpatialSoftMaxForwardIN3c104HalfEfS4_iNS1_25LogSoftMaxForwardEpilogueEEEvPT1_PKT_T2_SB_SB_
	.p2align	8
	.type	_ZN2at6native12_GLOBAL__N_126cunn_SpatialSoftMaxForwardIN3c104HalfEfS4_iNS1_25LogSoftMaxForwardEpilogueEEEvPT1_PKT_T2_SB_SB_,@function
_ZN2at6native12_GLOBAL__N_126cunn_SpatialSoftMaxForwardIN3c104HalfEfS4_iNS1_25LogSoftMaxForwardEpilogueEEEvPT1_PKT_T2_SB_SB_: ; @_ZN2at6native12_GLOBAL__N_126cunn_SpatialSoftMaxForwardIN3c104HalfEfS4_iNS1_25LogSoftMaxForwardEpilogueEEEvPT1_PKT_T2_SB_SB_
; %bb.0:
	s_load_dwordx4 s[8:11], s[4:5], 0x10
	s_waitcnt lgkmcnt(0)
	s_cmp_ge_i32 s6, s8
	s_cbranch_scc1 .LBB196_40
; %bb.1:
	s_load_dword s0, s[4:5], 0x2c
	s_load_dwordx4 s[12:15], s[4:5], 0x0
	s_load_dwordx2 s[18:19], s[4:5], 0x20
	s_add_u32 s16, s4, 32
	s_addc_u32 s17, s5, 0
	v_and_b32_e32 v4, 0x3ff, v0
	s_waitcnt lgkmcnt(0)
	s_lshr_b32 s4, s0, 16
	s_mul_i32 s5, s7, s4
	s_mul_i32 s7, s19, s4
	;; [unrolled: 1-line block ×3, first 2 shown]
	v_bfe_u32 v2, v0, 10, 10
	v_add_u32_e32 v0, s4, v4
	v_add_u32_e32 v3, s5, v2
	v_mul_lo_u32 v0, s10, v0
	s_mul_i32 s11, s18, s10
	v_cmp_gt_i32_e64 s[0:1], s10, v3
	v_cmp_gt_i32_e64 s[2:3], s9, v4
	v_add3_u32 v5, v2, v0, s5
	s_mul_i32 s11, s11, s9
	s_mov_b32 s19, 0x3fb8aa3b
	s_mov_b32 s30, 0xc2ce8ed0
	;; [unrolled: 1-line block ×6, first 2 shown]
	v_mov_b32_e32 v6, 0x7f800000
	v_mov_b32_e32 v7, 0x4f800000
	;; [unrolled: 1-line block ×3, first 2 shown]
	s_branch .LBB196_3
.LBB196_2:                              ;   in Loop: Header=BB196_3 Depth=1
	s_or_b64 exec, exec, s[20:21]
	s_add_i32 s6, s18, s6
	s_cmp_ge_i32 s6, s8
	v_add_u32_e32 v5, s11, v5
	s_cbranch_scc1 .LBB196_40
.LBB196_3:                              ; =>This Loop Header: Depth=1
                                        ;     Child Loop BB196_7 Depth 2
                                        ;       Child Loop BB196_12 Depth 3
                                        ;       Child Loop BB196_15 Depth 3
                                        ;       Child Loop BB196_18 Depth 3
                                        ;       Child Loop BB196_23 Depth 3
                                        ;       Child Loop BB196_27 Depth 3
                                        ;       Child Loop BB196_31 Depth 3
                                        ;       Child Loop BB196_35 Depth 3
                                        ;       Child Loop BB196_39 Depth 3
	s_and_saveexec_b64 s[20:21], s[0:1]
	s_cbranch_execz .LBB196_2
; %bb.4:                                ;   in Loop: Header=BB196_3 Depth=1
	s_load_dword s4, s[16:17], 0xc
	s_mov_b64 s[22:23], 0
	v_mov_b32_e32 v11, v5
	v_mov_b32_e32 v12, v3
	s_waitcnt lgkmcnt(0)
	s_and_b32 s36, s4, 0xffff
	v_mul_u32_u24_e32 v0, s36, v2
	s_cmp_lt_u32 s36, 2
	v_lshl_add_u32 v9, v0, 2, 0
	s_mul_i32 s37, s10, s36
	s_cselect_b64 s[24:25], -1, 0
	v_lshl_add_u32 v10, v4, 2, v9
	s_branch .LBB196_7
.LBB196_5:                              ;   in Loop: Header=BB196_7 Depth=2
	s_or_b64 exec, exec, s[26:27]
.LBB196_6:                              ;   in Loop: Header=BB196_7 Depth=2
	v_add_u32_e32 v12, s7, v12
	v_cmp_le_i32_e32 vcc, s10, v12
	s_or_b64 s[22:23], vcc, s[22:23]
	v_add_u32_e32 v11, s7, v11
	s_andn2_b64 exec, exec, s[22:23]
	s_cbranch_execz .LBB196_2
.LBB196_7:                              ;   Parent Loop BB196_3 Depth=1
                                        ; =>  This Loop Header: Depth=2
                                        ;       Child Loop BB196_12 Depth 3
                                        ;       Child Loop BB196_15 Depth 3
	;; [unrolled: 1-line block ×8, first 2 shown]
	s_mov_b64 s[4:5], -1
	s_and_b64 vcc, exec, s[24:25]
	s_cbranch_vccz .LBB196_20
; %bb.8:                                ;   in Loop: Header=BB196_7 Depth=2
	v_mov_b32_e32 v13, 0xff7fffff
	s_and_saveexec_b64 s[4:5], s[2:3]
	s_cbranch_execnz .LBB196_11
; %bb.9:                                ;   in Loop: Header=BB196_7 Depth=2
	s_or_b64 exec, exec, s[4:5]
	v_mov_b32_e32 v14, 0
	s_and_saveexec_b64 s[4:5], s[2:3]
	s_cbranch_execnz .LBB196_14
.LBB196_10:                             ;   in Loop: Header=BB196_7 Depth=2
	s_or_b64 exec, exec, s[4:5]
	s_and_saveexec_b64 s[26:27], s[2:3]
	s_cbranch_execnz .LBB196_17
	s_branch .LBB196_19
.LBB196_11:                             ;   in Loop: Header=BB196_7 Depth=2
	s_mov_b64 s[26:27], 0
	v_mov_b32_e32 v13, 0xff7fffff
	v_mov_b32_e32 v0, v11
	;; [unrolled: 1-line block ×3, first 2 shown]
.LBB196_12:                             ;   Parent Loop BB196_3 Depth=1
                                        ;     Parent Loop BB196_7 Depth=2
                                        ; =>    This Inner Loop Header: Depth=3
	v_ashrrev_i32_e32 v1, 31, v0
	v_lshlrev_b64 v[16:17], 1, v[0:1]
	v_mov_b32_e32 v15, s15
	v_add_co_u32_e32 v16, vcc, s14, v16
	v_addc_co_u32_e32 v17, vcc, v15, v17, vcc
	global_load_ushort v1, v[16:17], off
	v_add_u32_e32 v14, s36, v14
	v_cmp_le_i32_e32 vcc, s9, v14
	s_or_b64 s[26:27], vcc, s[26:27]
	v_add_u32_e32 v0, s37, v0
	s_waitcnt vmcnt(0)
	v_cvt_f32_f16_e32 v1, v1
	v_cmp_lt_f32_e32 vcc, v13, v1
	v_cndmask_b32_e32 v13, v13, v1, vcc
	s_andn2_b64 exec, exec, s[26:27]
	s_cbranch_execnz .LBB196_12
; %bb.13:                               ;   in Loop: Header=BB196_7 Depth=2
	s_or_b64 exec, exec, s[26:27]
	s_or_b64 exec, exec, s[4:5]
	v_mov_b32_e32 v14, 0
	s_and_saveexec_b64 s[4:5], s[2:3]
	s_cbranch_execz .LBB196_10
.LBB196_14:                             ;   in Loop: Header=BB196_7 Depth=2
	s_mov_b64 s[26:27], 0
	v_mov_b32_e32 v14, 0
	v_mov_b32_e32 v0, v11
	;; [unrolled: 1-line block ×3, first 2 shown]
.LBB196_15:                             ;   Parent Loop BB196_3 Depth=1
                                        ;     Parent Loop BB196_7 Depth=2
                                        ; =>    This Inner Loop Header: Depth=3
	v_ashrrev_i32_e32 v1, 31, v0
	v_lshlrev_b64 v[16:17], 1, v[0:1]
	v_mov_b32_e32 v1, s15
	v_add_co_u32_e32 v16, vcc, s14, v16
	v_addc_co_u32_e32 v17, vcc, v1, v17, vcc
	global_load_ushort v1, v[16:17], off
	v_add_u32_e32 v15, s36, v15
	v_cmp_le_i32_e32 vcc, s9, v15
	s_or_b64 s[26:27], vcc, s[26:27]
	v_add_u32_e32 v0, s37, v0
	s_waitcnt vmcnt(0)
	v_cvt_f32_f16_e32 v1, v1
	v_sub_f32_e32 v1, v1, v13
	v_mul_f32_e32 v16, 0x3fb8aa3b, v1
	v_fma_f32 v17, v1, s19, -v16
	v_rndne_f32_e32 v18, v16
	v_fmac_f32_e32 v17, 0x32a5705f, v1
	v_sub_f32_e32 v16, v16, v18
	v_add_f32_e32 v16, v16, v17
	v_cvt_i32_f32_e32 v18, v18
	v_exp_f32_e32 v16, v16
	v_cmp_ngt_f32_e32 vcc, s30, v1
	v_ldexp_f32 v16, v16, v18
	v_cndmask_b32_e32 v16, 0, v16, vcc
	v_cmp_nlt_f32_e32 vcc, s31, v1
	v_cndmask_b32_e32 v1, v6, v16, vcc
	v_add_f32_e32 v14, v14, v1
	s_andn2_b64 exec, exec, s[26:27]
	s_cbranch_execnz .LBB196_15
; %bb.16:                               ;   in Loop: Header=BB196_7 Depth=2
	s_or_b64 exec, exec, s[26:27]
	s_or_b64 exec, exec, s[4:5]
	s_and_saveexec_b64 s[26:27], s[2:3]
	s_cbranch_execz .LBB196_19
.LBB196_17:                             ;   in Loop: Header=BB196_7 Depth=2
	v_cmp_gt_f32_e32 vcc, s34, v14
	v_cndmask_b32_e32 v0, 1.0, v7, vcc
	v_mul_f32_e32 v0, v14, v0
	v_log_f32_e32 v0, v0
	v_cndmask_b32_e32 v1, 0, v8, vcc
	s_mov_b64 s[28:29], 0
	v_mul_f32_e32 v14, 0x3f317217, v0
	v_fma_f32 v15, v0, s35, -v14
	v_fmac_f32_e32 v15, 0x3377d1cf, v0
	v_add_f32_e32 v14, v14, v15
	v_cmp_lt_f32_e64 vcc, |v0|, s33
	v_cndmask_b32_e32 v0, v0, v14, vcc
	v_sub_f32_e32 v14, v0, v1
	v_mov_b32_e32 v0, v11
	v_mov_b32_e32 v15, v4
.LBB196_18:                             ;   Parent Loop BB196_3 Depth=1
                                        ;     Parent Loop BB196_7 Depth=2
                                        ; =>    This Inner Loop Header: Depth=3
	v_ashrrev_i32_e32 v1, 31, v0
	v_lshlrev_b64 v[16:17], 1, v[0:1]
	v_mov_b32_e32 v1, s15
	v_add_co_u32_e32 v18, vcc, s14, v16
	v_addc_co_u32_e32 v19, vcc, v1, v17, vcc
	global_load_ushort v1, v[18:19], off
	v_add_u32_e32 v15, s36, v15
	v_mov_b32_e32 v18, s13
	v_cmp_le_i32_e32 vcc, s9, v15
	v_add_co_u32_e64 v16, s[4:5], s12, v16
	v_addc_co_u32_e64 v17, s[4:5], v18, v17, s[4:5]
	s_or_b64 s[28:29], vcc, s[28:29]
	v_add_u32_e32 v0, s37, v0
	s_waitcnt vmcnt(0)
	v_cvt_f32_f16_e32 v1, v1
	v_sub_f32_e32 v1, v1, v13
	v_sub_f32_e32 v1, v1, v14
	v_cvt_f16_f32_e32 v1, v1
	global_store_short v[16:17], v1, off
	s_andn2_b64 exec, exec, s[28:29]
	s_cbranch_execnz .LBB196_18
.LBB196_19:                             ;   in Loop: Header=BB196_7 Depth=2
	s_or_b64 exec, exec, s[26:27]
	s_mov_b64 s[4:5], 0
.LBB196_20:                             ;   in Loop: Header=BB196_7 Depth=2
	s_and_b64 vcc, exec, s[4:5]
	s_cbranch_vccz .LBB196_6
; %bb.21:                               ;   in Loop: Header=BB196_7 Depth=2
	v_mov_b32_e32 v13, 0xff7fffff
	s_and_saveexec_b64 s[4:5], s[2:3]
	s_cbranch_execz .LBB196_25
; %bb.22:                               ;   in Loop: Header=BB196_7 Depth=2
	s_mov_b64 s[26:27], 0
	v_mov_b32_e32 v13, 0xff7fffff
	v_mov_b32_e32 v0, v11
	;; [unrolled: 1-line block ×3, first 2 shown]
.LBB196_23:                             ;   Parent Loop BB196_3 Depth=1
                                        ;     Parent Loop BB196_7 Depth=2
                                        ; =>    This Inner Loop Header: Depth=3
	v_ashrrev_i32_e32 v1, 31, v0
	v_lshlrev_b64 v[16:17], 1, v[0:1]
	v_mov_b32_e32 v15, s15
	v_add_co_u32_e32 v16, vcc, s14, v16
	v_addc_co_u32_e32 v17, vcc, v15, v17, vcc
	global_load_ushort v1, v[16:17], off
	v_add_u32_e32 v14, s36, v14
	v_cmp_le_i32_e32 vcc, s9, v14
	s_or_b64 s[26:27], vcc, s[26:27]
	v_add_u32_e32 v0, s37, v0
	s_waitcnt vmcnt(0)
	v_cvt_f32_f16_e32 v1, v1
	v_cmp_lt_f32_e32 vcc, v13, v1
	v_cndmask_b32_e32 v13, v13, v1, vcc
	s_andn2_b64 exec, exec, s[26:27]
	s_cbranch_execnz .LBB196_23
; %bb.24:                               ;   in Loop: Header=BB196_7 Depth=2
	s_or_b64 exec, exec, s[26:27]
.LBB196_25:                             ;   in Loop: Header=BB196_7 Depth=2
	s_or_b64 exec, exec, s[4:5]
	s_mov_b32 s26, s36
	s_barrier
	ds_write_b32 v10, v13
	s_branch .LBB196_27
.LBB196_26:                             ;   in Loop: Header=BB196_27 Depth=3
	s_or_b64 exec, exec, s[4:5]
	s_cmp_gt_u32 s26, 3
	s_mov_b32 s26, s27
	s_cbranch_scc0 .LBB196_29
.LBB196_27:                             ;   Parent Loop BB196_3 Depth=1
                                        ;     Parent Loop BB196_7 Depth=2
                                        ; =>    This Inner Loop Header: Depth=3
	s_lshr_b32 s27, s26, 1
	v_cmp_gt_u32_e32 vcc, s27, v4
	s_waitcnt lgkmcnt(0)
	s_barrier
	s_and_saveexec_b64 s[4:5], vcc
	s_cbranch_execz .LBB196_26
; %bb.28:                               ;   in Loop: Header=BB196_27 Depth=3
	v_lshl_add_u32 v0, s27, 2, v10
	ds_read_b32 v1, v10
	ds_read_b32 v0, v0
	s_waitcnt lgkmcnt(0)
	v_cmp_lt_f32_e32 vcc, v1, v0
	v_cndmask_b32_e32 v0, v1, v0, vcc
	ds_write_b32 v10, v0
	s_branch .LBB196_26
.LBB196_29:                             ;   in Loop: Header=BB196_7 Depth=2
	s_waitcnt lgkmcnt(0)
	s_barrier
	ds_read_b32 v13, v9
	v_mov_b32_e32 v14, 0
	s_and_saveexec_b64 s[4:5], s[2:3]
	s_cbranch_execz .LBB196_33
; %bb.30:                               ;   in Loop: Header=BB196_7 Depth=2
	s_mov_b64 s[26:27], 0
	v_mov_b32_e32 v14, 0
	v_mov_b32_e32 v0, v11
	;; [unrolled: 1-line block ×3, first 2 shown]
.LBB196_31:                             ;   Parent Loop BB196_3 Depth=1
                                        ;     Parent Loop BB196_7 Depth=2
                                        ; =>    This Inner Loop Header: Depth=3
	v_ashrrev_i32_e32 v1, 31, v0
	v_lshlrev_b64 v[16:17], 1, v[0:1]
	v_mov_b32_e32 v1, s15
	v_add_co_u32_e32 v16, vcc, s14, v16
	v_addc_co_u32_e32 v17, vcc, v1, v17, vcc
	global_load_ushort v1, v[16:17], off
	v_add_u32_e32 v15, s36, v15
	v_cmp_le_i32_e32 vcc, s9, v15
	s_or_b64 s[26:27], vcc, s[26:27]
	v_add_u32_e32 v0, s37, v0
	s_waitcnt vmcnt(0)
	v_cvt_f32_f16_e32 v1, v1
	s_waitcnt lgkmcnt(0)
	v_sub_f32_e32 v1, v1, v13
	v_mul_f32_e32 v16, 0x3fb8aa3b, v1
	v_fma_f32 v17, v1, s19, -v16
	v_rndne_f32_e32 v18, v16
	v_fmac_f32_e32 v17, 0x32a5705f, v1
	v_sub_f32_e32 v16, v16, v18
	v_add_f32_e32 v16, v16, v17
	v_cvt_i32_f32_e32 v18, v18
	v_exp_f32_e32 v16, v16
	v_cmp_ngt_f32_e32 vcc, s30, v1
	v_ldexp_f32 v16, v16, v18
	v_cndmask_b32_e32 v16, 0, v16, vcc
	v_cmp_nlt_f32_e32 vcc, s31, v1
	v_cndmask_b32_e32 v1, v6, v16, vcc
	v_add_f32_e32 v14, v14, v1
	s_andn2_b64 exec, exec, s[26:27]
	s_cbranch_execnz .LBB196_31
; %bb.32:                               ;   in Loop: Header=BB196_7 Depth=2
	s_or_b64 exec, exec, s[26:27]
.LBB196_33:                             ;   in Loop: Header=BB196_7 Depth=2
	s_or_b64 exec, exec, s[4:5]
	s_mov_b32 s26, s36
	s_waitcnt lgkmcnt(0)
	s_barrier
	ds_write_b32 v10, v14
	s_branch .LBB196_35
.LBB196_34:                             ;   in Loop: Header=BB196_35 Depth=3
	s_or_b64 exec, exec, s[4:5]
	s_cmp_gt_u32 s26, 3
	s_mov_b32 s26, s27
	s_cbranch_scc0 .LBB196_37
.LBB196_35:                             ;   Parent Loop BB196_3 Depth=1
                                        ;     Parent Loop BB196_7 Depth=2
                                        ; =>    This Inner Loop Header: Depth=3
	s_lshr_b32 s27, s26, 1
	v_cmp_gt_u32_e32 vcc, s27, v4
	s_waitcnt lgkmcnt(0)
	s_barrier
	s_and_saveexec_b64 s[4:5], vcc
	s_cbranch_execz .LBB196_34
; %bb.36:                               ;   in Loop: Header=BB196_35 Depth=3
	v_lshl_add_u32 v0, s27, 2, v10
	ds_read_b32 v1, v10
	ds_read_b32 v0, v0
	s_waitcnt lgkmcnt(0)
	v_add_f32_e32 v0, v1, v0
	ds_write_b32 v10, v0
	s_branch .LBB196_34
.LBB196_37:                             ;   in Loop: Header=BB196_7 Depth=2
	s_waitcnt lgkmcnt(0)
	s_barrier
	s_and_saveexec_b64 s[26:27], s[2:3]
	s_cbranch_execz .LBB196_5
; %bb.38:                               ;   in Loop: Header=BB196_7 Depth=2
	ds_read_b32 v0, v9
	s_mov_b64 s[28:29], 0
	s_waitcnt lgkmcnt(0)
	v_cmp_gt_f32_e32 vcc, s34, v0
	v_cndmask_b32_e32 v1, 1.0, v7, vcc
	v_mul_f32_e32 v0, v0, v1
	v_log_f32_e32 v1, v0
	v_cndmask_b32_e32 v14, 0, v8, vcc
	v_mov_b32_e32 v0, v11
	v_mul_f32_e32 v15, 0x3f317217, v1
	v_fma_f32 v16, v1, s35, -v15
	v_fmac_f32_e32 v16, 0x3377d1cf, v1
	v_add_f32_e32 v15, v15, v16
	v_cmp_lt_f32_e64 vcc, |v1|, s33
	v_cndmask_b32_e32 v1, v1, v15, vcc
	v_sub_f32_e32 v14, v1, v14
	v_mov_b32_e32 v15, v4
.LBB196_39:                             ;   Parent Loop BB196_3 Depth=1
                                        ;     Parent Loop BB196_7 Depth=2
                                        ; =>    This Inner Loop Header: Depth=3
	v_ashrrev_i32_e32 v1, 31, v0
	v_lshlrev_b64 v[16:17], 1, v[0:1]
	v_mov_b32_e32 v1, s15
	v_add_co_u32_e32 v18, vcc, s14, v16
	v_addc_co_u32_e32 v19, vcc, v1, v17, vcc
	global_load_ushort v1, v[18:19], off
	v_add_u32_e32 v15, s36, v15
	v_mov_b32_e32 v18, s13
	v_cmp_le_i32_e32 vcc, s9, v15
	v_add_co_u32_e64 v16, s[4:5], s12, v16
	v_addc_co_u32_e64 v17, s[4:5], v18, v17, s[4:5]
	s_or_b64 s[28:29], vcc, s[28:29]
	v_add_u32_e32 v0, s37, v0
	s_waitcnt vmcnt(0)
	v_cvt_f32_f16_e32 v1, v1
	v_sub_f32_e32 v1, v1, v13
	v_sub_f32_e32 v1, v1, v14
	v_cvt_f16_f32_e32 v1, v1
	global_store_short v[16:17], v1, off
	s_andn2_b64 exec, exec, s[28:29]
	s_cbranch_execnz .LBB196_39
	s_branch .LBB196_5
.LBB196_40:
	s_endpgm
	.section	.rodata,"a",@progbits
	.p2align	6, 0x0
	.amdhsa_kernel _ZN2at6native12_GLOBAL__N_126cunn_SpatialSoftMaxForwardIN3c104HalfEfS4_iNS1_25LogSoftMaxForwardEpilogueEEEvPT1_PKT_T2_SB_SB_
		.amdhsa_group_segment_fixed_size 0
		.amdhsa_private_segment_fixed_size 0
		.amdhsa_kernarg_size 288
		.amdhsa_user_sgpr_count 6
		.amdhsa_user_sgpr_private_segment_buffer 1
		.amdhsa_user_sgpr_dispatch_ptr 0
		.amdhsa_user_sgpr_queue_ptr 0
		.amdhsa_user_sgpr_kernarg_segment_ptr 1
		.amdhsa_user_sgpr_dispatch_id 0
		.amdhsa_user_sgpr_flat_scratch_init 0
		.amdhsa_user_sgpr_kernarg_preload_length 0
		.amdhsa_user_sgpr_kernarg_preload_offset 0
		.amdhsa_user_sgpr_private_segment_size 0
		.amdhsa_uses_dynamic_stack 0
		.amdhsa_system_sgpr_private_segment_wavefront_offset 0
		.amdhsa_system_sgpr_workgroup_id_x 1
		.amdhsa_system_sgpr_workgroup_id_y 1
		.amdhsa_system_sgpr_workgroup_id_z 0
		.amdhsa_system_sgpr_workgroup_info 0
		.amdhsa_system_vgpr_workitem_id 1
		.amdhsa_next_free_vgpr 20
		.amdhsa_next_free_sgpr 38
		.amdhsa_accum_offset 20
		.amdhsa_reserve_vcc 1
		.amdhsa_reserve_flat_scratch 0
		.amdhsa_float_round_mode_32 0
		.amdhsa_float_round_mode_16_64 0
		.amdhsa_float_denorm_mode_32 3
		.amdhsa_float_denorm_mode_16_64 3
		.amdhsa_dx10_clamp 1
		.amdhsa_ieee_mode 1
		.amdhsa_fp16_overflow 0
		.amdhsa_tg_split 0
		.amdhsa_exception_fp_ieee_invalid_op 0
		.amdhsa_exception_fp_denorm_src 0
		.amdhsa_exception_fp_ieee_div_zero 0
		.amdhsa_exception_fp_ieee_overflow 0
		.amdhsa_exception_fp_ieee_underflow 0
		.amdhsa_exception_fp_ieee_inexact 0
		.amdhsa_exception_int_div_zero 0
	.end_amdhsa_kernel
	.section	.text._ZN2at6native12_GLOBAL__N_126cunn_SpatialSoftMaxForwardIN3c104HalfEfS4_iNS1_25LogSoftMaxForwardEpilogueEEEvPT1_PKT_T2_SB_SB_,"axG",@progbits,_ZN2at6native12_GLOBAL__N_126cunn_SpatialSoftMaxForwardIN3c104HalfEfS4_iNS1_25LogSoftMaxForwardEpilogueEEEvPT1_PKT_T2_SB_SB_,comdat
.Lfunc_end196:
	.size	_ZN2at6native12_GLOBAL__N_126cunn_SpatialSoftMaxForwardIN3c104HalfEfS4_iNS1_25LogSoftMaxForwardEpilogueEEEvPT1_PKT_T2_SB_SB_, .Lfunc_end196-_ZN2at6native12_GLOBAL__N_126cunn_SpatialSoftMaxForwardIN3c104HalfEfS4_iNS1_25LogSoftMaxForwardEpilogueEEEvPT1_PKT_T2_SB_SB_
                                        ; -- End function
	.section	.AMDGPU.csdata,"",@progbits
; Kernel info:
; codeLenInByte = 1620
; NumSgprs: 42
; NumVgprs: 20
; NumAgprs: 0
; TotalNumVgprs: 20
; ScratchSize: 0
; MemoryBound: 0
; FloatMode: 240
; IeeeMode: 1
; LDSByteSize: 0 bytes/workgroup (compile time only)
; SGPRBlocks: 5
; VGPRBlocks: 2
; NumSGPRsForWavesPerEU: 42
; NumVGPRsForWavesPerEU: 20
; AccumOffset: 20
; Occupancy: 8
; WaveLimiterHint : 0
; COMPUTE_PGM_RSRC2:SCRATCH_EN: 0
; COMPUTE_PGM_RSRC2:USER_SGPR: 6
; COMPUTE_PGM_RSRC2:TRAP_HANDLER: 0
; COMPUTE_PGM_RSRC2:TGID_X_EN: 1
; COMPUTE_PGM_RSRC2:TGID_Y_EN: 1
; COMPUTE_PGM_RSRC2:TGID_Z_EN: 0
; COMPUTE_PGM_RSRC2:TIDIG_COMP_CNT: 1
; COMPUTE_PGM_RSRC3_GFX90A:ACCUM_OFFSET: 4
; COMPUTE_PGM_RSRC3_GFX90A:TG_SPLIT: 0
	.section	.text._ZN2at6native12_GLOBAL__N_126cunn_SpatialSoftMaxForwardIN3c104HalfEffiNS1_25LogSoftMaxForwardEpilogueEEEvPT1_PKT_T2_SB_SB_,"axG",@progbits,_ZN2at6native12_GLOBAL__N_126cunn_SpatialSoftMaxForwardIN3c104HalfEffiNS1_25LogSoftMaxForwardEpilogueEEEvPT1_PKT_T2_SB_SB_,comdat
	.globl	_ZN2at6native12_GLOBAL__N_126cunn_SpatialSoftMaxForwardIN3c104HalfEffiNS1_25LogSoftMaxForwardEpilogueEEEvPT1_PKT_T2_SB_SB_ ; -- Begin function _ZN2at6native12_GLOBAL__N_126cunn_SpatialSoftMaxForwardIN3c104HalfEffiNS1_25LogSoftMaxForwardEpilogueEEEvPT1_PKT_T2_SB_SB_
	.p2align	8
	.type	_ZN2at6native12_GLOBAL__N_126cunn_SpatialSoftMaxForwardIN3c104HalfEffiNS1_25LogSoftMaxForwardEpilogueEEEvPT1_PKT_T2_SB_SB_,@function
_ZN2at6native12_GLOBAL__N_126cunn_SpatialSoftMaxForwardIN3c104HalfEffiNS1_25LogSoftMaxForwardEpilogueEEEvPT1_PKT_T2_SB_SB_: ; @_ZN2at6native12_GLOBAL__N_126cunn_SpatialSoftMaxForwardIN3c104HalfEffiNS1_25LogSoftMaxForwardEpilogueEEEvPT1_PKT_T2_SB_SB_
; %bb.0:
	s_load_dwordx4 s[8:11], s[4:5], 0x10
	s_waitcnt lgkmcnt(0)
	s_cmp_ge_i32 s6, s8
	s_cbranch_scc1 .LBB197_40
; %bb.1:
	s_load_dword s0, s[4:5], 0x2c
	s_load_dwordx4 s[12:15], s[4:5], 0x0
	s_load_dwordx2 s[18:19], s[4:5], 0x20
	s_add_u32 s16, s4, 32
	s_addc_u32 s17, s5, 0
	v_and_b32_e32 v4, 0x3ff, v0
	s_waitcnt lgkmcnt(0)
	s_lshr_b32 s4, s0, 16
	s_mul_i32 s5, s7, s4
	s_mul_i32 s7, s19, s4
	;; [unrolled: 1-line block ×3, first 2 shown]
	v_bfe_u32 v2, v0, 10, 10
	v_add_u32_e32 v0, s4, v4
	v_add_u32_e32 v3, s5, v2
	v_mul_lo_u32 v0, s10, v0
	s_mul_i32 s11, s18, s10
	v_cmp_gt_i32_e64 s[0:1], s10, v3
	v_cmp_gt_i32_e64 s[2:3], s9, v4
	v_add3_u32 v5, v2, v0, s5
	s_mul_i32 s11, s11, s9
	s_mov_b32 s19, 0x3fb8aa3b
	s_mov_b32 s30, 0xc2ce8ed0
	;; [unrolled: 1-line block ×6, first 2 shown]
	v_mov_b32_e32 v6, 0x7f800000
	v_mov_b32_e32 v7, 0x4f800000
	;; [unrolled: 1-line block ×3, first 2 shown]
	s_branch .LBB197_3
.LBB197_2:                              ;   in Loop: Header=BB197_3 Depth=1
	s_or_b64 exec, exec, s[20:21]
	s_add_i32 s6, s18, s6
	s_cmp_ge_i32 s6, s8
	v_add_u32_e32 v5, s11, v5
	s_cbranch_scc1 .LBB197_40
.LBB197_3:                              ; =>This Loop Header: Depth=1
                                        ;     Child Loop BB197_7 Depth 2
                                        ;       Child Loop BB197_12 Depth 3
                                        ;       Child Loop BB197_15 Depth 3
	;; [unrolled: 1-line block ×8, first 2 shown]
	s_and_saveexec_b64 s[20:21], s[0:1]
	s_cbranch_execz .LBB197_2
; %bb.4:                                ;   in Loop: Header=BB197_3 Depth=1
	s_load_dword s4, s[16:17], 0xc
	s_mov_b64 s[22:23], 0
	v_mov_b32_e32 v11, v5
	v_mov_b32_e32 v12, v3
	s_waitcnt lgkmcnt(0)
	s_and_b32 s36, s4, 0xffff
	v_mul_u32_u24_e32 v0, s36, v2
	s_cmp_lt_u32 s36, 2
	v_lshl_add_u32 v9, v0, 2, 0
	s_mul_i32 s37, s10, s36
	s_cselect_b64 s[24:25], -1, 0
	v_lshl_add_u32 v10, v4, 2, v9
	s_branch .LBB197_7
.LBB197_5:                              ;   in Loop: Header=BB197_7 Depth=2
	s_or_b64 exec, exec, s[26:27]
.LBB197_6:                              ;   in Loop: Header=BB197_7 Depth=2
	v_add_u32_e32 v12, s7, v12
	v_cmp_le_i32_e32 vcc, s10, v12
	s_or_b64 s[22:23], vcc, s[22:23]
	v_add_u32_e32 v11, s7, v11
	s_andn2_b64 exec, exec, s[22:23]
	s_cbranch_execz .LBB197_2
.LBB197_7:                              ;   Parent Loop BB197_3 Depth=1
                                        ; =>  This Loop Header: Depth=2
                                        ;       Child Loop BB197_12 Depth 3
                                        ;       Child Loop BB197_15 Depth 3
	;; [unrolled: 1-line block ×8, first 2 shown]
	s_mov_b64 s[4:5], -1
	s_and_b64 vcc, exec, s[24:25]
	s_cbranch_vccz .LBB197_20
; %bb.8:                                ;   in Loop: Header=BB197_7 Depth=2
	v_mov_b32_e32 v13, 0xff7fffff
	s_and_saveexec_b64 s[4:5], s[2:3]
	s_cbranch_execnz .LBB197_11
; %bb.9:                                ;   in Loop: Header=BB197_7 Depth=2
	s_or_b64 exec, exec, s[4:5]
	v_mov_b32_e32 v14, 0
	s_and_saveexec_b64 s[4:5], s[2:3]
	s_cbranch_execnz .LBB197_14
.LBB197_10:                             ;   in Loop: Header=BB197_7 Depth=2
	s_or_b64 exec, exec, s[4:5]
	s_and_saveexec_b64 s[26:27], s[2:3]
	s_cbranch_execnz .LBB197_17
	s_branch .LBB197_19
.LBB197_11:                             ;   in Loop: Header=BB197_7 Depth=2
	s_mov_b64 s[26:27], 0
	v_mov_b32_e32 v13, 0xff7fffff
	v_mov_b32_e32 v0, v11
	;; [unrolled: 1-line block ×3, first 2 shown]
.LBB197_12:                             ;   Parent Loop BB197_3 Depth=1
                                        ;     Parent Loop BB197_7 Depth=2
                                        ; =>    This Inner Loop Header: Depth=3
	v_ashrrev_i32_e32 v1, 31, v0
	v_lshlrev_b64 v[16:17], 1, v[0:1]
	v_mov_b32_e32 v15, s15
	v_add_co_u32_e32 v16, vcc, s14, v16
	v_addc_co_u32_e32 v17, vcc, v15, v17, vcc
	global_load_ushort v1, v[16:17], off
	v_add_u32_e32 v14, s36, v14
	v_cmp_le_i32_e32 vcc, s9, v14
	s_or_b64 s[26:27], vcc, s[26:27]
	v_add_u32_e32 v0, s37, v0
	s_waitcnt vmcnt(0)
	v_cvt_f32_f16_e32 v1, v1
	v_cmp_lt_f32_e32 vcc, v13, v1
	v_cndmask_b32_e32 v13, v13, v1, vcc
	s_andn2_b64 exec, exec, s[26:27]
	s_cbranch_execnz .LBB197_12
; %bb.13:                               ;   in Loop: Header=BB197_7 Depth=2
	s_or_b64 exec, exec, s[26:27]
	s_or_b64 exec, exec, s[4:5]
	v_mov_b32_e32 v14, 0
	s_and_saveexec_b64 s[4:5], s[2:3]
	s_cbranch_execz .LBB197_10
.LBB197_14:                             ;   in Loop: Header=BB197_7 Depth=2
	s_mov_b64 s[26:27], 0
	v_mov_b32_e32 v14, 0
	v_mov_b32_e32 v0, v11
	v_mov_b32_e32 v15, v4
.LBB197_15:                             ;   Parent Loop BB197_3 Depth=1
                                        ;     Parent Loop BB197_7 Depth=2
                                        ; =>    This Inner Loop Header: Depth=3
	v_ashrrev_i32_e32 v1, 31, v0
	v_lshlrev_b64 v[16:17], 1, v[0:1]
	v_mov_b32_e32 v1, s15
	v_add_co_u32_e32 v16, vcc, s14, v16
	v_addc_co_u32_e32 v17, vcc, v1, v17, vcc
	global_load_ushort v1, v[16:17], off
	v_add_u32_e32 v15, s36, v15
	v_cmp_le_i32_e32 vcc, s9, v15
	s_or_b64 s[26:27], vcc, s[26:27]
	v_add_u32_e32 v0, s37, v0
	s_waitcnt vmcnt(0)
	v_cvt_f32_f16_e32 v1, v1
	v_sub_f32_e32 v1, v1, v13
	v_mul_f32_e32 v16, 0x3fb8aa3b, v1
	v_fma_f32 v17, v1, s19, -v16
	v_rndne_f32_e32 v18, v16
	v_fmac_f32_e32 v17, 0x32a5705f, v1
	v_sub_f32_e32 v16, v16, v18
	v_add_f32_e32 v16, v16, v17
	v_cvt_i32_f32_e32 v18, v18
	v_exp_f32_e32 v16, v16
	v_cmp_ngt_f32_e32 vcc, s30, v1
	v_ldexp_f32 v16, v16, v18
	v_cndmask_b32_e32 v16, 0, v16, vcc
	v_cmp_nlt_f32_e32 vcc, s31, v1
	v_cndmask_b32_e32 v1, v6, v16, vcc
	v_add_f32_e32 v14, v14, v1
	s_andn2_b64 exec, exec, s[26:27]
	s_cbranch_execnz .LBB197_15
; %bb.16:                               ;   in Loop: Header=BB197_7 Depth=2
	s_or_b64 exec, exec, s[26:27]
	s_or_b64 exec, exec, s[4:5]
	s_and_saveexec_b64 s[26:27], s[2:3]
	s_cbranch_execz .LBB197_19
.LBB197_17:                             ;   in Loop: Header=BB197_7 Depth=2
	v_cmp_gt_f32_e32 vcc, s34, v14
	v_cndmask_b32_e32 v0, 1.0, v7, vcc
	v_mul_f32_e32 v0, v14, v0
	v_log_f32_e32 v0, v0
	v_cndmask_b32_e32 v1, 0, v8, vcc
	s_mov_b64 s[28:29], 0
	v_mul_f32_e32 v14, 0x3f317217, v0
	v_fma_f32 v15, v0, s35, -v14
	v_fmac_f32_e32 v15, 0x3377d1cf, v0
	v_add_f32_e32 v14, v14, v15
	v_cmp_lt_f32_e64 vcc, |v0|, s33
	v_cndmask_b32_e32 v0, v0, v14, vcc
	v_sub_f32_e32 v14, v0, v1
	v_mov_b32_e32 v0, v11
	v_mov_b32_e32 v15, v4
.LBB197_18:                             ;   Parent Loop BB197_3 Depth=1
                                        ;     Parent Loop BB197_7 Depth=2
                                        ; =>    This Inner Loop Header: Depth=3
	v_ashrrev_i32_e32 v1, 31, v0
	v_lshlrev_b64 v[16:17], 1, v[0:1]
	v_mov_b32_e32 v18, s15
	v_add_co_u32_e32 v16, vcc, s14, v16
	v_addc_co_u32_e32 v17, vcc, v18, v17, vcc
	global_load_ushort v18, v[16:17], off
	v_lshlrev_b64 v[16:17], 2, v[0:1]
	v_add_u32_e32 v15, s36, v15
	v_mov_b32_e32 v19, s13
	v_cmp_le_i32_e32 vcc, s9, v15
	v_add_co_u32_e64 v16, s[4:5], s12, v16
	v_addc_co_u32_e64 v17, s[4:5], v19, v17, s[4:5]
	s_or_b64 s[28:29], vcc, s[28:29]
	v_add_u32_e32 v0, s37, v0
	s_waitcnt vmcnt(0)
	v_cvt_f32_f16_e32 v1, v18
	v_sub_f32_e32 v1, v1, v13
	v_sub_f32_e32 v1, v1, v14
	global_store_dword v[16:17], v1, off
	s_andn2_b64 exec, exec, s[28:29]
	s_cbranch_execnz .LBB197_18
.LBB197_19:                             ;   in Loop: Header=BB197_7 Depth=2
	s_or_b64 exec, exec, s[26:27]
	s_mov_b64 s[4:5], 0
.LBB197_20:                             ;   in Loop: Header=BB197_7 Depth=2
	s_and_b64 vcc, exec, s[4:5]
	s_cbranch_vccz .LBB197_6
; %bb.21:                               ;   in Loop: Header=BB197_7 Depth=2
	v_mov_b32_e32 v13, 0xff7fffff
	s_and_saveexec_b64 s[4:5], s[2:3]
	s_cbranch_execz .LBB197_25
; %bb.22:                               ;   in Loop: Header=BB197_7 Depth=2
	s_mov_b64 s[26:27], 0
	v_mov_b32_e32 v13, 0xff7fffff
	v_mov_b32_e32 v0, v11
	;; [unrolled: 1-line block ×3, first 2 shown]
.LBB197_23:                             ;   Parent Loop BB197_3 Depth=1
                                        ;     Parent Loop BB197_7 Depth=2
                                        ; =>    This Inner Loop Header: Depth=3
	v_ashrrev_i32_e32 v1, 31, v0
	v_lshlrev_b64 v[16:17], 1, v[0:1]
	v_mov_b32_e32 v15, s15
	v_add_co_u32_e32 v16, vcc, s14, v16
	v_addc_co_u32_e32 v17, vcc, v15, v17, vcc
	global_load_ushort v1, v[16:17], off
	v_add_u32_e32 v14, s36, v14
	v_cmp_le_i32_e32 vcc, s9, v14
	s_or_b64 s[26:27], vcc, s[26:27]
	v_add_u32_e32 v0, s37, v0
	s_waitcnt vmcnt(0)
	v_cvt_f32_f16_e32 v1, v1
	v_cmp_lt_f32_e32 vcc, v13, v1
	v_cndmask_b32_e32 v13, v13, v1, vcc
	s_andn2_b64 exec, exec, s[26:27]
	s_cbranch_execnz .LBB197_23
; %bb.24:                               ;   in Loop: Header=BB197_7 Depth=2
	s_or_b64 exec, exec, s[26:27]
.LBB197_25:                             ;   in Loop: Header=BB197_7 Depth=2
	s_or_b64 exec, exec, s[4:5]
	s_mov_b32 s26, s36
	s_barrier
	ds_write_b32 v10, v13
	s_branch .LBB197_27
.LBB197_26:                             ;   in Loop: Header=BB197_27 Depth=3
	s_or_b64 exec, exec, s[4:5]
	s_cmp_gt_u32 s26, 3
	s_mov_b32 s26, s27
	s_cbranch_scc0 .LBB197_29
.LBB197_27:                             ;   Parent Loop BB197_3 Depth=1
                                        ;     Parent Loop BB197_7 Depth=2
                                        ; =>    This Inner Loop Header: Depth=3
	s_lshr_b32 s27, s26, 1
	v_cmp_gt_u32_e32 vcc, s27, v4
	s_waitcnt lgkmcnt(0)
	s_barrier
	s_and_saveexec_b64 s[4:5], vcc
	s_cbranch_execz .LBB197_26
; %bb.28:                               ;   in Loop: Header=BB197_27 Depth=3
	v_lshl_add_u32 v0, s27, 2, v10
	ds_read_b32 v1, v10
	ds_read_b32 v0, v0
	s_waitcnt lgkmcnt(0)
	v_cmp_lt_f32_e32 vcc, v1, v0
	v_cndmask_b32_e32 v0, v1, v0, vcc
	ds_write_b32 v10, v0
	s_branch .LBB197_26
.LBB197_29:                             ;   in Loop: Header=BB197_7 Depth=2
	s_waitcnt lgkmcnt(0)
	s_barrier
	ds_read_b32 v13, v9
	v_mov_b32_e32 v14, 0
	s_and_saveexec_b64 s[4:5], s[2:3]
	s_cbranch_execz .LBB197_33
; %bb.30:                               ;   in Loop: Header=BB197_7 Depth=2
	s_mov_b64 s[26:27], 0
	v_mov_b32_e32 v14, 0
	v_mov_b32_e32 v0, v11
	;; [unrolled: 1-line block ×3, first 2 shown]
.LBB197_31:                             ;   Parent Loop BB197_3 Depth=1
                                        ;     Parent Loop BB197_7 Depth=2
                                        ; =>    This Inner Loop Header: Depth=3
	v_ashrrev_i32_e32 v1, 31, v0
	v_lshlrev_b64 v[16:17], 1, v[0:1]
	v_mov_b32_e32 v1, s15
	v_add_co_u32_e32 v16, vcc, s14, v16
	v_addc_co_u32_e32 v17, vcc, v1, v17, vcc
	global_load_ushort v1, v[16:17], off
	v_add_u32_e32 v15, s36, v15
	v_cmp_le_i32_e32 vcc, s9, v15
	s_or_b64 s[26:27], vcc, s[26:27]
	v_add_u32_e32 v0, s37, v0
	s_waitcnt vmcnt(0)
	v_cvt_f32_f16_e32 v1, v1
	s_waitcnt lgkmcnt(0)
	v_sub_f32_e32 v1, v1, v13
	v_mul_f32_e32 v16, 0x3fb8aa3b, v1
	v_fma_f32 v17, v1, s19, -v16
	v_rndne_f32_e32 v18, v16
	v_fmac_f32_e32 v17, 0x32a5705f, v1
	v_sub_f32_e32 v16, v16, v18
	v_add_f32_e32 v16, v16, v17
	v_cvt_i32_f32_e32 v18, v18
	v_exp_f32_e32 v16, v16
	v_cmp_ngt_f32_e32 vcc, s30, v1
	v_ldexp_f32 v16, v16, v18
	v_cndmask_b32_e32 v16, 0, v16, vcc
	v_cmp_nlt_f32_e32 vcc, s31, v1
	v_cndmask_b32_e32 v1, v6, v16, vcc
	v_add_f32_e32 v14, v14, v1
	s_andn2_b64 exec, exec, s[26:27]
	s_cbranch_execnz .LBB197_31
; %bb.32:                               ;   in Loop: Header=BB197_7 Depth=2
	s_or_b64 exec, exec, s[26:27]
.LBB197_33:                             ;   in Loop: Header=BB197_7 Depth=2
	s_or_b64 exec, exec, s[4:5]
	s_mov_b32 s26, s36
	s_waitcnt lgkmcnt(0)
	s_barrier
	ds_write_b32 v10, v14
	s_branch .LBB197_35
.LBB197_34:                             ;   in Loop: Header=BB197_35 Depth=3
	s_or_b64 exec, exec, s[4:5]
	s_cmp_gt_u32 s26, 3
	s_mov_b32 s26, s27
	s_cbranch_scc0 .LBB197_37
.LBB197_35:                             ;   Parent Loop BB197_3 Depth=1
                                        ;     Parent Loop BB197_7 Depth=2
                                        ; =>    This Inner Loop Header: Depth=3
	s_lshr_b32 s27, s26, 1
	v_cmp_gt_u32_e32 vcc, s27, v4
	s_waitcnt lgkmcnt(0)
	s_barrier
	s_and_saveexec_b64 s[4:5], vcc
	s_cbranch_execz .LBB197_34
; %bb.36:                               ;   in Loop: Header=BB197_35 Depth=3
	v_lshl_add_u32 v0, s27, 2, v10
	ds_read_b32 v1, v10
	ds_read_b32 v0, v0
	s_waitcnt lgkmcnt(0)
	v_add_f32_e32 v0, v1, v0
	ds_write_b32 v10, v0
	s_branch .LBB197_34
.LBB197_37:                             ;   in Loop: Header=BB197_7 Depth=2
	s_waitcnt lgkmcnt(0)
	s_barrier
	s_and_saveexec_b64 s[26:27], s[2:3]
	s_cbranch_execz .LBB197_5
; %bb.38:                               ;   in Loop: Header=BB197_7 Depth=2
	ds_read_b32 v0, v9
	s_mov_b64 s[28:29], 0
	s_waitcnt lgkmcnt(0)
	v_cmp_gt_f32_e32 vcc, s34, v0
	v_cndmask_b32_e32 v1, 1.0, v7, vcc
	v_mul_f32_e32 v0, v0, v1
	v_log_f32_e32 v1, v0
	v_cndmask_b32_e32 v14, 0, v8, vcc
	v_mov_b32_e32 v0, v11
	v_mul_f32_e32 v15, 0x3f317217, v1
	v_fma_f32 v16, v1, s35, -v15
	v_fmac_f32_e32 v16, 0x3377d1cf, v1
	v_add_f32_e32 v15, v15, v16
	v_cmp_lt_f32_e64 vcc, |v1|, s33
	v_cndmask_b32_e32 v1, v1, v15, vcc
	v_sub_f32_e32 v14, v1, v14
	v_mov_b32_e32 v15, v4
.LBB197_39:                             ;   Parent Loop BB197_3 Depth=1
                                        ;     Parent Loop BB197_7 Depth=2
                                        ; =>    This Inner Loop Header: Depth=3
	v_ashrrev_i32_e32 v1, 31, v0
	v_lshlrev_b64 v[16:17], 1, v[0:1]
	v_mov_b32_e32 v18, s15
	v_add_co_u32_e32 v16, vcc, s14, v16
	v_addc_co_u32_e32 v17, vcc, v18, v17, vcc
	global_load_ushort v18, v[16:17], off
	v_lshlrev_b64 v[16:17], 2, v[0:1]
	v_add_u32_e32 v15, s36, v15
	v_mov_b32_e32 v19, s13
	v_cmp_le_i32_e32 vcc, s9, v15
	v_add_co_u32_e64 v16, s[4:5], s12, v16
	v_addc_co_u32_e64 v17, s[4:5], v19, v17, s[4:5]
	s_or_b64 s[28:29], vcc, s[28:29]
	v_add_u32_e32 v0, s37, v0
	s_waitcnt vmcnt(0)
	v_cvt_f32_f16_e32 v1, v18
	v_sub_f32_e32 v1, v1, v13
	v_sub_f32_e32 v1, v1, v14
	global_store_dword v[16:17], v1, off
	s_andn2_b64 exec, exec, s[28:29]
	s_cbranch_execnz .LBB197_39
	s_branch .LBB197_5
.LBB197_40:
	s_endpgm
	.section	.rodata,"a",@progbits
	.p2align	6, 0x0
	.amdhsa_kernel _ZN2at6native12_GLOBAL__N_126cunn_SpatialSoftMaxForwardIN3c104HalfEffiNS1_25LogSoftMaxForwardEpilogueEEEvPT1_PKT_T2_SB_SB_
		.amdhsa_group_segment_fixed_size 0
		.amdhsa_private_segment_fixed_size 0
		.amdhsa_kernarg_size 288
		.amdhsa_user_sgpr_count 6
		.amdhsa_user_sgpr_private_segment_buffer 1
		.amdhsa_user_sgpr_dispatch_ptr 0
		.amdhsa_user_sgpr_queue_ptr 0
		.amdhsa_user_sgpr_kernarg_segment_ptr 1
		.amdhsa_user_sgpr_dispatch_id 0
		.amdhsa_user_sgpr_flat_scratch_init 0
		.amdhsa_user_sgpr_kernarg_preload_length 0
		.amdhsa_user_sgpr_kernarg_preload_offset 0
		.amdhsa_user_sgpr_private_segment_size 0
		.amdhsa_uses_dynamic_stack 0
		.amdhsa_system_sgpr_private_segment_wavefront_offset 0
		.amdhsa_system_sgpr_workgroup_id_x 1
		.amdhsa_system_sgpr_workgroup_id_y 1
		.amdhsa_system_sgpr_workgroup_id_z 0
		.amdhsa_system_sgpr_workgroup_info 0
		.amdhsa_system_vgpr_workitem_id 1
		.amdhsa_next_free_vgpr 20
		.amdhsa_next_free_sgpr 38
		.amdhsa_accum_offset 20
		.amdhsa_reserve_vcc 1
		.amdhsa_reserve_flat_scratch 0
		.amdhsa_float_round_mode_32 0
		.amdhsa_float_round_mode_16_64 0
		.amdhsa_float_denorm_mode_32 3
		.amdhsa_float_denorm_mode_16_64 3
		.amdhsa_dx10_clamp 1
		.amdhsa_ieee_mode 1
		.amdhsa_fp16_overflow 0
		.amdhsa_tg_split 0
		.amdhsa_exception_fp_ieee_invalid_op 0
		.amdhsa_exception_fp_denorm_src 0
		.amdhsa_exception_fp_ieee_div_zero 0
		.amdhsa_exception_fp_ieee_overflow 0
		.amdhsa_exception_fp_ieee_underflow 0
		.amdhsa_exception_fp_ieee_inexact 0
		.amdhsa_exception_int_div_zero 0
	.end_amdhsa_kernel
	.section	.text._ZN2at6native12_GLOBAL__N_126cunn_SpatialSoftMaxForwardIN3c104HalfEffiNS1_25LogSoftMaxForwardEpilogueEEEvPT1_PKT_T2_SB_SB_,"axG",@progbits,_ZN2at6native12_GLOBAL__N_126cunn_SpatialSoftMaxForwardIN3c104HalfEffiNS1_25LogSoftMaxForwardEpilogueEEEvPT1_PKT_T2_SB_SB_,comdat
.Lfunc_end197:
	.size	_ZN2at6native12_GLOBAL__N_126cunn_SpatialSoftMaxForwardIN3c104HalfEffiNS1_25LogSoftMaxForwardEpilogueEEEvPT1_PKT_T2_SB_SB_, .Lfunc_end197-_ZN2at6native12_GLOBAL__N_126cunn_SpatialSoftMaxForwardIN3c104HalfEffiNS1_25LogSoftMaxForwardEpilogueEEEvPT1_PKT_T2_SB_SB_
                                        ; -- End function
	.section	.AMDGPU.csdata,"",@progbits
; Kernel info:
; codeLenInByte = 1628
; NumSgprs: 42
; NumVgprs: 20
; NumAgprs: 0
; TotalNumVgprs: 20
; ScratchSize: 0
; MemoryBound: 0
; FloatMode: 240
; IeeeMode: 1
; LDSByteSize: 0 bytes/workgroup (compile time only)
; SGPRBlocks: 5
; VGPRBlocks: 2
; NumSGPRsForWavesPerEU: 42
; NumVGPRsForWavesPerEU: 20
; AccumOffset: 20
; Occupancy: 8
; WaveLimiterHint : 0
; COMPUTE_PGM_RSRC2:SCRATCH_EN: 0
; COMPUTE_PGM_RSRC2:USER_SGPR: 6
; COMPUTE_PGM_RSRC2:TRAP_HANDLER: 0
; COMPUTE_PGM_RSRC2:TGID_X_EN: 1
; COMPUTE_PGM_RSRC2:TGID_Y_EN: 1
; COMPUTE_PGM_RSRC2:TGID_Z_EN: 0
; COMPUTE_PGM_RSRC2:TIDIG_COMP_CNT: 1
; COMPUTE_PGM_RSRC3_GFX90A:ACCUM_OFFSET: 4
; COMPUTE_PGM_RSRC3_GFX90A:TG_SPLIT: 0
	.section	.text._ZN2at6native12_GLOBAL__N_126cunn_SpatialSoftMaxForwardIN3c104HalfEfS4_lNS1_25LogSoftMaxForwardEpilogueEEEvPT1_PKT_T2_SB_SB_,"axG",@progbits,_ZN2at6native12_GLOBAL__N_126cunn_SpatialSoftMaxForwardIN3c104HalfEfS4_lNS1_25LogSoftMaxForwardEpilogueEEEvPT1_PKT_T2_SB_SB_,comdat
	.globl	_ZN2at6native12_GLOBAL__N_126cunn_SpatialSoftMaxForwardIN3c104HalfEfS4_lNS1_25LogSoftMaxForwardEpilogueEEEvPT1_PKT_T2_SB_SB_ ; -- Begin function _ZN2at6native12_GLOBAL__N_126cunn_SpatialSoftMaxForwardIN3c104HalfEfS4_lNS1_25LogSoftMaxForwardEpilogueEEEvPT1_PKT_T2_SB_SB_
	.p2align	8
	.type	_ZN2at6native12_GLOBAL__N_126cunn_SpatialSoftMaxForwardIN3c104HalfEfS4_lNS1_25LogSoftMaxForwardEpilogueEEEvPT1_PKT_T2_SB_SB_,@function
_ZN2at6native12_GLOBAL__N_126cunn_SpatialSoftMaxForwardIN3c104HalfEfS4_lNS1_25LogSoftMaxForwardEpilogueEEEvPT1_PKT_T2_SB_SB_: ; @_ZN2at6native12_GLOBAL__N_126cunn_SpatialSoftMaxForwardIN3c104HalfEfS4_lNS1_25LogSoftMaxForwardEpilogueEEEvPT1_PKT_T2_SB_SB_
; %bb.0:
	s_load_dwordx8 s[8:15], s[4:5], 0x0
	s_mov_b32 s0, s7
	s_mov_b32 s7, 0
	s_waitcnt lgkmcnt(0)
	v_pk_mov_b32 v[2:3], s[12:13], s[12:13] op_sel:[0,1]
	v_cmp_ge_i64_e32 vcc, s[6:7], v[2:3]
	s_cbranch_vccnz .LBB198_40
; %bb.1:
	s_load_dword s1, s[4:5], 0x34
	s_load_dwordx4 s[16:19], s[4:5], 0x20
	s_add_u32 s20, s4, 40
	v_bfe_u32 v22, v0, 10, 10
	s_addc_u32 s21, s5, 0
	s_waitcnt lgkmcnt(0)
	s_lshr_b32 s4, s1, 16
	v_and_b32_e32 v0, 0x3ff, v0
	s_mul_i32 s0, s0, s4
	s_mul_i32 s22, s19, s4
	v_mad_u64_u32 v[4:5], s[4:5], s16, v0, 0
	v_mov_b32_e32 v6, v5
	v_mad_u64_u32 v[6:7], s[4:5], s17, v0, v[6:7]
	s_mul_i32 s4, s16, s15
	s_mul_hi_u32 s5, s16, s14
	s_add_i32 s4, s5, s4
	s_mul_i32 s5, s17, s14
	v_add_u32_e32 v2, s0, v22
	v_mov_b32_e32 v3, 0
	s_add_i32 s19, s4, s5
	s_mul_i32 s24, s16, s14
	v_mov_b32_e32 v8, s6
	v_mov_b32_e32 v5, v6
	s_mul_i32 s25, s19, s6
	v_mad_u64_u32 v[6:7], s[4:5], s24, v8, v[2:3]
	v_add_u32_e32 v7, s25, v7
	v_lshlrev_b64 v[4:5], 1, v[4:5]
	v_lshlrev_b64 v[6:7], 1, v[6:7]
	v_add_co_u32_e32 v4, vcc, v4, v6
	v_addc_co_u32_e32 v5, vcc, v5, v7, vcc
	s_mul_i32 s19, s19, s18
	s_mul_hi_u32 s4, s24, s18
	v_mov_b32_e32 v1, v3
	v_mov_b32_e32 v6, s11
	v_add_co_u32_e32 v4, vcc, s10, v4
	s_add_i32 s5, s4, s19
	s_mul_i32 s4, s24, s18
	v_addc_co_u32_e32 v5, vcc, v6, v5, vcc
	s_lshl_b64 s[24:25], s[4:5], 1
	s_mul_i32 s19, s15, s6
	v_mad_u64_u32 v[6:7], s[4:5], s14, v8, v[0:1]
	v_add_u32_e32 v7, s19, v7
	v_mul_lo_u32 v7, s16, v7
	v_mad_u64_u32 v[8:9], s[4:5], s16, v6, v[2:3]
	v_mul_lo_u32 v6, s17, v6
	v_add3_u32 v9, v6, v9, v7
	v_lshlrev_b64 v[8:9], 1, v[8:9]
	v_mov_b32_e32 v7, s11
	v_add_co_u32_e32 v6, vcc, s10, v8
	v_addc_co_u32_e32 v7, vcc, v7, v9, vcc
	s_mov_b32 s23, s7
	v_mov_b32_e32 v10, s9
	v_add_co_u32_e32 v8, vcc, s8, v8
	v_cmp_gt_i64_e64 s[0:1], s[16:17], v[2:3]
	v_cmp_gt_i64_e64 s[2:3], s[14:15], v[0:1]
	s_lshl_b64 s[26:27], s[22:23], 1
	s_lshl_b64 s[28:29], s[16:17], 1
	v_addc_co_u32_e32 v9, vcc, v10, v9, vcc
	s_mov_b32 s19, 0x3fb8aa3b
	s_mov_b32 s33, 0xc2ce8ed0
	;; [unrolled: 1-line block ×6, first 2 shown]
	v_mov_b32_e32 v23, 0x7f800000
	v_mov_b32_e32 v24, 0x4f800000
	;; [unrolled: 1-line block ×3, first 2 shown]
	s_mov_b64 s[8:9], s[6:7]
	s_branch .LBB198_3
.LBB198_2:                              ;   in Loop: Header=BB198_3 Depth=1
	s_or_b64 exec, exec, s[10:11]
	v_mov_b32_e32 v10, s25
	v_add_co_u32_e32 v4, vcc, s24, v4
	v_addc_co_u32_e32 v5, vcc, v5, v10, vcc
	v_add_co_u32_e32 v6, vcc, s24, v6
	v_addc_co_u32_e32 v7, vcc, v7, v10, vcc
	s_add_u32 s8, s8, s18
	v_add_co_u32_e32 v8, vcc, s24, v8
	s_addc_u32 s9, s9, 0
	v_addc_co_u32_e32 v9, vcc, v9, v10, vcc
	v_pk_mov_b32 v[10:11], s[12:13], s[12:13] op_sel:[0,1]
	v_cmp_ge_i64_e32 vcc, s[8:9], v[10:11]
	s_cbranch_vccnz .LBB198_40
.LBB198_3:                              ; =>This Loop Header: Depth=1
                                        ;     Child Loop BB198_7 Depth 2
                                        ;       Child Loop BB198_12 Depth 3
                                        ;       Child Loop BB198_15 Depth 3
	;; [unrolled: 1-line block ×8, first 2 shown]
	s_and_saveexec_b64 s[10:11], s[0:1]
	s_cbranch_execz .LBB198_2
; %bb.4:                                ;   in Loop: Header=BB198_3 Depth=1
	s_load_dword s4, s[20:21], 0xc
	s_mov_b64 s[34:35], 0
	v_mov_b32_e32 v28, s7
	v_pk_mov_b32 v[12:13], v[6:7], v[6:7] op_sel:[0,1]
	v_pk_mov_b32 v[14:15], v[4:5], v[4:5] op_sel:[0,1]
	s_waitcnt lgkmcnt(0)
	s_and_b32 s6, s4, 0xffff
	v_cmp_lt_u16_e64 s[30:31], s4, 2
	v_mul_u32_u24_e32 v10, s6, v22
	s_mul_i32 s4, s29, s6
	s_mul_hi_u32 s5, s28, s6
	v_lshl_add_u32 v26, v10, 2, 0
	s_add_i32 s46, s5, s4
	v_lshl_add_u32 v27, v0, 2, v26
	s_mul_i32 s47, s28, s6
	v_mov_b32_e32 v29, s46
	v_pk_mov_b32 v[10:11], v[8:9], v[8:9] op_sel:[0,1]
	v_pk_mov_b32 v[16:17], v[2:3], v[2:3] op_sel:[0,1]
	s_branch .LBB198_7
.LBB198_5:                              ;   in Loop: Header=BB198_7 Depth=2
	s_or_b64 exec, exec, s[36:37]
.LBB198_6:                              ;   in Loop: Header=BB198_7 Depth=2
	v_mov_b32_e32 v18, s23
	v_add_co_u32_e32 v16, vcc, s22, v16
	v_addc_co_u32_e32 v17, vcc, v17, v18, vcc
	v_mov_b32_e32 v18, s27
	v_add_co_u32_e32 v14, vcc, s26, v14
	v_addc_co_u32_e32 v15, vcc, v15, v18, vcc
	v_add_co_u32_e32 v12, vcc, s26, v12
	v_addc_co_u32_e32 v13, vcc, v13, v18, vcc
	v_cmp_le_i64_e32 vcc, s[16:17], v[16:17]
	s_or_b64 s[34:35], vcc, s[34:35]
	v_add_co_u32_e32 v10, vcc, s26, v10
	v_addc_co_u32_e32 v11, vcc, v11, v18, vcc
	s_andn2_b64 exec, exec, s[34:35]
	s_cbranch_execz .LBB198_2
.LBB198_7:                              ;   Parent Loop BB198_3 Depth=1
                                        ; =>  This Loop Header: Depth=2
                                        ;       Child Loop BB198_12 Depth 3
                                        ;       Child Loop BB198_15 Depth 3
	;; [unrolled: 1-line block ×8, first 2 shown]
	s_mov_b64 s[4:5], -1
	s_and_b64 vcc, exec, s[30:31]
	s_cbranch_vccz .LBB198_20
; %bb.8:                                ;   in Loop: Header=BB198_7 Depth=2
	v_mov_b32_e32 v30, 0xff7fffff
	s_and_saveexec_b64 s[4:5], s[2:3]
	s_cbranch_execnz .LBB198_11
; %bb.9:                                ;   in Loop: Header=BB198_7 Depth=2
	s_or_b64 exec, exec, s[4:5]
	v_mov_b32_e32 v31, 0
	s_and_saveexec_b64 s[36:37], s[2:3]
	s_cbranch_execnz .LBB198_14
.LBB198_10:                             ;   in Loop: Header=BB198_7 Depth=2
	s_or_b64 exec, exec, s[36:37]
	s_and_saveexec_b64 s[36:37], s[2:3]
	s_cbranch_execnz .LBB198_17
	s_branch .LBB198_19
.LBB198_11:                             ;   in Loop: Header=BB198_7 Depth=2
	s_mov_b64 s[36:37], 0
	v_mov_b32_e32 v30, 0xff7fffff
	v_pk_mov_b32 v[18:19], v[14:15], v[14:15] op_sel:[0,1]
	v_pk_mov_b32 v[20:21], v[0:1], v[0:1] op_sel:[0,1]
.LBB198_12:                             ;   Parent Loop BB198_3 Depth=1
                                        ;     Parent Loop BB198_7 Depth=2
                                        ; =>    This Inner Loop Header: Depth=3
	global_load_ushort v31, v[18:19], off
	v_add_co_u32_e32 v20, vcc, s6, v20
	v_addc_co_u32_e32 v21, vcc, v21, v28, vcc
	v_add_co_u32_e32 v18, vcc, s47, v18
	v_addc_co_u32_e32 v19, vcc, v19, v29, vcc
	v_cmp_le_i64_e32 vcc, s[14:15], v[20:21]
	s_or_b64 s[36:37], vcc, s[36:37]
	s_waitcnt vmcnt(0)
	v_cvt_f32_f16_e32 v31, v31
	v_cmp_lt_f32_e32 vcc, v30, v31
	v_cndmask_b32_e32 v30, v30, v31, vcc
	s_andn2_b64 exec, exec, s[36:37]
	s_cbranch_execnz .LBB198_12
; %bb.13:                               ;   in Loop: Header=BB198_7 Depth=2
	s_or_b64 exec, exec, s[36:37]
	s_or_b64 exec, exec, s[4:5]
	v_mov_b32_e32 v31, 0
	s_and_saveexec_b64 s[36:37], s[2:3]
	s_cbranch_execz .LBB198_10
.LBB198_14:                             ;   in Loop: Header=BB198_7 Depth=2
	s_mov_b64 s[38:39], 0
	v_mov_b32_e32 v31, 0
	v_pk_mov_b32 v[18:19], v[14:15], v[14:15] op_sel:[0,1]
	v_pk_mov_b32 v[20:21], v[0:1], v[0:1] op_sel:[0,1]
.LBB198_15:                             ;   Parent Loop BB198_3 Depth=1
                                        ;     Parent Loop BB198_7 Depth=2
                                        ; =>    This Inner Loop Header: Depth=3
	global_load_ushort v32, v[18:19], off
	v_mov_b32_e32 v33, s7
	v_add_co_u32_e64 v20, s[4:5], s6, v20
	v_mov_b32_e32 v34, s46
	v_add_co_u32_e32 v18, vcc, s47, v18
	v_addc_co_u32_e64 v21, s[4:5], v21, v33, s[4:5]
	v_addc_co_u32_e32 v19, vcc, v19, v34, vcc
	v_cmp_le_i64_e32 vcc, s[14:15], v[20:21]
	s_or_b64 s[38:39], vcc, s[38:39]
	s_waitcnt vmcnt(0)
	v_cvt_f32_f16_e32 v32, v32
	v_sub_f32_e32 v32, v32, v30
	v_mul_f32_e32 v33, 0x3fb8aa3b, v32
	v_fma_f32 v34, v32, s19, -v33
	v_rndne_f32_e32 v35, v33
	v_fmac_f32_e32 v34, 0x32a5705f, v32
	v_sub_f32_e32 v33, v33, v35
	v_add_f32_e32 v33, v33, v34
	v_cvt_i32_f32_e32 v35, v35
	v_exp_f32_e32 v33, v33
	v_cmp_ngt_f32_e32 vcc, s33, v32
	v_ldexp_f32 v33, v33, v35
	v_cndmask_b32_e32 v33, 0, v33, vcc
	v_cmp_nlt_f32_e32 vcc, s42, v32
	v_cndmask_b32_e32 v32, v23, v33, vcc
	v_add_f32_e32 v31, v31, v32
	s_andn2_b64 exec, exec, s[38:39]
	s_cbranch_execnz .LBB198_15
; %bb.16:                               ;   in Loop: Header=BB198_7 Depth=2
	s_or_b64 exec, exec, s[38:39]
	s_or_b64 exec, exec, s[36:37]
	s_and_saveexec_b64 s[36:37], s[2:3]
	s_cbranch_execz .LBB198_19
.LBB198_17:                             ;   in Loop: Header=BB198_7 Depth=2
	v_cmp_gt_f32_e32 vcc, s44, v31
	v_cndmask_b32_e32 v18, 1.0, v24, vcc
	v_mul_f32_e32 v18, v31, v18
	v_log_f32_e32 v18, v18
	v_cndmask_b32_e32 v19, 0, v25, vcc
	s_mov_b64 s[38:39], 0
	s_mov_b64 s[40:41], 0
	v_mul_f32_e32 v20, 0x3f317217, v18
	v_fma_f32 v21, v18, s45, -v20
	v_fmac_f32_e32 v21, 0x3377d1cf, v18
	v_add_f32_e32 v20, v20, v21
	v_cmp_lt_f32_e64 vcc, |v18|, s43
	v_cndmask_b32_e32 v18, v18, v20, vcc
	v_sub_f32_e32 v20, v18, v19
	v_pk_mov_b32 v[18:19], v[0:1], v[0:1] op_sel:[0,1]
.LBB198_18:                             ;   Parent Loop BB198_3 Depth=1
                                        ;     Parent Loop BB198_7 Depth=2
                                        ; =>    This Inner Loop Header: Depth=3
	v_mov_b32_e32 v21, s41
	v_add_co_u32_e32 v32, vcc, s40, v12
	v_addc_co_u32_e32 v33, vcc, v13, v21, vcc
	global_load_ushort v31, v[32:33], off
	v_add_co_u32_e64 v32, s[4:5], s40, v10
	v_addc_co_u32_e64 v33, s[4:5], v11, v21, s[4:5]
	v_mov_b32_e32 v34, s7
	v_add_co_u32_e32 v18, vcc, s6, v18
	s_add_u32 s40, s40, s47
	v_addc_co_u32_e32 v19, vcc, v19, v34, vcc
	s_addc_u32 s41, s41, s46
	v_cmp_le_i64_e32 vcc, s[14:15], v[18:19]
	s_or_b64 s[38:39], vcc, s[38:39]
	s_waitcnt vmcnt(0)
	v_cvt_f32_f16_e32 v31, v31
	v_sub_f32_e32 v21, v31, v30
	v_sub_f32_e32 v21, v21, v20
	v_cvt_f16_f32_e32 v21, v21
	global_store_short v[32:33], v21, off
	s_andn2_b64 exec, exec, s[38:39]
	s_cbranch_execnz .LBB198_18
.LBB198_19:                             ;   in Loop: Header=BB198_7 Depth=2
	s_or_b64 exec, exec, s[36:37]
	s_mov_b64 s[4:5], 0
.LBB198_20:                             ;   in Loop: Header=BB198_7 Depth=2
	s_and_b64 vcc, exec, s[4:5]
	s_cbranch_vccz .LBB198_6
; %bb.21:                               ;   in Loop: Header=BB198_7 Depth=2
	v_mov_b32_e32 v30, 0xff7fffff
	s_and_saveexec_b64 s[36:37], s[2:3]
	s_cbranch_execz .LBB198_25
; %bb.22:                               ;   in Loop: Header=BB198_7 Depth=2
	s_mov_b64 s[38:39], 0
	v_mov_b32_e32 v30, 0xff7fffff
	v_pk_mov_b32 v[18:19], v[14:15], v[14:15] op_sel:[0,1]
	v_pk_mov_b32 v[20:21], v[0:1], v[0:1] op_sel:[0,1]
.LBB198_23:                             ;   Parent Loop BB198_3 Depth=1
                                        ;     Parent Loop BB198_7 Depth=2
                                        ; =>    This Inner Loop Header: Depth=3
	global_load_ushort v31, v[18:19], off
	v_mov_b32_e32 v32, s7
	v_mov_b32_e32 v33, s46
	v_add_co_u32_e32 v18, vcc, s47, v18
	v_add_co_u32_e64 v20, s[4:5], s6, v20
	v_addc_co_u32_e64 v21, s[4:5], v21, v32, s[4:5]
	v_addc_co_u32_e32 v19, vcc, v19, v33, vcc
	v_cmp_le_i64_e32 vcc, s[14:15], v[20:21]
	s_or_b64 s[38:39], vcc, s[38:39]
	s_waitcnt vmcnt(0)
	v_cvt_f32_f16_e32 v31, v31
	v_cmp_lt_f32_e32 vcc, v30, v31
	v_cndmask_b32_e32 v30, v30, v31, vcc
	s_andn2_b64 exec, exec, s[38:39]
	s_cbranch_execnz .LBB198_23
; %bb.24:                               ;   in Loop: Header=BB198_7 Depth=2
	s_or_b64 exec, exec, s[38:39]
.LBB198_25:                             ;   in Loop: Header=BB198_7 Depth=2
	s_or_b64 exec, exec, s[36:37]
	s_mov_b32 s36, s6
	s_barrier
	ds_write_b32 v27, v30
	s_branch .LBB198_27
.LBB198_26:                             ;   in Loop: Header=BB198_27 Depth=3
	s_or_b64 exec, exec, s[4:5]
	s_cmp_gt_u32 s36, 3
	s_mov_b32 s36, s37
	s_cbranch_scc0 .LBB198_29
.LBB198_27:                             ;   Parent Loop BB198_3 Depth=1
                                        ;     Parent Loop BB198_7 Depth=2
                                        ; =>    This Inner Loop Header: Depth=3
	s_lshr_b32 s37, s36, 1
	v_cmp_gt_u32_e32 vcc, s37, v0
	s_waitcnt lgkmcnt(0)
	s_barrier
	s_and_saveexec_b64 s[4:5], vcc
	s_cbranch_execz .LBB198_26
; %bb.28:                               ;   in Loop: Header=BB198_27 Depth=3
	v_lshl_add_u32 v18, s37, 2, v27
	ds_read_b32 v19, v27
	ds_read_b32 v18, v18
	s_waitcnt lgkmcnt(0)
	v_cmp_lt_f32_e32 vcc, v19, v18
	v_cndmask_b32_e32 v18, v19, v18, vcc
	ds_write_b32 v27, v18
	s_branch .LBB198_26
.LBB198_29:                             ;   in Loop: Header=BB198_7 Depth=2
	s_waitcnt lgkmcnt(0)
	s_barrier
	ds_read_b32 v30, v26
	v_mov_b32_e32 v31, 0
	s_and_saveexec_b64 s[36:37], s[2:3]
	s_cbranch_execz .LBB198_33
; %bb.30:                               ;   in Loop: Header=BB198_7 Depth=2
	s_mov_b64 s[38:39], 0
	v_mov_b32_e32 v31, 0
	v_pk_mov_b32 v[18:19], v[14:15], v[14:15] op_sel:[0,1]
	v_pk_mov_b32 v[20:21], v[0:1], v[0:1] op_sel:[0,1]
.LBB198_31:                             ;   Parent Loop BB198_3 Depth=1
                                        ;     Parent Loop BB198_7 Depth=2
                                        ; =>    This Inner Loop Header: Depth=3
	global_load_ushort v32, v[18:19], off
	v_mov_b32_e32 v33, s7
	v_add_co_u32_e64 v20, s[4:5], s6, v20
	v_mov_b32_e32 v34, s46
	v_add_co_u32_e32 v18, vcc, s47, v18
	v_addc_co_u32_e64 v21, s[4:5], v21, v33, s[4:5]
	v_addc_co_u32_e32 v19, vcc, v19, v34, vcc
	v_cmp_le_i64_e32 vcc, s[14:15], v[20:21]
	s_or_b64 s[38:39], vcc, s[38:39]
	s_waitcnt vmcnt(0)
	v_cvt_f32_f16_e32 v32, v32
	s_waitcnt lgkmcnt(0)
	v_sub_f32_e32 v32, v32, v30
	v_mul_f32_e32 v33, 0x3fb8aa3b, v32
	v_fma_f32 v34, v32, s19, -v33
	v_rndne_f32_e32 v35, v33
	v_fmac_f32_e32 v34, 0x32a5705f, v32
	v_sub_f32_e32 v33, v33, v35
	v_add_f32_e32 v33, v33, v34
	v_cvt_i32_f32_e32 v35, v35
	v_exp_f32_e32 v33, v33
	v_cmp_ngt_f32_e32 vcc, s33, v32
	v_ldexp_f32 v33, v33, v35
	v_cndmask_b32_e32 v33, 0, v33, vcc
	v_cmp_nlt_f32_e32 vcc, s42, v32
	v_cndmask_b32_e32 v32, v23, v33, vcc
	v_add_f32_e32 v31, v31, v32
	s_andn2_b64 exec, exec, s[38:39]
	s_cbranch_execnz .LBB198_31
; %bb.32:                               ;   in Loop: Header=BB198_7 Depth=2
	s_or_b64 exec, exec, s[38:39]
.LBB198_33:                             ;   in Loop: Header=BB198_7 Depth=2
	s_or_b64 exec, exec, s[36:37]
	s_mov_b32 s36, s6
	s_waitcnt lgkmcnt(0)
	s_barrier
	ds_write_b32 v27, v31
	s_branch .LBB198_35
.LBB198_34:                             ;   in Loop: Header=BB198_35 Depth=3
	s_or_b64 exec, exec, s[4:5]
	s_cmp_gt_u32 s36, 3
	s_mov_b32 s36, s37
	s_cbranch_scc0 .LBB198_37
.LBB198_35:                             ;   Parent Loop BB198_3 Depth=1
                                        ;     Parent Loop BB198_7 Depth=2
                                        ; =>    This Inner Loop Header: Depth=3
	s_lshr_b32 s37, s36, 1
	v_cmp_gt_u32_e32 vcc, s37, v0
	s_waitcnt lgkmcnt(0)
	s_barrier
	s_and_saveexec_b64 s[4:5], vcc
	s_cbranch_execz .LBB198_34
; %bb.36:                               ;   in Loop: Header=BB198_35 Depth=3
	v_lshl_add_u32 v18, s37, 2, v27
	ds_read_b32 v19, v27
	ds_read_b32 v18, v18
	s_waitcnt lgkmcnt(0)
	v_add_f32_e32 v18, v19, v18
	ds_write_b32 v27, v18
	s_branch .LBB198_34
.LBB198_37:                             ;   in Loop: Header=BB198_7 Depth=2
	s_waitcnt lgkmcnt(0)
	s_barrier
	s_and_saveexec_b64 s[36:37], s[2:3]
	s_cbranch_execz .LBB198_5
; %bb.38:                               ;   in Loop: Header=BB198_7 Depth=2
	ds_read_b32 v18, v26
	s_mov_b64 s[38:39], 0
	s_mov_b64 s[40:41], 0
	s_waitcnt lgkmcnt(0)
	v_cmp_gt_f32_e32 vcc, s44, v18
	v_cndmask_b32_e32 v19, 1.0, v24, vcc
	v_mul_f32_e32 v18, v18, v19
	v_log_f32_e32 v18, v18
	v_cndmask_b32_e32 v19, 0, v25, vcc
	v_mul_f32_e32 v20, 0x3f317217, v18
	v_fma_f32 v21, v18, s45, -v20
	v_fmac_f32_e32 v21, 0x3377d1cf, v18
	v_add_f32_e32 v20, v20, v21
	v_cmp_lt_f32_e64 vcc, |v18|, s43
	v_cndmask_b32_e32 v18, v18, v20, vcc
	v_sub_f32_e32 v20, v18, v19
	v_pk_mov_b32 v[18:19], v[0:1], v[0:1] op_sel:[0,1]
.LBB198_39:                             ;   Parent Loop BB198_3 Depth=1
                                        ;     Parent Loop BB198_7 Depth=2
                                        ; =>    This Inner Loop Header: Depth=3
	v_mov_b32_e32 v21, s41
	v_add_co_u32_e32 v32, vcc, s40, v12
	v_addc_co_u32_e32 v33, vcc, v13, v21, vcc
	global_load_ushort v31, v[32:33], off
	v_add_co_u32_e64 v32, s[4:5], s40, v10
	v_addc_co_u32_e64 v33, s[4:5], v11, v21, s[4:5]
	v_mov_b32_e32 v34, s7
	v_add_co_u32_e32 v18, vcc, s6, v18
	s_add_u32 s40, s40, s47
	v_addc_co_u32_e32 v19, vcc, v19, v34, vcc
	s_addc_u32 s41, s41, s46
	v_cmp_le_i64_e32 vcc, s[14:15], v[18:19]
	s_or_b64 s[38:39], vcc, s[38:39]
	s_waitcnt vmcnt(0)
	v_cvt_f32_f16_e32 v31, v31
	v_sub_f32_e32 v21, v31, v30
	v_sub_f32_e32 v21, v21, v20
	v_cvt_f16_f32_e32 v21, v21
	global_store_short v[32:33], v21, off
	s_andn2_b64 exec, exec, s[38:39]
	s_cbranch_execnz .LBB198_39
	s_branch .LBB198_5
.LBB198_40:
	s_endpgm
	.section	.rodata,"a",@progbits
	.p2align	6, 0x0
	.amdhsa_kernel _ZN2at6native12_GLOBAL__N_126cunn_SpatialSoftMaxForwardIN3c104HalfEfS4_lNS1_25LogSoftMaxForwardEpilogueEEEvPT1_PKT_T2_SB_SB_
		.amdhsa_group_segment_fixed_size 0
		.amdhsa_private_segment_fixed_size 0
		.amdhsa_kernarg_size 296
		.amdhsa_user_sgpr_count 6
		.amdhsa_user_sgpr_private_segment_buffer 1
		.amdhsa_user_sgpr_dispatch_ptr 0
		.amdhsa_user_sgpr_queue_ptr 0
		.amdhsa_user_sgpr_kernarg_segment_ptr 1
		.amdhsa_user_sgpr_dispatch_id 0
		.amdhsa_user_sgpr_flat_scratch_init 0
		.amdhsa_user_sgpr_kernarg_preload_length 0
		.amdhsa_user_sgpr_kernarg_preload_offset 0
		.amdhsa_user_sgpr_private_segment_size 0
		.amdhsa_uses_dynamic_stack 0
		.amdhsa_system_sgpr_private_segment_wavefront_offset 0
		.amdhsa_system_sgpr_workgroup_id_x 1
		.amdhsa_system_sgpr_workgroup_id_y 1
		.amdhsa_system_sgpr_workgroup_id_z 0
		.amdhsa_system_sgpr_workgroup_info 0
		.amdhsa_system_vgpr_workitem_id 1
		.amdhsa_next_free_vgpr 36
		.amdhsa_next_free_sgpr 48
		.amdhsa_accum_offset 36
		.amdhsa_reserve_vcc 1
		.amdhsa_reserve_flat_scratch 0
		.amdhsa_float_round_mode_32 0
		.amdhsa_float_round_mode_16_64 0
		.amdhsa_float_denorm_mode_32 3
		.amdhsa_float_denorm_mode_16_64 3
		.amdhsa_dx10_clamp 1
		.amdhsa_ieee_mode 1
		.amdhsa_fp16_overflow 0
		.amdhsa_tg_split 0
		.amdhsa_exception_fp_ieee_invalid_op 0
		.amdhsa_exception_fp_denorm_src 0
		.amdhsa_exception_fp_ieee_div_zero 0
		.amdhsa_exception_fp_ieee_overflow 0
		.amdhsa_exception_fp_ieee_underflow 0
		.amdhsa_exception_fp_ieee_inexact 0
		.amdhsa_exception_int_div_zero 0
	.end_amdhsa_kernel
	.section	.text._ZN2at6native12_GLOBAL__N_126cunn_SpatialSoftMaxForwardIN3c104HalfEfS4_lNS1_25LogSoftMaxForwardEpilogueEEEvPT1_PKT_T2_SB_SB_,"axG",@progbits,_ZN2at6native12_GLOBAL__N_126cunn_SpatialSoftMaxForwardIN3c104HalfEfS4_lNS1_25LogSoftMaxForwardEpilogueEEEvPT1_PKT_T2_SB_SB_,comdat
.Lfunc_end198:
	.size	_ZN2at6native12_GLOBAL__N_126cunn_SpatialSoftMaxForwardIN3c104HalfEfS4_lNS1_25LogSoftMaxForwardEpilogueEEEvPT1_PKT_T2_SB_SB_, .Lfunc_end198-_ZN2at6native12_GLOBAL__N_126cunn_SpatialSoftMaxForwardIN3c104HalfEfS4_lNS1_25LogSoftMaxForwardEpilogueEEEvPT1_PKT_T2_SB_SB_
                                        ; -- End function
	.section	.AMDGPU.csdata,"",@progbits
; Kernel info:
; codeLenInByte = 1952
; NumSgprs: 52
; NumVgprs: 36
; NumAgprs: 0
; TotalNumVgprs: 36
; ScratchSize: 0
; MemoryBound: 0
; FloatMode: 240
; IeeeMode: 1
; LDSByteSize: 0 bytes/workgroup (compile time only)
; SGPRBlocks: 6
; VGPRBlocks: 4
; NumSGPRsForWavesPerEU: 52
; NumVGPRsForWavesPerEU: 36
; AccumOffset: 36
; Occupancy: 8
; WaveLimiterHint : 0
; COMPUTE_PGM_RSRC2:SCRATCH_EN: 0
; COMPUTE_PGM_RSRC2:USER_SGPR: 6
; COMPUTE_PGM_RSRC2:TRAP_HANDLER: 0
; COMPUTE_PGM_RSRC2:TGID_X_EN: 1
; COMPUTE_PGM_RSRC2:TGID_Y_EN: 1
; COMPUTE_PGM_RSRC2:TGID_Z_EN: 0
; COMPUTE_PGM_RSRC2:TIDIG_COMP_CNT: 1
; COMPUTE_PGM_RSRC3_GFX90A:ACCUM_OFFSET: 8
; COMPUTE_PGM_RSRC3_GFX90A:TG_SPLIT: 0
	.section	.text._ZN2at6native12_GLOBAL__N_126cunn_SpatialSoftMaxForwardIN3c104HalfEfflNS1_25LogSoftMaxForwardEpilogueEEEvPT1_PKT_T2_SB_SB_,"axG",@progbits,_ZN2at6native12_GLOBAL__N_126cunn_SpatialSoftMaxForwardIN3c104HalfEfflNS1_25LogSoftMaxForwardEpilogueEEEvPT1_PKT_T2_SB_SB_,comdat
	.globl	_ZN2at6native12_GLOBAL__N_126cunn_SpatialSoftMaxForwardIN3c104HalfEfflNS1_25LogSoftMaxForwardEpilogueEEEvPT1_PKT_T2_SB_SB_ ; -- Begin function _ZN2at6native12_GLOBAL__N_126cunn_SpatialSoftMaxForwardIN3c104HalfEfflNS1_25LogSoftMaxForwardEpilogueEEEvPT1_PKT_T2_SB_SB_
	.p2align	8
	.type	_ZN2at6native12_GLOBAL__N_126cunn_SpatialSoftMaxForwardIN3c104HalfEfflNS1_25LogSoftMaxForwardEpilogueEEEvPT1_PKT_T2_SB_SB_,@function
_ZN2at6native12_GLOBAL__N_126cunn_SpatialSoftMaxForwardIN3c104HalfEfflNS1_25LogSoftMaxForwardEpilogueEEEvPT1_PKT_T2_SB_SB_: ; @_ZN2at6native12_GLOBAL__N_126cunn_SpatialSoftMaxForwardIN3c104HalfEfflNS1_25LogSoftMaxForwardEpilogueEEEvPT1_PKT_T2_SB_SB_
; %bb.0:
	s_load_dwordx8 s[12:19], s[4:5], 0x0
	s_mov_b32 s0, s7
	s_mov_b32 s7, 0
	s_waitcnt lgkmcnt(0)
	v_pk_mov_b32 v[2:3], s[16:17], s[16:17] op_sel:[0,1]
	v_cmp_ge_i64_e32 vcc, s[6:7], v[2:3]
	s_cbranch_vccnz .LBB199_58
; %bb.1:
	s_load_dwordx4 s[20:23], s[4:5], 0x20
	s_load_dword s1, s[4:5], 0x34
	v_and_b32_e32 v14, 0x3ff, v0
	v_bfe_u32 v23, v0, 10, 10
	v_mov_b32_e32 v12, 0
	s_waitcnt lgkmcnt(0)
	s_mul_i32 s2, s20, s19
	s_mul_hi_u32 s3, s20, s18
	s_mul_i32 s8, s21, s18
	s_add_i32 s2, s3, s2
	s_add_i32 s54, s2, s8
	s_add_u32 s24, s4, 40
	s_addc_u32 s25, s5, 0
	s_lshr_b32 s4, s1, 16
	s_mul_i32 s0, s0, s4
	s_mul_i32 s26, s23, s4
	v_mad_u64_u32 v[16:17], s[4:5], s20, v14, 0
	s_mul_i32 s33, s20, s18
	v_add_u32_e32 v10, s0, v23
	v_mov_b32_e32 v11, v12
	v_mov_b32_e32 v2, v17
	;; [unrolled: 1-line block ×3, first 2 shown]
	v_mad_u64_u32 v[2:3], s[4:5], s21, v14, v[2:3]
	s_mul_i32 s8, s54, s6
	v_mad_u64_u32 v[18:19], s[4:5], s33, v4, v[10:11]
	v_mov_b32_e32 v17, v2
	v_add_u32_e32 v19, s8, v19
	v_lshlrev_b64 v[2:3], 1, v[16:17]
	v_lshlrev_b64 v[4:5], 1, v[18:19]
	v_add_co_u32_e32 v2, vcc, v2, v4
	v_addc_co_u32_e32 v3, vcc, v3, v5, vcc
	s_mul_i32 s4, s54, s22
	s_mul_hi_u32 s5, s33, s22
	v_mov_b32_e32 v15, v12
	s_mov_b32 s27, s7
	v_mov_b32_e32 v4, s15
	v_add_co_u32_e32 v20, vcc, s14, v2
	s_add_i32 s29, s5, s4
	s_mul_i32 s28, s33, s22
	v_cmp_gt_i64_e64 s[0:1], s[20:21], v[10:11]
	v_cmp_gt_i64_e64 s[2:3], s[18:19], v[14:15]
	v_mov_b32_e32 v0, v14
	v_mov_b32_e32 v1, v12
	s_mov_b32 s23, s20
	s_mov_b32 s55, s21
	;; [unrolled: 1-line block ×4, first 2 shown]
	v_addc_co_u32_e32 v21, vcc, v4, v3, vcc
	s_lshl_b64 s[30:31], s[28:29], 1
	s_lshl_b64 s[34:35], s[26:27], 1
	;; [unrolled: 1-line block ×4, first 2 shown]
	s_mov_b32 s58, 0x3fb8aa3b
	s_mov_b32 s59, 0xc2ce8ed0
	;; [unrolled: 1-line block ×6, first 2 shown]
	v_mov_b32_e32 v48, 0x7f800000
	v_mov_b32_e32 v49, 0x4f800000
	;; [unrolled: 1-line block ×3, first 2 shown]
	s_mov_b64 s[40:41], s[6:7]
	s_branch .LBB199_3
.LBB199_2:                              ;   in Loop: Header=BB199_3 Depth=1
	s_or_b64 exec, exec, s[42:43]
	v_mov_b32_e32 v2, s31
	v_add_co_u32_e32 v20, vcc, s30, v20
	v_addc_co_u32_e32 v21, vcc, v21, v2, vcc
	s_add_u32 s40, s40, s22
	v_mov_b32_e32 v2, s29
	v_add_co_u32_e32 v18, vcc, s28, v18
	s_addc_u32 s41, s41, 0
	v_addc_co_u32_e32 v19, vcc, v19, v2, vcc
	v_pk_mov_b32 v[2:3], s[16:17], s[16:17] op_sel:[0,1]
	v_cmp_ge_i64_e32 vcc, s[40:41], v[2:3]
	s_cbranch_vccnz .LBB199_58
.LBB199_3:                              ; =>This Loop Header: Depth=1
                                        ;     Child Loop BB199_7 Depth 2
                                        ;       Child Loop BB199_12 Depth 3
                                        ;       Child Loop BB199_15 Depth 3
	;; [unrolled: 1-line block ×10, first 2 shown]
	s_and_saveexec_b64 s[42:43], s[0:1]
	s_cbranch_execz .LBB199_2
; %bb.4:                                ;   in Loop: Header=BB199_3 Depth=1
	s_load_dword s8, s[24:25], 0xc
	s_mul_i32 s4, s33, s41
	s_mul_hi_u32 s5, s33, s40
	s_add_i32 s4, s5, s4
	s_mul_i32 s5, s54, s40
	s_waitcnt lgkmcnt(0)
	s_and_b32 s65, s8, 0xffff
	v_mul_u32_u24_e32 v2, s65, v23
	v_lshl_add_u32 v51, v2, 2, 0
	v_add_co_u32_e32 v2, vcc, s65, v14
	s_add_i32 s6, s4, s5
	v_addc_co_u32_e64 v3, s[4:5], 0, 0, vcc
	v_cmp_gt_i64_e32 vcc, s[18:19], v[2:3]
	v_mov_b32_e32 v5, s18
	v_mov_b32_e32 v4, s19
	v_cndmask_b32_e32 v5, v2, v5, vcc
	v_cndmask_b32_e64 v6, 0, 1, vcc
	v_cndmask_b32_e32 v4, v3, v4, vcc
	v_cndmask_b32_e64 v22, 1, 2, vcc
	v_sub_co_u32_e32 v5, vcc, v5, v6
	v_subbrev_co_u32_e32 v4, vcc, 0, v4, vcc
	v_sub_co_u32_e32 v53, vcc, v5, v2
	v_subb_co_u32_e32 v13, vcc, v4, v3, vcc
	v_add_co_u32_e32 v6, vcc, v22, v53
	v_and_b32_e32 v24, -2, v6
	v_cmp_lt_u16_e64 s[44:45], s8, 2
	v_addc_co_u32_e32 v7, vcc, 0, v13, vcc
	v_mad_u64_u32 v[26:27], s[8:9], v24, s65, v[14:15]
	v_mov_b32_e32 v2, v27
	v_add_co_u32_e32 v4, vcc, s65, v14
	s_mul_i32 s10, s37, s65
	s_mul_hi_u32 s11, s36, s65
	v_mov_b32_e32 v25, v7
	v_mad_u64_u32 v[2:3], s[8:9], v7, s65, v[2:3]
	v_addc_co_u32_e64 v5, s[8:9], 0, 0, vcc
	s_lshl_b32 s66, s65, 1
	s_add_i32 s70, s11, s10
	s_mul_i32 s10, s39, s65
	s_mul_hi_u32 s11, s38, s65
	s_mul_i32 s64, s33, s40
	v_lshl_add_u32 v52, v14, 2, v51
	v_cmp_lt_u64_e64 s[4:5], 1, v[6:7]
	v_mov_b32_e32 v27, v2
	v_mov_b32_e32 v2, v0
	v_mov_b32_e32 v3, v1
	s_mov_b32 s67, s7
	s_mov_b32 s68, s66
	s_mov_b32 s69, s7
	v_cmp_ne_u64_e64 s[8:9], v[6:7], v[24:25]
	s_mul_i32 s71, s36, s65
	s_add_i32 s72, s11, s10
	s_mul_i32 s73, s38, s65
	s_mov_b64 s[46:47], 0
	v_pk_mov_b32 v[28:29], v[18:19], v[18:19] op_sel:[0,1]
	v_pk_mov_b32 v[30:31], v[20:21], v[20:21] op_sel:[0,1]
	;; [unrolled: 1-line block ×3, first 2 shown]
	s_branch .LBB199_7
.LBB199_5:                              ;   in Loop: Header=BB199_7 Depth=2
	s_or_b64 exec, exec, s[48:49]
.LBB199_6:                              ;   in Loop: Header=BB199_7 Depth=2
	v_mov_b32_e32 v6, s27
	v_add_co_u32_e32 v32, vcc, s26, v32
	v_addc_co_u32_e32 v33, vcc, v33, v6, vcc
	v_mov_b32_e32 v7, s35
	v_add_co_u32_e32 v30, vcc, s34, v30
	v_addc_co_u32_e32 v31, vcc, v31, v7, vcc
	v_cmp_le_i64_e32 vcc, s[20:21], v[32:33]
	s_or_b64 s[46:47], vcc, s[46:47]
	v_add_co_u32_e32 v28, vcc, s26, v28
	v_addc_co_u32_e32 v29, vcc, v29, v6, vcc
	s_andn2_b64 exec, exec, s[46:47]
	s_cbranch_execz .LBB199_2
.LBB199_7:                              ;   Parent Loop BB199_3 Depth=1
                                        ; =>  This Loop Header: Depth=2
                                        ;       Child Loop BB199_12 Depth 3
                                        ;       Child Loop BB199_15 Depth 3
	;; [unrolled: 1-line block ×10, first 2 shown]
	v_mov_b32_e32 v6, s6
	v_add_co_u32_e32 v34, vcc, s64, v32
	v_addc_co_u32_e32 v35, vcc, v33, v6, vcc
	s_mov_b64 s[10:11], -1
	s_and_b64 vcc, exec, s[44:45]
	s_cbranch_vccz .LBB199_27
; %bb.8:                                ;   in Loop: Header=BB199_7 Depth=2
	v_mov_b32_e32 v36, 0xff7fffff
	s_and_saveexec_b64 s[48:49], s[2:3]
	s_cbranch_execnz .LBB199_11
; %bb.9:                                ;   in Loop: Header=BB199_7 Depth=2
	s_or_b64 exec, exec, s[48:49]
	v_mov_b32_e32 v37, 0
	s_and_saveexec_b64 s[48:49], s[2:3]
	s_cbranch_execnz .LBB199_14
.LBB199_10:                             ;   in Loop: Header=BB199_7 Depth=2
	s_or_b64 exec, exec, s[48:49]
	s_and_saveexec_b64 s[48:49], s[2:3]
	s_cbranch_execnz .LBB199_17
	s_branch .LBB199_26
.LBB199_11:                             ;   in Loop: Header=BB199_7 Depth=2
	s_mov_b64 s[50:51], 0
	v_mov_b32_e32 v36, 0xff7fffff
	v_pk_mov_b32 v[6:7], v[30:31], v[30:31] op_sel:[0,1]
	v_pk_mov_b32 v[8:9], v[14:15], v[14:15] op_sel:[0,1]
.LBB199_12:                             ;   Parent Loop BB199_3 Depth=1
                                        ;     Parent Loop BB199_7 Depth=2
                                        ; =>    This Inner Loop Header: Depth=3
	global_load_ushort v37, v[6:7], off
	v_mov_b32_e32 v38, s7
	v_mov_b32_e32 v39, s70
	v_add_co_u32_e32 v6, vcc, s71, v6
	v_add_co_u32_e64 v8, s[10:11], s65, v8
	v_addc_co_u32_e64 v9, s[10:11], v9, v38, s[10:11]
	v_addc_co_u32_e32 v7, vcc, v7, v39, vcc
	v_cmp_le_i64_e32 vcc, s[18:19], v[8:9]
	s_or_b64 s[50:51], vcc, s[50:51]
	s_waitcnt vmcnt(0)
	v_cvt_f32_f16_e32 v37, v37
	v_cmp_lt_f32_e32 vcc, v36, v37
	v_cndmask_b32_e32 v36, v36, v37, vcc
	s_andn2_b64 exec, exec, s[50:51]
	s_cbranch_execnz .LBB199_12
; %bb.13:                               ;   in Loop: Header=BB199_7 Depth=2
	s_or_b64 exec, exec, s[50:51]
	s_or_b64 exec, exec, s[48:49]
	v_mov_b32_e32 v37, 0
	s_and_saveexec_b64 s[48:49], s[2:3]
	s_cbranch_execz .LBB199_10
.LBB199_14:                             ;   in Loop: Header=BB199_7 Depth=2
	s_mov_b64 s[50:51], 0
	v_mov_b32_e32 v37, 0
	v_pk_mov_b32 v[6:7], v[30:31], v[30:31] op_sel:[0,1]
	v_pk_mov_b32 v[8:9], v[14:15], v[14:15] op_sel:[0,1]
.LBB199_15:                             ;   Parent Loop BB199_3 Depth=1
                                        ;     Parent Loop BB199_7 Depth=2
                                        ; =>    This Inner Loop Header: Depth=3
	global_load_ushort v38, v[6:7], off
	v_mov_b32_e32 v39, s7
	v_add_co_u32_e64 v8, s[10:11], s65, v8
	v_mov_b32_e32 v40, s70
	v_add_co_u32_e32 v6, vcc, s71, v6
	v_addc_co_u32_e64 v9, s[10:11], v9, v39, s[10:11]
	v_addc_co_u32_e32 v7, vcc, v7, v40, vcc
	v_cmp_le_i64_e32 vcc, s[18:19], v[8:9]
	s_or_b64 s[50:51], vcc, s[50:51]
	s_waitcnt vmcnt(0)
	v_cvt_f32_f16_e32 v38, v38
	v_sub_f32_e32 v38, v38, v36
	v_mul_f32_e32 v39, 0x3fb8aa3b, v38
	v_fma_f32 v40, v38, s58, -v39
	v_rndne_f32_e32 v41, v39
	v_fmac_f32_e32 v40, 0x32a5705f, v38
	v_sub_f32_e32 v39, v39, v41
	v_add_f32_e32 v39, v39, v40
	v_cvt_i32_f32_e32 v41, v41
	v_exp_f32_e32 v39, v39
	v_cmp_ngt_f32_e32 vcc, s59, v38
	v_ldexp_f32 v39, v39, v41
	v_cndmask_b32_e32 v39, 0, v39, vcc
	v_cmp_nlt_f32_e32 vcc, s60, v38
	v_cndmask_b32_e32 v38, v48, v39, vcc
	v_add_f32_e32 v37, v37, v38
	s_andn2_b64 exec, exec, s[50:51]
	s_cbranch_execnz .LBB199_15
; %bb.16:                               ;   in Loop: Header=BB199_7 Depth=2
	s_or_b64 exec, exec, s[50:51]
	s_or_b64 exec, exec, s[48:49]
	s_and_saveexec_b64 s[48:49], s[2:3]
	s_cbranch_execz .LBB199_26
.LBB199_17:                             ;   in Loop: Header=BB199_7 Depth=2
	v_cmp_gt_f32_e32 vcc, s62, v37
	v_cndmask_b32_e32 v6, 1.0, v49, vcc
	v_mul_f32_e32 v6, v37, v6
	v_log_f32_e32 v6, v6
	v_cndmask_b32_e32 v7, 0, v50, vcc
	s_mov_b64 s[10:11], -1
	v_mul_f32_e32 v8, 0x3f317217, v6
	v_fma_f32 v9, v6, s63, -v8
	v_fmac_f32_e32 v9, 0x3377d1cf, v6
	v_add_f32_e32 v8, v8, v9
	v_cmp_lt_f32_e64 vcc, |v6|, s61
	v_cndmask_b32_e32 v6, v6, v8, vcc
	v_sub_f32_e32 v38, v6, v7
	v_pk_mov_b32 v[6:7], v[14:15], v[14:15] op_sel:[0,1]
	v_pk_mov_b32 v[8:9], v[16:17], v[16:17] op_sel:[0,1]
	s_and_saveexec_b64 s[50:51], s[4:5]
	s_cbranch_execz .LBB199_23
; %bb.18:                               ;   in Loop: Header=BB199_7 Depth=2
	v_pk_mov_b32 v[8:9], v[4:5], v[4:5] op_sel:[0,1]
	v_mov_b32_e32 v40, v34
	v_mov_b32_e32 v41, v35
	;; [unrolled: 1-line block ×4, first 2 shown]
	s_mov_b64 s[52:53], 0
	v_pk_mov_b32 v[42:43], v[24:25], v[24:25] op_sel:[0,1]
	v_pk_mov_b32 v[6:7], v[2:3], v[2:3] op_sel:[0,1]
.LBB199_19:                             ;   Parent Loop BB199_3 Depth=1
                                        ;     Parent Loop BB199_7 Depth=2
                                        ; =>    This Inner Loop Header: Depth=3
	v_mul_lo_u32 v56, v6, s55
	v_mul_lo_u32 v57, v7, s23
	v_mad_u64_u32 v[46:47], s[10:11], v6, s23, v[34:35]
	v_mul_lo_u32 v54, v8, s57
	v_mul_lo_u32 v55, v9, s56
	v_mad_u64_u32 v[44:45], s[10:11], v8, s56, v[40:41]
	v_add3_u32 v47, v57, v47, v56
	v_add3_u32 v45, v55, v45, v54
	v_lshlrev_b64 v[54:55], 1, v[46:47]
	v_mov_b32_e32 v58, s15
	v_add_co_u32_e32 v54, vcc, s14, v54
	v_lshlrev_b64 v[56:57], 1, v[44:45]
	v_addc_co_u32_e32 v55, vcc, v58, v55, vcc
	v_add_co_u32_e32 v56, vcc, s14, v56
	v_addc_co_u32_e32 v57, vcc, v58, v57, vcc
	global_load_ushort v56, v[56:57], off
	s_nop 0
	global_load_ushort v54, v[54:55], off
	v_add_co_u32_e64 v42, s[10:11], -2, v42
	v_addc_co_u32_e64 v43, s[10:11], -1, v43, s[10:11]
	v_mov_b32_e32 v55, s69
	v_add_co_u32_e64 v8, s[10:11], s68, v8
	v_mov_b32_e32 v58, s67
	v_add_co_u32_e32 v6, vcc, s66, v6
	v_addc_co_u32_e64 v9, s[10:11], v9, v55, s[10:11]
	v_addc_co_u32_e32 v7, vcc, v7, v58, vcc
	v_cmp_eq_u64_e32 vcc, 0, v[42:43]
	v_lshlrev_b64 v[46:47], 2, v[46:47]
	v_mov_b32_e32 v57, s13
	s_or_b64 s[52:53], vcc, s[52:53]
	v_add_co_u32_e32 v46, vcc, s12, v46
	v_lshlrev_b64 v[44:45], 2, v[44:45]
	v_addc_co_u32_e32 v47, vcc, v57, v47, vcc
	v_add_co_u32_e32 v44, vcc, s12, v44
	v_addc_co_u32_e32 v45, vcc, v57, v45, vcc
	s_waitcnt vmcnt(1)
	v_cvt_f32_f16_e32 v55, v56
	s_waitcnt vmcnt(0)
	v_cvt_f32_f16_e32 v54, v54
	v_pk_add_f32 v[54:55], v[54:55], v[36:37] neg_lo:[0,1] neg_hi:[0,1]
	v_pk_add_f32 v[54:55], v[54:55], v[38:39] neg_lo:[0,1] neg_hi:[0,1]
	global_store_dword v[46:47], v54, off
	global_store_dword v[44:45], v55, off
	s_andn2_b64 exec, exec, s[52:53]
	s_cbranch_execnz .LBB199_19
; %bb.20:                               ;   in Loop: Header=BB199_7 Depth=2
	s_or_b64 exec, exec, s[52:53]
	s_mov_b64 s[10:11], 0
                                        ; implicit-def: $vgpr8_vgpr9
	s_and_saveexec_b64 s[52:53], s[8:9]
	s_xor_b64 s[52:53], exec, s[52:53]
; %bb.21:                               ;   in Loop: Header=BB199_7 Depth=2
	v_mul_lo_u32 v6, s21, v26
	v_mul_lo_u32 v7, s20, v27
	v_mad_u64_u32 v[8:9], s[74:75], s20, v26, 0
	s_mov_b64 s[10:11], exec
	v_add3_u32 v9, v9, v7, v6
; %bb.22:                               ;   in Loop: Header=BB199_7 Depth=2
	s_or_b64 exec, exec, s[52:53]
	s_orn2_b64 s[10:11], s[10:11], exec
	v_pk_mov_b32 v[6:7], v[26:27], v[26:27] op_sel:[0,1]
.LBB199_23:                             ;   in Loop: Header=BB199_7 Depth=2
	s_or_b64 exec, exec, s[50:51]
	s_and_b64 exec, exec, s[10:11]
	s_cbranch_execz .LBB199_26
; %bb.24:                               ;   in Loop: Header=BB199_7 Depth=2
	v_add_co_u32_e32 v40, vcc, v28, v8
	v_addc_co_u32_e32 v41, vcc, v29, v9, vcc
	v_lshlrev_b64 v[8:9], 1, v[40:41]
	v_mov_b32_e32 v37, s15
	v_add_co_u32_e32 v8, vcc, s14, v8
	v_addc_co_u32_e32 v9, vcc, v37, v9, vcc
	v_lshlrev_b64 v[40:41], 2, v[40:41]
	v_mov_b32_e32 v37, s13
	v_add_co_u32_e32 v40, vcc, s12, v40
	v_addc_co_u32_e32 v41, vcc, v37, v41, vcc
	s_mov_b64 s[50:51], 0
.LBB199_25:                             ;   Parent Loop BB199_3 Depth=1
                                        ;     Parent Loop BB199_7 Depth=2
                                        ; =>    This Inner Loop Header: Depth=3
	global_load_ushort v37, v[8:9], off
	v_mov_b32_e32 v39, s7
	v_mov_b32_e32 v42, s70
	v_add_co_u32_e32 v8, vcc, s71, v8
	v_add_co_u32_e64 v6, s[10:11], s65, v6
	v_addc_co_u32_e64 v7, s[10:11], v7, v39, s[10:11]
	v_addc_co_u32_e32 v9, vcc, v9, v42, vcc
	v_cmp_le_i64_e32 vcc, s[18:19], v[6:7]
	v_mov_b32_e32 v43, s72
	s_or_b64 s[50:51], vcc, s[50:51]
	s_waitcnt vmcnt(0)
	v_cvt_f32_f16_e32 v37, v37
	v_sub_f32_e32 v37, v37, v36
	v_sub_f32_e32 v37, v37, v38
	global_store_dword v[40:41], v37, off
	v_add_co_u32_e32 v40, vcc, s73, v40
	v_addc_co_u32_e32 v41, vcc, v41, v43, vcc
	s_andn2_b64 exec, exec, s[50:51]
	s_cbranch_execnz .LBB199_25
.LBB199_26:                             ;   in Loop: Header=BB199_7 Depth=2
	s_or_b64 exec, exec, s[48:49]
	s_mov_b64 s[10:11], 0
.LBB199_27:                             ;   in Loop: Header=BB199_7 Depth=2
	s_and_b64 vcc, exec, s[10:11]
	s_cbranch_vccz .LBB199_6
; %bb.28:                               ;   in Loop: Header=BB199_7 Depth=2
	v_mov_b32_e32 v36, 0xff7fffff
	s_and_saveexec_b64 s[48:49], s[2:3]
	s_cbranch_execz .LBB199_32
; %bb.29:                               ;   in Loop: Header=BB199_7 Depth=2
	s_mov_b64 s[50:51], 0
	v_mov_b32_e32 v36, 0xff7fffff
	v_pk_mov_b32 v[6:7], v[30:31], v[30:31] op_sel:[0,1]
	v_pk_mov_b32 v[8:9], v[14:15], v[14:15] op_sel:[0,1]
.LBB199_30:                             ;   Parent Loop BB199_3 Depth=1
                                        ;     Parent Loop BB199_7 Depth=2
                                        ; =>    This Inner Loop Header: Depth=3
	global_load_ushort v37, v[6:7], off
	v_mov_b32_e32 v38, s7
	v_mov_b32_e32 v39, s70
	v_add_co_u32_e32 v6, vcc, s71, v6
	v_add_co_u32_e64 v8, s[10:11], s65, v8
	v_addc_co_u32_e64 v9, s[10:11], v9, v38, s[10:11]
	v_addc_co_u32_e32 v7, vcc, v7, v39, vcc
	v_cmp_le_i64_e32 vcc, s[18:19], v[8:9]
	s_or_b64 s[50:51], vcc, s[50:51]
	s_waitcnt vmcnt(0)
	v_cvt_f32_f16_e32 v37, v37
	v_cmp_lt_f32_e32 vcc, v36, v37
	v_cndmask_b32_e32 v36, v36, v37, vcc
	s_andn2_b64 exec, exec, s[50:51]
	s_cbranch_execnz .LBB199_30
; %bb.31:                               ;   in Loop: Header=BB199_7 Depth=2
	s_or_b64 exec, exec, s[50:51]
.LBB199_32:                             ;   in Loop: Header=BB199_7 Depth=2
	s_or_b64 exec, exec, s[48:49]
	s_mov_b32 s48, s65
	s_barrier
	ds_write_b32 v52, v36
	s_branch .LBB199_34
.LBB199_33:                             ;   in Loop: Header=BB199_34 Depth=3
	s_or_b64 exec, exec, s[10:11]
	s_cmp_gt_u32 s48, 3
	s_mov_b32 s48, s49
	s_cbranch_scc0 .LBB199_36
.LBB199_34:                             ;   Parent Loop BB199_3 Depth=1
                                        ;     Parent Loop BB199_7 Depth=2
                                        ; =>    This Inner Loop Header: Depth=3
	s_lshr_b32 s49, s48, 1
	v_cmp_gt_u32_e32 vcc, s49, v14
	s_waitcnt lgkmcnt(0)
	s_barrier
	s_and_saveexec_b64 s[10:11], vcc
	s_cbranch_execz .LBB199_33
; %bb.35:                               ;   in Loop: Header=BB199_34 Depth=3
	v_lshl_add_u32 v6, s49, 2, v52
	ds_read_b32 v7, v52
	ds_read_b32 v6, v6
	s_waitcnt lgkmcnt(0)
	v_cmp_lt_f32_e32 vcc, v7, v6
	v_cndmask_b32_e32 v6, v7, v6, vcc
	ds_write_b32 v52, v6
	s_branch .LBB199_33
.LBB199_36:                             ;   in Loop: Header=BB199_7 Depth=2
	s_waitcnt lgkmcnt(0)
	s_barrier
	ds_read_b32 v36, v51
	v_mov_b32_e32 v37, 0
	s_and_saveexec_b64 s[48:49], s[2:3]
	s_cbranch_execz .LBB199_40
; %bb.37:                               ;   in Loop: Header=BB199_7 Depth=2
	s_mov_b64 s[50:51], 0
	v_mov_b32_e32 v37, 0
	v_pk_mov_b32 v[6:7], v[30:31], v[30:31] op_sel:[0,1]
	v_pk_mov_b32 v[8:9], v[14:15], v[14:15] op_sel:[0,1]
.LBB199_38:                             ;   Parent Loop BB199_3 Depth=1
                                        ;     Parent Loop BB199_7 Depth=2
                                        ; =>    This Inner Loop Header: Depth=3
	global_load_ushort v38, v[6:7], off
	v_mov_b32_e32 v39, s7
	v_add_co_u32_e64 v8, s[10:11], s65, v8
	v_mov_b32_e32 v40, s70
	v_add_co_u32_e32 v6, vcc, s71, v6
	v_addc_co_u32_e64 v9, s[10:11], v9, v39, s[10:11]
	v_addc_co_u32_e32 v7, vcc, v7, v40, vcc
	v_cmp_le_i64_e32 vcc, s[18:19], v[8:9]
	s_or_b64 s[50:51], vcc, s[50:51]
	s_waitcnt vmcnt(0)
	v_cvt_f32_f16_e32 v38, v38
	s_waitcnt lgkmcnt(0)
	v_sub_f32_e32 v38, v38, v36
	v_mul_f32_e32 v39, 0x3fb8aa3b, v38
	v_fma_f32 v40, v38, s58, -v39
	v_rndne_f32_e32 v41, v39
	v_fmac_f32_e32 v40, 0x32a5705f, v38
	v_sub_f32_e32 v39, v39, v41
	v_add_f32_e32 v39, v39, v40
	v_cvt_i32_f32_e32 v41, v41
	v_exp_f32_e32 v39, v39
	v_cmp_ngt_f32_e32 vcc, s59, v38
	v_ldexp_f32 v39, v39, v41
	v_cndmask_b32_e32 v39, 0, v39, vcc
	v_cmp_nlt_f32_e32 vcc, s60, v38
	v_cndmask_b32_e32 v38, v48, v39, vcc
	v_add_f32_e32 v37, v37, v38
	s_andn2_b64 exec, exec, s[50:51]
	s_cbranch_execnz .LBB199_38
; %bb.39:                               ;   in Loop: Header=BB199_7 Depth=2
	s_or_b64 exec, exec, s[50:51]
.LBB199_40:                             ;   in Loop: Header=BB199_7 Depth=2
	s_or_b64 exec, exec, s[48:49]
	s_mov_b32 s48, s65
	s_waitcnt lgkmcnt(0)
	s_barrier
	ds_write_b32 v52, v37
	s_branch .LBB199_42
.LBB199_41:                             ;   in Loop: Header=BB199_42 Depth=3
	s_or_b64 exec, exec, s[10:11]
	s_cmp_gt_u32 s48, 3
	s_mov_b32 s48, s49
	s_cbranch_scc0 .LBB199_44
.LBB199_42:                             ;   Parent Loop BB199_3 Depth=1
                                        ;     Parent Loop BB199_7 Depth=2
                                        ; =>    This Inner Loop Header: Depth=3
	s_lshr_b32 s49, s48, 1
	v_cmp_gt_u32_e32 vcc, s49, v14
	s_waitcnt lgkmcnt(0)
	s_barrier
	s_and_saveexec_b64 s[10:11], vcc
	s_cbranch_execz .LBB199_41
; %bb.43:                               ;   in Loop: Header=BB199_42 Depth=3
	v_lshl_add_u32 v6, s49, 2, v52
	ds_read_b32 v7, v52
	ds_read_b32 v6, v6
	s_waitcnt lgkmcnt(0)
	v_add_f32_e32 v6, v7, v6
	ds_write_b32 v52, v6
	s_branch .LBB199_41
.LBB199_44:                             ;   in Loop: Header=BB199_7 Depth=2
	s_waitcnt lgkmcnt(0)
	s_barrier
	s_and_saveexec_b64 s[48:49], s[2:3]
	s_cbranch_execz .LBB199_5
; %bb.45:                               ;   in Loop: Header=BB199_7 Depth=2
	ds_read_b32 v8, v51
	v_cmp_ne_u64_e32 vcc, 0, v[12:13]
                                        ; implicit-def: $vgpr6_vgpr7
	s_and_saveexec_b64 s[10:11], vcc
	s_xor_b64 s[50:51], exec, s[10:11]
	s_cbranch_execz .LBB199_47
; %bb.46:                               ;   in Loop: Header=BB199_7 Depth=2
	v_cvt_f32_u32_e32 v6, s65
	s_sub_u32 s10, 0, s65
	s_subb_u32 s11, 0, 0
	v_mac_f32_e32 v6, 0, v49
	v_rcp_f32_e32 v6, v6
	v_mul_f32_e32 v6, 0x5f7ffffc, v6
	v_mul_f32_e32 v7, 0x2f800000, v6
	v_trunc_f32_e32 v7, v7
	v_mac_f32_e32 v6, 0xcf800000, v7
	v_cvt_u32_f32_e32 v7, v7
	v_cvt_u32_f32_e32 v6, v6
	v_mul_lo_u32 v9, s10, v7
	v_mul_hi_u32 v38, s10, v6
	v_mul_lo_u32 v37, s11, v6
	v_add_u32_e32 v9, v38, v9
	v_mul_lo_u32 v39, s10, v6
	v_add_u32_e32 v9, v9, v37
	v_mul_hi_u32 v38, v6, v39
	v_mul_lo_u32 v40, v6, v9
	v_mul_hi_u32 v37, v6, v9
	v_add_co_u32_e32 v38, vcc, v38, v40
	v_addc_co_u32_e32 v37, vcc, 0, v37, vcc
	v_mul_hi_u32 v41, v7, v39
	v_mul_lo_u32 v39, v7, v39
	v_add_co_u32_e32 v38, vcc, v38, v39
	v_mul_hi_u32 v40, v7, v9
	v_addc_co_u32_e32 v37, vcc, v37, v41, vcc
	v_addc_co_u32_e32 v38, vcc, 0, v40, vcc
	v_mul_lo_u32 v9, v7, v9
	v_add_co_u32_e32 v9, vcc, v37, v9
	v_addc_co_u32_e32 v37, vcc, 0, v38, vcc
	v_add_co_u32_e32 v6, vcc, v6, v9
	v_addc_co_u32_e32 v7, vcc, v7, v37, vcc
	v_mul_lo_u32 v9, s10, v7
	v_mul_hi_u32 v37, s10, v6
	v_add_u32_e32 v9, v37, v9
	v_mul_lo_u32 v37, s11, v6
	v_add_u32_e32 v9, v9, v37
	v_mul_lo_u32 v38, s10, v6
	v_mul_hi_u32 v39, v7, v38
	v_mul_lo_u32 v40, v7, v38
	v_mul_lo_u32 v42, v6, v9
	v_mul_hi_u32 v38, v6, v38
	v_mul_hi_u32 v41, v6, v9
	v_add_co_u32_e32 v38, vcc, v38, v42
	v_addc_co_u32_e32 v41, vcc, 0, v41, vcc
	v_add_co_u32_e32 v38, vcc, v38, v40
	v_mul_hi_u32 v37, v7, v9
	v_addc_co_u32_e32 v38, vcc, v41, v39, vcc
	v_addc_co_u32_e32 v37, vcc, 0, v37, vcc
	v_mul_lo_u32 v9, v7, v9
	v_add_co_u32_e32 v9, vcc, v38, v9
	v_addc_co_u32_e32 v37, vcc, 0, v37, vcc
	v_add_co_u32_e32 v9, vcc, v6, v9
	v_addc_co_u32_e32 v37, vcc, v7, v37, vcc
	v_mad_u64_u32 v[6:7], s[10:11], v53, v37, 0
	v_mul_hi_u32 v38, v53, v9
	v_add_co_u32_e32 v40, vcc, v38, v6
	v_addc_co_u32_e32 v41, vcc, 0, v7, vcc
	v_mad_u64_u32 v[38:39], s[10:11], v13, v9, 0
	v_add_co_u32_e32 v9, vcc, v40, v38
	v_mad_u64_u32 v[6:7], s[10:11], v13, v37, 0
	v_addc_co_u32_e32 v9, vcc, v41, v39, vcc
	v_addc_co_u32_e32 v7, vcc, 0, v7, vcc
	v_add_co_u32_e32 v9, vcc, v9, v6
	v_addc_co_u32_e32 v37, vcc, 0, v7, vcc
	v_mad_u64_u32 v[6:7], s[10:11], s65, v9, 0
	v_mov_b32_e32 v38, v7
	v_mad_u64_u32 v[38:39], s[10:11], s65, v37, v[38:39]
	v_sub_co_u32_e32 v6, vcc, v53, v6
	v_subb_co_u32_e32 v7, vcc, v13, v38, vcc
	v_subrev_co_u32_e32 v38, vcc, s65, v6
	v_subbrev_co_u32_e32 v39, vcc, 0, v7, vcc
	v_cmp_le_u32_e32 vcc, s65, v38
	v_cndmask_b32_e64 v38, 0, -1, vcc
	v_cmp_eq_u32_e32 vcc, 0, v39
	v_cndmask_b32_e32 v38, -1, v38, vcc
	v_add_co_u32_e32 v39, vcc, 2, v9
	v_addc_co_u32_e32 v40, vcc, 0, v37, vcc
	v_add_co_u32_e32 v41, vcc, 1, v9
	v_cmp_le_u32_e64 s[10:11], s65, v6
	v_addc_co_u32_e32 v42, vcc, 0, v37, vcc
	v_cndmask_b32_e64 v6, 0, -1, s[10:11]
	v_cmp_eq_u32_e64 s[10:11], 0, v7
	v_cmp_ne_u32_e32 vcc, 0, v38
	v_cndmask_b32_e64 v6, -1, v6, s[10:11]
	v_cndmask_b32_e32 v38, v42, v40, vcc
	v_cmp_ne_u32_e64 s[10:11], 0, v6
	v_cndmask_b32_e32 v6, v41, v39, vcc
	v_cndmask_b32_e64 v7, v37, v38, s[10:11]
	v_cndmask_b32_e64 v6, v9, v6, s[10:11]
.LBB199_47:                             ;   in Loop: Header=BB199_7 Depth=2
	s_andn2_saveexec_b64 s[10:11], s[50:51]
	s_cbranch_execz .LBB199_49
; %bb.48:                               ;   in Loop: Header=BB199_7 Depth=2
	v_cvt_f32_u32_e32 v6, s65
	s_sub_i32 s50, 0, s65
	v_rcp_iflag_f32_e32 v6, v6
	v_mul_f32_e32 v6, 0x4f7ffffe, v6
	v_cvt_u32_f32_e32 v6, v6
	v_mul_lo_u32 v7, s50, v6
	v_mul_hi_u32 v7, v6, v7
	v_add_u32_e32 v6, v6, v7
	v_mul_hi_u32 v6, v53, v6
	v_mul_lo_u32 v7, v6, s65
	v_sub_u32_e32 v7, v53, v7
	v_add_u32_e32 v9, 1, v6
	v_subrev_u32_e32 v37, s65, v7
	v_cmp_le_u32_e32 vcc, s65, v7
	v_cndmask_b32_e32 v7, v7, v37, vcc
	v_cndmask_b32_e32 v6, v6, v9, vcc
	v_add_u32_e32 v9, 1, v6
	v_cmp_le_u32_e32 vcc, s65, v7
	v_cndmask_b32_e32 v6, v6, v9, vcc
	v_mov_b32_e32 v7, v12
.LBB199_49:                             ;   in Loop: Header=BB199_7 Depth=2
	s_or_b64 exec, exec, s[10:11]
	s_waitcnt lgkmcnt(0)
	v_cmp_gt_f32_e32 vcc, s62, v8
	v_cndmask_b32_e32 v9, 1.0, v49, vcc
	v_mul_f32_e32 v8, v8, v9
	v_log_f32_e32 v8, v8
	v_cndmask_b32_e32 v9, 0, v50, vcc
	s_mov_b64 s[10:11], -1
	v_mul_f32_e32 v37, 0x3f317217, v8
	v_fma_f32 v38, v8, s63, -v37
	v_fmac_f32_e32 v38, 0x3377d1cf, v8
	v_add_f32_e32 v37, v37, v38
	v_cmp_lt_f32_e64 vcc, |v8|, s61
	v_cndmask_b32_e32 v8, v8, v37, vcc
	v_add_co_u32_e32 v40, vcc, v22, v6
	v_addc_co_u32_e32 v41, vcc, 0, v7, vcc
	v_sub_f32_e32 v38, v8, v9
	v_cmp_lt_u64_e32 vcc, 1, v[40:41]
	v_pk_mov_b32 v[6:7], v[14:15], v[14:15] op_sel:[0,1]
	v_pk_mov_b32 v[8:9], v[16:17], v[16:17] op_sel:[0,1]
	s_and_saveexec_b64 s[50:51], vcc
	s_cbranch_execz .LBB199_55
; %bb.50:                               ;   in Loop: Header=BB199_7 Depth=2
	v_and_b32_e32 v42, -2, v40
	v_mov_b32_e32 v43, v41
	v_pk_mov_b32 v[8:9], v[4:5], v[4:5] op_sel:[0,1]
	v_mov_b32_e32 v44, v34
	v_mov_b32_e32 v45, v35
	;; [unrolled: 1-line block ×4, first 2 shown]
	s_mov_b64 s[52:53], 0
	v_pk_mov_b32 v[46:47], v[42:43], v[42:43] op_sel:[0,1]
	v_pk_mov_b32 v[6:7], v[2:3], v[2:3] op_sel:[0,1]
.LBB199_51:                             ;   Parent Loop BB199_3 Depth=1
                                        ;     Parent Loop BB199_7 Depth=2
                                        ; =>    This Inner Loop Header: Depth=3
	v_mul_lo_u32 v60, v6, s55
	v_mul_lo_u32 v61, v7, s23
	v_mad_u64_u32 v[56:57], s[10:11], v6, s23, v[34:35]
	v_mul_lo_u32 v58, v8, s57
	v_mul_lo_u32 v59, v9, s56
	v_mad_u64_u32 v[54:55], s[10:11], v8, s56, v[44:45]
	v_add3_u32 v57, v61, v57, v60
	v_add3_u32 v55, v59, v55, v58
	v_lshlrev_b64 v[58:59], 1, v[56:57]
	v_mov_b32_e32 v62, s15
	v_add_co_u32_e32 v58, vcc, s14, v58
	v_lshlrev_b64 v[60:61], 1, v[54:55]
	v_addc_co_u32_e32 v59, vcc, v62, v59, vcc
	v_add_co_u32_e32 v60, vcc, s14, v60
	v_addc_co_u32_e32 v61, vcc, v62, v61, vcc
	global_load_ushort v60, v[60:61], off
	s_nop 0
	global_load_ushort v58, v[58:59], off
	v_add_co_u32_e64 v46, s[10:11], -2, v46
	v_addc_co_u32_e64 v47, s[10:11], -1, v47, s[10:11]
	v_mov_b32_e32 v59, s69
	v_add_co_u32_e64 v8, s[10:11], s68, v8
	v_mov_b32_e32 v62, s67
	v_add_co_u32_e32 v6, vcc, s66, v6
	v_addc_co_u32_e64 v9, s[10:11], v9, v59, s[10:11]
	v_addc_co_u32_e32 v7, vcc, v7, v62, vcc
	v_cmp_eq_u64_e32 vcc, 0, v[46:47]
	v_lshlrev_b64 v[56:57], 2, v[56:57]
	v_mov_b32_e32 v61, s13
	s_or_b64 s[52:53], vcc, s[52:53]
	v_add_co_u32_e32 v56, vcc, s12, v56
	v_lshlrev_b64 v[54:55], 2, v[54:55]
	v_addc_co_u32_e32 v57, vcc, v61, v57, vcc
	v_add_co_u32_e32 v54, vcc, s12, v54
	v_addc_co_u32_e32 v55, vcc, v61, v55, vcc
	s_waitcnt vmcnt(1)
	v_cvt_f32_f16_e32 v59, v60
	s_waitcnt vmcnt(0)
	v_cvt_f32_f16_e32 v58, v58
	v_pk_add_f32 v[58:59], v[58:59], v[36:37] neg_lo:[0,1] neg_hi:[0,1]
	v_pk_add_f32 v[58:59], v[58:59], v[38:39] neg_lo:[0,1] neg_hi:[0,1]
	global_store_dword v[56:57], v58, off
	global_store_dword v[54:55], v59, off
	s_andn2_b64 exec, exec, s[52:53]
	s_cbranch_execnz .LBB199_51
; %bb.52:                               ;   in Loop: Header=BB199_7 Depth=2
	s_or_b64 exec, exec, s[52:53]
	v_cmp_ne_u64_e32 vcc, v[40:41], v[42:43]
	s_mov_b64 s[10:11], 0
                                        ; implicit-def: $vgpr6_vgpr7
                                        ; implicit-def: $vgpr8_vgpr9
	s_and_saveexec_b64 s[52:53], vcc
	s_xor_b64 s[52:53], exec, s[52:53]
; %bb.53:                               ;   in Loop: Header=BB199_7 Depth=2
	v_mad_u64_u32 v[6:7], s[74:75], v42, s65, v[14:15]
	v_mov_b32_e32 v8, v7
	v_mad_u64_u32 v[8:9], s[74:75], v43, s65, v[8:9]
	v_mov_b32_e32 v7, v8
	v_mul_lo_u32 v34, s21, v6
	v_mul_lo_u32 v35, s20, v8
	v_mad_u64_u32 v[8:9], s[74:75], s20, v6, 0
	s_mov_b64 s[10:11], exec
	v_add3_u32 v9, v9, v35, v34
; %bb.54:                               ;   in Loop: Header=BB199_7 Depth=2
	s_or_b64 exec, exec, s[52:53]
	s_orn2_b64 s[10:11], s[10:11], exec
.LBB199_55:                             ;   in Loop: Header=BB199_7 Depth=2
	s_or_b64 exec, exec, s[50:51]
	s_and_b64 exec, exec, s[10:11]
	s_cbranch_execz .LBB199_5
; %bb.56:                               ;   in Loop: Header=BB199_7 Depth=2
	v_add_co_u32_e32 v34, vcc, v28, v8
	v_addc_co_u32_e32 v35, vcc, v29, v9, vcc
	v_lshlrev_b64 v[8:9], 1, v[34:35]
	v_mov_b32_e32 v37, s15
	v_add_co_u32_e32 v8, vcc, s14, v8
	v_addc_co_u32_e32 v9, vcc, v37, v9, vcc
	v_lshlrev_b64 v[34:35], 2, v[34:35]
	v_mov_b32_e32 v37, s13
	v_add_co_u32_e32 v34, vcc, s12, v34
	v_addc_co_u32_e32 v35, vcc, v37, v35, vcc
	s_mov_b64 s[50:51], 0
.LBB199_57:                             ;   Parent Loop BB199_3 Depth=1
                                        ;     Parent Loop BB199_7 Depth=2
                                        ; =>    This Inner Loop Header: Depth=3
	global_load_ushort v37, v[8:9], off
	v_mov_b32_e32 v39, s7
	v_mov_b32_e32 v40, s70
	v_add_co_u32_e32 v8, vcc, s71, v8
	v_add_co_u32_e64 v6, s[10:11], s65, v6
	v_addc_co_u32_e64 v7, s[10:11], v7, v39, s[10:11]
	v_addc_co_u32_e32 v9, vcc, v9, v40, vcc
	v_cmp_le_i64_e32 vcc, s[18:19], v[6:7]
	v_mov_b32_e32 v41, s72
	s_or_b64 s[50:51], vcc, s[50:51]
	s_waitcnt vmcnt(0)
	v_cvt_f32_f16_e32 v37, v37
	v_sub_f32_e32 v37, v37, v36
	v_sub_f32_e32 v37, v37, v38
	global_store_dword v[34:35], v37, off
	v_add_co_u32_e32 v34, vcc, s73, v34
	v_addc_co_u32_e32 v35, vcc, v35, v41, vcc
	s_andn2_b64 exec, exec, s[50:51]
	s_cbranch_execnz .LBB199_57
	s_branch .LBB199_5
.LBB199_58:
	s_endpgm
	.section	.rodata,"a",@progbits
	.p2align	6, 0x0
	.amdhsa_kernel _ZN2at6native12_GLOBAL__N_126cunn_SpatialSoftMaxForwardIN3c104HalfEfflNS1_25LogSoftMaxForwardEpilogueEEEvPT1_PKT_T2_SB_SB_
		.amdhsa_group_segment_fixed_size 0
		.amdhsa_private_segment_fixed_size 0
		.amdhsa_kernarg_size 296
		.amdhsa_user_sgpr_count 6
		.amdhsa_user_sgpr_private_segment_buffer 1
		.amdhsa_user_sgpr_dispatch_ptr 0
		.amdhsa_user_sgpr_queue_ptr 0
		.amdhsa_user_sgpr_kernarg_segment_ptr 1
		.amdhsa_user_sgpr_dispatch_id 0
		.amdhsa_user_sgpr_flat_scratch_init 0
		.amdhsa_user_sgpr_kernarg_preload_length 0
		.amdhsa_user_sgpr_kernarg_preload_offset 0
		.amdhsa_user_sgpr_private_segment_size 0
		.amdhsa_uses_dynamic_stack 0
		.amdhsa_system_sgpr_private_segment_wavefront_offset 0
		.amdhsa_system_sgpr_workgroup_id_x 1
		.amdhsa_system_sgpr_workgroup_id_y 1
		.amdhsa_system_sgpr_workgroup_id_z 0
		.amdhsa_system_sgpr_workgroup_info 0
		.amdhsa_system_vgpr_workitem_id 1
		.amdhsa_next_free_vgpr 63
		.amdhsa_next_free_sgpr 76
		.amdhsa_accum_offset 64
		.amdhsa_reserve_vcc 1
		.amdhsa_reserve_flat_scratch 0
		.amdhsa_float_round_mode_32 0
		.amdhsa_float_round_mode_16_64 0
		.amdhsa_float_denorm_mode_32 3
		.amdhsa_float_denorm_mode_16_64 3
		.amdhsa_dx10_clamp 1
		.amdhsa_ieee_mode 1
		.amdhsa_fp16_overflow 0
		.amdhsa_tg_split 0
		.amdhsa_exception_fp_ieee_invalid_op 0
		.amdhsa_exception_fp_denorm_src 0
		.amdhsa_exception_fp_ieee_div_zero 0
		.amdhsa_exception_fp_ieee_overflow 0
		.amdhsa_exception_fp_ieee_underflow 0
		.amdhsa_exception_fp_ieee_inexact 0
		.amdhsa_exception_int_div_zero 0
	.end_amdhsa_kernel
	.section	.text._ZN2at6native12_GLOBAL__N_126cunn_SpatialSoftMaxForwardIN3c104HalfEfflNS1_25LogSoftMaxForwardEpilogueEEEvPT1_PKT_T2_SB_SB_,"axG",@progbits,_ZN2at6native12_GLOBAL__N_126cunn_SpatialSoftMaxForwardIN3c104HalfEfflNS1_25LogSoftMaxForwardEpilogueEEEvPT1_PKT_T2_SB_SB_,comdat
.Lfunc_end199:
	.size	_ZN2at6native12_GLOBAL__N_126cunn_SpatialSoftMaxForwardIN3c104HalfEfflNS1_25LogSoftMaxForwardEpilogueEEEvPT1_PKT_T2_SB_SB_, .Lfunc_end199-_ZN2at6native12_GLOBAL__N_126cunn_SpatialSoftMaxForwardIN3c104HalfEfflNS1_25LogSoftMaxForwardEpilogueEEEvPT1_PKT_T2_SB_SB_
                                        ; -- End function
	.section	.AMDGPU.csdata,"",@progbits
; Kernel info:
; codeLenInByte = 3684
; NumSgprs: 80
; NumVgprs: 63
; NumAgprs: 0
; TotalNumVgprs: 63
; ScratchSize: 0
; MemoryBound: 0
; FloatMode: 240
; IeeeMode: 1
; LDSByteSize: 0 bytes/workgroup (compile time only)
; SGPRBlocks: 9
; VGPRBlocks: 7
; NumSGPRsForWavesPerEU: 80
; NumVGPRsForWavesPerEU: 63
; AccumOffset: 64
; Occupancy: 8
; WaveLimiterHint : 0
; COMPUTE_PGM_RSRC2:SCRATCH_EN: 0
; COMPUTE_PGM_RSRC2:USER_SGPR: 6
; COMPUTE_PGM_RSRC2:TRAP_HANDLER: 0
; COMPUTE_PGM_RSRC2:TGID_X_EN: 1
; COMPUTE_PGM_RSRC2:TGID_Y_EN: 1
; COMPUTE_PGM_RSRC2:TGID_Z_EN: 0
; COMPUTE_PGM_RSRC2:TIDIG_COMP_CNT: 1
; COMPUTE_PGM_RSRC3_GFX90A:ACCUM_OFFSET: 15
; COMPUTE_PGM_RSRC3_GFX90A:TG_SPLIT: 0
	.section	.text._ZN2at6native12_GLOBAL__N_126cunn_SpatialSoftMaxForwardIN3c108BFloat16EfS4_iNS1_25LogSoftMaxForwardEpilogueEEEvPT1_PKT_T2_SB_SB_,"axG",@progbits,_ZN2at6native12_GLOBAL__N_126cunn_SpatialSoftMaxForwardIN3c108BFloat16EfS4_iNS1_25LogSoftMaxForwardEpilogueEEEvPT1_PKT_T2_SB_SB_,comdat
	.globl	_ZN2at6native12_GLOBAL__N_126cunn_SpatialSoftMaxForwardIN3c108BFloat16EfS4_iNS1_25LogSoftMaxForwardEpilogueEEEvPT1_PKT_T2_SB_SB_ ; -- Begin function _ZN2at6native12_GLOBAL__N_126cunn_SpatialSoftMaxForwardIN3c108BFloat16EfS4_iNS1_25LogSoftMaxForwardEpilogueEEEvPT1_PKT_T2_SB_SB_
	.p2align	8
	.type	_ZN2at6native12_GLOBAL__N_126cunn_SpatialSoftMaxForwardIN3c108BFloat16EfS4_iNS1_25LogSoftMaxForwardEpilogueEEEvPT1_PKT_T2_SB_SB_,@function
_ZN2at6native12_GLOBAL__N_126cunn_SpatialSoftMaxForwardIN3c108BFloat16EfS4_iNS1_25LogSoftMaxForwardEpilogueEEEvPT1_PKT_T2_SB_SB_: ; @_ZN2at6native12_GLOBAL__N_126cunn_SpatialSoftMaxForwardIN3c108BFloat16EfS4_iNS1_25LogSoftMaxForwardEpilogueEEEvPT1_PKT_T2_SB_SB_
; %bb.0:
	s_load_dwordx4 s[8:11], s[4:5], 0x10
	s_waitcnt lgkmcnt(0)
	s_cmp_ge_i32 s6, s8
	s_cbranch_scc1 .LBB200_40
; %bb.1:
	s_load_dword s0, s[4:5], 0x2c
	s_load_dwordx4 s[12:15], s[4:5], 0x0
	s_load_dwordx2 s[18:19], s[4:5], 0x20
	s_add_u32 s16, s4, 32
	s_addc_u32 s17, s5, 0
	v_and_b32_e32 v4, 0x3ff, v0
	s_waitcnt lgkmcnt(0)
	s_lshr_b32 s4, s0, 16
	s_mul_i32 s5, s7, s4
	s_mul_i32 s7, s19, s4
	;; [unrolled: 1-line block ×3, first 2 shown]
	v_bfe_u32 v2, v0, 10, 10
	v_add_u32_e32 v0, s4, v4
	v_add_u32_e32 v3, s5, v2
	v_mul_lo_u32 v0, s10, v0
	s_mul_i32 s11, s18, s10
	v_cmp_gt_i32_e64 s[0:1], s10, v3
	v_cmp_gt_i32_e64 s[2:3], s9, v4
	v_add3_u32 v5, v2, v0, s5
	s_mul_i32 s11, s11, s9
	s_mov_b32 s19, 0x3fb8aa3b
	s_mov_b32 s30, 0xc2ce8ed0
	;; [unrolled: 1-line block ×6, first 2 shown]
	s_movk_i32 s36, 0x7fff
	v_mov_b32_e32 v6, 0x7f800000
	v_mov_b32_e32 v7, 0x4f800000
	;; [unrolled: 1-line block ×4, first 2 shown]
	s_branch .LBB200_3
.LBB200_2:                              ;   in Loop: Header=BB200_3 Depth=1
	s_or_b64 exec, exec, s[20:21]
	s_add_i32 s6, s18, s6
	s_cmp_ge_i32 s6, s8
	v_add_u32_e32 v5, s11, v5
	s_cbranch_scc1 .LBB200_40
.LBB200_3:                              ; =>This Loop Header: Depth=1
                                        ;     Child Loop BB200_7 Depth 2
                                        ;       Child Loop BB200_12 Depth 3
                                        ;       Child Loop BB200_15 Depth 3
                                        ;       Child Loop BB200_18 Depth 3
                                        ;       Child Loop BB200_23 Depth 3
                                        ;       Child Loop BB200_27 Depth 3
                                        ;       Child Loop BB200_31 Depth 3
                                        ;       Child Loop BB200_35 Depth 3
                                        ;       Child Loop BB200_39 Depth 3
	s_and_saveexec_b64 s[20:21], s[0:1]
	s_cbranch_execz .LBB200_2
; %bb.4:                                ;   in Loop: Header=BB200_3 Depth=1
	s_load_dword s4, s[16:17], 0xc
	s_mov_b64 s[22:23], 0
	v_mov_b32_e32 v12, v5
	v_mov_b32_e32 v13, v3
	s_waitcnt lgkmcnt(0)
	s_and_b32 s37, s4, 0xffff
	v_mul_u32_u24_e32 v0, s37, v2
	s_cmp_lt_u32 s37, 2
	v_lshl_add_u32 v10, v0, 2, 0
	s_mul_i32 s38, s10, s37
	s_cselect_b64 s[24:25], -1, 0
	v_lshl_add_u32 v11, v4, 2, v10
	s_branch .LBB200_7
.LBB200_5:                              ;   in Loop: Header=BB200_7 Depth=2
	s_or_b64 exec, exec, s[26:27]
.LBB200_6:                              ;   in Loop: Header=BB200_7 Depth=2
	v_add_u32_e32 v13, s7, v13
	v_cmp_le_i32_e32 vcc, s10, v13
	s_or_b64 s[22:23], vcc, s[22:23]
	v_add_u32_e32 v12, s7, v12
	s_andn2_b64 exec, exec, s[22:23]
	s_cbranch_execz .LBB200_2
.LBB200_7:                              ;   Parent Loop BB200_3 Depth=1
                                        ; =>  This Loop Header: Depth=2
                                        ;       Child Loop BB200_12 Depth 3
                                        ;       Child Loop BB200_15 Depth 3
	;; [unrolled: 1-line block ×8, first 2 shown]
	s_mov_b64 s[4:5], -1
	s_and_b64 vcc, exec, s[24:25]
	s_cbranch_vccz .LBB200_20
; %bb.8:                                ;   in Loop: Header=BB200_7 Depth=2
	v_mov_b32_e32 v14, 0xff7fffff
	s_and_saveexec_b64 s[4:5], s[2:3]
	s_cbranch_execnz .LBB200_11
; %bb.9:                                ;   in Loop: Header=BB200_7 Depth=2
	s_or_b64 exec, exec, s[4:5]
	v_mov_b32_e32 v15, 0
	s_and_saveexec_b64 s[4:5], s[2:3]
	s_cbranch_execnz .LBB200_14
.LBB200_10:                             ;   in Loop: Header=BB200_7 Depth=2
	s_or_b64 exec, exec, s[4:5]
	s_and_saveexec_b64 s[26:27], s[2:3]
	s_cbranch_execnz .LBB200_17
	s_branch .LBB200_19
.LBB200_11:                             ;   in Loop: Header=BB200_7 Depth=2
	s_mov_b64 s[26:27], 0
	v_mov_b32_e32 v14, 0xff7fffff
	v_mov_b32_e32 v0, v12
	v_mov_b32_e32 v15, v4
.LBB200_12:                             ;   Parent Loop BB200_3 Depth=1
                                        ;     Parent Loop BB200_7 Depth=2
                                        ; =>    This Inner Loop Header: Depth=3
	v_ashrrev_i32_e32 v1, 31, v0
	v_lshlrev_b64 v[16:17], 1, v[0:1]
	v_mov_b32_e32 v18, s15
	v_add_co_u32_e32 v16, vcc, s14, v16
	v_addc_co_u32_e32 v17, vcc, v18, v17, vcc
	global_load_ushort v1, v[16:17], off
	v_add_u32_e32 v15, s37, v15
	v_cmp_le_i32_e32 vcc, s9, v15
	s_or_b64 s[26:27], vcc, s[26:27]
	v_add_u32_e32 v0, s38, v0
	s_waitcnt vmcnt(0)
	v_lshlrev_b32_e32 v1, 16, v1
	v_cmp_lt_f32_e32 vcc, v14, v1
	v_cndmask_b32_e32 v14, v14, v1, vcc
	s_andn2_b64 exec, exec, s[26:27]
	s_cbranch_execnz .LBB200_12
; %bb.13:                               ;   in Loop: Header=BB200_7 Depth=2
	s_or_b64 exec, exec, s[26:27]
	s_or_b64 exec, exec, s[4:5]
	v_mov_b32_e32 v15, 0
	s_and_saveexec_b64 s[4:5], s[2:3]
	s_cbranch_execz .LBB200_10
.LBB200_14:                             ;   in Loop: Header=BB200_7 Depth=2
	s_mov_b64 s[26:27], 0
	v_mov_b32_e32 v15, 0
	v_mov_b32_e32 v0, v12
	;; [unrolled: 1-line block ×3, first 2 shown]
.LBB200_15:                             ;   Parent Loop BB200_3 Depth=1
                                        ;     Parent Loop BB200_7 Depth=2
                                        ; =>    This Inner Loop Header: Depth=3
	v_ashrrev_i32_e32 v1, 31, v0
	v_lshlrev_b64 v[18:19], 1, v[0:1]
	v_mov_b32_e32 v1, s15
	v_add_co_u32_e32 v18, vcc, s14, v18
	v_addc_co_u32_e32 v19, vcc, v1, v19, vcc
	global_load_ushort v1, v[18:19], off
	v_add_u32_e32 v16, s37, v16
	v_cmp_le_i32_e32 vcc, s9, v16
	s_or_b64 s[26:27], vcc, s[26:27]
	v_add_u32_e32 v0, s38, v0
	s_waitcnt vmcnt(0)
	v_lshlrev_b32_e32 v1, 16, v1
	v_sub_f32_e32 v1, v1, v14
	v_mul_f32_e32 v17, 0x3fb8aa3b, v1
	v_fma_f32 v18, v1, s19, -v17
	v_rndne_f32_e32 v19, v17
	v_fmac_f32_e32 v18, 0x32a5705f, v1
	v_sub_f32_e32 v17, v17, v19
	v_add_f32_e32 v17, v17, v18
	v_cvt_i32_f32_e32 v19, v19
	v_exp_f32_e32 v17, v17
	v_cmp_ngt_f32_e32 vcc, s30, v1
	v_ldexp_f32 v17, v17, v19
	v_cndmask_b32_e32 v17, 0, v17, vcc
	v_cmp_nlt_f32_e32 vcc, s31, v1
	v_cndmask_b32_e32 v1, v6, v17, vcc
	v_add_f32_e32 v15, v15, v1
	s_andn2_b64 exec, exec, s[26:27]
	s_cbranch_execnz .LBB200_15
; %bb.16:                               ;   in Loop: Header=BB200_7 Depth=2
	s_or_b64 exec, exec, s[26:27]
	s_or_b64 exec, exec, s[4:5]
	s_and_saveexec_b64 s[26:27], s[2:3]
	s_cbranch_execz .LBB200_19
.LBB200_17:                             ;   in Loop: Header=BB200_7 Depth=2
	v_cmp_gt_f32_e32 vcc, s34, v15
	v_cndmask_b32_e32 v0, 1.0, v7, vcc
	v_mul_f32_e32 v0, v15, v0
	v_log_f32_e32 v0, v0
	v_cndmask_b32_e32 v1, 0, v8, vcc
	s_mov_b64 s[28:29], 0
	v_mul_f32_e32 v15, 0x3f317217, v0
	v_fma_f32 v16, v0, s35, -v15
	v_fmac_f32_e32 v16, 0x3377d1cf, v0
	v_add_f32_e32 v15, v15, v16
	v_cmp_lt_f32_e64 vcc, |v0|, s33
	v_cndmask_b32_e32 v0, v0, v15, vcc
	v_sub_f32_e32 v15, v0, v1
	v_mov_b32_e32 v0, v12
	v_mov_b32_e32 v16, v4
.LBB200_18:                             ;   Parent Loop BB200_3 Depth=1
                                        ;     Parent Loop BB200_7 Depth=2
                                        ; =>    This Inner Loop Header: Depth=3
	v_ashrrev_i32_e32 v1, 31, v0
	v_lshlrev_b64 v[18:19], 1, v[0:1]
	v_mov_b32_e32 v1, s15
	v_add_co_u32_e32 v20, vcc, s14, v18
	v_addc_co_u32_e32 v21, vcc, v1, v19, vcc
	global_load_ushort v1, v[20:21], off
	v_mov_b32_e32 v17, s13
	v_add_co_u32_e64 v18, s[4:5], s12, v18
	v_add_u32_e32 v16, s37, v16
	v_addc_co_u32_e64 v19, s[4:5], v17, v19, s[4:5]
	v_cmp_le_i32_e32 vcc, s9, v16
	s_or_b64 s[28:29], vcc, s[28:29]
	v_add_u32_e32 v0, s38, v0
	s_waitcnt vmcnt(0)
	v_lshlrev_b32_e32 v1, 16, v1
	v_sub_f32_e32 v1, v1, v14
	v_sub_f32_e32 v1, v1, v15
	v_bfe_u32 v17, v1, 16, 1
	v_add3_u32 v17, v1, v17, s36
	v_lshrrev_b32_e32 v17, 16, v17
	v_cmp_o_f32_e32 vcc, v1, v1
	v_cndmask_b32_e32 v1, v9, v17, vcc
	global_store_short v[18:19], v1, off
	s_andn2_b64 exec, exec, s[28:29]
	s_cbranch_execnz .LBB200_18
.LBB200_19:                             ;   in Loop: Header=BB200_7 Depth=2
	s_or_b64 exec, exec, s[26:27]
	s_mov_b64 s[4:5], 0
.LBB200_20:                             ;   in Loop: Header=BB200_7 Depth=2
	s_and_b64 vcc, exec, s[4:5]
	s_cbranch_vccz .LBB200_6
; %bb.21:                               ;   in Loop: Header=BB200_7 Depth=2
	v_mov_b32_e32 v14, 0xff7fffff
	s_and_saveexec_b64 s[4:5], s[2:3]
	s_cbranch_execz .LBB200_25
; %bb.22:                               ;   in Loop: Header=BB200_7 Depth=2
	s_mov_b64 s[26:27], 0
	v_mov_b32_e32 v14, 0xff7fffff
	v_mov_b32_e32 v0, v12
	;; [unrolled: 1-line block ×3, first 2 shown]
.LBB200_23:                             ;   Parent Loop BB200_3 Depth=1
                                        ;     Parent Loop BB200_7 Depth=2
                                        ; =>    This Inner Loop Header: Depth=3
	v_ashrrev_i32_e32 v1, 31, v0
	v_lshlrev_b64 v[16:17], 1, v[0:1]
	v_mov_b32_e32 v18, s15
	v_add_co_u32_e32 v16, vcc, s14, v16
	v_addc_co_u32_e32 v17, vcc, v18, v17, vcc
	global_load_ushort v1, v[16:17], off
	v_add_u32_e32 v15, s37, v15
	v_cmp_le_i32_e32 vcc, s9, v15
	s_or_b64 s[26:27], vcc, s[26:27]
	v_add_u32_e32 v0, s38, v0
	s_waitcnt vmcnt(0)
	v_lshlrev_b32_e32 v1, 16, v1
	v_cmp_lt_f32_e32 vcc, v14, v1
	v_cndmask_b32_e32 v14, v14, v1, vcc
	s_andn2_b64 exec, exec, s[26:27]
	s_cbranch_execnz .LBB200_23
; %bb.24:                               ;   in Loop: Header=BB200_7 Depth=2
	s_or_b64 exec, exec, s[26:27]
.LBB200_25:                             ;   in Loop: Header=BB200_7 Depth=2
	s_or_b64 exec, exec, s[4:5]
	s_mov_b32 s26, s37
	s_barrier
	ds_write_b32 v11, v14
	s_branch .LBB200_27
.LBB200_26:                             ;   in Loop: Header=BB200_27 Depth=3
	s_or_b64 exec, exec, s[4:5]
	s_cmp_gt_u32 s26, 3
	s_mov_b32 s26, s27
	s_cbranch_scc0 .LBB200_29
.LBB200_27:                             ;   Parent Loop BB200_3 Depth=1
                                        ;     Parent Loop BB200_7 Depth=2
                                        ; =>    This Inner Loop Header: Depth=3
	s_lshr_b32 s27, s26, 1
	v_cmp_gt_u32_e32 vcc, s27, v4
	s_waitcnt lgkmcnt(0)
	s_barrier
	s_and_saveexec_b64 s[4:5], vcc
	s_cbranch_execz .LBB200_26
; %bb.28:                               ;   in Loop: Header=BB200_27 Depth=3
	v_lshl_add_u32 v0, s27, 2, v11
	ds_read_b32 v1, v11
	ds_read_b32 v0, v0
	s_waitcnt lgkmcnt(0)
	v_cmp_lt_f32_e32 vcc, v1, v0
	v_cndmask_b32_e32 v0, v1, v0, vcc
	ds_write_b32 v11, v0
	s_branch .LBB200_26
.LBB200_29:                             ;   in Loop: Header=BB200_7 Depth=2
	s_waitcnt lgkmcnt(0)
	s_barrier
	ds_read_b32 v14, v10
	v_mov_b32_e32 v15, 0
	s_and_saveexec_b64 s[4:5], s[2:3]
	s_cbranch_execz .LBB200_33
; %bb.30:                               ;   in Loop: Header=BB200_7 Depth=2
	s_mov_b64 s[26:27], 0
	v_mov_b32_e32 v15, 0
	v_mov_b32_e32 v0, v12
	;; [unrolled: 1-line block ×3, first 2 shown]
.LBB200_31:                             ;   Parent Loop BB200_3 Depth=1
                                        ;     Parent Loop BB200_7 Depth=2
                                        ; =>    This Inner Loop Header: Depth=3
	v_ashrrev_i32_e32 v1, 31, v0
	v_lshlrev_b64 v[18:19], 1, v[0:1]
	v_mov_b32_e32 v1, s15
	v_add_co_u32_e32 v18, vcc, s14, v18
	v_addc_co_u32_e32 v19, vcc, v1, v19, vcc
	global_load_ushort v1, v[18:19], off
	v_add_u32_e32 v16, s37, v16
	v_cmp_le_i32_e32 vcc, s9, v16
	s_or_b64 s[26:27], vcc, s[26:27]
	v_add_u32_e32 v0, s38, v0
	s_waitcnt vmcnt(0)
	v_lshlrev_b32_e32 v1, 16, v1
	s_waitcnt lgkmcnt(0)
	v_sub_f32_e32 v1, v1, v14
	v_mul_f32_e32 v17, 0x3fb8aa3b, v1
	v_fma_f32 v18, v1, s19, -v17
	v_rndne_f32_e32 v19, v17
	v_fmac_f32_e32 v18, 0x32a5705f, v1
	v_sub_f32_e32 v17, v17, v19
	v_add_f32_e32 v17, v17, v18
	v_cvt_i32_f32_e32 v19, v19
	v_exp_f32_e32 v17, v17
	v_cmp_ngt_f32_e32 vcc, s30, v1
	v_ldexp_f32 v17, v17, v19
	v_cndmask_b32_e32 v17, 0, v17, vcc
	v_cmp_nlt_f32_e32 vcc, s31, v1
	v_cndmask_b32_e32 v1, v6, v17, vcc
	v_add_f32_e32 v15, v15, v1
	s_andn2_b64 exec, exec, s[26:27]
	s_cbranch_execnz .LBB200_31
; %bb.32:                               ;   in Loop: Header=BB200_7 Depth=2
	s_or_b64 exec, exec, s[26:27]
.LBB200_33:                             ;   in Loop: Header=BB200_7 Depth=2
	s_or_b64 exec, exec, s[4:5]
	s_mov_b32 s26, s37
	s_waitcnt lgkmcnt(0)
	s_barrier
	ds_write_b32 v11, v15
	s_branch .LBB200_35
.LBB200_34:                             ;   in Loop: Header=BB200_35 Depth=3
	s_or_b64 exec, exec, s[4:5]
	s_cmp_gt_u32 s26, 3
	s_mov_b32 s26, s27
	s_cbranch_scc0 .LBB200_37
.LBB200_35:                             ;   Parent Loop BB200_3 Depth=1
                                        ;     Parent Loop BB200_7 Depth=2
                                        ; =>    This Inner Loop Header: Depth=3
	s_lshr_b32 s27, s26, 1
	v_cmp_gt_u32_e32 vcc, s27, v4
	s_waitcnt lgkmcnt(0)
	s_barrier
	s_and_saveexec_b64 s[4:5], vcc
	s_cbranch_execz .LBB200_34
; %bb.36:                               ;   in Loop: Header=BB200_35 Depth=3
	v_lshl_add_u32 v0, s27, 2, v11
	ds_read_b32 v1, v11
	ds_read_b32 v0, v0
	s_waitcnt lgkmcnt(0)
	v_add_f32_e32 v0, v1, v0
	ds_write_b32 v11, v0
	s_branch .LBB200_34
.LBB200_37:                             ;   in Loop: Header=BB200_7 Depth=2
	s_waitcnt lgkmcnt(0)
	s_barrier
	s_and_saveexec_b64 s[26:27], s[2:3]
	s_cbranch_execz .LBB200_5
; %bb.38:                               ;   in Loop: Header=BB200_7 Depth=2
	ds_read_b32 v0, v10
	s_mov_b64 s[28:29], 0
	s_waitcnt lgkmcnt(0)
	v_cmp_gt_f32_e32 vcc, s34, v0
	v_cndmask_b32_e32 v1, 1.0, v7, vcc
	v_mul_f32_e32 v0, v0, v1
	v_log_f32_e32 v1, v0
	v_cndmask_b32_e32 v15, 0, v8, vcc
	v_mov_b32_e32 v0, v12
	v_mul_f32_e32 v16, 0x3f317217, v1
	v_fma_f32 v17, v1, s35, -v16
	v_fmac_f32_e32 v17, 0x3377d1cf, v1
	v_add_f32_e32 v16, v16, v17
	v_cmp_lt_f32_e64 vcc, |v1|, s33
	v_cndmask_b32_e32 v1, v1, v16, vcc
	v_sub_f32_e32 v15, v1, v15
	v_mov_b32_e32 v16, v4
.LBB200_39:                             ;   Parent Loop BB200_3 Depth=1
                                        ;     Parent Loop BB200_7 Depth=2
                                        ; =>    This Inner Loop Header: Depth=3
	v_ashrrev_i32_e32 v1, 31, v0
	v_lshlrev_b64 v[18:19], 1, v[0:1]
	v_mov_b32_e32 v1, s15
	v_add_co_u32_e32 v20, vcc, s14, v18
	v_addc_co_u32_e32 v21, vcc, v1, v19, vcc
	global_load_ushort v1, v[20:21], off
	v_mov_b32_e32 v17, s13
	v_add_co_u32_e64 v18, s[4:5], s12, v18
	v_add_u32_e32 v16, s37, v16
	v_addc_co_u32_e64 v19, s[4:5], v17, v19, s[4:5]
	v_cmp_le_i32_e32 vcc, s9, v16
	s_or_b64 s[28:29], vcc, s[28:29]
	v_add_u32_e32 v0, s38, v0
	s_waitcnt vmcnt(0)
	v_lshlrev_b32_e32 v1, 16, v1
	v_sub_f32_e32 v1, v1, v14
	v_sub_f32_e32 v1, v1, v15
	v_bfe_u32 v17, v1, 16, 1
	v_add3_u32 v17, v1, v17, s36
	v_lshrrev_b32_e32 v17, 16, v17
	v_cmp_o_f32_e32 vcc, v1, v1
	v_cndmask_b32_e32 v1, v9, v17, vcc
	global_store_short v[18:19], v1, off
	s_andn2_b64 exec, exec, s[28:29]
	s_cbranch_execnz .LBB200_39
	s_branch .LBB200_5
.LBB200_40:
	s_endpgm
	.section	.rodata,"a",@progbits
	.p2align	6, 0x0
	.amdhsa_kernel _ZN2at6native12_GLOBAL__N_126cunn_SpatialSoftMaxForwardIN3c108BFloat16EfS4_iNS1_25LogSoftMaxForwardEpilogueEEEvPT1_PKT_T2_SB_SB_
		.amdhsa_group_segment_fixed_size 0
		.amdhsa_private_segment_fixed_size 0
		.amdhsa_kernarg_size 288
		.amdhsa_user_sgpr_count 6
		.amdhsa_user_sgpr_private_segment_buffer 1
		.amdhsa_user_sgpr_dispatch_ptr 0
		.amdhsa_user_sgpr_queue_ptr 0
		.amdhsa_user_sgpr_kernarg_segment_ptr 1
		.amdhsa_user_sgpr_dispatch_id 0
		.amdhsa_user_sgpr_flat_scratch_init 0
		.amdhsa_user_sgpr_kernarg_preload_length 0
		.amdhsa_user_sgpr_kernarg_preload_offset 0
		.amdhsa_user_sgpr_private_segment_size 0
		.amdhsa_uses_dynamic_stack 0
		.amdhsa_system_sgpr_private_segment_wavefront_offset 0
		.amdhsa_system_sgpr_workgroup_id_x 1
		.amdhsa_system_sgpr_workgroup_id_y 1
		.amdhsa_system_sgpr_workgroup_id_z 0
		.amdhsa_system_sgpr_workgroup_info 0
		.amdhsa_system_vgpr_workitem_id 1
		.amdhsa_next_free_vgpr 22
		.amdhsa_next_free_sgpr 39
		.amdhsa_accum_offset 24
		.amdhsa_reserve_vcc 1
		.amdhsa_reserve_flat_scratch 0
		.amdhsa_float_round_mode_32 0
		.amdhsa_float_round_mode_16_64 0
		.amdhsa_float_denorm_mode_32 3
		.amdhsa_float_denorm_mode_16_64 3
		.amdhsa_dx10_clamp 1
		.amdhsa_ieee_mode 1
		.amdhsa_fp16_overflow 0
		.amdhsa_tg_split 0
		.amdhsa_exception_fp_ieee_invalid_op 0
		.amdhsa_exception_fp_denorm_src 0
		.amdhsa_exception_fp_ieee_div_zero 0
		.amdhsa_exception_fp_ieee_overflow 0
		.amdhsa_exception_fp_ieee_underflow 0
		.amdhsa_exception_fp_ieee_inexact 0
		.amdhsa_exception_int_div_zero 0
	.end_amdhsa_kernel
	.section	.text._ZN2at6native12_GLOBAL__N_126cunn_SpatialSoftMaxForwardIN3c108BFloat16EfS4_iNS1_25LogSoftMaxForwardEpilogueEEEvPT1_PKT_T2_SB_SB_,"axG",@progbits,_ZN2at6native12_GLOBAL__N_126cunn_SpatialSoftMaxForwardIN3c108BFloat16EfS4_iNS1_25LogSoftMaxForwardEpilogueEEEvPT1_PKT_T2_SB_SB_,comdat
.Lfunc_end200:
	.size	_ZN2at6native12_GLOBAL__N_126cunn_SpatialSoftMaxForwardIN3c108BFloat16EfS4_iNS1_25LogSoftMaxForwardEpilogueEEEvPT1_PKT_T2_SB_SB_, .Lfunc_end200-_ZN2at6native12_GLOBAL__N_126cunn_SpatialSoftMaxForwardIN3c108BFloat16EfS4_iNS1_25LogSoftMaxForwardEpilogueEEEvPT1_PKT_T2_SB_SB_
                                        ; -- End function
	.section	.AMDGPU.csdata,"",@progbits
; Kernel info:
; codeLenInByte = 1680
; NumSgprs: 43
; NumVgprs: 22
; NumAgprs: 0
; TotalNumVgprs: 22
; ScratchSize: 0
; MemoryBound: 0
; FloatMode: 240
; IeeeMode: 1
; LDSByteSize: 0 bytes/workgroup (compile time only)
; SGPRBlocks: 5
; VGPRBlocks: 2
; NumSGPRsForWavesPerEU: 43
; NumVGPRsForWavesPerEU: 22
; AccumOffset: 24
; Occupancy: 8
; WaveLimiterHint : 0
; COMPUTE_PGM_RSRC2:SCRATCH_EN: 0
; COMPUTE_PGM_RSRC2:USER_SGPR: 6
; COMPUTE_PGM_RSRC2:TRAP_HANDLER: 0
; COMPUTE_PGM_RSRC2:TGID_X_EN: 1
; COMPUTE_PGM_RSRC2:TGID_Y_EN: 1
; COMPUTE_PGM_RSRC2:TGID_Z_EN: 0
; COMPUTE_PGM_RSRC2:TIDIG_COMP_CNT: 1
; COMPUTE_PGM_RSRC3_GFX90A:ACCUM_OFFSET: 5
; COMPUTE_PGM_RSRC3_GFX90A:TG_SPLIT: 0
	.section	.text._ZN2at6native12_GLOBAL__N_126cunn_SpatialSoftMaxForwardIN3c108BFloat16EffiNS1_25LogSoftMaxForwardEpilogueEEEvPT1_PKT_T2_SB_SB_,"axG",@progbits,_ZN2at6native12_GLOBAL__N_126cunn_SpatialSoftMaxForwardIN3c108BFloat16EffiNS1_25LogSoftMaxForwardEpilogueEEEvPT1_PKT_T2_SB_SB_,comdat
	.globl	_ZN2at6native12_GLOBAL__N_126cunn_SpatialSoftMaxForwardIN3c108BFloat16EffiNS1_25LogSoftMaxForwardEpilogueEEEvPT1_PKT_T2_SB_SB_ ; -- Begin function _ZN2at6native12_GLOBAL__N_126cunn_SpatialSoftMaxForwardIN3c108BFloat16EffiNS1_25LogSoftMaxForwardEpilogueEEEvPT1_PKT_T2_SB_SB_
	.p2align	8
	.type	_ZN2at6native12_GLOBAL__N_126cunn_SpatialSoftMaxForwardIN3c108BFloat16EffiNS1_25LogSoftMaxForwardEpilogueEEEvPT1_PKT_T2_SB_SB_,@function
_ZN2at6native12_GLOBAL__N_126cunn_SpatialSoftMaxForwardIN3c108BFloat16EffiNS1_25LogSoftMaxForwardEpilogueEEEvPT1_PKT_T2_SB_SB_: ; @_ZN2at6native12_GLOBAL__N_126cunn_SpatialSoftMaxForwardIN3c108BFloat16EffiNS1_25LogSoftMaxForwardEpilogueEEEvPT1_PKT_T2_SB_SB_
; %bb.0:
	s_load_dwordx4 s[8:11], s[4:5], 0x10
	s_waitcnt lgkmcnt(0)
	s_cmp_ge_i32 s6, s8
	s_cbranch_scc1 .LBB201_40
; %bb.1:
	s_load_dword s0, s[4:5], 0x2c
	s_load_dwordx4 s[12:15], s[4:5], 0x0
	s_load_dwordx2 s[18:19], s[4:5], 0x20
	s_add_u32 s16, s4, 32
	s_addc_u32 s17, s5, 0
	v_and_b32_e32 v4, 0x3ff, v0
	s_waitcnt lgkmcnt(0)
	s_lshr_b32 s4, s0, 16
	s_mul_i32 s5, s7, s4
	s_mul_i32 s7, s19, s4
	;; [unrolled: 1-line block ×3, first 2 shown]
	v_bfe_u32 v2, v0, 10, 10
	v_add_u32_e32 v0, s4, v4
	v_add_u32_e32 v3, s5, v2
	v_mul_lo_u32 v0, s10, v0
	s_mul_i32 s11, s18, s10
	v_cmp_gt_i32_e64 s[0:1], s10, v3
	v_cmp_gt_i32_e64 s[2:3], s9, v4
	v_add3_u32 v5, v2, v0, s5
	s_mul_i32 s11, s11, s9
	s_mov_b32 s19, 0x3fb8aa3b
	s_mov_b32 s30, 0xc2ce8ed0
	;; [unrolled: 1-line block ×6, first 2 shown]
	v_mov_b32_e32 v6, 0x7f800000
	v_mov_b32_e32 v7, 0x4f800000
	;; [unrolled: 1-line block ×3, first 2 shown]
	s_branch .LBB201_3
.LBB201_2:                              ;   in Loop: Header=BB201_3 Depth=1
	s_or_b64 exec, exec, s[20:21]
	s_add_i32 s6, s18, s6
	s_cmp_ge_i32 s6, s8
	v_add_u32_e32 v5, s11, v5
	s_cbranch_scc1 .LBB201_40
.LBB201_3:                              ; =>This Loop Header: Depth=1
                                        ;     Child Loop BB201_7 Depth 2
                                        ;       Child Loop BB201_12 Depth 3
                                        ;       Child Loop BB201_15 Depth 3
	;; [unrolled: 1-line block ×8, first 2 shown]
	s_and_saveexec_b64 s[20:21], s[0:1]
	s_cbranch_execz .LBB201_2
; %bb.4:                                ;   in Loop: Header=BB201_3 Depth=1
	s_load_dword s4, s[16:17], 0xc
	s_mov_b64 s[22:23], 0
	v_mov_b32_e32 v11, v5
	v_mov_b32_e32 v12, v3
	s_waitcnt lgkmcnt(0)
	s_and_b32 s36, s4, 0xffff
	v_mul_u32_u24_e32 v0, s36, v2
	s_cmp_lt_u32 s36, 2
	v_lshl_add_u32 v9, v0, 2, 0
	s_mul_i32 s37, s10, s36
	s_cselect_b64 s[24:25], -1, 0
	v_lshl_add_u32 v10, v4, 2, v9
	s_branch .LBB201_7
.LBB201_5:                              ;   in Loop: Header=BB201_7 Depth=2
	s_or_b64 exec, exec, s[26:27]
.LBB201_6:                              ;   in Loop: Header=BB201_7 Depth=2
	v_add_u32_e32 v12, s7, v12
	v_cmp_le_i32_e32 vcc, s10, v12
	s_or_b64 s[22:23], vcc, s[22:23]
	v_add_u32_e32 v11, s7, v11
	s_andn2_b64 exec, exec, s[22:23]
	s_cbranch_execz .LBB201_2
.LBB201_7:                              ;   Parent Loop BB201_3 Depth=1
                                        ; =>  This Loop Header: Depth=2
                                        ;       Child Loop BB201_12 Depth 3
                                        ;       Child Loop BB201_15 Depth 3
	;; [unrolled: 1-line block ×8, first 2 shown]
	s_mov_b64 s[4:5], -1
	s_and_b64 vcc, exec, s[24:25]
	s_cbranch_vccz .LBB201_20
; %bb.8:                                ;   in Loop: Header=BB201_7 Depth=2
	v_mov_b32_e32 v13, 0xff7fffff
	s_and_saveexec_b64 s[4:5], s[2:3]
	s_cbranch_execnz .LBB201_11
; %bb.9:                                ;   in Loop: Header=BB201_7 Depth=2
	s_or_b64 exec, exec, s[4:5]
	v_mov_b32_e32 v14, 0
	s_and_saveexec_b64 s[4:5], s[2:3]
	s_cbranch_execnz .LBB201_14
.LBB201_10:                             ;   in Loop: Header=BB201_7 Depth=2
	s_or_b64 exec, exec, s[4:5]
	s_and_saveexec_b64 s[26:27], s[2:3]
	s_cbranch_execnz .LBB201_17
	s_branch .LBB201_19
.LBB201_11:                             ;   in Loop: Header=BB201_7 Depth=2
	s_mov_b64 s[26:27], 0
	v_mov_b32_e32 v13, 0xff7fffff
	v_mov_b32_e32 v0, v11
	;; [unrolled: 1-line block ×3, first 2 shown]
.LBB201_12:                             ;   Parent Loop BB201_3 Depth=1
                                        ;     Parent Loop BB201_7 Depth=2
                                        ; =>    This Inner Loop Header: Depth=3
	v_ashrrev_i32_e32 v1, 31, v0
	v_lshlrev_b64 v[16:17], 1, v[0:1]
	v_mov_b32_e32 v15, s15
	v_add_co_u32_e32 v16, vcc, s14, v16
	v_addc_co_u32_e32 v17, vcc, v15, v17, vcc
	global_load_ushort v1, v[16:17], off
	v_add_u32_e32 v14, s36, v14
	v_cmp_le_i32_e32 vcc, s9, v14
	s_or_b64 s[26:27], vcc, s[26:27]
	v_add_u32_e32 v0, s37, v0
	s_waitcnt vmcnt(0)
	v_lshlrev_b32_e32 v1, 16, v1
	v_cmp_lt_f32_e32 vcc, v13, v1
	v_cndmask_b32_e32 v13, v13, v1, vcc
	s_andn2_b64 exec, exec, s[26:27]
	s_cbranch_execnz .LBB201_12
; %bb.13:                               ;   in Loop: Header=BB201_7 Depth=2
	s_or_b64 exec, exec, s[26:27]
	s_or_b64 exec, exec, s[4:5]
	v_mov_b32_e32 v14, 0
	s_and_saveexec_b64 s[4:5], s[2:3]
	s_cbranch_execz .LBB201_10
.LBB201_14:                             ;   in Loop: Header=BB201_7 Depth=2
	s_mov_b64 s[26:27], 0
	v_mov_b32_e32 v14, 0
	v_mov_b32_e32 v0, v11
	;; [unrolled: 1-line block ×3, first 2 shown]
.LBB201_15:                             ;   Parent Loop BB201_3 Depth=1
                                        ;     Parent Loop BB201_7 Depth=2
                                        ; =>    This Inner Loop Header: Depth=3
	v_ashrrev_i32_e32 v1, 31, v0
	v_lshlrev_b64 v[16:17], 1, v[0:1]
	v_mov_b32_e32 v1, s15
	v_add_co_u32_e32 v16, vcc, s14, v16
	v_addc_co_u32_e32 v17, vcc, v1, v17, vcc
	global_load_ushort v1, v[16:17], off
	v_add_u32_e32 v15, s36, v15
	v_cmp_le_i32_e32 vcc, s9, v15
	s_or_b64 s[26:27], vcc, s[26:27]
	v_add_u32_e32 v0, s37, v0
	s_waitcnt vmcnt(0)
	v_lshlrev_b32_e32 v1, 16, v1
	v_sub_f32_e32 v1, v1, v13
	v_mul_f32_e32 v16, 0x3fb8aa3b, v1
	v_fma_f32 v17, v1, s19, -v16
	v_rndne_f32_e32 v18, v16
	v_fmac_f32_e32 v17, 0x32a5705f, v1
	v_sub_f32_e32 v16, v16, v18
	v_add_f32_e32 v16, v16, v17
	v_cvt_i32_f32_e32 v18, v18
	v_exp_f32_e32 v16, v16
	v_cmp_ngt_f32_e32 vcc, s30, v1
	v_ldexp_f32 v16, v16, v18
	v_cndmask_b32_e32 v16, 0, v16, vcc
	v_cmp_nlt_f32_e32 vcc, s31, v1
	v_cndmask_b32_e32 v1, v6, v16, vcc
	v_add_f32_e32 v14, v14, v1
	s_andn2_b64 exec, exec, s[26:27]
	s_cbranch_execnz .LBB201_15
; %bb.16:                               ;   in Loop: Header=BB201_7 Depth=2
	s_or_b64 exec, exec, s[26:27]
	s_or_b64 exec, exec, s[4:5]
	s_and_saveexec_b64 s[26:27], s[2:3]
	s_cbranch_execz .LBB201_19
.LBB201_17:                             ;   in Loop: Header=BB201_7 Depth=2
	v_cmp_gt_f32_e32 vcc, s34, v14
	v_cndmask_b32_e32 v0, 1.0, v7, vcc
	v_mul_f32_e32 v0, v14, v0
	v_log_f32_e32 v0, v0
	v_cndmask_b32_e32 v1, 0, v8, vcc
	s_mov_b64 s[28:29], 0
	v_mul_f32_e32 v14, 0x3f317217, v0
	v_fma_f32 v15, v0, s35, -v14
	v_fmac_f32_e32 v15, 0x3377d1cf, v0
	v_add_f32_e32 v14, v14, v15
	v_cmp_lt_f32_e64 vcc, |v0|, s33
	v_cndmask_b32_e32 v0, v0, v14, vcc
	v_sub_f32_e32 v14, v0, v1
	v_mov_b32_e32 v0, v11
	v_mov_b32_e32 v15, v4
.LBB201_18:                             ;   Parent Loop BB201_3 Depth=1
                                        ;     Parent Loop BB201_7 Depth=2
                                        ; =>    This Inner Loop Header: Depth=3
	v_ashrrev_i32_e32 v1, 31, v0
	v_lshlrev_b64 v[16:17], 1, v[0:1]
	v_mov_b32_e32 v18, s15
	v_add_co_u32_e32 v16, vcc, s14, v16
	v_addc_co_u32_e32 v17, vcc, v18, v17, vcc
	global_load_ushort v18, v[16:17], off
	v_add_u32_e32 v15, s36, v15
	v_lshlrev_b64 v[16:17], 2, v[0:1]
	v_mov_b32_e32 v19, s13
	v_cmp_le_i32_e32 vcc, s9, v15
	v_add_co_u32_e64 v16, s[4:5], s12, v16
	v_addc_co_u32_e64 v17, s[4:5], v19, v17, s[4:5]
	s_or_b64 s[28:29], vcc, s[28:29]
	v_add_u32_e32 v0, s37, v0
	s_waitcnt vmcnt(0)
	v_lshlrev_b32_e32 v1, 16, v18
	v_sub_f32_e32 v1, v1, v13
	v_sub_f32_e32 v1, v1, v14
	global_store_dword v[16:17], v1, off
	s_andn2_b64 exec, exec, s[28:29]
	s_cbranch_execnz .LBB201_18
.LBB201_19:                             ;   in Loop: Header=BB201_7 Depth=2
	s_or_b64 exec, exec, s[26:27]
	s_mov_b64 s[4:5], 0
.LBB201_20:                             ;   in Loop: Header=BB201_7 Depth=2
	s_and_b64 vcc, exec, s[4:5]
	s_cbranch_vccz .LBB201_6
; %bb.21:                               ;   in Loop: Header=BB201_7 Depth=2
	v_mov_b32_e32 v13, 0xff7fffff
	s_and_saveexec_b64 s[4:5], s[2:3]
	s_cbranch_execz .LBB201_25
; %bb.22:                               ;   in Loop: Header=BB201_7 Depth=2
	s_mov_b64 s[26:27], 0
	v_mov_b32_e32 v13, 0xff7fffff
	v_mov_b32_e32 v0, v11
	;; [unrolled: 1-line block ×3, first 2 shown]
.LBB201_23:                             ;   Parent Loop BB201_3 Depth=1
                                        ;     Parent Loop BB201_7 Depth=2
                                        ; =>    This Inner Loop Header: Depth=3
	v_ashrrev_i32_e32 v1, 31, v0
	v_lshlrev_b64 v[16:17], 1, v[0:1]
	v_mov_b32_e32 v15, s15
	v_add_co_u32_e32 v16, vcc, s14, v16
	v_addc_co_u32_e32 v17, vcc, v15, v17, vcc
	global_load_ushort v1, v[16:17], off
	v_add_u32_e32 v14, s36, v14
	v_cmp_le_i32_e32 vcc, s9, v14
	s_or_b64 s[26:27], vcc, s[26:27]
	v_add_u32_e32 v0, s37, v0
	s_waitcnt vmcnt(0)
	v_lshlrev_b32_e32 v1, 16, v1
	v_cmp_lt_f32_e32 vcc, v13, v1
	v_cndmask_b32_e32 v13, v13, v1, vcc
	s_andn2_b64 exec, exec, s[26:27]
	s_cbranch_execnz .LBB201_23
; %bb.24:                               ;   in Loop: Header=BB201_7 Depth=2
	s_or_b64 exec, exec, s[26:27]
.LBB201_25:                             ;   in Loop: Header=BB201_7 Depth=2
	s_or_b64 exec, exec, s[4:5]
	s_mov_b32 s26, s36
	s_barrier
	ds_write_b32 v10, v13
	s_branch .LBB201_27
.LBB201_26:                             ;   in Loop: Header=BB201_27 Depth=3
	s_or_b64 exec, exec, s[4:5]
	s_cmp_gt_u32 s26, 3
	s_mov_b32 s26, s27
	s_cbranch_scc0 .LBB201_29
.LBB201_27:                             ;   Parent Loop BB201_3 Depth=1
                                        ;     Parent Loop BB201_7 Depth=2
                                        ; =>    This Inner Loop Header: Depth=3
	s_lshr_b32 s27, s26, 1
	v_cmp_gt_u32_e32 vcc, s27, v4
	s_waitcnt lgkmcnt(0)
	s_barrier
	s_and_saveexec_b64 s[4:5], vcc
	s_cbranch_execz .LBB201_26
; %bb.28:                               ;   in Loop: Header=BB201_27 Depth=3
	v_lshl_add_u32 v0, s27, 2, v10
	ds_read_b32 v1, v10
	ds_read_b32 v0, v0
	s_waitcnt lgkmcnt(0)
	v_cmp_lt_f32_e32 vcc, v1, v0
	v_cndmask_b32_e32 v0, v1, v0, vcc
	ds_write_b32 v10, v0
	s_branch .LBB201_26
.LBB201_29:                             ;   in Loop: Header=BB201_7 Depth=2
	s_waitcnt lgkmcnt(0)
	s_barrier
	ds_read_b32 v13, v9
	v_mov_b32_e32 v14, 0
	s_and_saveexec_b64 s[4:5], s[2:3]
	s_cbranch_execz .LBB201_33
; %bb.30:                               ;   in Loop: Header=BB201_7 Depth=2
	s_mov_b64 s[26:27], 0
	v_mov_b32_e32 v14, 0
	v_mov_b32_e32 v0, v11
	v_mov_b32_e32 v15, v4
.LBB201_31:                             ;   Parent Loop BB201_3 Depth=1
                                        ;     Parent Loop BB201_7 Depth=2
                                        ; =>    This Inner Loop Header: Depth=3
	v_ashrrev_i32_e32 v1, 31, v0
	v_lshlrev_b64 v[16:17], 1, v[0:1]
	v_mov_b32_e32 v1, s15
	v_add_co_u32_e32 v16, vcc, s14, v16
	v_addc_co_u32_e32 v17, vcc, v1, v17, vcc
	global_load_ushort v1, v[16:17], off
	v_add_u32_e32 v15, s36, v15
	v_cmp_le_i32_e32 vcc, s9, v15
	s_or_b64 s[26:27], vcc, s[26:27]
	v_add_u32_e32 v0, s37, v0
	s_waitcnt vmcnt(0)
	v_lshlrev_b32_e32 v1, 16, v1
	s_waitcnt lgkmcnt(0)
	v_sub_f32_e32 v1, v1, v13
	v_mul_f32_e32 v16, 0x3fb8aa3b, v1
	v_fma_f32 v17, v1, s19, -v16
	v_rndne_f32_e32 v18, v16
	v_fmac_f32_e32 v17, 0x32a5705f, v1
	v_sub_f32_e32 v16, v16, v18
	v_add_f32_e32 v16, v16, v17
	v_cvt_i32_f32_e32 v18, v18
	v_exp_f32_e32 v16, v16
	v_cmp_ngt_f32_e32 vcc, s30, v1
	v_ldexp_f32 v16, v16, v18
	v_cndmask_b32_e32 v16, 0, v16, vcc
	v_cmp_nlt_f32_e32 vcc, s31, v1
	v_cndmask_b32_e32 v1, v6, v16, vcc
	v_add_f32_e32 v14, v14, v1
	s_andn2_b64 exec, exec, s[26:27]
	s_cbranch_execnz .LBB201_31
; %bb.32:                               ;   in Loop: Header=BB201_7 Depth=2
	s_or_b64 exec, exec, s[26:27]
.LBB201_33:                             ;   in Loop: Header=BB201_7 Depth=2
	s_or_b64 exec, exec, s[4:5]
	s_mov_b32 s26, s36
	s_waitcnt lgkmcnt(0)
	s_barrier
	ds_write_b32 v10, v14
	s_branch .LBB201_35
.LBB201_34:                             ;   in Loop: Header=BB201_35 Depth=3
	s_or_b64 exec, exec, s[4:5]
	s_cmp_gt_u32 s26, 3
	s_mov_b32 s26, s27
	s_cbranch_scc0 .LBB201_37
.LBB201_35:                             ;   Parent Loop BB201_3 Depth=1
                                        ;     Parent Loop BB201_7 Depth=2
                                        ; =>    This Inner Loop Header: Depth=3
	s_lshr_b32 s27, s26, 1
	v_cmp_gt_u32_e32 vcc, s27, v4
	s_waitcnt lgkmcnt(0)
	s_barrier
	s_and_saveexec_b64 s[4:5], vcc
	s_cbranch_execz .LBB201_34
; %bb.36:                               ;   in Loop: Header=BB201_35 Depth=3
	v_lshl_add_u32 v0, s27, 2, v10
	ds_read_b32 v1, v10
	ds_read_b32 v0, v0
	s_waitcnt lgkmcnt(0)
	v_add_f32_e32 v0, v1, v0
	ds_write_b32 v10, v0
	s_branch .LBB201_34
.LBB201_37:                             ;   in Loop: Header=BB201_7 Depth=2
	s_waitcnt lgkmcnt(0)
	s_barrier
	s_and_saveexec_b64 s[26:27], s[2:3]
	s_cbranch_execz .LBB201_5
; %bb.38:                               ;   in Loop: Header=BB201_7 Depth=2
	ds_read_b32 v0, v9
	s_mov_b64 s[28:29], 0
	s_waitcnt lgkmcnt(0)
	v_cmp_gt_f32_e32 vcc, s34, v0
	v_cndmask_b32_e32 v1, 1.0, v7, vcc
	v_mul_f32_e32 v0, v0, v1
	v_log_f32_e32 v1, v0
	v_cndmask_b32_e32 v14, 0, v8, vcc
	v_mov_b32_e32 v0, v11
	v_mul_f32_e32 v15, 0x3f317217, v1
	v_fma_f32 v16, v1, s35, -v15
	v_fmac_f32_e32 v16, 0x3377d1cf, v1
	v_add_f32_e32 v15, v15, v16
	v_cmp_lt_f32_e64 vcc, |v1|, s33
	v_cndmask_b32_e32 v1, v1, v15, vcc
	v_sub_f32_e32 v14, v1, v14
	v_mov_b32_e32 v15, v4
.LBB201_39:                             ;   Parent Loop BB201_3 Depth=1
                                        ;     Parent Loop BB201_7 Depth=2
                                        ; =>    This Inner Loop Header: Depth=3
	v_ashrrev_i32_e32 v1, 31, v0
	v_lshlrev_b64 v[16:17], 1, v[0:1]
	v_mov_b32_e32 v18, s15
	v_add_co_u32_e32 v16, vcc, s14, v16
	v_addc_co_u32_e32 v17, vcc, v18, v17, vcc
	global_load_ushort v18, v[16:17], off
	v_add_u32_e32 v15, s36, v15
	v_lshlrev_b64 v[16:17], 2, v[0:1]
	v_mov_b32_e32 v19, s13
	v_cmp_le_i32_e32 vcc, s9, v15
	v_add_co_u32_e64 v16, s[4:5], s12, v16
	v_addc_co_u32_e64 v17, s[4:5], v19, v17, s[4:5]
	s_or_b64 s[28:29], vcc, s[28:29]
	v_add_u32_e32 v0, s37, v0
	s_waitcnt vmcnt(0)
	v_lshlrev_b32_e32 v1, 16, v18
	v_sub_f32_e32 v1, v1, v13
	v_sub_f32_e32 v1, v1, v14
	global_store_dword v[16:17], v1, off
	s_andn2_b64 exec, exec, s[28:29]
	s_cbranch_execnz .LBB201_39
	s_branch .LBB201_5
.LBB201_40:
	s_endpgm
	.section	.rodata,"a",@progbits
	.p2align	6, 0x0
	.amdhsa_kernel _ZN2at6native12_GLOBAL__N_126cunn_SpatialSoftMaxForwardIN3c108BFloat16EffiNS1_25LogSoftMaxForwardEpilogueEEEvPT1_PKT_T2_SB_SB_
		.amdhsa_group_segment_fixed_size 0
		.amdhsa_private_segment_fixed_size 0
		.amdhsa_kernarg_size 288
		.amdhsa_user_sgpr_count 6
		.amdhsa_user_sgpr_private_segment_buffer 1
		.amdhsa_user_sgpr_dispatch_ptr 0
		.amdhsa_user_sgpr_queue_ptr 0
		.amdhsa_user_sgpr_kernarg_segment_ptr 1
		.amdhsa_user_sgpr_dispatch_id 0
		.amdhsa_user_sgpr_flat_scratch_init 0
		.amdhsa_user_sgpr_kernarg_preload_length 0
		.amdhsa_user_sgpr_kernarg_preload_offset 0
		.amdhsa_user_sgpr_private_segment_size 0
		.amdhsa_uses_dynamic_stack 0
		.amdhsa_system_sgpr_private_segment_wavefront_offset 0
		.amdhsa_system_sgpr_workgroup_id_x 1
		.amdhsa_system_sgpr_workgroup_id_y 1
		.amdhsa_system_sgpr_workgroup_id_z 0
		.amdhsa_system_sgpr_workgroup_info 0
		.amdhsa_system_vgpr_workitem_id 1
		.amdhsa_next_free_vgpr 20
		.amdhsa_next_free_sgpr 38
		.amdhsa_accum_offset 20
		.amdhsa_reserve_vcc 1
		.amdhsa_reserve_flat_scratch 0
		.amdhsa_float_round_mode_32 0
		.amdhsa_float_round_mode_16_64 0
		.amdhsa_float_denorm_mode_32 3
		.amdhsa_float_denorm_mode_16_64 3
		.amdhsa_dx10_clamp 1
		.amdhsa_ieee_mode 1
		.amdhsa_fp16_overflow 0
		.amdhsa_tg_split 0
		.amdhsa_exception_fp_ieee_invalid_op 0
		.amdhsa_exception_fp_denorm_src 0
		.amdhsa_exception_fp_ieee_div_zero 0
		.amdhsa_exception_fp_ieee_overflow 0
		.amdhsa_exception_fp_ieee_underflow 0
		.amdhsa_exception_fp_ieee_inexact 0
		.amdhsa_exception_int_div_zero 0
	.end_amdhsa_kernel
	.section	.text._ZN2at6native12_GLOBAL__N_126cunn_SpatialSoftMaxForwardIN3c108BFloat16EffiNS1_25LogSoftMaxForwardEpilogueEEEvPT1_PKT_T2_SB_SB_,"axG",@progbits,_ZN2at6native12_GLOBAL__N_126cunn_SpatialSoftMaxForwardIN3c108BFloat16EffiNS1_25LogSoftMaxForwardEpilogueEEEvPT1_PKT_T2_SB_SB_,comdat
.Lfunc_end201:
	.size	_ZN2at6native12_GLOBAL__N_126cunn_SpatialSoftMaxForwardIN3c108BFloat16EffiNS1_25LogSoftMaxForwardEpilogueEEEvPT1_PKT_T2_SB_SB_, .Lfunc_end201-_ZN2at6native12_GLOBAL__N_126cunn_SpatialSoftMaxForwardIN3c108BFloat16EffiNS1_25LogSoftMaxForwardEpilogueEEEvPT1_PKT_T2_SB_SB_
                                        ; -- End function
	.section	.AMDGPU.csdata,"",@progbits
; Kernel info:
; codeLenInByte = 1628
; NumSgprs: 42
; NumVgprs: 20
; NumAgprs: 0
; TotalNumVgprs: 20
; ScratchSize: 0
; MemoryBound: 0
; FloatMode: 240
; IeeeMode: 1
; LDSByteSize: 0 bytes/workgroup (compile time only)
; SGPRBlocks: 5
; VGPRBlocks: 2
; NumSGPRsForWavesPerEU: 42
; NumVGPRsForWavesPerEU: 20
; AccumOffset: 20
; Occupancy: 8
; WaveLimiterHint : 0
; COMPUTE_PGM_RSRC2:SCRATCH_EN: 0
; COMPUTE_PGM_RSRC2:USER_SGPR: 6
; COMPUTE_PGM_RSRC2:TRAP_HANDLER: 0
; COMPUTE_PGM_RSRC2:TGID_X_EN: 1
; COMPUTE_PGM_RSRC2:TGID_Y_EN: 1
; COMPUTE_PGM_RSRC2:TGID_Z_EN: 0
; COMPUTE_PGM_RSRC2:TIDIG_COMP_CNT: 1
; COMPUTE_PGM_RSRC3_GFX90A:ACCUM_OFFSET: 4
; COMPUTE_PGM_RSRC3_GFX90A:TG_SPLIT: 0
	.section	.text._ZN2at6native12_GLOBAL__N_126cunn_SpatialSoftMaxForwardIN3c108BFloat16EfS4_lNS1_25LogSoftMaxForwardEpilogueEEEvPT1_PKT_T2_SB_SB_,"axG",@progbits,_ZN2at6native12_GLOBAL__N_126cunn_SpatialSoftMaxForwardIN3c108BFloat16EfS4_lNS1_25LogSoftMaxForwardEpilogueEEEvPT1_PKT_T2_SB_SB_,comdat
	.globl	_ZN2at6native12_GLOBAL__N_126cunn_SpatialSoftMaxForwardIN3c108BFloat16EfS4_lNS1_25LogSoftMaxForwardEpilogueEEEvPT1_PKT_T2_SB_SB_ ; -- Begin function _ZN2at6native12_GLOBAL__N_126cunn_SpatialSoftMaxForwardIN3c108BFloat16EfS4_lNS1_25LogSoftMaxForwardEpilogueEEEvPT1_PKT_T2_SB_SB_
	.p2align	8
	.type	_ZN2at6native12_GLOBAL__N_126cunn_SpatialSoftMaxForwardIN3c108BFloat16EfS4_lNS1_25LogSoftMaxForwardEpilogueEEEvPT1_PKT_T2_SB_SB_,@function
_ZN2at6native12_GLOBAL__N_126cunn_SpatialSoftMaxForwardIN3c108BFloat16EfS4_lNS1_25LogSoftMaxForwardEpilogueEEEvPT1_PKT_T2_SB_SB_: ; @_ZN2at6native12_GLOBAL__N_126cunn_SpatialSoftMaxForwardIN3c108BFloat16EfS4_lNS1_25LogSoftMaxForwardEpilogueEEEvPT1_PKT_T2_SB_SB_
; %bb.0:
	s_load_dwordx8 s[8:15], s[4:5], 0x0
	s_mov_b32 s0, s7
	s_mov_b32 s7, 0
	s_waitcnt lgkmcnt(0)
	v_pk_mov_b32 v[2:3], s[12:13], s[12:13] op_sel:[0,1]
	v_cmp_ge_i64_e32 vcc, s[6:7], v[2:3]
	s_cbranch_vccnz .LBB202_40
; %bb.1:
	s_load_dword s1, s[4:5], 0x34
	s_load_dwordx4 s[16:19], s[4:5], 0x20
	s_add_u32 s20, s4, 40
	v_bfe_u32 v22, v0, 10, 10
	s_addc_u32 s21, s5, 0
	s_waitcnt lgkmcnt(0)
	s_lshr_b32 s4, s1, 16
	v_and_b32_e32 v0, 0x3ff, v0
	s_mul_i32 s0, s0, s4
	s_mul_i32 s22, s19, s4
	v_mad_u64_u32 v[4:5], s[4:5], s16, v0, 0
	v_mov_b32_e32 v6, v5
	v_mad_u64_u32 v[6:7], s[4:5], s17, v0, v[6:7]
	s_mul_i32 s4, s16, s15
	s_mul_hi_u32 s5, s16, s14
	s_add_i32 s4, s5, s4
	s_mul_i32 s5, s17, s14
	v_add_u32_e32 v2, s0, v22
	v_mov_b32_e32 v3, 0
	s_add_i32 s19, s4, s5
	s_mul_i32 s24, s16, s14
	v_mov_b32_e32 v8, s6
	v_mov_b32_e32 v5, v6
	s_mul_i32 s25, s19, s6
	v_mad_u64_u32 v[6:7], s[4:5], s24, v8, v[2:3]
	v_add_u32_e32 v7, s25, v7
	v_lshlrev_b64 v[4:5], 1, v[4:5]
	v_lshlrev_b64 v[6:7], 1, v[6:7]
	v_add_co_u32_e32 v4, vcc, v4, v6
	v_addc_co_u32_e32 v5, vcc, v5, v7, vcc
	s_mul_i32 s19, s19, s18
	s_mul_hi_u32 s4, s24, s18
	v_mov_b32_e32 v1, v3
	v_mov_b32_e32 v6, s11
	v_add_co_u32_e32 v4, vcc, s10, v4
	s_add_i32 s5, s4, s19
	s_mul_i32 s4, s24, s18
	v_addc_co_u32_e32 v5, vcc, v6, v5, vcc
	s_lshl_b64 s[24:25], s[4:5], 1
	s_mul_i32 s19, s15, s6
	v_mad_u64_u32 v[6:7], s[4:5], s14, v8, v[0:1]
	v_add_u32_e32 v7, s19, v7
	v_mul_lo_u32 v7, s16, v7
	v_mad_u64_u32 v[8:9], s[4:5], s16, v6, v[2:3]
	v_mul_lo_u32 v6, s17, v6
	v_add3_u32 v9, v6, v9, v7
	v_lshlrev_b64 v[8:9], 1, v[8:9]
	v_mov_b32_e32 v7, s11
	v_add_co_u32_e32 v6, vcc, s10, v8
	v_addc_co_u32_e32 v7, vcc, v7, v9, vcc
	s_mov_b32 s23, s7
	v_mov_b32_e32 v10, s9
	v_add_co_u32_e32 v8, vcc, s8, v8
	v_cmp_gt_i64_e64 s[0:1], s[16:17], v[2:3]
	v_cmp_gt_i64_e64 s[2:3], s[14:15], v[0:1]
	s_lshl_b64 s[26:27], s[22:23], 1
	s_lshl_b64 s[28:29], s[16:17], 1
	v_addc_co_u32_e32 v9, vcc, v10, v9, vcc
	s_mov_b32 s19, 0x3fb8aa3b
	s_mov_b32 s33, 0xc2ce8ed0
	;; [unrolled: 1-line block ×6, first 2 shown]
	s_movk_i32 s46, 0x7fff
	v_mov_b32_e32 v23, 0x7f800000
	v_mov_b32_e32 v24, 0x4f800000
	;; [unrolled: 1-line block ×4, first 2 shown]
	s_mov_b64 s[8:9], s[6:7]
	s_branch .LBB202_3
.LBB202_2:                              ;   in Loop: Header=BB202_3 Depth=1
	s_or_b64 exec, exec, s[10:11]
	v_mov_b32_e32 v10, s25
	v_add_co_u32_e32 v4, vcc, s24, v4
	v_addc_co_u32_e32 v5, vcc, v5, v10, vcc
	v_add_co_u32_e32 v6, vcc, s24, v6
	v_addc_co_u32_e32 v7, vcc, v7, v10, vcc
	s_add_u32 s8, s8, s18
	v_add_co_u32_e32 v8, vcc, s24, v8
	s_addc_u32 s9, s9, 0
	v_addc_co_u32_e32 v9, vcc, v9, v10, vcc
	v_pk_mov_b32 v[10:11], s[12:13], s[12:13] op_sel:[0,1]
	v_cmp_ge_i64_e32 vcc, s[8:9], v[10:11]
	s_cbranch_vccnz .LBB202_40
.LBB202_3:                              ; =>This Loop Header: Depth=1
                                        ;     Child Loop BB202_7 Depth 2
                                        ;       Child Loop BB202_12 Depth 3
                                        ;       Child Loop BB202_15 Depth 3
	;; [unrolled: 1-line block ×8, first 2 shown]
	s_and_saveexec_b64 s[10:11], s[0:1]
	s_cbranch_execz .LBB202_2
; %bb.4:                                ;   in Loop: Header=BB202_3 Depth=1
	s_load_dword s4, s[20:21], 0xc
	s_mov_b64 s[34:35], 0
	v_mov_b32_e32 v29, s7
	v_pk_mov_b32 v[12:13], v[6:7], v[6:7] op_sel:[0,1]
	v_pk_mov_b32 v[14:15], v[4:5], v[4:5] op_sel:[0,1]
	s_waitcnt lgkmcnt(0)
	s_and_b32 s6, s4, 0xffff
	v_cmp_lt_u16_e64 s[30:31], s4, 2
	v_mul_u32_u24_e32 v10, s6, v22
	s_mul_i32 s4, s29, s6
	s_mul_hi_u32 s5, s28, s6
	v_lshl_add_u32 v27, v10, 2, 0
	s_add_i32 s47, s5, s4
	v_lshl_add_u32 v28, v0, 2, v27
	s_mul_i32 s48, s28, s6
	v_mov_b32_e32 v30, s47
	v_pk_mov_b32 v[10:11], v[8:9], v[8:9] op_sel:[0,1]
	v_pk_mov_b32 v[16:17], v[2:3], v[2:3] op_sel:[0,1]
	s_branch .LBB202_7
.LBB202_5:                              ;   in Loop: Header=BB202_7 Depth=2
	s_or_b64 exec, exec, s[36:37]
.LBB202_6:                              ;   in Loop: Header=BB202_7 Depth=2
	v_mov_b32_e32 v18, s23
	v_add_co_u32_e32 v16, vcc, s22, v16
	v_addc_co_u32_e32 v17, vcc, v17, v18, vcc
	v_mov_b32_e32 v18, s27
	v_add_co_u32_e32 v14, vcc, s26, v14
	v_addc_co_u32_e32 v15, vcc, v15, v18, vcc
	v_add_co_u32_e32 v12, vcc, s26, v12
	v_addc_co_u32_e32 v13, vcc, v13, v18, vcc
	v_cmp_le_i64_e32 vcc, s[16:17], v[16:17]
	s_or_b64 s[34:35], vcc, s[34:35]
	v_add_co_u32_e32 v10, vcc, s26, v10
	v_addc_co_u32_e32 v11, vcc, v11, v18, vcc
	s_andn2_b64 exec, exec, s[34:35]
	s_cbranch_execz .LBB202_2
.LBB202_7:                              ;   Parent Loop BB202_3 Depth=1
                                        ; =>  This Loop Header: Depth=2
                                        ;       Child Loop BB202_12 Depth 3
                                        ;       Child Loop BB202_15 Depth 3
	;; [unrolled: 1-line block ×8, first 2 shown]
	s_mov_b64 s[4:5], -1
	s_and_b64 vcc, exec, s[30:31]
	s_cbranch_vccz .LBB202_20
; %bb.8:                                ;   in Loop: Header=BB202_7 Depth=2
	v_mov_b32_e32 v31, 0xff7fffff
	s_and_saveexec_b64 s[4:5], s[2:3]
	s_cbranch_execnz .LBB202_11
; %bb.9:                                ;   in Loop: Header=BB202_7 Depth=2
	s_or_b64 exec, exec, s[4:5]
	v_mov_b32_e32 v32, 0
	s_and_saveexec_b64 s[36:37], s[2:3]
	s_cbranch_execnz .LBB202_14
.LBB202_10:                             ;   in Loop: Header=BB202_7 Depth=2
	s_or_b64 exec, exec, s[36:37]
	s_and_saveexec_b64 s[36:37], s[2:3]
	s_cbranch_execnz .LBB202_17
	s_branch .LBB202_19
.LBB202_11:                             ;   in Loop: Header=BB202_7 Depth=2
	s_mov_b64 s[36:37], 0
	v_mov_b32_e32 v31, 0xff7fffff
	v_pk_mov_b32 v[18:19], v[14:15], v[14:15] op_sel:[0,1]
	v_pk_mov_b32 v[20:21], v[0:1], v[0:1] op_sel:[0,1]
.LBB202_12:                             ;   Parent Loop BB202_3 Depth=1
                                        ;     Parent Loop BB202_7 Depth=2
                                        ; =>    This Inner Loop Header: Depth=3
	global_load_ushort v32, v[18:19], off
	v_add_co_u32_e32 v20, vcc, s6, v20
	v_addc_co_u32_e32 v21, vcc, v21, v29, vcc
	v_add_co_u32_e32 v18, vcc, s48, v18
	v_addc_co_u32_e32 v19, vcc, v19, v30, vcc
	v_cmp_le_i64_e32 vcc, s[14:15], v[20:21]
	s_or_b64 s[36:37], vcc, s[36:37]
	s_waitcnt vmcnt(0)
	v_lshlrev_b32_e32 v32, 16, v32
	v_cmp_lt_f32_e32 vcc, v31, v32
	v_cndmask_b32_e32 v31, v31, v32, vcc
	s_andn2_b64 exec, exec, s[36:37]
	s_cbranch_execnz .LBB202_12
; %bb.13:                               ;   in Loop: Header=BB202_7 Depth=2
	s_or_b64 exec, exec, s[36:37]
	s_or_b64 exec, exec, s[4:5]
	v_mov_b32_e32 v32, 0
	s_and_saveexec_b64 s[36:37], s[2:3]
	s_cbranch_execz .LBB202_10
.LBB202_14:                             ;   in Loop: Header=BB202_7 Depth=2
	s_mov_b64 s[38:39], 0
	v_mov_b32_e32 v32, 0
	v_pk_mov_b32 v[18:19], v[14:15], v[14:15] op_sel:[0,1]
	v_pk_mov_b32 v[20:21], v[0:1], v[0:1] op_sel:[0,1]
.LBB202_15:                             ;   Parent Loop BB202_3 Depth=1
                                        ;     Parent Loop BB202_7 Depth=2
                                        ; =>    This Inner Loop Header: Depth=3
	global_load_ushort v33, v[18:19], off
	v_mov_b32_e32 v34, s7
	v_add_co_u32_e64 v20, s[4:5], s6, v20
	v_mov_b32_e32 v35, s47
	v_add_co_u32_e32 v18, vcc, s48, v18
	v_addc_co_u32_e64 v21, s[4:5], v21, v34, s[4:5]
	v_addc_co_u32_e32 v19, vcc, v19, v35, vcc
	v_cmp_le_i64_e32 vcc, s[14:15], v[20:21]
	s_or_b64 s[38:39], vcc, s[38:39]
	s_waitcnt vmcnt(0)
	v_lshlrev_b32_e32 v33, 16, v33
	v_sub_f32_e32 v33, v33, v31
	v_mul_f32_e32 v34, 0x3fb8aa3b, v33
	v_fma_f32 v35, v33, s19, -v34
	v_rndne_f32_e32 v36, v34
	v_fmac_f32_e32 v35, 0x32a5705f, v33
	v_sub_f32_e32 v34, v34, v36
	v_add_f32_e32 v34, v34, v35
	v_cvt_i32_f32_e32 v36, v36
	v_exp_f32_e32 v34, v34
	v_cmp_ngt_f32_e32 vcc, s33, v33
	v_ldexp_f32 v34, v34, v36
	v_cndmask_b32_e32 v34, 0, v34, vcc
	v_cmp_nlt_f32_e32 vcc, s42, v33
	v_cndmask_b32_e32 v33, v23, v34, vcc
	v_add_f32_e32 v32, v32, v33
	s_andn2_b64 exec, exec, s[38:39]
	s_cbranch_execnz .LBB202_15
; %bb.16:                               ;   in Loop: Header=BB202_7 Depth=2
	s_or_b64 exec, exec, s[38:39]
	s_or_b64 exec, exec, s[36:37]
	s_and_saveexec_b64 s[36:37], s[2:3]
	s_cbranch_execz .LBB202_19
.LBB202_17:                             ;   in Loop: Header=BB202_7 Depth=2
	v_cmp_gt_f32_e32 vcc, s44, v32
	v_cndmask_b32_e32 v18, 1.0, v24, vcc
	v_mul_f32_e32 v18, v32, v18
	v_log_f32_e32 v18, v18
	v_cndmask_b32_e32 v19, 0, v25, vcc
	s_mov_b64 s[38:39], 0
	s_mov_b64 s[40:41], 0
	v_mul_f32_e32 v20, 0x3f317217, v18
	v_fma_f32 v21, v18, s45, -v20
	v_fmac_f32_e32 v21, 0x3377d1cf, v18
	v_add_f32_e32 v20, v20, v21
	v_cmp_lt_f32_e64 vcc, |v18|, s43
	v_cndmask_b32_e32 v18, v18, v20, vcc
	v_sub_f32_e32 v20, v18, v19
	v_pk_mov_b32 v[18:19], v[0:1], v[0:1] op_sel:[0,1]
.LBB202_18:                             ;   Parent Loop BB202_3 Depth=1
                                        ;     Parent Loop BB202_7 Depth=2
                                        ; =>    This Inner Loop Header: Depth=3
	v_mov_b32_e32 v21, s41
	v_add_co_u32_e32 v32, vcc, s40, v12
	v_addc_co_u32_e32 v33, vcc, v13, v21, vcc
	global_load_ushort v34, v[32:33], off
	v_add_co_u32_e64 v32, s[4:5], s40, v10
	v_addc_co_u32_e64 v33, s[4:5], v11, v21, s[4:5]
	v_mov_b32_e32 v35, s7
	v_add_co_u32_e32 v18, vcc, s6, v18
	s_add_u32 s40, s40, s48
	v_addc_co_u32_e32 v19, vcc, v19, v35, vcc
	s_addc_u32 s41, s41, s47
	v_cmp_le_i64_e32 vcc, s[14:15], v[18:19]
	s_or_b64 s[38:39], vcc, s[38:39]
	s_waitcnt vmcnt(0)
	v_lshlrev_b32_e32 v21, 16, v34
	v_sub_f32_e32 v21, v21, v31
	v_sub_f32_e32 v21, v21, v20
	v_bfe_u32 v34, v21, 16, 1
	v_add3_u32 v34, v21, v34, s46
	v_lshrrev_b32_e32 v34, 16, v34
	v_cmp_o_f32_e32 vcc, v21, v21
	v_cndmask_b32_e32 v21, v26, v34, vcc
	global_store_short v[32:33], v21, off
	s_andn2_b64 exec, exec, s[38:39]
	s_cbranch_execnz .LBB202_18
.LBB202_19:                             ;   in Loop: Header=BB202_7 Depth=2
	s_or_b64 exec, exec, s[36:37]
	s_mov_b64 s[4:5], 0
.LBB202_20:                             ;   in Loop: Header=BB202_7 Depth=2
	s_and_b64 vcc, exec, s[4:5]
	s_cbranch_vccz .LBB202_6
; %bb.21:                               ;   in Loop: Header=BB202_7 Depth=2
	v_mov_b32_e32 v31, 0xff7fffff
	s_and_saveexec_b64 s[36:37], s[2:3]
	s_cbranch_execz .LBB202_25
; %bb.22:                               ;   in Loop: Header=BB202_7 Depth=2
	s_mov_b64 s[38:39], 0
	v_mov_b32_e32 v31, 0xff7fffff
	v_pk_mov_b32 v[18:19], v[14:15], v[14:15] op_sel:[0,1]
	v_pk_mov_b32 v[20:21], v[0:1], v[0:1] op_sel:[0,1]
.LBB202_23:                             ;   Parent Loop BB202_3 Depth=1
                                        ;     Parent Loop BB202_7 Depth=2
                                        ; =>    This Inner Loop Header: Depth=3
	global_load_ushort v32, v[18:19], off
	v_mov_b32_e32 v33, s7
	v_mov_b32_e32 v34, s47
	v_add_co_u32_e32 v18, vcc, s48, v18
	v_add_co_u32_e64 v20, s[4:5], s6, v20
	v_addc_co_u32_e64 v21, s[4:5], v21, v33, s[4:5]
	v_addc_co_u32_e32 v19, vcc, v19, v34, vcc
	v_cmp_le_i64_e32 vcc, s[14:15], v[20:21]
	s_or_b64 s[38:39], vcc, s[38:39]
	s_waitcnt vmcnt(0)
	v_lshlrev_b32_e32 v32, 16, v32
	v_cmp_lt_f32_e32 vcc, v31, v32
	v_cndmask_b32_e32 v31, v31, v32, vcc
	s_andn2_b64 exec, exec, s[38:39]
	s_cbranch_execnz .LBB202_23
; %bb.24:                               ;   in Loop: Header=BB202_7 Depth=2
	s_or_b64 exec, exec, s[38:39]
.LBB202_25:                             ;   in Loop: Header=BB202_7 Depth=2
	s_or_b64 exec, exec, s[36:37]
	s_mov_b32 s36, s6
	s_barrier
	ds_write_b32 v28, v31
	s_branch .LBB202_27
.LBB202_26:                             ;   in Loop: Header=BB202_27 Depth=3
	s_or_b64 exec, exec, s[4:5]
	s_cmp_gt_u32 s36, 3
	s_mov_b32 s36, s37
	s_cbranch_scc0 .LBB202_29
.LBB202_27:                             ;   Parent Loop BB202_3 Depth=1
                                        ;     Parent Loop BB202_7 Depth=2
                                        ; =>    This Inner Loop Header: Depth=3
	s_lshr_b32 s37, s36, 1
	v_cmp_gt_u32_e32 vcc, s37, v0
	s_waitcnt lgkmcnt(0)
	s_barrier
	s_and_saveexec_b64 s[4:5], vcc
	s_cbranch_execz .LBB202_26
; %bb.28:                               ;   in Loop: Header=BB202_27 Depth=3
	v_lshl_add_u32 v18, s37, 2, v28
	ds_read_b32 v19, v28
	ds_read_b32 v18, v18
	s_waitcnt lgkmcnt(0)
	v_cmp_lt_f32_e32 vcc, v19, v18
	v_cndmask_b32_e32 v18, v19, v18, vcc
	ds_write_b32 v28, v18
	s_branch .LBB202_26
.LBB202_29:                             ;   in Loop: Header=BB202_7 Depth=2
	s_waitcnt lgkmcnt(0)
	s_barrier
	ds_read_b32 v31, v27
	v_mov_b32_e32 v32, 0
	s_and_saveexec_b64 s[36:37], s[2:3]
	s_cbranch_execz .LBB202_33
; %bb.30:                               ;   in Loop: Header=BB202_7 Depth=2
	s_mov_b64 s[38:39], 0
	v_mov_b32_e32 v32, 0
	v_pk_mov_b32 v[18:19], v[14:15], v[14:15] op_sel:[0,1]
	v_pk_mov_b32 v[20:21], v[0:1], v[0:1] op_sel:[0,1]
.LBB202_31:                             ;   Parent Loop BB202_3 Depth=1
                                        ;     Parent Loop BB202_7 Depth=2
                                        ; =>    This Inner Loop Header: Depth=3
	global_load_ushort v33, v[18:19], off
	v_mov_b32_e32 v34, s7
	v_add_co_u32_e64 v20, s[4:5], s6, v20
	v_mov_b32_e32 v35, s47
	v_add_co_u32_e32 v18, vcc, s48, v18
	v_addc_co_u32_e64 v21, s[4:5], v21, v34, s[4:5]
	v_addc_co_u32_e32 v19, vcc, v19, v35, vcc
	v_cmp_le_i64_e32 vcc, s[14:15], v[20:21]
	s_or_b64 s[38:39], vcc, s[38:39]
	s_waitcnt vmcnt(0)
	v_lshlrev_b32_e32 v33, 16, v33
	s_waitcnt lgkmcnt(0)
	v_sub_f32_e32 v33, v33, v31
	v_mul_f32_e32 v34, 0x3fb8aa3b, v33
	v_fma_f32 v35, v33, s19, -v34
	v_rndne_f32_e32 v36, v34
	v_fmac_f32_e32 v35, 0x32a5705f, v33
	v_sub_f32_e32 v34, v34, v36
	v_add_f32_e32 v34, v34, v35
	v_cvt_i32_f32_e32 v36, v36
	v_exp_f32_e32 v34, v34
	v_cmp_ngt_f32_e32 vcc, s33, v33
	v_ldexp_f32 v34, v34, v36
	v_cndmask_b32_e32 v34, 0, v34, vcc
	v_cmp_nlt_f32_e32 vcc, s42, v33
	v_cndmask_b32_e32 v33, v23, v34, vcc
	v_add_f32_e32 v32, v32, v33
	s_andn2_b64 exec, exec, s[38:39]
	s_cbranch_execnz .LBB202_31
; %bb.32:                               ;   in Loop: Header=BB202_7 Depth=2
	s_or_b64 exec, exec, s[38:39]
.LBB202_33:                             ;   in Loop: Header=BB202_7 Depth=2
	s_or_b64 exec, exec, s[36:37]
	s_mov_b32 s36, s6
	s_waitcnt lgkmcnt(0)
	s_barrier
	ds_write_b32 v28, v32
	s_branch .LBB202_35
.LBB202_34:                             ;   in Loop: Header=BB202_35 Depth=3
	s_or_b64 exec, exec, s[4:5]
	s_cmp_gt_u32 s36, 3
	s_mov_b32 s36, s37
	s_cbranch_scc0 .LBB202_37
.LBB202_35:                             ;   Parent Loop BB202_3 Depth=1
                                        ;     Parent Loop BB202_7 Depth=2
                                        ; =>    This Inner Loop Header: Depth=3
	s_lshr_b32 s37, s36, 1
	v_cmp_gt_u32_e32 vcc, s37, v0
	s_waitcnt lgkmcnt(0)
	s_barrier
	s_and_saveexec_b64 s[4:5], vcc
	s_cbranch_execz .LBB202_34
; %bb.36:                               ;   in Loop: Header=BB202_35 Depth=3
	v_lshl_add_u32 v18, s37, 2, v28
	ds_read_b32 v19, v28
	ds_read_b32 v18, v18
	s_waitcnt lgkmcnt(0)
	v_add_f32_e32 v18, v19, v18
	ds_write_b32 v28, v18
	s_branch .LBB202_34
.LBB202_37:                             ;   in Loop: Header=BB202_7 Depth=2
	s_waitcnt lgkmcnt(0)
	s_barrier
	s_and_saveexec_b64 s[36:37], s[2:3]
	s_cbranch_execz .LBB202_5
; %bb.38:                               ;   in Loop: Header=BB202_7 Depth=2
	ds_read_b32 v18, v27
	s_mov_b64 s[38:39], 0
	s_mov_b64 s[40:41], 0
	s_waitcnt lgkmcnt(0)
	v_cmp_gt_f32_e32 vcc, s44, v18
	v_cndmask_b32_e32 v19, 1.0, v24, vcc
	v_mul_f32_e32 v18, v18, v19
	v_log_f32_e32 v18, v18
	v_cndmask_b32_e32 v19, 0, v25, vcc
	v_mul_f32_e32 v20, 0x3f317217, v18
	v_fma_f32 v21, v18, s45, -v20
	v_fmac_f32_e32 v21, 0x3377d1cf, v18
	v_add_f32_e32 v20, v20, v21
	v_cmp_lt_f32_e64 vcc, |v18|, s43
	v_cndmask_b32_e32 v18, v18, v20, vcc
	v_sub_f32_e32 v20, v18, v19
	v_pk_mov_b32 v[18:19], v[0:1], v[0:1] op_sel:[0,1]
.LBB202_39:                             ;   Parent Loop BB202_3 Depth=1
                                        ;     Parent Loop BB202_7 Depth=2
                                        ; =>    This Inner Loop Header: Depth=3
	v_mov_b32_e32 v21, s41
	v_add_co_u32_e32 v32, vcc, s40, v12
	v_addc_co_u32_e32 v33, vcc, v13, v21, vcc
	global_load_ushort v34, v[32:33], off
	v_add_co_u32_e64 v32, s[4:5], s40, v10
	v_addc_co_u32_e64 v33, s[4:5], v11, v21, s[4:5]
	v_mov_b32_e32 v35, s7
	v_add_co_u32_e32 v18, vcc, s6, v18
	s_add_u32 s40, s40, s48
	v_addc_co_u32_e32 v19, vcc, v19, v35, vcc
	s_addc_u32 s41, s41, s47
	v_cmp_le_i64_e32 vcc, s[14:15], v[18:19]
	s_or_b64 s[38:39], vcc, s[38:39]
	s_waitcnt vmcnt(0)
	v_lshlrev_b32_e32 v21, 16, v34
	v_sub_f32_e32 v21, v21, v31
	v_sub_f32_e32 v21, v21, v20
	v_bfe_u32 v34, v21, 16, 1
	v_add3_u32 v34, v21, v34, s46
	v_lshrrev_b32_e32 v34, 16, v34
	v_cmp_o_f32_e32 vcc, v21, v21
	v_cndmask_b32_e32 v21, v26, v34, vcc
	global_store_short v[32:33], v21, off
	s_andn2_b64 exec, exec, s[38:39]
	s_cbranch_execnz .LBB202_39
	s_branch .LBB202_5
.LBB202_40:
	s_endpgm
	.section	.rodata,"a",@progbits
	.p2align	6, 0x0
	.amdhsa_kernel _ZN2at6native12_GLOBAL__N_126cunn_SpatialSoftMaxForwardIN3c108BFloat16EfS4_lNS1_25LogSoftMaxForwardEpilogueEEEvPT1_PKT_T2_SB_SB_
		.amdhsa_group_segment_fixed_size 0
		.amdhsa_private_segment_fixed_size 0
		.amdhsa_kernarg_size 296
		.amdhsa_user_sgpr_count 6
		.amdhsa_user_sgpr_private_segment_buffer 1
		.amdhsa_user_sgpr_dispatch_ptr 0
		.amdhsa_user_sgpr_queue_ptr 0
		.amdhsa_user_sgpr_kernarg_segment_ptr 1
		.amdhsa_user_sgpr_dispatch_id 0
		.amdhsa_user_sgpr_flat_scratch_init 0
		.amdhsa_user_sgpr_kernarg_preload_length 0
		.amdhsa_user_sgpr_kernarg_preload_offset 0
		.amdhsa_user_sgpr_private_segment_size 0
		.amdhsa_uses_dynamic_stack 0
		.amdhsa_system_sgpr_private_segment_wavefront_offset 0
		.amdhsa_system_sgpr_workgroup_id_x 1
		.amdhsa_system_sgpr_workgroup_id_y 1
		.amdhsa_system_sgpr_workgroup_id_z 0
		.amdhsa_system_sgpr_workgroup_info 0
		.amdhsa_system_vgpr_workitem_id 1
		.amdhsa_next_free_vgpr 37
		.amdhsa_next_free_sgpr 49
		.amdhsa_accum_offset 40
		.amdhsa_reserve_vcc 1
		.amdhsa_reserve_flat_scratch 0
		.amdhsa_float_round_mode_32 0
		.amdhsa_float_round_mode_16_64 0
		.amdhsa_float_denorm_mode_32 3
		.amdhsa_float_denorm_mode_16_64 3
		.amdhsa_dx10_clamp 1
		.amdhsa_ieee_mode 1
		.amdhsa_fp16_overflow 0
		.amdhsa_tg_split 0
		.amdhsa_exception_fp_ieee_invalid_op 0
		.amdhsa_exception_fp_denorm_src 0
		.amdhsa_exception_fp_ieee_div_zero 0
		.amdhsa_exception_fp_ieee_overflow 0
		.amdhsa_exception_fp_ieee_underflow 0
		.amdhsa_exception_fp_ieee_inexact 0
		.amdhsa_exception_int_div_zero 0
	.end_amdhsa_kernel
	.section	.text._ZN2at6native12_GLOBAL__N_126cunn_SpatialSoftMaxForwardIN3c108BFloat16EfS4_lNS1_25LogSoftMaxForwardEpilogueEEEvPT1_PKT_T2_SB_SB_,"axG",@progbits,_ZN2at6native12_GLOBAL__N_126cunn_SpatialSoftMaxForwardIN3c108BFloat16EfS4_lNS1_25LogSoftMaxForwardEpilogueEEEvPT1_PKT_T2_SB_SB_,comdat
.Lfunc_end202:
	.size	_ZN2at6native12_GLOBAL__N_126cunn_SpatialSoftMaxForwardIN3c108BFloat16EfS4_lNS1_25LogSoftMaxForwardEpilogueEEEvPT1_PKT_T2_SB_SB_, .Lfunc_end202-_ZN2at6native12_GLOBAL__N_126cunn_SpatialSoftMaxForwardIN3c108BFloat16EfS4_lNS1_25LogSoftMaxForwardEpilogueEEEvPT1_PKT_T2_SB_SB_
                                        ; -- End function
	.section	.AMDGPU.csdata,"",@progbits
; Kernel info:
; codeLenInByte = 2012
; NumSgprs: 53
; NumVgprs: 37
; NumAgprs: 0
; TotalNumVgprs: 37
; ScratchSize: 0
; MemoryBound: 0
; FloatMode: 240
; IeeeMode: 1
; LDSByteSize: 0 bytes/workgroup (compile time only)
; SGPRBlocks: 6
; VGPRBlocks: 4
; NumSGPRsForWavesPerEU: 53
; NumVGPRsForWavesPerEU: 37
; AccumOffset: 40
; Occupancy: 8
; WaveLimiterHint : 0
; COMPUTE_PGM_RSRC2:SCRATCH_EN: 0
; COMPUTE_PGM_RSRC2:USER_SGPR: 6
; COMPUTE_PGM_RSRC2:TRAP_HANDLER: 0
; COMPUTE_PGM_RSRC2:TGID_X_EN: 1
; COMPUTE_PGM_RSRC2:TGID_Y_EN: 1
; COMPUTE_PGM_RSRC2:TGID_Z_EN: 0
; COMPUTE_PGM_RSRC2:TIDIG_COMP_CNT: 1
; COMPUTE_PGM_RSRC3_GFX90A:ACCUM_OFFSET: 9
; COMPUTE_PGM_RSRC3_GFX90A:TG_SPLIT: 0
	.section	.text._ZN2at6native12_GLOBAL__N_126cunn_SpatialSoftMaxForwardIN3c108BFloat16EfflNS1_25LogSoftMaxForwardEpilogueEEEvPT1_PKT_T2_SB_SB_,"axG",@progbits,_ZN2at6native12_GLOBAL__N_126cunn_SpatialSoftMaxForwardIN3c108BFloat16EfflNS1_25LogSoftMaxForwardEpilogueEEEvPT1_PKT_T2_SB_SB_,comdat
	.globl	_ZN2at6native12_GLOBAL__N_126cunn_SpatialSoftMaxForwardIN3c108BFloat16EfflNS1_25LogSoftMaxForwardEpilogueEEEvPT1_PKT_T2_SB_SB_ ; -- Begin function _ZN2at6native12_GLOBAL__N_126cunn_SpatialSoftMaxForwardIN3c108BFloat16EfflNS1_25LogSoftMaxForwardEpilogueEEEvPT1_PKT_T2_SB_SB_
	.p2align	8
	.type	_ZN2at6native12_GLOBAL__N_126cunn_SpatialSoftMaxForwardIN3c108BFloat16EfflNS1_25LogSoftMaxForwardEpilogueEEEvPT1_PKT_T2_SB_SB_,@function
_ZN2at6native12_GLOBAL__N_126cunn_SpatialSoftMaxForwardIN3c108BFloat16EfflNS1_25LogSoftMaxForwardEpilogueEEEvPT1_PKT_T2_SB_SB_: ; @_ZN2at6native12_GLOBAL__N_126cunn_SpatialSoftMaxForwardIN3c108BFloat16EfflNS1_25LogSoftMaxForwardEpilogueEEEvPT1_PKT_T2_SB_SB_
; %bb.0:
	s_load_dwordx8 s[12:19], s[4:5], 0x0
	s_mov_b32 s0, s7
	s_mov_b32 s7, 0
	s_waitcnt lgkmcnt(0)
	v_pk_mov_b32 v[2:3], s[16:17], s[16:17] op_sel:[0,1]
	v_cmp_ge_i64_e32 vcc, s[6:7], v[2:3]
	s_cbranch_vccnz .LBB203_58
; %bb.1:
	s_load_dwordx4 s[20:23], s[4:5], 0x20
	s_load_dword s1, s[4:5], 0x34
	v_and_b32_e32 v14, 0x3ff, v0
	v_bfe_u32 v23, v0, 10, 10
	v_mov_b32_e32 v12, 0
	s_waitcnt lgkmcnt(0)
	s_mul_i32 s2, s20, s19
	s_mul_hi_u32 s3, s20, s18
	s_mul_i32 s8, s21, s18
	s_add_i32 s2, s3, s2
	s_add_i32 s54, s2, s8
	s_add_u32 s24, s4, 40
	s_addc_u32 s25, s5, 0
	s_lshr_b32 s4, s1, 16
	s_mul_i32 s0, s0, s4
	s_mul_i32 s26, s23, s4
	v_mad_u64_u32 v[16:17], s[4:5], s20, v14, 0
	s_mul_i32 s33, s20, s18
	v_add_u32_e32 v10, s0, v23
	v_mov_b32_e32 v11, v12
	v_mov_b32_e32 v2, v17
	v_mov_b32_e32 v4, s6
	v_mad_u64_u32 v[2:3], s[4:5], s21, v14, v[2:3]
	s_mul_i32 s8, s54, s6
	v_mad_u64_u32 v[18:19], s[4:5], s33, v4, v[10:11]
	v_mov_b32_e32 v17, v2
	v_add_u32_e32 v19, s8, v19
	v_lshlrev_b64 v[2:3], 1, v[16:17]
	v_lshlrev_b64 v[4:5], 1, v[18:19]
	v_add_co_u32_e32 v2, vcc, v2, v4
	v_addc_co_u32_e32 v3, vcc, v3, v5, vcc
	s_mul_i32 s4, s54, s22
	s_mul_hi_u32 s5, s33, s22
	v_mov_b32_e32 v15, v12
	s_mov_b32 s27, s7
	v_mov_b32_e32 v4, s15
	v_add_co_u32_e32 v20, vcc, s14, v2
	s_add_i32 s29, s5, s4
	s_mul_i32 s28, s33, s22
	v_cmp_gt_i64_e64 s[0:1], s[20:21], v[10:11]
	v_cmp_gt_i64_e64 s[2:3], s[18:19], v[14:15]
	v_mov_b32_e32 v0, v14
	v_mov_b32_e32 v1, v12
	s_mov_b32 s23, s20
	s_mov_b32 s55, s21
	;; [unrolled: 1-line block ×4, first 2 shown]
	v_addc_co_u32_e32 v21, vcc, v4, v3, vcc
	s_lshl_b64 s[30:31], s[28:29], 1
	s_lshl_b64 s[34:35], s[26:27], 1
	;; [unrolled: 1-line block ×4, first 2 shown]
	s_mov_b32 s58, 0x3fb8aa3b
	s_mov_b32 s59, 0xc2ce8ed0
	;; [unrolled: 1-line block ×6, first 2 shown]
	v_mov_b32_e32 v48, 0x7f800000
	v_mov_b32_e32 v49, 0x4f800000
	;; [unrolled: 1-line block ×3, first 2 shown]
	s_mov_b64 s[40:41], s[6:7]
	s_branch .LBB203_3
.LBB203_2:                              ;   in Loop: Header=BB203_3 Depth=1
	s_or_b64 exec, exec, s[42:43]
	v_mov_b32_e32 v2, s31
	v_add_co_u32_e32 v20, vcc, s30, v20
	v_addc_co_u32_e32 v21, vcc, v21, v2, vcc
	s_add_u32 s40, s40, s22
	v_mov_b32_e32 v2, s29
	v_add_co_u32_e32 v18, vcc, s28, v18
	s_addc_u32 s41, s41, 0
	v_addc_co_u32_e32 v19, vcc, v19, v2, vcc
	v_pk_mov_b32 v[2:3], s[16:17], s[16:17] op_sel:[0,1]
	v_cmp_ge_i64_e32 vcc, s[40:41], v[2:3]
	s_cbranch_vccnz .LBB203_58
.LBB203_3:                              ; =>This Loop Header: Depth=1
                                        ;     Child Loop BB203_7 Depth 2
                                        ;       Child Loop BB203_12 Depth 3
                                        ;       Child Loop BB203_15 Depth 3
	;; [unrolled: 1-line block ×10, first 2 shown]
	s_and_saveexec_b64 s[42:43], s[0:1]
	s_cbranch_execz .LBB203_2
; %bb.4:                                ;   in Loop: Header=BB203_3 Depth=1
	s_load_dword s8, s[24:25], 0xc
	s_mul_i32 s4, s33, s41
	s_mul_hi_u32 s5, s33, s40
	s_add_i32 s4, s5, s4
	s_mul_i32 s5, s54, s40
	s_waitcnt lgkmcnt(0)
	s_and_b32 s65, s8, 0xffff
	v_mul_u32_u24_e32 v2, s65, v23
	v_lshl_add_u32 v51, v2, 2, 0
	v_add_co_u32_e32 v2, vcc, s65, v14
	s_add_i32 s6, s4, s5
	v_addc_co_u32_e64 v3, s[4:5], 0, 0, vcc
	v_cmp_gt_i64_e32 vcc, s[18:19], v[2:3]
	v_mov_b32_e32 v5, s18
	v_mov_b32_e32 v4, s19
	v_cndmask_b32_e32 v5, v2, v5, vcc
	v_cndmask_b32_e64 v6, 0, 1, vcc
	v_cndmask_b32_e32 v4, v3, v4, vcc
	v_cndmask_b32_e64 v22, 1, 2, vcc
	v_sub_co_u32_e32 v5, vcc, v5, v6
	v_subbrev_co_u32_e32 v4, vcc, 0, v4, vcc
	v_sub_co_u32_e32 v53, vcc, v5, v2
	v_subb_co_u32_e32 v13, vcc, v4, v3, vcc
	v_add_co_u32_e32 v6, vcc, v22, v53
	v_and_b32_e32 v24, -2, v6
	v_cmp_lt_u16_e64 s[44:45], s8, 2
	v_addc_co_u32_e32 v7, vcc, 0, v13, vcc
	v_mad_u64_u32 v[26:27], s[8:9], v24, s65, v[14:15]
	v_mov_b32_e32 v2, v27
	v_add_co_u32_e32 v4, vcc, s65, v14
	s_mul_i32 s10, s37, s65
	s_mul_hi_u32 s11, s36, s65
	v_mov_b32_e32 v25, v7
	v_mad_u64_u32 v[2:3], s[8:9], v7, s65, v[2:3]
	v_addc_co_u32_e64 v5, s[8:9], 0, 0, vcc
	s_lshl_b32 s66, s65, 1
	s_add_i32 s70, s11, s10
	s_mul_i32 s10, s39, s65
	s_mul_hi_u32 s11, s38, s65
	s_mul_i32 s64, s33, s40
	v_lshl_add_u32 v52, v14, 2, v51
	v_cmp_lt_u64_e64 s[4:5], 1, v[6:7]
	v_mov_b32_e32 v27, v2
	v_mov_b32_e32 v2, v0
	;; [unrolled: 1-line block ×3, first 2 shown]
	s_mov_b32 s67, s7
	s_mov_b32 s68, s66
	;; [unrolled: 1-line block ×3, first 2 shown]
	v_cmp_ne_u64_e64 s[8:9], v[6:7], v[24:25]
	s_mul_i32 s71, s36, s65
	s_add_i32 s72, s11, s10
	s_mul_i32 s73, s38, s65
	s_mov_b64 s[46:47], 0
	v_pk_mov_b32 v[28:29], v[18:19], v[18:19] op_sel:[0,1]
	v_pk_mov_b32 v[30:31], v[20:21], v[20:21] op_sel:[0,1]
	v_pk_mov_b32 v[32:33], v[10:11], v[10:11] op_sel:[0,1]
	s_branch .LBB203_7
.LBB203_5:                              ;   in Loop: Header=BB203_7 Depth=2
	s_or_b64 exec, exec, s[48:49]
.LBB203_6:                              ;   in Loop: Header=BB203_7 Depth=2
	v_mov_b32_e32 v6, s27
	v_add_co_u32_e32 v32, vcc, s26, v32
	v_addc_co_u32_e32 v33, vcc, v33, v6, vcc
	v_mov_b32_e32 v7, s35
	v_add_co_u32_e32 v30, vcc, s34, v30
	v_addc_co_u32_e32 v31, vcc, v31, v7, vcc
	v_cmp_le_i64_e32 vcc, s[20:21], v[32:33]
	s_or_b64 s[46:47], vcc, s[46:47]
	v_add_co_u32_e32 v28, vcc, s26, v28
	v_addc_co_u32_e32 v29, vcc, v29, v6, vcc
	s_andn2_b64 exec, exec, s[46:47]
	s_cbranch_execz .LBB203_2
.LBB203_7:                              ;   Parent Loop BB203_3 Depth=1
                                        ; =>  This Loop Header: Depth=2
                                        ;       Child Loop BB203_12 Depth 3
                                        ;       Child Loop BB203_15 Depth 3
	;; [unrolled: 1-line block ×10, first 2 shown]
	v_mov_b32_e32 v6, s6
	v_add_co_u32_e32 v34, vcc, s64, v32
	v_addc_co_u32_e32 v35, vcc, v33, v6, vcc
	s_mov_b64 s[10:11], -1
	s_and_b64 vcc, exec, s[44:45]
	s_cbranch_vccz .LBB203_27
; %bb.8:                                ;   in Loop: Header=BB203_7 Depth=2
	v_mov_b32_e32 v36, 0xff7fffff
	s_and_saveexec_b64 s[48:49], s[2:3]
	s_cbranch_execnz .LBB203_11
; %bb.9:                                ;   in Loop: Header=BB203_7 Depth=2
	s_or_b64 exec, exec, s[48:49]
	v_mov_b32_e32 v37, 0
	s_and_saveexec_b64 s[48:49], s[2:3]
	s_cbranch_execnz .LBB203_14
.LBB203_10:                             ;   in Loop: Header=BB203_7 Depth=2
	s_or_b64 exec, exec, s[48:49]
	s_and_saveexec_b64 s[48:49], s[2:3]
	s_cbranch_execnz .LBB203_17
	s_branch .LBB203_26
.LBB203_11:                             ;   in Loop: Header=BB203_7 Depth=2
	s_mov_b64 s[50:51], 0
	v_mov_b32_e32 v36, 0xff7fffff
	v_pk_mov_b32 v[6:7], v[30:31], v[30:31] op_sel:[0,1]
	v_pk_mov_b32 v[8:9], v[14:15], v[14:15] op_sel:[0,1]
.LBB203_12:                             ;   Parent Loop BB203_3 Depth=1
                                        ;     Parent Loop BB203_7 Depth=2
                                        ; =>    This Inner Loop Header: Depth=3
	global_load_ushort v37, v[6:7], off
	v_mov_b32_e32 v38, s7
	v_mov_b32_e32 v39, s70
	v_add_co_u32_e32 v6, vcc, s71, v6
	v_add_co_u32_e64 v8, s[10:11], s65, v8
	v_addc_co_u32_e64 v9, s[10:11], v9, v38, s[10:11]
	v_addc_co_u32_e32 v7, vcc, v7, v39, vcc
	v_cmp_le_i64_e32 vcc, s[18:19], v[8:9]
	s_or_b64 s[50:51], vcc, s[50:51]
	s_waitcnt vmcnt(0)
	v_lshlrev_b32_e32 v37, 16, v37
	v_cmp_lt_f32_e32 vcc, v36, v37
	v_cndmask_b32_e32 v36, v36, v37, vcc
	s_andn2_b64 exec, exec, s[50:51]
	s_cbranch_execnz .LBB203_12
; %bb.13:                               ;   in Loop: Header=BB203_7 Depth=2
	s_or_b64 exec, exec, s[50:51]
	s_or_b64 exec, exec, s[48:49]
	v_mov_b32_e32 v37, 0
	s_and_saveexec_b64 s[48:49], s[2:3]
	s_cbranch_execz .LBB203_10
.LBB203_14:                             ;   in Loop: Header=BB203_7 Depth=2
	s_mov_b64 s[50:51], 0
	v_mov_b32_e32 v37, 0
	v_pk_mov_b32 v[6:7], v[30:31], v[30:31] op_sel:[0,1]
	v_pk_mov_b32 v[8:9], v[14:15], v[14:15] op_sel:[0,1]
.LBB203_15:                             ;   Parent Loop BB203_3 Depth=1
                                        ;     Parent Loop BB203_7 Depth=2
                                        ; =>    This Inner Loop Header: Depth=3
	global_load_ushort v38, v[6:7], off
	v_mov_b32_e32 v39, s7
	v_add_co_u32_e64 v8, s[10:11], s65, v8
	v_mov_b32_e32 v40, s70
	v_add_co_u32_e32 v6, vcc, s71, v6
	v_addc_co_u32_e64 v9, s[10:11], v9, v39, s[10:11]
	v_addc_co_u32_e32 v7, vcc, v7, v40, vcc
	v_cmp_le_i64_e32 vcc, s[18:19], v[8:9]
	s_or_b64 s[50:51], vcc, s[50:51]
	s_waitcnt vmcnt(0)
	v_lshlrev_b32_e32 v38, 16, v38
	v_sub_f32_e32 v38, v38, v36
	v_mul_f32_e32 v39, 0x3fb8aa3b, v38
	v_fma_f32 v40, v38, s58, -v39
	v_rndne_f32_e32 v41, v39
	v_fmac_f32_e32 v40, 0x32a5705f, v38
	v_sub_f32_e32 v39, v39, v41
	v_add_f32_e32 v39, v39, v40
	v_cvt_i32_f32_e32 v41, v41
	v_exp_f32_e32 v39, v39
	v_cmp_ngt_f32_e32 vcc, s59, v38
	v_ldexp_f32 v39, v39, v41
	v_cndmask_b32_e32 v39, 0, v39, vcc
	v_cmp_nlt_f32_e32 vcc, s60, v38
	v_cndmask_b32_e32 v38, v48, v39, vcc
	v_add_f32_e32 v37, v37, v38
	s_andn2_b64 exec, exec, s[50:51]
	s_cbranch_execnz .LBB203_15
; %bb.16:                               ;   in Loop: Header=BB203_7 Depth=2
	s_or_b64 exec, exec, s[50:51]
	s_or_b64 exec, exec, s[48:49]
	s_and_saveexec_b64 s[48:49], s[2:3]
	s_cbranch_execz .LBB203_26
.LBB203_17:                             ;   in Loop: Header=BB203_7 Depth=2
	v_cmp_gt_f32_e32 vcc, s62, v37
	v_cndmask_b32_e32 v6, 1.0, v49, vcc
	v_mul_f32_e32 v6, v37, v6
	v_log_f32_e32 v6, v6
	v_cndmask_b32_e32 v7, 0, v50, vcc
	s_mov_b64 s[10:11], -1
	v_mul_f32_e32 v8, 0x3f317217, v6
	v_fma_f32 v9, v6, s63, -v8
	v_fmac_f32_e32 v9, 0x3377d1cf, v6
	v_add_f32_e32 v8, v8, v9
	v_cmp_lt_f32_e64 vcc, |v6|, s61
	v_cndmask_b32_e32 v6, v6, v8, vcc
	v_sub_f32_e32 v38, v6, v7
	v_pk_mov_b32 v[6:7], v[14:15], v[14:15] op_sel:[0,1]
	v_pk_mov_b32 v[8:9], v[16:17], v[16:17] op_sel:[0,1]
	s_and_saveexec_b64 s[50:51], s[4:5]
	s_cbranch_execz .LBB203_23
; %bb.18:                               ;   in Loop: Header=BB203_7 Depth=2
	v_pk_mov_b32 v[8:9], v[4:5], v[4:5] op_sel:[0,1]
	v_mov_b32_e32 v40, v34
	v_mov_b32_e32 v41, v35
	;; [unrolled: 1-line block ×4, first 2 shown]
	s_mov_b64 s[52:53], 0
	v_pk_mov_b32 v[42:43], v[24:25], v[24:25] op_sel:[0,1]
	v_pk_mov_b32 v[6:7], v[2:3], v[2:3] op_sel:[0,1]
.LBB203_19:                             ;   Parent Loop BB203_3 Depth=1
                                        ;     Parent Loop BB203_7 Depth=2
                                        ; =>    This Inner Loop Header: Depth=3
	v_mul_lo_u32 v56, v6, s55
	v_mul_lo_u32 v57, v7, s23
	v_mad_u64_u32 v[46:47], s[10:11], v6, s23, v[34:35]
	v_mul_lo_u32 v54, v8, s57
	v_mul_lo_u32 v55, v9, s56
	v_mad_u64_u32 v[44:45], s[10:11], v8, s56, v[40:41]
	v_add3_u32 v47, v57, v47, v56
	v_add3_u32 v45, v55, v45, v54
	v_lshlrev_b64 v[54:55], 1, v[46:47]
	v_mov_b32_e32 v58, s15
	v_add_co_u32_e32 v54, vcc, s14, v54
	v_lshlrev_b64 v[56:57], 1, v[44:45]
	v_addc_co_u32_e32 v55, vcc, v58, v55, vcc
	v_add_co_u32_e32 v56, vcc, s14, v56
	v_addc_co_u32_e32 v57, vcc, v58, v57, vcc
	global_load_ushort v56, v[56:57], off
	s_nop 0
	global_load_ushort v54, v[54:55], off
	v_mov_b32_e32 v58, s67
	v_add_co_u32_e32 v6, vcc, s66, v6
	v_add_co_u32_e64 v42, s[10:11], -2, v42
	v_addc_co_u32_e64 v43, s[10:11], -1, v43, s[10:11]
	v_addc_co_u32_e32 v7, vcc, v7, v58, vcc
	v_cmp_eq_u64_e32 vcc, 0, v[42:43]
	v_lshlrev_b64 v[46:47], 2, v[46:47]
	v_mov_b32_e32 v55, s13
	s_or_b64 s[52:53], vcc, s[52:53]
	v_add_co_u32_e32 v46, vcc, s12, v46
	v_lshlrev_b64 v[44:45], 2, v[44:45]
	v_addc_co_u32_e32 v47, vcc, v55, v47, vcc
	v_add_co_u32_e32 v44, vcc, s12, v44
	v_addc_co_u32_e32 v45, vcc, v55, v45, vcc
	v_mov_b32_e32 v57, s69
	v_add_co_u32_e64 v8, s[10:11], s68, v8
	v_addc_co_u32_e64 v9, s[10:11], v9, v57, s[10:11]
	s_waitcnt vmcnt(1)
	v_lshlrev_b32_e32 v55, 16, v56
	s_waitcnt vmcnt(0)
	v_lshlrev_b32_e32 v54, 16, v54
	v_pk_add_f32 v[54:55], v[54:55], v[36:37] neg_lo:[0,1] neg_hi:[0,1]
	v_pk_add_f32 v[54:55], v[54:55], v[38:39] neg_lo:[0,1] neg_hi:[0,1]
	global_store_dword v[46:47], v54, off
	global_store_dword v[44:45], v55, off
	s_andn2_b64 exec, exec, s[52:53]
	s_cbranch_execnz .LBB203_19
; %bb.20:                               ;   in Loop: Header=BB203_7 Depth=2
	s_or_b64 exec, exec, s[52:53]
	s_mov_b64 s[10:11], 0
                                        ; implicit-def: $vgpr8_vgpr9
	s_and_saveexec_b64 s[52:53], s[8:9]
	s_xor_b64 s[52:53], exec, s[52:53]
; %bb.21:                               ;   in Loop: Header=BB203_7 Depth=2
	v_mul_lo_u32 v6, s21, v26
	v_mul_lo_u32 v7, s20, v27
	v_mad_u64_u32 v[8:9], s[74:75], s20, v26, 0
	s_mov_b64 s[10:11], exec
	v_add3_u32 v9, v9, v7, v6
; %bb.22:                               ;   in Loop: Header=BB203_7 Depth=2
	s_or_b64 exec, exec, s[52:53]
	s_orn2_b64 s[10:11], s[10:11], exec
	v_pk_mov_b32 v[6:7], v[26:27], v[26:27] op_sel:[0,1]
.LBB203_23:                             ;   in Loop: Header=BB203_7 Depth=2
	s_or_b64 exec, exec, s[50:51]
	s_and_b64 exec, exec, s[10:11]
	s_cbranch_execz .LBB203_26
; %bb.24:                               ;   in Loop: Header=BB203_7 Depth=2
	v_add_co_u32_e32 v40, vcc, v28, v8
	v_addc_co_u32_e32 v41, vcc, v29, v9, vcc
	v_lshlrev_b64 v[8:9], 1, v[40:41]
	v_mov_b32_e32 v37, s15
	v_add_co_u32_e32 v8, vcc, s14, v8
	v_addc_co_u32_e32 v9, vcc, v37, v9, vcc
	v_lshlrev_b64 v[40:41], 2, v[40:41]
	v_mov_b32_e32 v37, s13
	v_add_co_u32_e32 v40, vcc, s12, v40
	v_addc_co_u32_e32 v41, vcc, v37, v41, vcc
	s_mov_b64 s[50:51], 0
.LBB203_25:                             ;   Parent Loop BB203_3 Depth=1
                                        ;     Parent Loop BB203_7 Depth=2
                                        ; =>    This Inner Loop Header: Depth=3
	global_load_ushort v37, v[8:9], off
	v_mov_b32_e32 v39, s7
	v_mov_b32_e32 v42, s70
	v_add_co_u32_e32 v8, vcc, s71, v8
	v_add_co_u32_e64 v6, s[10:11], s65, v6
	v_addc_co_u32_e64 v7, s[10:11], v7, v39, s[10:11]
	v_addc_co_u32_e32 v9, vcc, v9, v42, vcc
	v_cmp_le_i64_e32 vcc, s[18:19], v[6:7]
	v_mov_b32_e32 v43, s72
	s_or_b64 s[50:51], vcc, s[50:51]
	s_waitcnt vmcnt(0)
	v_lshlrev_b32_e32 v37, 16, v37
	v_sub_f32_e32 v37, v37, v36
	v_sub_f32_e32 v37, v37, v38
	global_store_dword v[40:41], v37, off
	v_add_co_u32_e32 v40, vcc, s73, v40
	v_addc_co_u32_e32 v41, vcc, v41, v43, vcc
	s_andn2_b64 exec, exec, s[50:51]
	s_cbranch_execnz .LBB203_25
.LBB203_26:                             ;   in Loop: Header=BB203_7 Depth=2
	s_or_b64 exec, exec, s[48:49]
	s_mov_b64 s[10:11], 0
.LBB203_27:                             ;   in Loop: Header=BB203_7 Depth=2
	s_and_b64 vcc, exec, s[10:11]
	s_cbranch_vccz .LBB203_6
; %bb.28:                               ;   in Loop: Header=BB203_7 Depth=2
	v_mov_b32_e32 v36, 0xff7fffff
	s_and_saveexec_b64 s[48:49], s[2:3]
	s_cbranch_execz .LBB203_32
; %bb.29:                               ;   in Loop: Header=BB203_7 Depth=2
	s_mov_b64 s[50:51], 0
	v_mov_b32_e32 v36, 0xff7fffff
	v_pk_mov_b32 v[6:7], v[30:31], v[30:31] op_sel:[0,1]
	v_pk_mov_b32 v[8:9], v[14:15], v[14:15] op_sel:[0,1]
.LBB203_30:                             ;   Parent Loop BB203_3 Depth=1
                                        ;     Parent Loop BB203_7 Depth=2
                                        ; =>    This Inner Loop Header: Depth=3
	global_load_ushort v37, v[6:7], off
	v_mov_b32_e32 v38, s7
	v_mov_b32_e32 v39, s70
	v_add_co_u32_e32 v6, vcc, s71, v6
	v_add_co_u32_e64 v8, s[10:11], s65, v8
	v_addc_co_u32_e64 v9, s[10:11], v9, v38, s[10:11]
	v_addc_co_u32_e32 v7, vcc, v7, v39, vcc
	v_cmp_le_i64_e32 vcc, s[18:19], v[8:9]
	s_or_b64 s[50:51], vcc, s[50:51]
	s_waitcnt vmcnt(0)
	v_lshlrev_b32_e32 v37, 16, v37
	v_cmp_lt_f32_e32 vcc, v36, v37
	v_cndmask_b32_e32 v36, v36, v37, vcc
	s_andn2_b64 exec, exec, s[50:51]
	s_cbranch_execnz .LBB203_30
; %bb.31:                               ;   in Loop: Header=BB203_7 Depth=2
	s_or_b64 exec, exec, s[50:51]
.LBB203_32:                             ;   in Loop: Header=BB203_7 Depth=2
	s_or_b64 exec, exec, s[48:49]
	s_mov_b32 s48, s65
	s_barrier
	ds_write_b32 v52, v36
	s_branch .LBB203_34
.LBB203_33:                             ;   in Loop: Header=BB203_34 Depth=3
	s_or_b64 exec, exec, s[10:11]
	s_cmp_gt_u32 s48, 3
	s_mov_b32 s48, s49
	s_cbranch_scc0 .LBB203_36
.LBB203_34:                             ;   Parent Loop BB203_3 Depth=1
                                        ;     Parent Loop BB203_7 Depth=2
                                        ; =>    This Inner Loop Header: Depth=3
	s_lshr_b32 s49, s48, 1
	v_cmp_gt_u32_e32 vcc, s49, v14
	s_waitcnt lgkmcnt(0)
	s_barrier
	s_and_saveexec_b64 s[10:11], vcc
	s_cbranch_execz .LBB203_33
; %bb.35:                               ;   in Loop: Header=BB203_34 Depth=3
	v_lshl_add_u32 v6, s49, 2, v52
	ds_read_b32 v7, v52
	ds_read_b32 v6, v6
	s_waitcnt lgkmcnt(0)
	v_cmp_lt_f32_e32 vcc, v7, v6
	v_cndmask_b32_e32 v6, v7, v6, vcc
	ds_write_b32 v52, v6
	s_branch .LBB203_33
.LBB203_36:                             ;   in Loop: Header=BB203_7 Depth=2
	s_waitcnt lgkmcnt(0)
	s_barrier
	ds_read_b32 v36, v51
	v_mov_b32_e32 v37, 0
	s_and_saveexec_b64 s[48:49], s[2:3]
	s_cbranch_execz .LBB203_40
; %bb.37:                               ;   in Loop: Header=BB203_7 Depth=2
	s_mov_b64 s[50:51], 0
	v_mov_b32_e32 v37, 0
	v_pk_mov_b32 v[6:7], v[30:31], v[30:31] op_sel:[0,1]
	v_pk_mov_b32 v[8:9], v[14:15], v[14:15] op_sel:[0,1]
.LBB203_38:                             ;   Parent Loop BB203_3 Depth=1
                                        ;     Parent Loop BB203_7 Depth=2
                                        ; =>    This Inner Loop Header: Depth=3
	global_load_ushort v38, v[6:7], off
	v_mov_b32_e32 v39, s7
	v_add_co_u32_e64 v8, s[10:11], s65, v8
	v_mov_b32_e32 v40, s70
	v_add_co_u32_e32 v6, vcc, s71, v6
	v_addc_co_u32_e64 v9, s[10:11], v9, v39, s[10:11]
	v_addc_co_u32_e32 v7, vcc, v7, v40, vcc
	v_cmp_le_i64_e32 vcc, s[18:19], v[8:9]
	s_or_b64 s[50:51], vcc, s[50:51]
	s_waitcnt vmcnt(0)
	v_lshlrev_b32_e32 v38, 16, v38
	s_waitcnt lgkmcnt(0)
	v_sub_f32_e32 v38, v38, v36
	v_mul_f32_e32 v39, 0x3fb8aa3b, v38
	v_fma_f32 v40, v38, s58, -v39
	v_rndne_f32_e32 v41, v39
	v_fmac_f32_e32 v40, 0x32a5705f, v38
	v_sub_f32_e32 v39, v39, v41
	v_add_f32_e32 v39, v39, v40
	v_cvt_i32_f32_e32 v41, v41
	v_exp_f32_e32 v39, v39
	v_cmp_ngt_f32_e32 vcc, s59, v38
	v_ldexp_f32 v39, v39, v41
	v_cndmask_b32_e32 v39, 0, v39, vcc
	v_cmp_nlt_f32_e32 vcc, s60, v38
	v_cndmask_b32_e32 v38, v48, v39, vcc
	v_add_f32_e32 v37, v37, v38
	s_andn2_b64 exec, exec, s[50:51]
	s_cbranch_execnz .LBB203_38
; %bb.39:                               ;   in Loop: Header=BB203_7 Depth=2
	s_or_b64 exec, exec, s[50:51]
.LBB203_40:                             ;   in Loop: Header=BB203_7 Depth=2
	s_or_b64 exec, exec, s[48:49]
	s_mov_b32 s48, s65
	s_waitcnt lgkmcnt(0)
	s_barrier
	ds_write_b32 v52, v37
	s_branch .LBB203_42
.LBB203_41:                             ;   in Loop: Header=BB203_42 Depth=3
	s_or_b64 exec, exec, s[10:11]
	s_cmp_gt_u32 s48, 3
	s_mov_b32 s48, s49
	s_cbranch_scc0 .LBB203_44
.LBB203_42:                             ;   Parent Loop BB203_3 Depth=1
                                        ;     Parent Loop BB203_7 Depth=2
                                        ; =>    This Inner Loop Header: Depth=3
	s_lshr_b32 s49, s48, 1
	v_cmp_gt_u32_e32 vcc, s49, v14
	s_waitcnt lgkmcnt(0)
	s_barrier
	s_and_saveexec_b64 s[10:11], vcc
	s_cbranch_execz .LBB203_41
; %bb.43:                               ;   in Loop: Header=BB203_42 Depth=3
	v_lshl_add_u32 v6, s49, 2, v52
	ds_read_b32 v7, v52
	ds_read_b32 v6, v6
	s_waitcnt lgkmcnt(0)
	v_add_f32_e32 v6, v7, v6
	ds_write_b32 v52, v6
	s_branch .LBB203_41
.LBB203_44:                             ;   in Loop: Header=BB203_7 Depth=2
	s_waitcnt lgkmcnt(0)
	s_barrier
	s_and_saveexec_b64 s[48:49], s[2:3]
	s_cbranch_execz .LBB203_5
; %bb.45:                               ;   in Loop: Header=BB203_7 Depth=2
	ds_read_b32 v8, v51
	v_cmp_ne_u64_e32 vcc, 0, v[12:13]
                                        ; implicit-def: $vgpr6_vgpr7
	s_and_saveexec_b64 s[10:11], vcc
	s_xor_b64 s[50:51], exec, s[10:11]
	s_cbranch_execz .LBB203_47
; %bb.46:                               ;   in Loop: Header=BB203_7 Depth=2
	v_cvt_f32_u32_e32 v6, s65
	s_sub_u32 s10, 0, s65
	s_subb_u32 s11, 0, 0
	v_mac_f32_e32 v6, 0, v49
	v_rcp_f32_e32 v6, v6
	v_mul_f32_e32 v6, 0x5f7ffffc, v6
	v_mul_f32_e32 v7, 0x2f800000, v6
	v_trunc_f32_e32 v7, v7
	v_mac_f32_e32 v6, 0xcf800000, v7
	v_cvt_u32_f32_e32 v7, v7
	v_cvt_u32_f32_e32 v6, v6
	v_mul_lo_u32 v9, s10, v7
	v_mul_hi_u32 v38, s10, v6
	v_mul_lo_u32 v37, s11, v6
	v_add_u32_e32 v9, v38, v9
	v_mul_lo_u32 v39, s10, v6
	v_add_u32_e32 v9, v9, v37
	v_mul_hi_u32 v38, v6, v39
	v_mul_lo_u32 v40, v6, v9
	v_mul_hi_u32 v37, v6, v9
	v_add_co_u32_e32 v38, vcc, v38, v40
	v_addc_co_u32_e32 v37, vcc, 0, v37, vcc
	v_mul_hi_u32 v41, v7, v39
	v_mul_lo_u32 v39, v7, v39
	v_add_co_u32_e32 v38, vcc, v38, v39
	v_mul_hi_u32 v40, v7, v9
	v_addc_co_u32_e32 v37, vcc, v37, v41, vcc
	v_addc_co_u32_e32 v38, vcc, 0, v40, vcc
	v_mul_lo_u32 v9, v7, v9
	v_add_co_u32_e32 v9, vcc, v37, v9
	v_addc_co_u32_e32 v37, vcc, 0, v38, vcc
	v_add_co_u32_e32 v6, vcc, v6, v9
	v_addc_co_u32_e32 v7, vcc, v7, v37, vcc
	v_mul_lo_u32 v9, s10, v7
	v_mul_hi_u32 v37, s10, v6
	v_add_u32_e32 v9, v37, v9
	v_mul_lo_u32 v37, s11, v6
	v_add_u32_e32 v9, v9, v37
	v_mul_lo_u32 v38, s10, v6
	v_mul_hi_u32 v39, v7, v38
	v_mul_lo_u32 v40, v7, v38
	v_mul_lo_u32 v42, v6, v9
	v_mul_hi_u32 v38, v6, v38
	v_mul_hi_u32 v41, v6, v9
	v_add_co_u32_e32 v38, vcc, v38, v42
	v_addc_co_u32_e32 v41, vcc, 0, v41, vcc
	v_add_co_u32_e32 v38, vcc, v38, v40
	v_mul_hi_u32 v37, v7, v9
	v_addc_co_u32_e32 v38, vcc, v41, v39, vcc
	v_addc_co_u32_e32 v37, vcc, 0, v37, vcc
	v_mul_lo_u32 v9, v7, v9
	v_add_co_u32_e32 v9, vcc, v38, v9
	v_addc_co_u32_e32 v37, vcc, 0, v37, vcc
	v_add_co_u32_e32 v9, vcc, v6, v9
	v_addc_co_u32_e32 v37, vcc, v7, v37, vcc
	v_mad_u64_u32 v[6:7], s[10:11], v53, v37, 0
	v_mul_hi_u32 v38, v53, v9
	v_add_co_u32_e32 v40, vcc, v38, v6
	v_addc_co_u32_e32 v41, vcc, 0, v7, vcc
	v_mad_u64_u32 v[38:39], s[10:11], v13, v9, 0
	v_add_co_u32_e32 v9, vcc, v40, v38
	v_mad_u64_u32 v[6:7], s[10:11], v13, v37, 0
	v_addc_co_u32_e32 v9, vcc, v41, v39, vcc
	v_addc_co_u32_e32 v7, vcc, 0, v7, vcc
	v_add_co_u32_e32 v9, vcc, v9, v6
	v_addc_co_u32_e32 v37, vcc, 0, v7, vcc
	v_mad_u64_u32 v[6:7], s[10:11], s65, v9, 0
	v_mov_b32_e32 v38, v7
	v_mad_u64_u32 v[38:39], s[10:11], s65, v37, v[38:39]
	v_sub_co_u32_e32 v6, vcc, v53, v6
	v_subb_co_u32_e32 v7, vcc, v13, v38, vcc
	v_subrev_co_u32_e32 v38, vcc, s65, v6
	v_subbrev_co_u32_e32 v39, vcc, 0, v7, vcc
	v_cmp_le_u32_e32 vcc, s65, v38
	v_cndmask_b32_e64 v38, 0, -1, vcc
	v_cmp_eq_u32_e32 vcc, 0, v39
	v_cndmask_b32_e32 v38, -1, v38, vcc
	v_add_co_u32_e32 v39, vcc, 2, v9
	v_addc_co_u32_e32 v40, vcc, 0, v37, vcc
	v_add_co_u32_e32 v41, vcc, 1, v9
	v_cmp_le_u32_e64 s[10:11], s65, v6
	v_addc_co_u32_e32 v42, vcc, 0, v37, vcc
	v_cndmask_b32_e64 v6, 0, -1, s[10:11]
	v_cmp_eq_u32_e64 s[10:11], 0, v7
	v_cmp_ne_u32_e32 vcc, 0, v38
	v_cndmask_b32_e64 v6, -1, v6, s[10:11]
	v_cndmask_b32_e32 v38, v42, v40, vcc
	v_cmp_ne_u32_e64 s[10:11], 0, v6
	v_cndmask_b32_e32 v6, v41, v39, vcc
	v_cndmask_b32_e64 v7, v37, v38, s[10:11]
	v_cndmask_b32_e64 v6, v9, v6, s[10:11]
.LBB203_47:                             ;   in Loop: Header=BB203_7 Depth=2
	s_andn2_saveexec_b64 s[10:11], s[50:51]
	s_cbranch_execz .LBB203_49
; %bb.48:                               ;   in Loop: Header=BB203_7 Depth=2
	v_cvt_f32_u32_e32 v6, s65
	s_sub_i32 s50, 0, s65
	v_rcp_iflag_f32_e32 v6, v6
	v_mul_f32_e32 v6, 0x4f7ffffe, v6
	v_cvt_u32_f32_e32 v6, v6
	v_mul_lo_u32 v7, s50, v6
	v_mul_hi_u32 v7, v6, v7
	v_add_u32_e32 v6, v6, v7
	v_mul_hi_u32 v6, v53, v6
	v_mul_lo_u32 v7, v6, s65
	v_sub_u32_e32 v7, v53, v7
	v_add_u32_e32 v9, 1, v6
	v_subrev_u32_e32 v37, s65, v7
	v_cmp_le_u32_e32 vcc, s65, v7
	v_cndmask_b32_e32 v7, v7, v37, vcc
	v_cndmask_b32_e32 v6, v6, v9, vcc
	v_add_u32_e32 v9, 1, v6
	v_cmp_le_u32_e32 vcc, s65, v7
	v_cndmask_b32_e32 v6, v6, v9, vcc
	v_mov_b32_e32 v7, v12
.LBB203_49:                             ;   in Loop: Header=BB203_7 Depth=2
	s_or_b64 exec, exec, s[10:11]
	s_waitcnt lgkmcnt(0)
	v_cmp_gt_f32_e32 vcc, s62, v8
	v_cndmask_b32_e32 v9, 1.0, v49, vcc
	v_mul_f32_e32 v8, v8, v9
	v_log_f32_e32 v8, v8
	v_cndmask_b32_e32 v9, 0, v50, vcc
	s_mov_b64 s[10:11], -1
	v_mul_f32_e32 v37, 0x3f317217, v8
	v_fma_f32 v38, v8, s63, -v37
	v_fmac_f32_e32 v38, 0x3377d1cf, v8
	v_add_f32_e32 v37, v37, v38
	v_cmp_lt_f32_e64 vcc, |v8|, s61
	v_cndmask_b32_e32 v8, v8, v37, vcc
	v_add_co_u32_e32 v40, vcc, v22, v6
	v_addc_co_u32_e32 v41, vcc, 0, v7, vcc
	v_sub_f32_e32 v38, v8, v9
	v_cmp_lt_u64_e32 vcc, 1, v[40:41]
	v_pk_mov_b32 v[6:7], v[14:15], v[14:15] op_sel:[0,1]
	v_pk_mov_b32 v[8:9], v[16:17], v[16:17] op_sel:[0,1]
	s_and_saveexec_b64 s[50:51], vcc
	s_cbranch_execz .LBB203_55
; %bb.50:                               ;   in Loop: Header=BB203_7 Depth=2
	v_and_b32_e32 v42, -2, v40
	v_mov_b32_e32 v43, v41
	v_pk_mov_b32 v[8:9], v[4:5], v[4:5] op_sel:[0,1]
	v_mov_b32_e32 v44, v34
	v_mov_b32_e32 v45, v35
	;; [unrolled: 1-line block ×4, first 2 shown]
	s_mov_b64 s[52:53], 0
	v_pk_mov_b32 v[46:47], v[42:43], v[42:43] op_sel:[0,1]
	v_pk_mov_b32 v[6:7], v[2:3], v[2:3] op_sel:[0,1]
.LBB203_51:                             ;   Parent Loop BB203_3 Depth=1
                                        ;     Parent Loop BB203_7 Depth=2
                                        ; =>    This Inner Loop Header: Depth=3
	v_mul_lo_u32 v60, v6, s55
	v_mul_lo_u32 v61, v7, s23
	v_mad_u64_u32 v[56:57], s[10:11], v6, s23, v[34:35]
	v_mul_lo_u32 v58, v8, s57
	v_mul_lo_u32 v59, v9, s56
	v_mad_u64_u32 v[54:55], s[10:11], v8, s56, v[44:45]
	v_add3_u32 v57, v61, v57, v60
	v_add3_u32 v55, v59, v55, v58
	v_lshlrev_b64 v[58:59], 1, v[56:57]
	v_mov_b32_e32 v62, s15
	v_add_co_u32_e32 v58, vcc, s14, v58
	v_lshlrev_b64 v[60:61], 1, v[54:55]
	v_addc_co_u32_e32 v59, vcc, v62, v59, vcc
	v_add_co_u32_e32 v60, vcc, s14, v60
	v_addc_co_u32_e32 v61, vcc, v62, v61, vcc
	global_load_ushort v60, v[60:61], off
	s_nop 0
	global_load_ushort v58, v[58:59], off
	v_mov_b32_e32 v62, s67
	v_add_co_u32_e32 v6, vcc, s66, v6
	v_add_co_u32_e64 v46, s[10:11], -2, v46
	v_addc_co_u32_e64 v47, s[10:11], -1, v47, s[10:11]
	v_addc_co_u32_e32 v7, vcc, v7, v62, vcc
	v_cmp_eq_u64_e32 vcc, 0, v[46:47]
	v_lshlrev_b64 v[56:57], 2, v[56:57]
	v_mov_b32_e32 v59, s13
	s_or_b64 s[52:53], vcc, s[52:53]
	v_add_co_u32_e32 v56, vcc, s12, v56
	v_lshlrev_b64 v[54:55], 2, v[54:55]
	v_addc_co_u32_e32 v57, vcc, v59, v57, vcc
	v_add_co_u32_e32 v54, vcc, s12, v54
	v_addc_co_u32_e32 v55, vcc, v59, v55, vcc
	v_mov_b32_e32 v61, s69
	v_add_co_u32_e64 v8, s[10:11], s68, v8
	v_addc_co_u32_e64 v9, s[10:11], v9, v61, s[10:11]
	s_waitcnt vmcnt(1)
	v_lshlrev_b32_e32 v59, 16, v60
	s_waitcnt vmcnt(0)
	v_lshlrev_b32_e32 v58, 16, v58
	v_pk_add_f32 v[58:59], v[58:59], v[36:37] neg_lo:[0,1] neg_hi:[0,1]
	v_pk_add_f32 v[58:59], v[58:59], v[38:39] neg_lo:[0,1] neg_hi:[0,1]
	global_store_dword v[56:57], v58, off
	global_store_dword v[54:55], v59, off
	s_andn2_b64 exec, exec, s[52:53]
	s_cbranch_execnz .LBB203_51
; %bb.52:                               ;   in Loop: Header=BB203_7 Depth=2
	s_or_b64 exec, exec, s[52:53]
	v_cmp_ne_u64_e32 vcc, v[40:41], v[42:43]
	s_mov_b64 s[10:11], 0
                                        ; implicit-def: $vgpr6_vgpr7
                                        ; implicit-def: $vgpr8_vgpr9
	s_and_saveexec_b64 s[52:53], vcc
	s_xor_b64 s[52:53], exec, s[52:53]
; %bb.53:                               ;   in Loop: Header=BB203_7 Depth=2
	v_mad_u64_u32 v[6:7], s[74:75], v42, s65, v[14:15]
	v_mov_b32_e32 v8, v7
	v_mad_u64_u32 v[8:9], s[74:75], v43, s65, v[8:9]
	v_mov_b32_e32 v7, v8
	v_mul_lo_u32 v34, s21, v6
	v_mul_lo_u32 v35, s20, v8
	v_mad_u64_u32 v[8:9], s[74:75], s20, v6, 0
	s_mov_b64 s[10:11], exec
	v_add3_u32 v9, v9, v35, v34
; %bb.54:                               ;   in Loop: Header=BB203_7 Depth=2
	s_or_b64 exec, exec, s[52:53]
	s_orn2_b64 s[10:11], s[10:11], exec
.LBB203_55:                             ;   in Loop: Header=BB203_7 Depth=2
	s_or_b64 exec, exec, s[50:51]
	s_and_b64 exec, exec, s[10:11]
	s_cbranch_execz .LBB203_5
; %bb.56:                               ;   in Loop: Header=BB203_7 Depth=2
	v_add_co_u32_e32 v34, vcc, v28, v8
	v_addc_co_u32_e32 v35, vcc, v29, v9, vcc
	v_lshlrev_b64 v[8:9], 1, v[34:35]
	v_mov_b32_e32 v37, s15
	v_add_co_u32_e32 v8, vcc, s14, v8
	v_addc_co_u32_e32 v9, vcc, v37, v9, vcc
	v_lshlrev_b64 v[34:35], 2, v[34:35]
	v_mov_b32_e32 v37, s13
	v_add_co_u32_e32 v34, vcc, s12, v34
	v_addc_co_u32_e32 v35, vcc, v37, v35, vcc
	s_mov_b64 s[50:51], 0
.LBB203_57:                             ;   Parent Loop BB203_3 Depth=1
                                        ;     Parent Loop BB203_7 Depth=2
                                        ; =>    This Inner Loop Header: Depth=3
	global_load_ushort v37, v[8:9], off
	v_mov_b32_e32 v39, s7
	v_mov_b32_e32 v40, s70
	v_add_co_u32_e32 v8, vcc, s71, v8
	v_add_co_u32_e64 v6, s[10:11], s65, v6
	v_addc_co_u32_e64 v7, s[10:11], v7, v39, s[10:11]
	v_addc_co_u32_e32 v9, vcc, v9, v40, vcc
	v_cmp_le_i64_e32 vcc, s[18:19], v[6:7]
	v_mov_b32_e32 v41, s72
	s_or_b64 s[50:51], vcc, s[50:51]
	s_waitcnt vmcnt(0)
	v_lshlrev_b32_e32 v37, 16, v37
	v_sub_f32_e32 v37, v37, v36
	v_sub_f32_e32 v37, v37, v38
	global_store_dword v[34:35], v37, off
	v_add_co_u32_e32 v34, vcc, s73, v34
	v_addc_co_u32_e32 v35, vcc, v35, v41, vcc
	s_andn2_b64 exec, exec, s[50:51]
	s_cbranch_execnz .LBB203_57
	s_branch .LBB203_5
.LBB203_58:
	s_endpgm
	.section	.rodata,"a",@progbits
	.p2align	6, 0x0
	.amdhsa_kernel _ZN2at6native12_GLOBAL__N_126cunn_SpatialSoftMaxForwardIN3c108BFloat16EfflNS1_25LogSoftMaxForwardEpilogueEEEvPT1_PKT_T2_SB_SB_
		.amdhsa_group_segment_fixed_size 0
		.amdhsa_private_segment_fixed_size 0
		.amdhsa_kernarg_size 296
		.amdhsa_user_sgpr_count 6
		.amdhsa_user_sgpr_private_segment_buffer 1
		.amdhsa_user_sgpr_dispatch_ptr 0
		.amdhsa_user_sgpr_queue_ptr 0
		.amdhsa_user_sgpr_kernarg_segment_ptr 1
		.amdhsa_user_sgpr_dispatch_id 0
		.amdhsa_user_sgpr_flat_scratch_init 0
		.amdhsa_user_sgpr_kernarg_preload_length 0
		.amdhsa_user_sgpr_kernarg_preload_offset 0
		.amdhsa_user_sgpr_private_segment_size 0
		.amdhsa_uses_dynamic_stack 0
		.amdhsa_system_sgpr_private_segment_wavefront_offset 0
		.amdhsa_system_sgpr_workgroup_id_x 1
		.amdhsa_system_sgpr_workgroup_id_y 1
		.amdhsa_system_sgpr_workgroup_id_z 0
		.amdhsa_system_sgpr_workgroup_info 0
		.amdhsa_system_vgpr_workitem_id 1
		.amdhsa_next_free_vgpr 63
		.amdhsa_next_free_sgpr 76
		.amdhsa_accum_offset 64
		.amdhsa_reserve_vcc 1
		.amdhsa_reserve_flat_scratch 0
		.amdhsa_float_round_mode_32 0
		.amdhsa_float_round_mode_16_64 0
		.amdhsa_float_denorm_mode_32 3
		.amdhsa_float_denorm_mode_16_64 3
		.amdhsa_dx10_clamp 1
		.amdhsa_ieee_mode 1
		.amdhsa_fp16_overflow 0
		.amdhsa_tg_split 0
		.amdhsa_exception_fp_ieee_invalid_op 0
		.amdhsa_exception_fp_denorm_src 0
		.amdhsa_exception_fp_ieee_div_zero 0
		.amdhsa_exception_fp_ieee_overflow 0
		.amdhsa_exception_fp_ieee_underflow 0
		.amdhsa_exception_fp_ieee_inexact 0
		.amdhsa_exception_int_div_zero 0
	.end_amdhsa_kernel
	.section	.text._ZN2at6native12_GLOBAL__N_126cunn_SpatialSoftMaxForwardIN3c108BFloat16EfflNS1_25LogSoftMaxForwardEpilogueEEEvPT1_PKT_T2_SB_SB_,"axG",@progbits,_ZN2at6native12_GLOBAL__N_126cunn_SpatialSoftMaxForwardIN3c108BFloat16EfflNS1_25LogSoftMaxForwardEpilogueEEEvPT1_PKT_T2_SB_SB_,comdat
.Lfunc_end203:
	.size	_ZN2at6native12_GLOBAL__N_126cunn_SpatialSoftMaxForwardIN3c108BFloat16EfflNS1_25LogSoftMaxForwardEpilogueEEEvPT1_PKT_T2_SB_SB_, .Lfunc_end203-_ZN2at6native12_GLOBAL__N_126cunn_SpatialSoftMaxForwardIN3c108BFloat16EfflNS1_25LogSoftMaxForwardEpilogueEEEvPT1_PKT_T2_SB_SB_
                                        ; -- End function
	.section	.AMDGPU.csdata,"",@progbits
; Kernel info:
; codeLenInByte = 3684
; NumSgprs: 80
; NumVgprs: 63
; NumAgprs: 0
; TotalNumVgprs: 63
; ScratchSize: 0
; MemoryBound: 0
; FloatMode: 240
; IeeeMode: 1
; LDSByteSize: 0 bytes/workgroup (compile time only)
; SGPRBlocks: 9
; VGPRBlocks: 7
; NumSGPRsForWavesPerEU: 80
; NumVGPRsForWavesPerEU: 63
; AccumOffset: 64
; Occupancy: 8
; WaveLimiterHint : 0
; COMPUTE_PGM_RSRC2:SCRATCH_EN: 0
; COMPUTE_PGM_RSRC2:USER_SGPR: 6
; COMPUTE_PGM_RSRC2:TRAP_HANDLER: 0
; COMPUTE_PGM_RSRC2:TGID_X_EN: 1
; COMPUTE_PGM_RSRC2:TGID_Y_EN: 1
; COMPUTE_PGM_RSRC2:TGID_Z_EN: 0
; COMPUTE_PGM_RSRC2:TIDIG_COMP_CNT: 1
; COMPUTE_PGM_RSRC3_GFX90A:ACCUM_OFFSET: 15
; COMPUTE_PGM_RSRC3_GFX90A:TG_SPLIT: 0
	.section	.text._ZN12_GLOBAL__N_121softmax_warp_backwardIdddLi0ELb1ELb0ELi64EEEvPT0_PKT_S5_iiiPKb,"axG",@progbits,_ZN12_GLOBAL__N_121softmax_warp_backwardIdddLi0ELb1ELb0ELi64EEEvPT0_PKT_S5_iiiPKb,comdat
	.globl	_ZN12_GLOBAL__N_121softmax_warp_backwardIdddLi0ELb1ELb0ELi64EEEvPT0_PKT_S5_iiiPKb ; -- Begin function _ZN12_GLOBAL__N_121softmax_warp_backwardIdddLi0ELb1ELb0ELi64EEEvPT0_PKT_S5_iiiPKb
	.p2align	8
	.type	_ZN12_GLOBAL__N_121softmax_warp_backwardIdddLi0ELb1ELb0ELi64EEEvPT0_PKT_S5_iiiPKb,@function
_ZN12_GLOBAL__N_121softmax_warp_backwardIdddLi0ELb1ELb0ELi64EEEvPT0_PKT_S5_iiiPKb: ; @_ZN12_GLOBAL__N_121softmax_warp_backwardIdddLi0ELb1ELb0ELi64EEEvPT0_PKT_S5_iiiPKb
; %bb.0:
	s_load_dword s2, s[4:5], 0x3c
	s_load_dwordx4 s[8:11], s[4:5], 0x18
	s_load_dwordx4 s[12:15], s[4:5], 0x0
	s_load_dwordx2 s[0:1], s[4:5], 0x10
	v_bfe_u32 v0, v0, 10, 10
	s_waitcnt lgkmcnt(0)
	s_lshr_b32 s2, s2, 16
	s_mul_i32 s6, s6, s2
	v_add_lshl_u32 v0, s6, v0, 1
	v_sub_u32_e32 v14, s8, v0
	v_mul_lo_u32 v0, v0, s9
	v_ashrrev_i32_e32 v1, 31, v0
	v_lshlrev_b64 v[4:5], 3, v[0:1]
	v_mov_b32_e32 v0, s15
	v_add_co_u32_e32 v10, vcc, s14, v4
	v_addc_co_u32_e32 v11, vcc, v0, v5, vcc
	v_mov_b32_e32 v0, s1
	v_add_co_u32_e32 v12, vcc, s0, v4
	v_addc_co_u32_e32 v13, vcc, v0, v5, vcc
	s_cmp_gt_i32 s10, 0
	s_cselect_b64 s[2:3], -1, 0
	v_cmp_lt_i32_e32 vcc, 0, v14
	v_pk_mov_b32 v[0:1], 0, 0
	s_and_b64 s[4:5], s[2:3], vcc
	v_pk_mov_b32 v[6:7], v[0:1], v[0:1] op_sel:[0,1]
	v_pk_mov_b32 v[8:9], v[0:1], v[0:1] op_sel:[0,1]
	s_and_saveexec_b64 s[0:1], s[4:5]
	s_cbranch_execz .LBB204_2
; %bb.1:
	global_load_dwordx2 v[6:7], v[10:11], off
	global_load_dwordx2 v[8:9], v[12:13], off
.LBB204_2:
	s_or_b64 exec, exec, s[0:1]
	v_cmp_lt_i32_e64 s[0:1], 1, v14
	s_and_b64 s[0:1], s[2:3], s[0:1]
	v_pk_mov_b32 v[2:3], v[0:1], v[0:1] op_sel:[0,1]
	s_and_saveexec_b64 s[4:5], s[0:1]
	s_cbranch_execz .LBB204_4
; %bb.3:
	s_mov_b32 s11, 0
	s_lshl_b64 s[6:7], s[10:11], 3
	v_mov_b32_e32 v3, s7
	v_add_co_u32_e64 v0, s[0:1], s6, v10
	v_addc_co_u32_e64 v1, s[0:1], v11, v3, s[0:1]
	v_add_co_u32_e64 v2, s[0:1], s6, v12
	v_addc_co_u32_e64 v3, s[0:1], v13, v3, s[0:1]
	global_load_dwordx2 v[0:1], v[0:1], off
	s_nop 0
	global_load_dwordx2 v[2:3], v[2:3], off
.LBB204_4:
	s_or_b64 exec, exec, s[4:5]
	s_and_saveexec_b64 s[0:1], vcc
	s_cbranch_execz .LBB204_10
; %bb.5:
	v_mov_b32_e32 v10, s13
	v_cndmask_b32_e64 v11, 0, 1, s[2:3]
	s_andn2_b64 vcc, exec, s[2:3]
	v_add_co_u32_e64 v4, s[2:3], s12, v4
	v_cmp_ne_u32_e64 s[0:1], 1, v11
	v_addc_co_u32_e64 v5, s[2:3], v10, v5, s[2:3]
	s_cbranch_vccnz .LBB204_7
; %bb.6:
	s_mov_b32 s2, 0x652b82fe
	s_mov_b32 s3, 0x3ff71547
	s_waitcnt vmcnt(0)
	v_mul_f64 v[12:13], v[8:9], s[2:3]
	s_mov_b32 s2, 0xfefa39ef
	v_rndne_f64_e32 v[12:13], v[12:13]
	s_mov_b32 s3, 0xbfe62e42
	v_fma_f64 v[16:17], s[2:3], v[12:13], v[8:9]
	s_mov_b32 s2, 0x3b39803f
	s_mov_b32 s3, 0xbc7abc9e
	v_fmac_f64_e32 v[16:17], s[2:3], v[12:13]
	s_mov_b32 s2, 0x6a5dcb37
	v_mov_b32_e32 v18, 0xfca7ab0c
	v_mov_b32_e32 v19, 0x3e928af3
	s_mov_b32 s3, 0x3e5ade15
	v_fmac_f64_e32 v[18:19], s[2:3], v[16:17]
	v_mov_b32_e32 v20, 0x623fde64
	v_mov_b32_e32 v21, 0x3ec71dee
	v_fmac_f64_e32 v[20:21], v[16:17], v[18:19]
	v_mov_b32_e32 v18, 0x7c89e6b0
	v_mov_b32_e32 v19, 0x3efa0199
	;; [unrolled: 3-line block ×8, first 2 shown]
	s_mov_b32 s2, 0
	v_fmac_f64_e32 v[18:19], v[16:17], v[20:21]
	s_mov_b32 s3, 0x40900000
	v_fma_f64 v[18:19], v[16:17], v[18:19], 1.0
	v_cmp_nlt_f64_e32 vcc, s[2:3], v[8:9]
	s_mov_b32 s2, 0
	v_fma_f64 v[16:17], v[16:17], v[18:19], 1.0
	v_cvt_i32_f64_e32 v12, v[12:13]
	s_mov_b32 s3, 0xc090cc00
	v_ldexp_f64 v[12:13], v[16:17], v12
	v_mov_b32_e32 v15, 0x7ff00000
	v_cmp_ngt_f64_e64 s[2:3], s[2:3], v[8:9]
	v_cndmask_b32_e32 v13, v15, v13, vcc
	s_and_b64 vcc, s[2:3], vcc
	v_add_f64 v[10:11], v[6:7], 0
	v_cndmask_b32_e64 v9, 0, v13, s[2:3]
	v_cndmask_b32_e32 v8, 0, v12, vcc
	v_fma_f64 v[6:7], -v[10:11], v[8:9], v[6:7]
	global_store_dwordx2 v[4:5], v[6:7], off
.LBB204_7:
	v_cmp_ne_u32_e32 vcc, 1, v14
	s_and_b64 exec, exec, vcc
	s_cbranch_execz .LBB204_10
; %bb.8:
	s_and_b64 vcc, exec, s[0:1]
	s_cbranch_vccnz .LBB204_10
; %bb.9:
	s_mov_b32 s0, 0x652b82fe
	s_mov_b32 s1, 0x3ff71547
	s_waitcnt vmcnt(0)
	v_mul_f64 v[8:9], v[2:3], s[0:1]
	s_mov_b32 s0, 0xfefa39ef
	v_rndne_f64_e32 v[8:9], v[8:9]
	s_mov_b32 s1, 0xbfe62e42
	v_fma_f64 v[10:11], s[0:1], v[8:9], v[2:3]
	s_mov_b32 s0, 0x3b39803f
	s_mov_b32 s1, 0xbc7abc9e
	v_fmac_f64_e32 v[10:11], s[0:1], v[8:9]
	s_mov_b32 s0, 0x6a5dcb37
	v_mov_b32_e32 v12, 0xfca7ab0c
	v_mov_b32_e32 v13, 0x3e928af3
	s_mov_b32 s1, 0x3e5ade15
	v_fmac_f64_e32 v[12:13], s[0:1], v[10:11]
	v_mov_b32_e32 v14, 0x623fde64
	v_mov_b32_e32 v15, 0x3ec71dee
	v_fmac_f64_e32 v[14:15], v[10:11], v[12:13]
	v_mov_b32_e32 v12, 0x7c89e6b0
	v_mov_b32_e32 v13, 0x3efa0199
	;; [unrolled: 3-line block ×8, first 2 shown]
	s_mov_b32 s0, 0
	v_fmac_f64_e32 v[12:13], v[10:11], v[14:15]
	s_mov_b32 s1, 0x40900000
	v_fma_f64 v[12:13], v[10:11], v[12:13], 1.0
	v_cmp_nlt_f64_e32 vcc, s[0:1], v[2:3]
	s_mov_b32 s0, 0
	v_fma_f64 v[10:11], v[10:11], v[12:13], 1.0
	v_cvt_i32_f64_e32 v8, v[8:9]
	s_mov_b32 s1, 0xc090cc00
	v_ldexp_f64 v[8:9], v[10:11], v8
	v_mov_b32_e32 v10, 0x7ff00000
	v_cmp_ngt_f64_e64 s[0:1], s[0:1], v[2:3]
	v_cndmask_b32_e32 v9, v10, v9, vcc
	s_mov_b32 s11, 0
	s_and_b64 vcc, s[0:1], vcc
	v_add_f64 v[6:7], v[0:1], 0
	v_cndmask_b32_e64 v3, 0, v9, s[0:1]
	v_cndmask_b32_e32 v2, 0, v8, vcc
	s_lshl_b64 s[0:1], s[10:11], 3
	v_fma_f64 v[0:1], -v[6:7], v[2:3], v[0:1]
	v_mov_b32_e32 v3, s1
	v_add_co_u32_e32 v2, vcc, s0, v4
	v_addc_co_u32_e32 v3, vcc, v5, v3, vcc
	global_store_dwordx2 v[2:3], v[0:1], off
.LBB204_10:
	s_endpgm
	.section	.rodata,"a",@progbits
	.p2align	6, 0x0
	.amdhsa_kernel _ZN12_GLOBAL__N_121softmax_warp_backwardIdddLi0ELb1ELb0ELi64EEEvPT0_PKT_S5_iiiPKb
		.amdhsa_group_segment_fixed_size 0
		.amdhsa_private_segment_fixed_size 0
		.amdhsa_kernarg_size 304
		.amdhsa_user_sgpr_count 6
		.amdhsa_user_sgpr_private_segment_buffer 1
		.amdhsa_user_sgpr_dispatch_ptr 0
		.amdhsa_user_sgpr_queue_ptr 0
		.amdhsa_user_sgpr_kernarg_segment_ptr 1
		.amdhsa_user_sgpr_dispatch_id 0
		.amdhsa_user_sgpr_flat_scratch_init 0
		.amdhsa_user_sgpr_kernarg_preload_length 0
		.amdhsa_user_sgpr_kernarg_preload_offset 0
		.amdhsa_user_sgpr_private_segment_size 0
		.amdhsa_uses_dynamic_stack 0
		.amdhsa_system_sgpr_private_segment_wavefront_offset 0
		.amdhsa_system_sgpr_workgroup_id_x 1
		.amdhsa_system_sgpr_workgroup_id_y 0
		.amdhsa_system_sgpr_workgroup_id_z 0
		.amdhsa_system_sgpr_workgroup_info 0
		.amdhsa_system_vgpr_workitem_id 1
		.amdhsa_next_free_vgpr 22
		.amdhsa_next_free_sgpr 16
		.amdhsa_accum_offset 24
		.amdhsa_reserve_vcc 1
		.amdhsa_reserve_flat_scratch 0
		.amdhsa_float_round_mode_32 0
		.amdhsa_float_round_mode_16_64 0
		.amdhsa_float_denorm_mode_32 3
		.amdhsa_float_denorm_mode_16_64 3
		.amdhsa_dx10_clamp 1
		.amdhsa_ieee_mode 1
		.amdhsa_fp16_overflow 0
		.amdhsa_tg_split 0
		.amdhsa_exception_fp_ieee_invalid_op 0
		.amdhsa_exception_fp_denorm_src 0
		.amdhsa_exception_fp_ieee_div_zero 0
		.amdhsa_exception_fp_ieee_overflow 0
		.amdhsa_exception_fp_ieee_underflow 0
		.amdhsa_exception_fp_ieee_inexact 0
		.amdhsa_exception_int_div_zero 0
	.end_amdhsa_kernel
	.section	.text._ZN12_GLOBAL__N_121softmax_warp_backwardIdddLi0ELb1ELb0ELi64EEEvPT0_PKT_S5_iiiPKb,"axG",@progbits,_ZN12_GLOBAL__N_121softmax_warp_backwardIdddLi0ELb1ELb0ELi64EEEvPT0_PKT_S5_iiiPKb,comdat
.Lfunc_end204:
	.size	_ZN12_GLOBAL__N_121softmax_warp_backwardIdddLi0ELb1ELb0ELi64EEEvPT0_PKT_S5_iiiPKb, .Lfunc_end204-_ZN12_GLOBAL__N_121softmax_warp_backwardIdddLi0ELb1ELb0ELi64EEEvPT0_PKT_S5_iiiPKb
                                        ; -- End function
	.section	.AMDGPU.csdata,"",@progbits
; Kernel info:
; codeLenInByte = 1136
; NumSgprs: 20
; NumVgprs: 22
; NumAgprs: 0
; TotalNumVgprs: 22
; ScratchSize: 0
; MemoryBound: 0
; FloatMode: 240
; IeeeMode: 1
; LDSByteSize: 0 bytes/workgroup (compile time only)
; SGPRBlocks: 2
; VGPRBlocks: 2
; NumSGPRsForWavesPerEU: 20
; NumVGPRsForWavesPerEU: 22
; AccumOffset: 24
; Occupancy: 8
; WaveLimiterHint : 0
; COMPUTE_PGM_RSRC2:SCRATCH_EN: 0
; COMPUTE_PGM_RSRC2:USER_SGPR: 6
; COMPUTE_PGM_RSRC2:TRAP_HANDLER: 0
; COMPUTE_PGM_RSRC2:TGID_X_EN: 1
; COMPUTE_PGM_RSRC2:TGID_Y_EN: 0
; COMPUTE_PGM_RSRC2:TGID_Z_EN: 0
; COMPUTE_PGM_RSRC2:TIDIG_COMP_CNT: 1
; COMPUTE_PGM_RSRC3_GFX90A:ACCUM_OFFSET: 5
; COMPUTE_PGM_RSRC3_GFX90A:TG_SPLIT: 0
	.section	.text._ZN12_GLOBAL__N_121softmax_warp_backwardIdddLi0ELb1ELb0ELi32EEEvPT0_PKT_S5_iiiPKb,"axG",@progbits,_ZN12_GLOBAL__N_121softmax_warp_backwardIdddLi0ELb1ELb0ELi32EEEvPT0_PKT_S5_iiiPKb,comdat
	.globl	_ZN12_GLOBAL__N_121softmax_warp_backwardIdddLi0ELb1ELb0ELi32EEEvPT0_PKT_S5_iiiPKb ; -- Begin function _ZN12_GLOBAL__N_121softmax_warp_backwardIdddLi0ELb1ELb0ELi32EEEvPT0_PKT_S5_iiiPKb
	.p2align	8
	.type	_ZN12_GLOBAL__N_121softmax_warp_backwardIdddLi0ELb1ELb0ELi32EEEvPT0_PKT_S5_iiiPKb,@function
_ZN12_GLOBAL__N_121softmax_warp_backwardIdddLi0ELb1ELb0ELi32EEEvPT0_PKT_S5_iiiPKb: ; @_ZN12_GLOBAL__N_121softmax_warp_backwardIdddLi0ELb1ELb0ELi32EEEvPT0_PKT_S5_iiiPKb
; %bb.0:
	s_load_dword s2, s[4:5], 0x3c
	s_load_dwordx4 s[8:11], s[4:5], 0x18
	s_load_dwordx4 s[12:15], s[4:5], 0x0
	s_load_dwordx2 s[0:1], s[4:5], 0x10
	v_bfe_u32 v0, v0, 10, 10
	s_waitcnt lgkmcnt(0)
	s_lshr_b32 s2, s2, 16
	s_mul_i32 s6, s6, s2
	v_add_lshl_u32 v0, s6, v0, 1
	v_sub_u32_e32 v14, s8, v0
	v_mul_lo_u32 v0, v0, s9
	v_ashrrev_i32_e32 v1, 31, v0
	v_lshlrev_b64 v[4:5], 3, v[0:1]
	v_mov_b32_e32 v0, s15
	v_add_co_u32_e32 v10, vcc, s14, v4
	v_addc_co_u32_e32 v11, vcc, v0, v5, vcc
	v_mov_b32_e32 v0, s1
	v_add_co_u32_e32 v12, vcc, s0, v4
	v_addc_co_u32_e32 v13, vcc, v0, v5, vcc
	s_cmp_gt_i32 s10, 0
	s_cselect_b64 s[2:3], -1, 0
	v_cmp_lt_i32_e32 vcc, 0, v14
	v_pk_mov_b32 v[0:1], 0, 0
	s_and_b64 s[4:5], s[2:3], vcc
	v_pk_mov_b32 v[6:7], v[0:1], v[0:1] op_sel:[0,1]
	v_pk_mov_b32 v[8:9], v[0:1], v[0:1] op_sel:[0,1]
	s_and_saveexec_b64 s[0:1], s[4:5]
	s_cbranch_execz .LBB205_2
; %bb.1:
	global_load_dwordx2 v[6:7], v[10:11], off
	global_load_dwordx2 v[8:9], v[12:13], off
.LBB205_2:
	s_or_b64 exec, exec, s[0:1]
	v_cmp_lt_i32_e64 s[0:1], 1, v14
	s_and_b64 s[0:1], s[2:3], s[0:1]
	v_pk_mov_b32 v[2:3], v[0:1], v[0:1] op_sel:[0,1]
	s_and_saveexec_b64 s[4:5], s[0:1]
	s_cbranch_execz .LBB205_4
; %bb.3:
	s_mov_b32 s11, 0
	s_lshl_b64 s[6:7], s[10:11], 3
	v_mov_b32_e32 v3, s7
	v_add_co_u32_e64 v0, s[0:1], s6, v10
	v_addc_co_u32_e64 v1, s[0:1], v11, v3, s[0:1]
	v_add_co_u32_e64 v2, s[0:1], s6, v12
	v_addc_co_u32_e64 v3, s[0:1], v13, v3, s[0:1]
	global_load_dwordx2 v[0:1], v[0:1], off
	s_nop 0
	global_load_dwordx2 v[2:3], v[2:3], off
.LBB205_4:
	s_or_b64 exec, exec, s[4:5]
	s_and_saveexec_b64 s[0:1], vcc
	s_cbranch_execz .LBB205_10
; %bb.5:
	v_mov_b32_e32 v10, s13
	v_cndmask_b32_e64 v11, 0, 1, s[2:3]
	s_andn2_b64 vcc, exec, s[2:3]
	v_add_co_u32_e64 v4, s[2:3], s12, v4
	v_cmp_ne_u32_e64 s[0:1], 1, v11
	v_addc_co_u32_e64 v5, s[2:3], v10, v5, s[2:3]
	s_cbranch_vccnz .LBB205_7
; %bb.6:
	s_mov_b32 s2, 0x652b82fe
	s_mov_b32 s3, 0x3ff71547
	s_waitcnt vmcnt(0)
	v_mul_f64 v[12:13], v[8:9], s[2:3]
	s_mov_b32 s2, 0xfefa39ef
	v_rndne_f64_e32 v[12:13], v[12:13]
	s_mov_b32 s3, 0xbfe62e42
	v_fma_f64 v[16:17], s[2:3], v[12:13], v[8:9]
	s_mov_b32 s2, 0x3b39803f
	s_mov_b32 s3, 0xbc7abc9e
	v_fmac_f64_e32 v[16:17], s[2:3], v[12:13]
	s_mov_b32 s2, 0x6a5dcb37
	v_mov_b32_e32 v18, 0xfca7ab0c
	v_mov_b32_e32 v19, 0x3e928af3
	s_mov_b32 s3, 0x3e5ade15
	v_fmac_f64_e32 v[18:19], s[2:3], v[16:17]
	v_mov_b32_e32 v20, 0x623fde64
	v_mov_b32_e32 v21, 0x3ec71dee
	v_fmac_f64_e32 v[20:21], v[16:17], v[18:19]
	v_mov_b32_e32 v18, 0x7c89e6b0
	v_mov_b32_e32 v19, 0x3efa0199
	;; [unrolled: 3-line block ×8, first 2 shown]
	s_mov_b32 s2, 0
	v_fmac_f64_e32 v[18:19], v[16:17], v[20:21]
	s_mov_b32 s3, 0x40900000
	v_fma_f64 v[18:19], v[16:17], v[18:19], 1.0
	v_cmp_nlt_f64_e32 vcc, s[2:3], v[8:9]
	s_mov_b32 s2, 0
	v_fma_f64 v[16:17], v[16:17], v[18:19], 1.0
	v_cvt_i32_f64_e32 v12, v[12:13]
	s_mov_b32 s3, 0xc090cc00
	v_ldexp_f64 v[12:13], v[16:17], v12
	v_mov_b32_e32 v15, 0x7ff00000
	v_cmp_ngt_f64_e64 s[2:3], s[2:3], v[8:9]
	v_cndmask_b32_e32 v13, v15, v13, vcc
	s_and_b64 vcc, s[2:3], vcc
	v_add_f64 v[10:11], v[6:7], 0
	v_cndmask_b32_e64 v9, 0, v13, s[2:3]
	v_cndmask_b32_e32 v8, 0, v12, vcc
	v_fma_f64 v[6:7], -v[10:11], v[8:9], v[6:7]
	global_store_dwordx2 v[4:5], v[6:7], off
.LBB205_7:
	v_cmp_ne_u32_e32 vcc, 1, v14
	s_and_b64 exec, exec, vcc
	s_cbranch_execz .LBB205_10
; %bb.8:
	s_and_b64 vcc, exec, s[0:1]
	s_cbranch_vccnz .LBB205_10
; %bb.9:
	s_mov_b32 s0, 0x652b82fe
	s_mov_b32 s1, 0x3ff71547
	s_waitcnt vmcnt(0)
	v_mul_f64 v[8:9], v[2:3], s[0:1]
	s_mov_b32 s0, 0xfefa39ef
	v_rndne_f64_e32 v[8:9], v[8:9]
	s_mov_b32 s1, 0xbfe62e42
	v_fma_f64 v[10:11], s[0:1], v[8:9], v[2:3]
	s_mov_b32 s0, 0x3b39803f
	s_mov_b32 s1, 0xbc7abc9e
	v_fmac_f64_e32 v[10:11], s[0:1], v[8:9]
	s_mov_b32 s0, 0x6a5dcb37
	v_mov_b32_e32 v12, 0xfca7ab0c
	v_mov_b32_e32 v13, 0x3e928af3
	s_mov_b32 s1, 0x3e5ade15
	v_fmac_f64_e32 v[12:13], s[0:1], v[10:11]
	v_mov_b32_e32 v14, 0x623fde64
	v_mov_b32_e32 v15, 0x3ec71dee
	v_fmac_f64_e32 v[14:15], v[10:11], v[12:13]
	v_mov_b32_e32 v12, 0x7c89e6b0
	v_mov_b32_e32 v13, 0x3efa0199
	;; [unrolled: 3-line block ×8, first 2 shown]
	s_mov_b32 s0, 0
	v_fmac_f64_e32 v[12:13], v[10:11], v[14:15]
	s_mov_b32 s1, 0x40900000
	v_fma_f64 v[12:13], v[10:11], v[12:13], 1.0
	v_cmp_nlt_f64_e32 vcc, s[0:1], v[2:3]
	s_mov_b32 s0, 0
	v_fma_f64 v[10:11], v[10:11], v[12:13], 1.0
	v_cvt_i32_f64_e32 v8, v[8:9]
	s_mov_b32 s1, 0xc090cc00
	v_ldexp_f64 v[8:9], v[10:11], v8
	v_mov_b32_e32 v10, 0x7ff00000
	v_cmp_ngt_f64_e64 s[0:1], s[0:1], v[2:3]
	v_cndmask_b32_e32 v9, v10, v9, vcc
	s_mov_b32 s11, 0
	s_and_b64 vcc, s[0:1], vcc
	v_add_f64 v[6:7], v[0:1], 0
	v_cndmask_b32_e64 v3, 0, v9, s[0:1]
	v_cndmask_b32_e32 v2, 0, v8, vcc
	s_lshl_b64 s[0:1], s[10:11], 3
	v_fma_f64 v[0:1], -v[6:7], v[2:3], v[0:1]
	v_mov_b32_e32 v3, s1
	v_add_co_u32_e32 v2, vcc, s0, v4
	v_addc_co_u32_e32 v3, vcc, v5, v3, vcc
	global_store_dwordx2 v[2:3], v[0:1], off
.LBB205_10:
	s_endpgm
	.section	.rodata,"a",@progbits
	.p2align	6, 0x0
	.amdhsa_kernel _ZN12_GLOBAL__N_121softmax_warp_backwardIdddLi0ELb1ELb0ELi32EEEvPT0_PKT_S5_iiiPKb
		.amdhsa_group_segment_fixed_size 0
		.amdhsa_private_segment_fixed_size 0
		.amdhsa_kernarg_size 304
		.amdhsa_user_sgpr_count 6
		.amdhsa_user_sgpr_private_segment_buffer 1
		.amdhsa_user_sgpr_dispatch_ptr 0
		.amdhsa_user_sgpr_queue_ptr 0
		.amdhsa_user_sgpr_kernarg_segment_ptr 1
		.amdhsa_user_sgpr_dispatch_id 0
		.amdhsa_user_sgpr_flat_scratch_init 0
		.amdhsa_user_sgpr_kernarg_preload_length 0
		.amdhsa_user_sgpr_kernarg_preload_offset 0
		.amdhsa_user_sgpr_private_segment_size 0
		.amdhsa_uses_dynamic_stack 0
		.amdhsa_system_sgpr_private_segment_wavefront_offset 0
		.amdhsa_system_sgpr_workgroup_id_x 1
		.amdhsa_system_sgpr_workgroup_id_y 0
		.amdhsa_system_sgpr_workgroup_id_z 0
		.amdhsa_system_sgpr_workgroup_info 0
		.amdhsa_system_vgpr_workitem_id 1
		.amdhsa_next_free_vgpr 22
		.amdhsa_next_free_sgpr 16
		.amdhsa_accum_offset 24
		.amdhsa_reserve_vcc 1
		.amdhsa_reserve_flat_scratch 0
		.amdhsa_float_round_mode_32 0
		.amdhsa_float_round_mode_16_64 0
		.amdhsa_float_denorm_mode_32 3
		.amdhsa_float_denorm_mode_16_64 3
		.amdhsa_dx10_clamp 1
		.amdhsa_ieee_mode 1
		.amdhsa_fp16_overflow 0
		.amdhsa_tg_split 0
		.amdhsa_exception_fp_ieee_invalid_op 0
		.amdhsa_exception_fp_denorm_src 0
		.amdhsa_exception_fp_ieee_div_zero 0
		.amdhsa_exception_fp_ieee_overflow 0
		.amdhsa_exception_fp_ieee_underflow 0
		.amdhsa_exception_fp_ieee_inexact 0
		.amdhsa_exception_int_div_zero 0
	.end_amdhsa_kernel
	.section	.text._ZN12_GLOBAL__N_121softmax_warp_backwardIdddLi0ELb1ELb0ELi32EEEvPT0_PKT_S5_iiiPKb,"axG",@progbits,_ZN12_GLOBAL__N_121softmax_warp_backwardIdddLi0ELb1ELb0ELi32EEEvPT0_PKT_S5_iiiPKb,comdat
.Lfunc_end205:
	.size	_ZN12_GLOBAL__N_121softmax_warp_backwardIdddLi0ELb1ELb0ELi32EEEvPT0_PKT_S5_iiiPKb, .Lfunc_end205-_ZN12_GLOBAL__N_121softmax_warp_backwardIdddLi0ELb1ELb0ELi32EEEvPT0_PKT_S5_iiiPKb
                                        ; -- End function
	.section	.AMDGPU.csdata,"",@progbits
; Kernel info:
; codeLenInByte = 1136
; NumSgprs: 20
; NumVgprs: 22
; NumAgprs: 0
; TotalNumVgprs: 22
; ScratchSize: 0
; MemoryBound: 0
; FloatMode: 240
; IeeeMode: 1
; LDSByteSize: 0 bytes/workgroup (compile time only)
; SGPRBlocks: 2
; VGPRBlocks: 2
; NumSGPRsForWavesPerEU: 20
; NumVGPRsForWavesPerEU: 22
; AccumOffset: 24
; Occupancy: 8
; WaveLimiterHint : 0
; COMPUTE_PGM_RSRC2:SCRATCH_EN: 0
; COMPUTE_PGM_RSRC2:USER_SGPR: 6
; COMPUTE_PGM_RSRC2:TRAP_HANDLER: 0
; COMPUTE_PGM_RSRC2:TGID_X_EN: 1
; COMPUTE_PGM_RSRC2:TGID_Y_EN: 0
; COMPUTE_PGM_RSRC2:TGID_Z_EN: 0
; COMPUTE_PGM_RSRC2:TIDIG_COMP_CNT: 1
; COMPUTE_PGM_RSRC3_GFX90A:ACCUM_OFFSET: 5
; COMPUTE_PGM_RSRC3_GFX90A:TG_SPLIT: 0
	.section	.text._ZN12_GLOBAL__N_121softmax_warp_backwardIdddLi1ELb1ELb0ELi64EEEvPT0_PKT_S5_iiiPKb,"axG",@progbits,_ZN12_GLOBAL__N_121softmax_warp_backwardIdddLi1ELb1ELb0ELi64EEEvPT0_PKT_S5_iiiPKb,comdat
	.globl	_ZN12_GLOBAL__N_121softmax_warp_backwardIdddLi1ELb1ELb0ELi64EEEvPT0_PKT_S5_iiiPKb ; -- Begin function _ZN12_GLOBAL__N_121softmax_warp_backwardIdddLi1ELb1ELb0ELi64EEEvPT0_PKT_S5_iiiPKb
	.p2align	8
	.type	_ZN12_GLOBAL__N_121softmax_warp_backwardIdddLi1ELb1ELb0ELi64EEEvPT0_PKT_S5_iiiPKb,@function
_ZN12_GLOBAL__N_121softmax_warp_backwardIdddLi1ELb1ELb0ELi64EEEvPT0_PKT_S5_iiiPKb: ; @_ZN12_GLOBAL__N_121softmax_warp_backwardIdddLi1ELb1ELb0ELi64EEEvPT0_PKT_S5_iiiPKb
; %bb.0:
	s_load_dword s2, s[4:5], 0x3c
	s_load_dwordx4 s[8:11], s[4:5], 0x18
	s_load_dwordx4 s[12:15], s[4:5], 0x0
	s_load_dwordx2 s[0:1], s[4:5], 0x10
	v_bfe_u32 v1, v0, 10, 10
	s_waitcnt lgkmcnt(0)
	s_lshr_b32 s2, s2, 16
	s_mul_i32 s6, s6, s2
	v_add_lshl_u32 v1, s6, v1, 1
	v_sub_u32_e32 v18, s8, v1
	v_mul_lo_u32 v1, v1, s9
	v_and_b32_e32 v2, 1, v0
	v_or_b32_e32 v0, v1, v2
	v_ashrrev_i32_e32 v1, 31, v0
	v_lshlrev_b64 v[4:5], 3, v[0:1]
	v_mov_b32_e32 v0, s15
	v_add_co_u32_e32 v10, vcc, s14, v4
	v_addc_co_u32_e32 v11, vcc, v0, v5, vcc
	v_mov_b32_e32 v0, s1
	v_add_co_u32_e32 v12, vcc, s0, v4
	v_addc_co_u32_e32 v13, vcc, v0, v5, vcc
	v_cmp_gt_i32_e32 vcc, s10, v2
	v_cmp_lt_i32_e64 s[0:1], 0, v18
	v_pk_mov_b32 v[0:1], 0, 0
	s_and_b64 s[4:5], vcc, s[0:1]
	v_pk_mov_b32 v[6:7], v[0:1], v[0:1] op_sel:[0,1]
	v_pk_mov_b32 v[8:9], v[0:1], v[0:1] op_sel:[0,1]
	s_and_saveexec_b64 s[2:3], s[4:5]
	s_cbranch_execz .LBB206_2
; %bb.1:
	global_load_dwordx2 v[6:7], v[10:11], off
	global_load_dwordx2 v[8:9], v[12:13], off
.LBB206_2:
	s_or_b64 exec, exec, s[2:3]
	v_cmp_lt_i32_e64 s[2:3], 1, v18
	s_and_b64 s[2:3], vcc, s[2:3]
	v_pk_mov_b32 v[2:3], v[0:1], v[0:1] op_sel:[0,1]
	s_and_saveexec_b64 s[4:5], s[2:3]
	s_cbranch_execz .LBB206_4
; %bb.3:
	s_mov_b32 s11, 0
	s_lshl_b64 s[6:7], s[10:11], 3
	v_mov_b32_e32 v3, s7
	v_add_co_u32_e64 v0, s[2:3], s6, v10
	v_addc_co_u32_e64 v1, s[2:3], v11, v3, s[2:3]
	v_add_co_u32_e64 v2, s[2:3], s6, v12
	v_addc_co_u32_e64 v3, s[2:3], v13, v3, s[2:3]
	global_load_dwordx2 v[0:1], v[0:1], off
	s_nop 0
	global_load_dwordx2 v[2:3], v[2:3], off
.LBB206_4:
	s_or_b64 exec, exec, s[4:5]
	v_mbcnt_lo_u32_b32 v12, -1, 0
	v_mbcnt_hi_u32_b32 v12, -1, v12
	v_and_b32_e32 v16, 0x7e, v12
	v_xor_b32_e32 v13, 1, v12
	v_add_u32_e32 v16, 2, v16
	v_cmp_lt_i32_e64 s[2:3], v13, v16
	v_cndmask_b32_e64 v12, v12, v13, s[2:3]
	s_waitcnt vmcnt(1)
	v_add_f64 v[14:15], v[6:7], 0
	v_add_f64 v[10:11], v[0:1], 0
	v_lshlrev_b32_e32 v13, 2, v12
	ds_bpermute_b32 v16, v13, v14
	ds_bpermute_b32 v17, v13, v15
	;; [unrolled: 1-line block ×4, first 2 shown]
	s_and_saveexec_b64 s[2:3], s[0:1]
	s_cbranch_execz .LBB206_10
; %bb.5:
	v_mov_b32_e32 v19, s13
	v_add_co_u32_e64 v4, s[0:1], s12, v4
	v_addc_co_u32_e64 v5, s[0:1], v19, v5, s[0:1]
	s_and_saveexec_b64 s[4:5], vcc
	s_cbranch_execz .LBB206_7
; %bb.6:
	s_mov_b32 s0, 0x652b82fe
	s_mov_b32 s1, 0x3ff71547
	s_waitcnt lgkmcnt(2)
	v_add_f64 v[14:15], v[14:15], v[16:17]
	s_waitcnt vmcnt(0)
	v_mul_f64 v[16:17], v[8:9], s[0:1]
	s_mov_b32 s0, 0xfefa39ef
	v_rndne_f64_e32 v[16:17], v[16:17]
	s_mov_b32 s1, 0xbfe62e42
	v_fma_f64 v[20:21], s[0:1], v[16:17], v[8:9]
	s_mov_b32 s0, 0x3b39803f
	s_mov_b32 s1, 0xbc7abc9e
	v_fmac_f64_e32 v[20:21], s[0:1], v[16:17]
	s_mov_b32 s0, 0x6a5dcb37
	v_mov_b32_e32 v22, 0xfca7ab0c
	v_mov_b32_e32 v23, 0x3e928af3
	s_mov_b32 s1, 0x3e5ade15
	v_fmac_f64_e32 v[22:23], s[0:1], v[20:21]
	v_mov_b32_e32 v24, 0x623fde64
	v_mov_b32_e32 v25, 0x3ec71dee
	v_fmac_f64_e32 v[24:25], v[20:21], v[22:23]
	v_mov_b32_e32 v22, 0x7c89e6b0
	v_mov_b32_e32 v23, 0x3efa0199
	;; [unrolled: 3-line block ×8, first 2 shown]
	v_fmac_f64_e32 v[22:23], v[20:21], v[24:25]
	v_fma_f64 v[22:23], v[20:21], v[22:23], 1.0
	s_mov_b32 s0, 0
	s_mov_b32 s2, 0
	v_fma_f64 v[20:21], v[20:21], v[22:23], 1.0
	v_cvt_i32_f64_e32 v16, v[16:17]
	s_mov_b32 s1, 0x40900000
	s_mov_b32 s3, 0xc090cc00
	v_ldexp_f64 v[16:17], v[20:21], v16
	v_mov_b32_e32 v19, 0x7ff00000
	v_cmp_nlt_f64_e64 s[0:1], s[0:1], v[8:9]
	v_cmp_ngt_f64_e64 s[2:3], s[2:3], v[8:9]
	v_cndmask_b32_e64 v17, v19, v17, s[0:1]
	s_and_b64 s[0:1], s[2:3], s[0:1]
	v_cndmask_b32_e64 v9, 0, v17, s[2:3]
	v_cndmask_b32_e64 v8, 0, v16, s[0:1]
	v_fma_f64 v[6:7], -v[14:15], v[8:9], v[6:7]
	global_store_dwordx2 v[4:5], v[6:7], off
.LBB206_7:
	s_or_b64 exec, exec, s[4:5]
	v_cmp_ne_u32_e64 s[0:1], 1, v18
	s_and_b64 exec, exec, s[0:1]
	s_cbranch_execz .LBB206_10
; %bb.8:
	s_and_b64 exec, exec, vcc
	s_cbranch_execz .LBB206_10
; %bb.9:
	s_mov_b32 s0, 0x652b82fe
	s_mov_b32 s1, 0x3ff71547
	s_waitcnt vmcnt(0)
	v_mul_f64 v[8:9], v[2:3], s[0:1]
	s_mov_b32 s0, 0xfefa39ef
	v_rndne_f64_e32 v[8:9], v[8:9]
	s_mov_b32 s1, 0xbfe62e42
	s_waitcnt lgkmcnt(0)
	v_add_f64 v[6:7], v[10:11], v[12:13]
	v_fma_f64 v[10:11], s[0:1], v[8:9], v[2:3]
	s_mov_b32 s0, 0x3b39803f
	s_mov_b32 s1, 0xbc7abc9e
	v_fmac_f64_e32 v[10:11], s[0:1], v[8:9]
	s_mov_b32 s0, 0x6a5dcb37
	v_mov_b32_e32 v12, 0xfca7ab0c
	v_mov_b32_e32 v13, 0x3e928af3
	s_mov_b32 s1, 0x3e5ade15
	v_fmac_f64_e32 v[12:13], s[0:1], v[10:11]
	v_mov_b32_e32 v14, 0x623fde64
	v_mov_b32_e32 v15, 0x3ec71dee
	v_fmac_f64_e32 v[14:15], v[10:11], v[12:13]
	v_mov_b32_e32 v12, 0x7c89e6b0
	v_mov_b32_e32 v13, 0x3efa0199
	;; [unrolled: 3-line block ×8, first 2 shown]
	s_mov_b32 s0, 0
	v_fmac_f64_e32 v[12:13], v[10:11], v[14:15]
	s_mov_b32 s1, 0x40900000
	v_fma_f64 v[12:13], v[10:11], v[12:13], 1.0
	v_cmp_nlt_f64_e32 vcc, s[0:1], v[2:3]
	s_mov_b32 s0, 0
	v_fma_f64 v[10:11], v[10:11], v[12:13], 1.0
	v_cvt_i32_f64_e32 v8, v[8:9]
	s_mov_b32 s1, 0xc090cc00
	v_ldexp_f64 v[8:9], v[10:11], v8
	v_mov_b32_e32 v10, 0x7ff00000
	v_cmp_ngt_f64_e64 s[0:1], s[0:1], v[2:3]
	v_cndmask_b32_e32 v9, v10, v9, vcc
	s_mov_b32 s11, 0
	s_and_b64 vcc, s[0:1], vcc
	v_cndmask_b32_e64 v3, 0, v9, s[0:1]
	v_cndmask_b32_e32 v2, 0, v8, vcc
	s_lshl_b64 s[0:1], s[10:11], 3
	v_fma_f64 v[0:1], -v[6:7], v[2:3], v[0:1]
	v_mov_b32_e32 v3, s1
	v_add_co_u32_e32 v2, vcc, s0, v4
	v_addc_co_u32_e32 v3, vcc, v5, v3, vcc
	global_store_dwordx2 v[2:3], v[0:1], off
.LBB206_10:
	s_endpgm
	.section	.rodata,"a",@progbits
	.p2align	6, 0x0
	.amdhsa_kernel _ZN12_GLOBAL__N_121softmax_warp_backwardIdddLi1ELb1ELb0ELi64EEEvPT0_PKT_S5_iiiPKb
		.amdhsa_group_segment_fixed_size 0
		.amdhsa_private_segment_fixed_size 0
		.amdhsa_kernarg_size 304
		.amdhsa_user_sgpr_count 6
		.amdhsa_user_sgpr_private_segment_buffer 1
		.amdhsa_user_sgpr_dispatch_ptr 0
		.amdhsa_user_sgpr_queue_ptr 0
		.amdhsa_user_sgpr_kernarg_segment_ptr 1
		.amdhsa_user_sgpr_dispatch_id 0
		.amdhsa_user_sgpr_flat_scratch_init 0
		.amdhsa_user_sgpr_kernarg_preload_length 0
		.amdhsa_user_sgpr_kernarg_preload_offset 0
		.amdhsa_user_sgpr_private_segment_size 0
		.amdhsa_uses_dynamic_stack 0
		.amdhsa_system_sgpr_private_segment_wavefront_offset 0
		.amdhsa_system_sgpr_workgroup_id_x 1
		.amdhsa_system_sgpr_workgroup_id_y 0
		.amdhsa_system_sgpr_workgroup_id_z 0
		.amdhsa_system_sgpr_workgroup_info 0
		.amdhsa_system_vgpr_workitem_id 1
		.amdhsa_next_free_vgpr 26
		.amdhsa_next_free_sgpr 16
		.amdhsa_accum_offset 28
		.amdhsa_reserve_vcc 1
		.amdhsa_reserve_flat_scratch 0
		.amdhsa_float_round_mode_32 0
		.amdhsa_float_round_mode_16_64 0
		.amdhsa_float_denorm_mode_32 3
		.amdhsa_float_denorm_mode_16_64 3
		.amdhsa_dx10_clamp 1
		.amdhsa_ieee_mode 1
		.amdhsa_fp16_overflow 0
		.amdhsa_tg_split 0
		.amdhsa_exception_fp_ieee_invalid_op 0
		.amdhsa_exception_fp_denorm_src 0
		.amdhsa_exception_fp_ieee_div_zero 0
		.amdhsa_exception_fp_ieee_overflow 0
		.amdhsa_exception_fp_ieee_underflow 0
		.amdhsa_exception_fp_ieee_inexact 0
		.amdhsa_exception_int_div_zero 0
	.end_amdhsa_kernel
	.section	.text._ZN12_GLOBAL__N_121softmax_warp_backwardIdddLi1ELb1ELb0ELi64EEEvPT0_PKT_S5_iiiPKb,"axG",@progbits,_ZN12_GLOBAL__N_121softmax_warp_backwardIdddLi1ELb1ELb0ELi64EEEvPT0_PKT_S5_iiiPKb,comdat
.Lfunc_end206:
	.size	_ZN12_GLOBAL__N_121softmax_warp_backwardIdddLi1ELb1ELb0ELi64EEEvPT0_PKT_S5_iiiPKb, .Lfunc_end206-_ZN12_GLOBAL__N_121softmax_warp_backwardIdddLi1ELb1ELb0ELi64EEEvPT0_PKT_S5_iiiPKb
                                        ; -- End function
	.section	.AMDGPU.csdata,"",@progbits
; Kernel info:
; codeLenInByte = 1260
; NumSgprs: 20
; NumVgprs: 26
; NumAgprs: 0
; TotalNumVgprs: 26
; ScratchSize: 0
; MemoryBound: 0
; FloatMode: 240
; IeeeMode: 1
; LDSByteSize: 0 bytes/workgroup (compile time only)
; SGPRBlocks: 2
; VGPRBlocks: 3
; NumSGPRsForWavesPerEU: 20
; NumVGPRsForWavesPerEU: 26
; AccumOffset: 28
; Occupancy: 8
; WaveLimiterHint : 0
; COMPUTE_PGM_RSRC2:SCRATCH_EN: 0
; COMPUTE_PGM_RSRC2:USER_SGPR: 6
; COMPUTE_PGM_RSRC2:TRAP_HANDLER: 0
; COMPUTE_PGM_RSRC2:TGID_X_EN: 1
; COMPUTE_PGM_RSRC2:TGID_Y_EN: 0
; COMPUTE_PGM_RSRC2:TGID_Z_EN: 0
; COMPUTE_PGM_RSRC2:TIDIG_COMP_CNT: 1
; COMPUTE_PGM_RSRC3_GFX90A:ACCUM_OFFSET: 6
; COMPUTE_PGM_RSRC3_GFX90A:TG_SPLIT: 0
	.section	.text._ZN12_GLOBAL__N_121softmax_warp_backwardIdddLi1ELb1ELb0ELi32EEEvPT0_PKT_S5_iiiPKb,"axG",@progbits,_ZN12_GLOBAL__N_121softmax_warp_backwardIdddLi1ELb1ELb0ELi32EEEvPT0_PKT_S5_iiiPKb,comdat
	.globl	_ZN12_GLOBAL__N_121softmax_warp_backwardIdddLi1ELb1ELb0ELi32EEEvPT0_PKT_S5_iiiPKb ; -- Begin function _ZN12_GLOBAL__N_121softmax_warp_backwardIdddLi1ELb1ELb0ELi32EEEvPT0_PKT_S5_iiiPKb
	.p2align	8
	.type	_ZN12_GLOBAL__N_121softmax_warp_backwardIdddLi1ELb1ELb0ELi32EEEvPT0_PKT_S5_iiiPKb,@function
_ZN12_GLOBAL__N_121softmax_warp_backwardIdddLi1ELb1ELb0ELi32EEEvPT0_PKT_S5_iiiPKb: ; @_ZN12_GLOBAL__N_121softmax_warp_backwardIdddLi1ELb1ELb0ELi32EEEvPT0_PKT_S5_iiiPKb
; %bb.0:
	s_load_dword s2, s[4:5], 0x3c
	s_load_dwordx4 s[8:11], s[4:5], 0x18
	s_load_dwordx4 s[12:15], s[4:5], 0x0
	s_load_dwordx2 s[0:1], s[4:5], 0x10
	v_bfe_u32 v1, v0, 10, 10
	s_waitcnt lgkmcnt(0)
	s_lshr_b32 s2, s2, 16
	s_mul_i32 s6, s6, s2
	v_add_lshl_u32 v1, s6, v1, 1
	v_sub_u32_e32 v18, s8, v1
	v_mul_lo_u32 v1, v1, s9
	v_and_b32_e32 v2, 1, v0
	v_or_b32_e32 v0, v1, v2
	v_ashrrev_i32_e32 v1, 31, v0
	v_lshlrev_b64 v[4:5], 3, v[0:1]
	v_mov_b32_e32 v0, s15
	v_add_co_u32_e32 v10, vcc, s14, v4
	v_addc_co_u32_e32 v11, vcc, v0, v5, vcc
	v_mov_b32_e32 v0, s1
	v_add_co_u32_e32 v12, vcc, s0, v4
	v_addc_co_u32_e32 v13, vcc, v0, v5, vcc
	v_cmp_gt_i32_e32 vcc, s10, v2
	v_cmp_lt_i32_e64 s[0:1], 0, v18
	v_pk_mov_b32 v[0:1], 0, 0
	s_and_b64 s[4:5], vcc, s[0:1]
	v_pk_mov_b32 v[6:7], v[0:1], v[0:1] op_sel:[0,1]
	v_pk_mov_b32 v[8:9], v[0:1], v[0:1] op_sel:[0,1]
	s_and_saveexec_b64 s[2:3], s[4:5]
	s_cbranch_execz .LBB207_2
; %bb.1:
	global_load_dwordx2 v[6:7], v[10:11], off
	global_load_dwordx2 v[8:9], v[12:13], off
.LBB207_2:
	s_or_b64 exec, exec, s[2:3]
	v_cmp_lt_i32_e64 s[2:3], 1, v18
	s_and_b64 s[2:3], vcc, s[2:3]
	v_pk_mov_b32 v[2:3], v[0:1], v[0:1] op_sel:[0,1]
	s_and_saveexec_b64 s[4:5], s[2:3]
	s_cbranch_execz .LBB207_4
; %bb.3:
	s_mov_b32 s11, 0
	s_lshl_b64 s[6:7], s[10:11], 3
	v_mov_b32_e32 v3, s7
	v_add_co_u32_e64 v0, s[2:3], s6, v10
	v_addc_co_u32_e64 v1, s[2:3], v11, v3, s[2:3]
	v_add_co_u32_e64 v2, s[2:3], s6, v12
	v_addc_co_u32_e64 v3, s[2:3], v13, v3, s[2:3]
	global_load_dwordx2 v[0:1], v[0:1], off
	s_nop 0
	global_load_dwordx2 v[2:3], v[2:3], off
.LBB207_4:
	s_or_b64 exec, exec, s[4:5]
	v_mbcnt_lo_u32_b32 v12, -1, 0
	v_mbcnt_hi_u32_b32 v12, -1, v12
	v_and_b32_e32 v16, 0x7e, v12
	v_xor_b32_e32 v13, 1, v12
	v_add_u32_e32 v16, 2, v16
	v_cmp_lt_i32_e64 s[2:3], v13, v16
	v_cndmask_b32_e64 v12, v12, v13, s[2:3]
	s_waitcnt vmcnt(1)
	v_add_f64 v[14:15], v[6:7], 0
	v_add_f64 v[10:11], v[0:1], 0
	v_lshlrev_b32_e32 v13, 2, v12
	ds_bpermute_b32 v16, v13, v14
	ds_bpermute_b32 v17, v13, v15
	;; [unrolled: 1-line block ×4, first 2 shown]
	s_and_saveexec_b64 s[2:3], s[0:1]
	s_cbranch_execz .LBB207_10
; %bb.5:
	v_mov_b32_e32 v19, s13
	v_add_co_u32_e64 v4, s[0:1], s12, v4
	v_addc_co_u32_e64 v5, s[0:1], v19, v5, s[0:1]
	s_and_saveexec_b64 s[4:5], vcc
	s_cbranch_execz .LBB207_7
; %bb.6:
	s_mov_b32 s0, 0x652b82fe
	s_mov_b32 s1, 0x3ff71547
	s_waitcnt lgkmcnt(2)
	v_add_f64 v[14:15], v[14:15], v[16:17]
	s_waitcnt vmcnt(0)
	v_mul_f64 v[16:17], v[8:9], s[0:1]
	s_mov_b32 s0, 0xfefa39ef
	v_rndne_f64_e32 v[16:17], v[16:17]
	s_mov_b32 s1, 0xbfe62e42
	v_fma_f64 v[20:21], s[0:1], v[16:17], v[8:9]
	s_mov_b32 s0, 0x3b39803f
	s_mov_b32 s1, 0xbc7abc9e
	v_fmac_f64_e32 v[20:21], s[0:1], v[16:17]
	s_mov_b32 s0, 0x6a5dcb37
	v_mov_b32_e32 v22, 0xfca7ab0c
	v_mov_b32_e32 v23, 0x3e928af3
	s_mov_b32 s1, 0x3e5ade15
	v_fmac_f64_e32 v[22:23], s[0:1], v[20:21]
	v_mov_b32_e32 v24, 0x623fde64
	v_mov_b32_e32 v25, 0x3ec71dee
	v_fmac_f64_e32 v[24:25], v[20:21], v[22:23]
	v_mov_b32_e32 v22, 0x7c89e6b0
	v_mov_b32_e32 v23, 0x3efa0199
	;; [unrolled: 3-line block ×8, first 2 shown]
	v_fmac_f64_e32 v[22:23], v[20:21], v[24:25]
	v_fma_f64 v[22:23], v[20:21], v[22:23], 1.0
	s_mov_b32 s0, 0
	s_mov_b32 s2, 0
	v_fma_f64 v[20:21], v[20:21], v[22:23], 1.0
	v_cvt_i32_f64_e32 v16, v[16:17]
	s_mov_b32 s1, 0x40900000
	s_mov_b32 s3, 0xc090cc00
	v_ldexp_f64 v[16:17], v[20:21], v16
	v_mov_b32_e32 v19, 0x7ff00000
	v_cmp_nlt_f64_e64 s[0:1], s[0:1], v[8:9]
	v_cmp_ngt_f64_e64 s[2:3], s[2:3], v[8:9]
	v_cndmask_b32_e64 v17, v19, v17, s[0:1]
	s_and_b64 s[0:1], s[2:3], s[0:1]
	v_cndmask_b32_e64 v9, 0, v17, s[2:3]
	v_cndmask_b32_e64 v8, 0, v16, s[0:1]
	v_fma_f64 v[6:7], -v[14:15], v[8:9], v[6:7]
	global_store_dwordx2 v[4:5], v[6:7], off
.LBB207_7:
	s_or_b64 exec, exec, s[4:5]
	v_cmp_ne_u32_e64 s[0:1], 1, v18
	s_and_b64 exec, exec, s[0:1]
	s_cbranch_execz .LBB207_10
; %bb.8:
	s_and_b64 exec, exec, vcc
	s_cbranch_execz .LBB207_10
; %bb.9:
	s_mov_b32 s0, 0x652b82fe
	s_mov_b32 s1, 0x3ff71547
	s_waitcnt vmcnt(0)
	v_mul_f64 v[8:9], v[2:3], s[0:1]
	s_mov_b32 s0, 0xfefa39ef
	v_rndne_f64_e32 v[8:9], v[8:9]
	s_mov_b32 s1, 0xbfe62e42
	s_waitcnt lgkmcnt(0)
	v_add_f64 v[6:7], v[10:11], v[12:13]
	v_fma_f64 v[10:11], s[0:1], v[8:9], v[2:3]
	s_mov_b32 s0, 0x3b39803f
	s_mov_b32 s1, 0xbc7abc9e
	v_fmac_f64_e32 v[10:11], s[0:1], v[8:9]
	s_mov_b32 s0, 0x6a5dcb37
	v_mov_b32_e32 v12, 0xfca7ab0c
	v_mov_b32_e32 v13, 0x3e928af3
	s_mov_b32 s1, 0x3e5ade15
	v_fmac_f64_e32 v[12:13], s[0:1], v[10:11]
	v_mov_b32_e32 v14, 0x623fde64
	v_mov_b32_e32 v15, 0x3ec71dee
	v_fmac_f64_e32 v[14:15], v[10:11], v[12:13]
	v_mov_b32_e32 v12, 0x7c89e6b0
	v_mov_b32_e32 v13, 0x3efa0199
	;; [unrolled: 3-line block ×8, first 2 shown]
	s_mov_b32 s0, 0
	v_fmac_f64_e32 v[12:13], v[10:11], v[14:15]
	s_mov_b32 s1, 0x40900000
	v_fma_f64 v[12:13], v[10:11], v[12:13], 1.0
	v_cmp_nlt_f64_e32 vcc, s[0:1], v[2:3]
	s_mov_b32 s0, 0
	v_fma_f64 v[10:11], v[10:11], v[12:13], 1.0
	v_cvt_i32_f64_e32 v8, v[8:9]
	s_mov_b32 s1, 0xc090cc00
	v_ldexp_f64 v[8:9], v[10:11], v8
	v_mov_b32_e32 v10, 0x7ff00000
	v_cmp_ngt_f64_e64 s[0:1], s[0:1], v[2:3]
	v_cndmask_b32_e32 v9, v10, v9, vcc
	s_mov_b32 s11, 0
	s_and_b64 vcc, s[0:1], vcc
	v_cndmask_b32_e64 v3, 0, v9, s[0:1]
	v_cndmask_b32_e32 v2, 0, v8, vcc
	s_lshl_b64 s[0:1], s[10:11], 3
	v_fma_f64 v[0:1], -v[6:7], v[2:3], v[0:1]
	v_mov_b32_e32 v3, s1
	v_add_co_u32_e32 v2, vcc, s0, v4
	v_addc_co_u32_e32 v3, vcc, v5, v3, vcc
	global_store_dwordx2 v[2:3], v[0:1], off
.LBB207_10:
	s_endpgm
	.section	.rodata,"a",@progbits
	.p2align	6, 0x0
	.amdhsa_kernel _ZN12_GLOBAL__N_121softmax_warp_backwardIdddLi1ELb1ELb0ELi32EEEvPT0_PKT_S5_iiiPKb
		.amdhsa_group_segment_fixed_size 0
		.amdhsa_private_segment_fixed_size 0
		.amdhsa_kernarg_size 304
		.amdhsa_user_sgpr_count 6
		.amdhsa_user_sgpr_private_segment_buffer 1
		.amdhsa_user_sgpr_dispatch_ptr 0
		.amdhsa_user_sgpr_queue_ptr 0
		.amdhsa_user_sgpr_kernarg_segment_ptr 1
		.amdhsa_user_sgpr_dispatch_id 0
		.amdhsa_user_sgpr_flat_scratch_init 0
		.amdhsa_user_sgpr_kernarg_preload_length 0
		.amdhsa_user_sgpr_kernarg_preload_offset 0
		.amdhsa_user_sgpr_private_segment_size 0
		.amdhsa_uses_dynamic_stack 0
		.amdhsa_system_sgpr_private_segment_wavefront_offset 0
		.amdhsa_system_sgpr_workgroup_id_x 1
		.amdhsa_system_sgpr_workgroup_id_y 0
		.amdhsa_system_sgpr_workgroup_id_z 0
		.amdhsa_system_sgpr_workgroup_info 0
		.amdhsa_system_vgpr_workitem_id 1
		.amdhsa_next_free_vgpr 26
		.amdhsa_next_free_sgpr 16
		.amdhsa_accum_offset 28
		.amdhsa_reserve_vcc 1
		.amdhsa_reserve_flat_scratch 0
		.amdhsa_float_round_mode_32 0
		.amdhsa_float_round_mode_16_64 0
		.amdhsa_float_denorm_mode_32 3
		.amdhsa_float_denorm_mode_16_64 3
		.amdhsa_dx10_clamp 1
		.amdhsa_ieee_mode 1
		.amdhsa_fp16_overflow 0
		.amdhsa_tg_split 0
		.amdhsa_exception_fp_ieee_invalid_op 0
		.amdhsa_exception_fp_denorm_src 0
		.amdhsa_exception_fp_ieee_div_zero 0
		.amdhsa_exception_fp_ieee_overflow 0
		.amdhsa_exception_fp_ieee_underflow 0
		.amdhsa_exception_fp_ieee_inexact 0
		.amdhsa_exception_int_div_zero 0
	.end_amdhsa_kernel
	.section	.text._ZN12_GLOBAL__N_121softmax_warp_backwardIdddLi1ELb1ELb0ELi32EEEvPT0_PKT_S5_iiiPKb,"axG",@progbits,_ZN12_GLOBAL__N_121softmax_warp_backwardIdddLi1ELb1ELb0ELi32EEEvPT0_PKT_S5_iiiPKb,comdat
.Lfunc_end207:
	.size	_ZN12_GLOBAL__N_121softmax_warp_backwardIdddLi1ELb1ELb0ELi32EEEvPT0_PKT_S5_iiiPKb, .Lfunc_end207-_ZN12_GLOBAL__N_121softmax_warp_backwardIdddLi1ELb1ELb0ELi32EEEvPT0_PKT_S5_iiiPKb
                                        ; -- End function
	.section	.AMDGPU.csdata,"",@progbits
; Kernel info:
; codeLenInByte = 1260
; NumSgprs: 20
; NumVgprs: 26
; NumAgprs: 0
; TotalNumVgprs: 26
; ScratchSize: 0
; MemoryBound: 0
; FloatMode: 240
; IeeeMode: 1
; LDSByteSize: 0 bytes/workgroup (compile time only)
; SGPRBlocks: 2
; VGPRBlocks: 3
; NumSGPRsForWavesPerEU: 20
; NumVGPRsForWavesPerEU: 26
; AccumOffset: 28
; Occupancy: 8
; WaveLimiterHint : 0
; COMPUTE_PGM_RSRC2:SCRATCH_EN: 0
; COMPUTE_PGM_RSRC2:USER_SGPR: 6
; COMPUTE_PGM_RSRC2:TRAP_HANDLER: 0
; COMPUTE_PGM_RSRC2:TGID_X_EN: 1
; COMPUTE_PGM_RSRC2:TGID_Y_EN: 0
; COMPUTE_PGM_RSRC2:TGID_Z_EN: 0
; COMPUTE_PGM_RSRC2:TIDIG_COMP_CNT: 1
; COMPUTE_PGM_RSRC3_GFX90A:ACCUM_OFFSET: 6
; COMPUTE_PGM_RSRC3_GFX90A:TG_SPLIT: 0
	.section	.text._ZN12_GLOBAL__N_121softmax_warp_backwardIdddLi2ELb1ELb0ELi64EEEvPT0_PKT_S5_iiiPKb,"axG",@progbits,_ZN12_GLOBAL__N_121softmax_warp_backwardIdddLi2ELb1ELb0ELi64EEEvPT0_PKT_S5_iiiPKb,comdat
	.globl	_ZN12_GLOBAL__N_121softmax_warp_backwardIdddLi2ELb1ELb0ELi64EEEvPT0_PKT_S5_iiiPKb ; -- Begin function _ZN12_GLOBAL__N_121softmax_warp_backwardIdddLi2ELb1ELb0ELi64EEEvPT0_PKT_S5_iiiPKb
	.p2align	8
	.type	_ZN12_GLOBAL__N_121softmax_warp_backwardIdddLi2ELb1ELb0ELi64EEEvPT0_PKT_S5_iiiPKb,@function
_ZN12_GLOBAL__N_121softmax_warp_backwardIdddLi2ELb1ELb0ELi64EEEvPT0_PKT_S5_iiiPKb: ; @_ZN12_GLOBAL__N_121softmax_warp_backwardIdddLi2ELb1ELb0ELi64EEEvPT0_PKT_S5_iiiPKb
; %bb.0:
	s_load_dword s2, s[4:5], 0x3c
	s_load_dwordx4 s[8:11], s[4:5], 0x18
	s_load_dwordx4 s[12:15], s[4:5], 0x0
	s_load_dwordx2 s[0:1], s[4:5], 0x10
	v_bfe_u32 v1, v0, 10, 10
	s_waitcnt lgkmcnt(0)
	s_lshr_b32 s2, s2, 16
	s_mul_i32 s6, s6, s2
	v_add_lshl_u32 v1, s6, v1, 1
	v_and_b32_e32 v0, 3, v0
	v_mad_u64_u32 v[2:3], s[2:3], v1, s9, v[0:1]
	v_ashrrev_i32_e32 v3, 31, v2
	v_lshlrev_b64 v[4:5], 3, v[2:3]
	v_sub_u32_e32 v18, s8, v1
	v_mov_b32_e32 v1, s15
	v_add_co_u32_e32 v10, vcc, s14, v4
	v_addc_co_u32_e32 v11, vcc, v1, v5, vcc
	v_mov_b32_e32 v1, s1
	v_add_co_u32_e32 v12, vcc, s0, v4
	v_addc_co_u32_e32 v13, vcc, v1, v5, vcc
	v_cmp_gt_i32_e32 vcc, s10, v0
	v_cmp_lt_i32_e64 s[0:1], 0, v18
	v_pk_mov_b32 v[0:1], 0, 0
	s_and_b64 s[4:5], vcc, s[0:1]
	v_pk_mov_b32 v[6:7], v[0:1], v[0:1] op_sel:[0,1]
	v_pk_mov_b32 v[8:9], v[0:1], v[0:1] op_sel:[0,1]
	s_and_saveexec_b64 s[2:3], s[4:5]
	s_cbranch_execz .LBB208_2
; %bb.1:
	global_load_dwordx2 v[6:7], v[10:11], off
	global_load_dwordx2 v[8:9], v[12:13], off
.LBB208_2:
	s_or_b64 exec, exec, s[2:3]
	v_cmp_lt_i32_e64 s[2:3], 1, v18
	s_and_b64 s[2:3], vcc, s[2:3]
	v_pk_mov_b32 v[2:3], v[0:1], v[0:1] op_sel:[0,1]
	s_and_saveexec_b64 s[4:5], s[2:3]
	s_cbranch_execz .LBB208_4
; %bb.3:
	s_mov_b32 s11, 0
	s_lshl_b64 s[6:7], s[10:11], 3
	v_mov_b32_e32 v3, s7
	v_add_co_u32_e64 v0, s[2:3], s6, v10
	v_addc_co_u32_e64 v1, s[2:3], v11, v3, s[2:3]
	v_add_co_u32_e64 v2, s[2:3], s6, v12
	v_addc_co_u32_e64 v3, s[2:3], v13, v3, s[2:3]
	global_load_dwordx2 v[0:1], v[0:1], off
	s_nop 0
	global_load_dwordx2 v[2:3], v[2:3], off
.LBB208_4:
	s_or_b64 exec, exec, s[4:5]
	v_mbcnt_lo_u32_b32 v14, -1, 0
	v_mbcnt_hi_u32_b32 v19, -1, v14
	v_and_b32_e32 v14, 0x7c, v19
	v_add_u32_e32 v20, 4, v14
	v_xor_b32_e32 v14, 2, v19
	v_cmp_lt_i32_e64 s[2:3], v14, v20
	v_cndmask_b32_e64 v14, v19, v14, s[2:3]
	s_waitcnt vmcnt(1)
	v_add_f64 v[10:11], v[6:7], 0
	v_add_f64 v[12:13], v[0:1], 0
	v_lshlrev_b32_e32 v17, 2, v14
	ds_bpermute_b32 v14, v17, v10
	ds_bpermute_b32 v15, v17, v11
	;; [unrolled: 1-line block ×4, first 2 shown]
	s_waitcnt lgkmcnt(2)
	v_add_f64 v[14:15], v[10:11], v[14:15]
	s_waitcnt lgkmcnt(0)
	v_add_f64 v[10:11], v[12:13], v[16:17]
	v_xor_b32_e32 v12, 1, v19
	v_cmp_lt_i32_e64 s[2:3], v12, v20
	v_cndmask_b32_e64 v12, v19, v12, s[2:3]
	v_lshlrev_b32_e32 v13, 2, v12
	ds_bpermute_b32 v16, v13, v14
	ds_bpermute_b32 v17, v13, v15
	;; [unrolled: 1-line block ×4, first 2 shown]
	s_and_saveexec_b64 s[2:3], s[0:1]
	s_cbranch_execz .LBB208_10
; %bb.5:
	v_mov_b32_e32 v19, s13
	v_add_co_u32_e64 v4, s[0:1], s12, v4
	v_addc_co_u32_e64 v5, s[0:1], v19, v5, s[0:1]
	s_and_saveexec_b64 s[4:5], vcc
	s_cbranch_execz .LBB208_7
; %bb.6:
	s_mov_b32 s0, 0x652b82fe
	s_mov_b32 s1, 0x3ff71547
	s_waitcnt lgkmcnt(2)
	v_add_f64 v[14:15], v[14:15], v[16:17]
	s_waitcnt vmcnt(0)
	v_mul_f64 v[16:17], v[8:9], s[0:1]
	s_mov_b32 s0, 0xfefa39ef
	v_rndne_f64_e32 v[16:17], v[16:17]
	s_mov_b32 s1, 0xbfe62e42
	v_fma_f64 v[20:21], s[0:1], v[16:17], v[8:9]
	s_mov_b32 s0, 0x3b39803f
	s_mov_b32 s1, 0xbc7abc9e
	v_fmac_f64_e32 v[20:21], s[0:1], v[16:17]
	s_mov_b32 s0, 0x6a5dcb37
	v_mov_b32_e32 v22, 0xfca7ab0c
	v_mov_b32_e32 v23, 0x3e928af3
	s_mov_b32 s1, 0x3e5ade15
	v_fmac_f64_e32 v[22:23], s[0:1], v[20:21]
	v_mov_b32_e32 v24, 0x623fde64
	v_mov_b32_e32 v25, 0x3ec71dee
	v_fmac_f64_e32 v[24:25], v[20:21], v[22:23]
	v_mov_b32_e32 v22, 0x7c89e6b0
	v_mov_b32_e32 v23, 0x3efa0199
	v_fmac_f64_e32 v[22:23], v[20:21], v[24:25]
	v_mov_b32_e32 v24, 0x14761f6e
	v_mov_b32_e32 v25, 0x3f2a01a0
	v_fmac_f64_e32 v[24:25], v[20:21], v[22:23]
	v_mov_b32_e32 v22, 0x1852b7b0
	v_mov_b32_e32 v23, 0x3f56c16c
	v_fmac_f64_e32 v[22:23], v[20:21], v[24:25]
	v_mov_b32_e32 v24, 0x11122322
	v_mov_b32_e32 v25, 0x3f811111
	v_fmac_f64_e32 v[24:25], v[20:21], v[22:23]
	v_mov_b32_e32 v22, 0x555502a1
	v_mov_b32_e32 v23, 0x3fa55555
	v_fmac_f64_e32 v[22:23], v[20:21], v[24:25]
	v_mov_b32_e32 v24, 0x55555511
	v_mov_b32_e32 v25, 0x3fc55555
	v_fmac_f64_e32 v[24:25], v[20:21], v[22:23]
	v_mov_b32_e32 v22, 11
	v_mov_b32_e32 v23, 0x3fe00000
	v_fmac_f64_e32 v[22:23], v[20:21], v[24:25]
	v_fma_f64 v[22:23], v[20:21], v[22:23], 1.0
	s_mov_b32 s0, 0
	s_mov_b32 s2, 0
	v_fma_f64 v[20:21], v[20:21], v[22:23], 1.0
	v_cvt_i32_f64_e32 v16, v[16:17]
	s_mov_b32 s1, 0x40900000
	s_mov_b32 s3, 0xc090cc00
	v_ldexp_f64 v[16:17], v[20:21], v16
	v_mov_b32_e32 v19, 0x7ff00000
	v_cmp_nlt_f64_e64 s[0:1], s[0:1], v[8:9]
	v_cmp_ngt_f64_e64 s[2:3], s[2:3], v[8:9]
	v_cndmask_b32_e64 v17, v19, v17, s[0:1]
	s_and_b64 s[0:1], s[2:3], s[0:1]
	v_cndmask_b32_e64 v9, 0, v17, s[2:3]
	v_cndmask_b32_e64 v8, 0, v16, s[0:1]
	v_fma_f64 v[6:7], -v[14:15], v[8:9], v[6:7]
	global_store_dwordx2 v[4:5], v[6:7], off
.LBB208_7:
	s_or_b64 exec, exec, s[4:5]
	v_cmp_ne_u32_e64 s[0:1], 1, v18
	s_and_b64 exec, exec, s[0:1]
	s_cbranch_execz .LBB208_10
; %bb.8:
	s_and_b64 exec, exec, vcc
	s_cbranch_execz .LBB208_10
; %bb.9:
	s_mov_b32 s0, 0x652b82fe
	s_mov_b32 s1, 0x3ff71547
	s_waitcnt vmcnt(0)
	v_mul_f64 v[8:9], v[2:3], s[0:1]
	s_mov_b32 s0, 0xfefa39ef
	v_rndne_f64_e32 v[8:9], v[8:9]
	s_mov_b32 s1, 0xbfe62e42
	s_waitcnt lgkmcnt(0)
	v_add_f64 v[6:7], v[10:11], v[12:13]
	v_fma_f64 v[10:11], s[0:1], v[8:9], v[2:3]
	s_mov_b32 s0, 0x3b39803f
	s_mov_b32 s1, 0xbc7abc9e
	v_fmac_f64_e32 v[10:11], s[0:1], v[8:9]
	s_mov_b32 s0, 0x6a5dcb37
	v_mov_b32_e32 v12, 0xfca7ab0c
	v_mov_b32_e32 v13, 0x3e928af3
	s_mov_b32 s1, 0x3e5ade15
	v_fmac_f64_e32 v[12:13], s[0:1], v[10:11]
	v_mov_b32_e32 v14, 0x623fde64
	v_mov_b32_e32 v15, 0x3ec71dee
	v_fmac_f64_e32 v[14:15], v[10:11], v[12:13]
	v_mov_b32_e32 v12, 0x7c89e6b0
	v_mov_b32_e32 v13, 0x3efa0199
	;; [unrolled: 3-line block ×8, first 2 shown]
	s_mov_b32 s0, 0
	v_fmac_f64_e32 v[12:13], v[10:11], v[14:15]
	s_mov_b32 s1, 0x40900000
	v_fma_f64 v[12:13], v[10:11], v[12:13], 1.0
	v_cmp_nlt_f64_e32 vcc, s[0:1], v[2:3]
	s_mov_b32 s0, 0
	v_fma_f64 v[10:11], v[10:11], v[12:13], 1.0
	v_cvt_i32_f64_e32 v8, v[8:9]
	s_mov_b32 s1, 0xc090cc00
	v_ldexp_f64 v[8:9], v[10:11], v8
	v_mov_b32_e32 v10, 0x7ff00000
	v_cmp_ngt_f64_e64 s[0:1], s[0:1], v[2:3]
	v_cndmask_b32_e32 v9, v10, v9, vcc
	s_mov_b32 s11, 0
	s_and_b64 vcc, s[0:1], vcc
	v_cndmask_b32_e64 v3, 0, v9, s[0:1]
	v_cndmask_b32_e32 v2, 0, v8, vcc
	s_lshl_b64 s[0:1], s[10:11], 3
	v_fma_f64 v[0:1], -v[6:7], v[2:3], v[0:1]
	v_mov_b32_e32 v3, s1
	v_add_co_u32_e32 v2, vcc, s0, v4
	v_addc_co_u32_e32 v3, vcc, v5, v3, vcc
	global_store_dwordx2 v[2:3], v[0:1], off
.LBB208_10:
	s_endpgm
	.section	.rodata,"a",@progbits
	.p2align	6, 0x0
	.amdhsa_kernel _ZN12_GLOBAL__N_121softmax_warp_backwardIdddLi2ELb1ELb0ELi64EEEvPT0_PKT_S5_iiiPKb
		.amdhsa_group_segment_fixed_size 0
		.amdhsa_private_segment_fixed_size 0
		.amdhsa_kernarg_size 304
		.amdhsa_user_sgpr_count 6
		.amdhsa_user_sgpr_private_segment_buffer 1
		.amdhsa_user_sgpr_dispatch_ptr 0
		.amdhsa_user_sgpr_queue_ptr 0
		.amdhsa_user_sgpr_kernarg_segment_ptr 1
		.amdhsa_user_sgpr_dispatch_id 0
		.amdhsa_user_sgpr_flat_scratch_init 0
		.amdhsa_user_sgpr_kernarg_preload_length 0
		.amdhsa_user_sgpr_kernarg_preload_offset 0
		.amdhsa_user_sgpr_private_segment_size 0
		.amdhsa_uses_dynamic_stack 0
		.amdhsa_system_sgpr_private_segment_wavefront_offset 0
		.amdhsa_system_sgpr_workgroup_id_x 1
		.amdhsa_system_sgpr_workgroup_id_y 0
		.amdhsa_system_sgpr_workgroup_id_z 0
		.amdhsa_system_sgpr_workgroup_info 0
		.amdhsa_system_vgpr_workitem_id 1
		.amdhsa_next_free_vgpr 26
		.amdhsa_next_free_sgpr 16
		.amdhsa_accum_offset 28
		.amdhsa_reserve_vcc 1
		.amdhsa_reserve_flat_scratch 0
		.amdhsa_float_round_mode_32 0
		.amdhsa_float_round_mode_16_64 0
		.amdhsa_float_denorm_mode_32 3
		.amdhsa_float_denorm_mode_16_64 3
		.amdhsa_dx10_clamp 1
		.amdhsa_ieee_mode 1
		.amdhsa_fp16_overflow 0
		.amdhsa_tg_split 0
		.amdhsa_exception_fp_ieee_invalid_op 0
		.amdhsa_exception_fp_denorm_src 0
		.amdhsa_exception_fp_ieee_div_zero 0
		.amdhsa_exception_fp_ieee_overflow 0
		.amdhsa_exception_fp_ieee_underflow 0
		.amdhsa_exception_fp_ieee_inexact 0
		.amdhsa_exception_int_div_zero 0
	.end_amdhsa_kernel
	.section	.text._ZN12_GLOBAL__N_121softmax_warp_backwardIdddLi2ELb1ELb0ELi64EEEvPT0_PKT_S5_iiiPKb,"axG",@progbits,_ZN12_GLOBAL__N_121softmax_warp_backwardIdddLi2ELb1ELb0ELi64EEEvPT0_PKT_S5_iiiPKb,comdat
.Lfunc_end208:
	.size	_ZN12_GLOBAL__N_121softmax_warp_backwardIdddLi2ELb1ELb0ELi64EEEvPT0_PKT_S5_iiiPKb, .Lfunc_end208-_ZN12_GLOBAL__N_121softmax_warp_backwardIdddLi2ELb1ELb0ELi64EEEvPT0_PKT_S5_iiiPKb
                                        ; -- End function
	.section	.AMDGPU.csdata,"",@progbits
; Kernel info:
; codeLenInByte = 1336
; NumSgprs: 20
; NumVgprs: 26
; NumAgprs: 0
; TotalNumVgprs: 26
; ScratchSize: 0
; MemoryBound: 0
; FloatMode: 240
; IeeeMode: 1
; LDSByteSize: 0 bytes/workgroup (compile time only)
; SGPRBlocks: 2
; VGPRBlocks: 3
; NumSGPRsForWavesPerEU: 20
; NumVGPRsForWavesPerEU: 26
; AccumOffset: 28
; Occupancy: 8
; WaveLimiterHint : 0
; COMPUTE_PGM_RSRC2:SCRATCH_EN: 0
; COMPUTE_PGM_RSRC2:USER_SGPR: 6
; COMPUTE_PGM_RSRC2:TRAP_HANDLER: 0
; COMPUTE_PGM_RSRC2:TGID_X_EN: 1
; COMPUTE_PGM_RSRC2:TGID_Y_EN: 0
; COMPUTE_PGM_RSRC2:TGID_Z_EN: 0
; COMPUTE_PGM_RSRC2:TIDIG_COMP_CNT: 1
; COMPUTE_PGM_RSRC3_GFX90A:ACCUM_OFFSET: 6
; COMPUTE_PGM_RSRC3_GFX90A:TG_SPLIT: 0
	.section	.text._ZN12_GLOBAL__N_121softmax_warp_backwardIdddLi2ELb1ELb0ELi32EEEvPT0_PKT_S5_iiiPKb,"axG",@progbits,_ZN12_GLOBAL__N_121softmax_warp_backwardIdddLi2ELb1ELb0ELi32EEEvPT0_PKT_S5_iiiPKb,comdat
	.globl	_ZN12_GLOBAL__N_121softmax_warp_backwardIdddLi2ELb1ELb0ELi32EEEvPT0_PKT_S5_iiiPKb ; -- Begin function _ZN12_GLOBAL__N_121softmax_warp_backwardIdddLi2ELb1ELb0ELi32EEEvPT0_PKT_S5_iiiPKb
	.p2align	8
	.type	_ZN12_GLOBAL__N_121softmax_warp_backwardIdddLi2ELb1ELb0ELi32EEEvPT0_PKT_S5_iiiPKb,@function
_ZN12_GLOBAL__N_121softmax_warp_backwardIdddLi2ELb1ELb0ELi32EEEvPT0_PKT_S5_iiiPKb: ; @_ZN12_GLOBAL__N_121softmax_warp_backwardIdddLi2ELb1ELb0ELi32EEEvPT0_PKT_S5_iiiPKb
; %bb.0:
	s_load_dword s2, s[4:5], 0x3c
	s_load_dwordx4 s[8:11], s[4:5], 0x18
	s_load_dwordx4 s[12:15], s[4:5], 0x0
	s_load_dwordx2 s[0:1], s[4:5], 0x10
	v_bfe_u32 v1, v0, 10, 10
	s_waitcnt lgkmcnt(0)
	s_lshr_b32 s2, s2, 16
	s_mul_i32 s6, s6, s2
	v_add_lshl_u32 v1, s6, v1, 1
	v_and_b32_e32 v0, 3, v0
	v_mad_u64_u32 v[2:3], s[2:3], v1, s9, v[0:1]
	v_ashrrev_i32_e32 v3, 31, v2
	v_lshlrev_b64 v[4:5], 3, v[2:3]
	v_sub_u32_e32 v18, s8, v1
	v_mov_b32_e32 v1, s15
	v_add_co_u32_e32 v10, vcc, s14, v4
	v_addc_co_u32_e32 v11, vcc, v1, v5, vcc
	v_mov_b32_e32 v1, s1
	v_add_co_u32_e32 v12, vcc, s0, v4
	v_addc_co_u32_e32 v13, vcc, v1, v5, vcc
	v_cmp_gt_i32_e32 vcc, s10, v0
	v_cmp_lt_i32_e64 s[0:1], 0, v18
	v_pk_mov_b32 v[0:1], 0, 0
	s_and_b64 s[4:5], vcc, s[0:1]
	v_pk_mov_b32 v[6:7], v[0:1], v[0:1] op_sel:[0,1]
	v_pk_mov_b32 v[8:9], v[0:1], v[0:1] op_sel:[0,1]
	s_and_saveexec_b64 s[2:3], s[4:5]
	s_cbranch_execz .LBB209_2
; %bb.1:
	global_load_dwordx2 v[6:7], v[10:11], off
	global_load_dwordx2 v[8:9], v[12:13], off
.LBB209_2:
	s_or_b64 exec, exec, s[2:3]
	v_cmp_lt_i32_e64 s[2:3], 1, v18
	s_and_b64 s[2:3], vcc, s[2:3]
	v_pk_mov_b32 v[2:3], v[0:1], v[0:1] op_sel:[0,1]
	s_and_saveexec_b64 s[4:5], s[2:3]
	s_cbranch_execz .LBB209_4
; %bb.3:
	s_mov_b32 s11, 0
	s_lshl_b64 s[6:7], s[10:11], 3
	v_mov_b32_e32 v3, s7
	v_add_co_u32_e64 v0, s[2:3], s6, v10
	v_addc_co_u32_e64 v1, s[2:3], v11, v3, s[2:3]
	v_add_co_u32_e64 v2, s[2:3], s6, v12
	v_addc_co_u32_e64 v3, s[2:3], v13, v3, s[2:3]
	global_load_dwordx2 v[0:1], v[0:1], off
	s_nop 0
	global_load_dwordx2 v[2:3], v[2:3], off
.LBB209_4:
	s_or_b64 exec, exec, s[4:5]
	v_mbcnt_lo_u32_b32 v14, -1, 0
	v_mbcnt_hi_u32_b32 v19, -1, v14
	v_and_b32_e32 v14, 0x7c, v19
	v_add_u32_e32 v20, 4, v14
	v_xor_b32_e32 v14, 2, v19
	v_cmp_lt_i32_e64 s[2:3], v14, v20
	v_cndmask_b32_e64 v14, v19, v14, s[2:3]
	s_waitcnt vmcnt(1)
	v_add_f64 v[10:11], v[6:7], 0
	v_add_f64 v[12:13], v[0:1], 0
	v_lshlrev_b32_e32 v17, 2, v14
	ds_bpermute_b32 v14, v17, v10
	ds_bpermute_b32 v15, v17, v11
	ds_bpermute_b32 v16, v17, v12
	ds_bpermute_b32 v17, v17, v13
	s_waitcnt lgkmcnt(2)
	v_add_f64 v[14:15], v[10:11], v[14:15]
	s_waitcnt lgkmcnt(0)
	v_add_f64 v[10:11], v[12:13], v[16:17]
	v_xor_b32_e32 v12, 1, v19
	v_cmp_lt_i32_e64 s[2:3], v12, v20
	v_cndmask_b32_e64 v12, v19, v12, s[2:3]
	v_lshlrev_b32_e32 v13, 2, v12
	ds_bpermute_b32 v16, v13, v14
	ds_bpermute_b32 v17, v13, v15
	;; [unrolled: 1-line block ×4, first 2 shown]
	s_and_saveexec_b64 s[2:3], s[0:1]
	s_cbranch_execz .LBB209_10
; %bb.5:
	v_mov_b32_e32 v19, s13
	v_add_co_u32_e64 v4, s[0:1], s12, v4
	v_addc_co_u32_e64 v5, s[0:1], v19, v5, s[0:1]
	s_and_saveexec_b64 s[4:5], vcc
	s_cbranch_execz .LBB209_7
; %bb.6:
	s_mov_b32 s0, 0x652b82fe
	s_mov_b32 s1, 0x3ff71547
	s_waitcnt lgkmcnt(2)
	v_add_f64 v[14:15], v[14:15], v[16:17]
	s_waitcnt vmcnt(0)
	v_mul_f64 v[16:17], v[8:9], s[0:1]
	s_mov_b32 s0, 0xfefa39ef
	v_rndne_f64_e32 v[16:17], v[16:17]
	s_mov_b32 s1, 0xbfe62e42
	v_fma_f64 v[20:21], s[0:1], v[16:17], v[8:9]
	s_mov_b32 s0, 0x3b39803f
	s_mov_b32 s1, 0xbc7abc9e
	v_fmac_f64_e32 v[20:21], s[0:1], v[16:17]
	s_mov_b32 s0, 0x6a5dcb37
	v_mov_b32_e32 v22, 0xfca7ab0c
	v_mov_b32_e32 v23, 0x3e928af3
	s_mov_b32 s1, 0x3e5ade15
	v_fmac_f64_e32 v[22:23], s[0:1], v[20:21]
	v_mov_b32_e32 v24, 0x623fde64
	v_mov_b32_e32 v25, 0x3ec71dee
	v_fmac_f64_e32 v[24:25], v[20:21], v[22:23]
	v_mov_b32_e32 v22, 0x7c89e6b0
	v_mov_b32_e32 v23, 0x3efa0199
	;; [unrolled: 3-line block ×8, first 2 shown]
	v_fmac_f64_e32 v[22:23], v[20:21], v[24:25]
	v_fma_f64 v[22:23], v[20:21], v[22:23], 1.0
	s_mov_b32 s0, 0
	s_mov_b32 s2, 0
	v_fma_f64 v[20:21], v[20:21], v[22:23], 1.0
	v_cvt_i32_f64_e32 v16, v[16:17]
	s_mov_b32 s1, 0x40900000
	s_mov_b32 s3, 0xc090cc00
	v_ldexp_f64 v[16:17], v[20:21], v16
	v_mov_b32_e32 v19, 0x7ff00000
	v_cmp_nlt_f64_e64 s[0:1], s[0:1], v[8:9]
	v_cmp_ngt_f64_e64 s[2:3], s[2:3], v[8:9]
	v_cndmask_b32_e64 v17, v19, v17, s[0:1]
	s_and_b64 s[0:1], s[2:3], s[0:1]
	v_cndmask_b32_e64 v9, 0, v17, s[2:3]
	v_cndmask_b32_e64 v8, 0, v16, s[0:1]
	v_fma_f64 v[6:7], -v[14:15], v[8:9], v[6:7]
	global_store_dwordx2 v[4:5], v[6:7], off
.LBB209_7:
	s_or_b64 exec, exec, s[4:5]
	v_cmp_ne_u32_e64 s[0:1], 1, v18
	s_and_b64 exec, exec, s[0:1]
	s_cbranch_execz .LBB209_10
; %bb.8:
	s_and_b64 exec, exec, vcc
	s_cbranch_execz .LBB209_10
; %bb.9:
	s_mov_b32 s0, 0x652b82fe
	s_mov_b32 s1, 0x3ff71547
	s_waitcnt vmcnt(0)
	v_mul_f64 v[8:9], v[2:3], s[0:1]
	s_mov_b32 s0, 0xfefa39ef
	v_rndne_f64_e32 v[8:9], v[8:9]
	s_mov_b32 s1, 0xbfe62e42
	s_waitcnt lgkmcnt(0)
	v_add_f64 v[6:7], v[10:11], v[12:13]
	v_fma_f64 v[10:11], s[0:1], v[8:9], v[2:3]
	s_mov_b32 s0, 0x3b39803f
	s_mov_b32 s1, 0xbc7abc9e
	v_fmac_f64_e32 v[10:11], s[0:1], v[8:9]
	s_mov_b32 s0, 0x6a5dcb37
	v_mov_b32_e32 v12, 0xfca7ab0c
	v_mov_b32_e32 v13, 0x3e928af3
	s_mov_b32 s1, 0x3e5ade15
	v_fmac_f64_e32 v[12:13], s[0:1], v[10:11]
	v_mov_b32_e32 v14, 0x623fde64
	v_mov_b32_e32 v15, 0x3ec71dee
	v_fmac_f64_e32 v[14:15], v[10:11], v[12:13]
	v_mov_b32_e32 v12, 0x7c89e6b0
	v_mov_b32_e32 v13, 0x3efa0199
	;; [unrolled: 3-line block ×8, first 2 shown]
	s_mov_b32 s0, 0
	v_fmac_f64_e32 v[12:13], v[10:11], v[14:15]
	s_mov_b32 s1, 0x40900000
	v_fma_f64 v[12:13], v[10:11], v[12:13], 1.0
	v_cmp_nlt_f64_e32 vcc, s[0:1], v[2:3]
	s_mov_b32 s0, 0
	v_fma_f64 v[10:11], v[10:11], v[12:13], 1.0
	v_cvt_i32_f64_e32 v8, v[8:9]
	s_mov_b32 s1, 0xc090cc00
	v_ldexp_f64 v[8:9], v[10:11], v8
	v_mov_b32_e32 v10, 0x7ff00000
	v_cmp_ngt_f64_e64 s[0:1], s[0:1], v[2:3]
	v_cndmask_b32_e32 v9, v10, v9, vcc
	s_mov_b32 s11, 0
	s_and_b64 vcc, s[0:1], vcc
	v_cndmask_b32_e64 v3, 0, v9, s[0:1]
	v_cndmask_b32_e32 v2, 0, v8, vcc
	s_lshl_b64 s[0:1], s[10:11], 3
	v_fma_f64 v[0:1], -v[6:7], v[2:3], v[0:1]
	v_mov_b32_e32 v3, s1
	v_add_co_u32_e32 v2, vcc, s0, v4
	v_addc_co_u32_e32 v3, vcc, v5, v3, vcc
	global_store_dwordx2 v[2:3], v[0:1], off
.LBB209_10:
	s_endpgm
	.section	.rodata,"a",@progbits
	.p2align	6, 0x0
	.amdhsa_kernel _ZN12_GLOBAL__N_121softmax_warp_backwardIdddLi2ELb1ELb0ELi32EEEvPT0_PKT_S5_iiiPKb
		.amdhsa_group_segment_fixed_size 0
		.amdhsa_private_segment_fixed_size 0
		.amdhsa_kernarg_size 304
		.amdhsa_user_sgpr_count 6
		.amdhsa_user_sgpr_private_segment_buffer 1
		.amdhsa_user_sgpr_dispatch_ptr 0
		.amdhsa_user_sgpr_queue_ptr 0
		.amdhsa_user_sgpr_kernarg_segment_ptr 1
		.amdhsa_user_sgpr_dispatch_id 0
		.amdhsa_user_sgpr_flat_scratch_init 0
		.amdhsa_user_sgpr_kernarg_preload_length 0
		.amdhsa_user_sgpr_kernarg_preload_offset 0
		.amdhsa_user_sgpr_private_segment_size 0
		.amdhsa_uses_dynamic_stack 0
		.amdhsa_system_sgpr_private_segment_wavefront_offset 0
		.amdhsa_system_sgpr_workgroup_id_x 1
		.amdhsa_system_sgpr_workgroup_id_y 0
		.amdhsa_system_sgpr_workgroup_id_z 0
		.amdhsa_system_sgpr_workgroup_info 0
		.amdhsa_system_vgpr_workitem_id 1
		.amdhsa_next_free_vgpr 26
		.amdhsa_next_free_sgpr 16
		.amdhsa_accum_offset 28
		.amdhsa_reserve_vcc 1
		.amdhsa_reserve_flat_scratch 0
		.amdhsa_float_round_mode_32 0
		.amdhsa_float_round_mode_16_64 0
		.amdhsa_float_denorm_mode_32 3
		.amdhsa_float_denorm_mode_16_64 3
		.amdhsa_dx10_clamp 1
		.amdhsa_ieee_mode 1
		.amdhsa_fp16_overflow 0
		.amdhsa_tg_split 0
		.amdhsa_exception_fp_ieee_invalid_op 0
		.amdhsa_exception_fp_denorm_src 0
		.amdhsa_exception_fp_ieee_div_zero 0
		.amdhsa_exception_fp_ieee_overflow 0
		.amdhsa_exception_fp_ieee_underflow 0
		.amdhsa_exception_fp_ieee_inexact 0
		.amdhsa_exception_int_div_zero 0
	.end_amdhsa_kernel
	.section	.text._ZN12_GLOBAL__N_121softmax_warp_backwardIdddLi2ELb1ELb0ELi32EEEvPT0_PKT_S5_iiiPKb,"axG",@progbits,_ZN12_GLOBAL__N_121softmax_warp_backwardIdddLi2ELb1ELb0ELi32EEEvPT0_PKT_S5_iiiPKb,comdat
.Lfunc_end209:
	.size	_ZN12_GLOBAL__N_121softmax_warp_backwardIdddLi2ELb1ELb0ELi32EEEvPT0_PKT_S5_iiiPKb, .Lfunc_end209-_ZN12_GLOBAL__N_121softmax_warp_backwardIdddLi2ELb1ELb0ELi32EEEvPT0_PKT_S5_iiiPKb
                                        ; -- End function
	.section	.AMDGPU.csdata,"",@progbits
; Kernel info:
; codeLenInByte = 1336
; NumSgprs: 20
; NumVgprs: 26
; NumAgprs: 0
; TotalNumVgprs: 26
; ScratchSize: 0
; MemoryBound: 0
; FloatMode: 240
; IeeeMode: 1
; LDSByteSize: 0 bytes/workgroup (compile time only)
; SGPRBlocks: 2
; VGPRBlocks: 3
; NumSGPRsForWavesPerEU: 20
; NumVGPRsForWavesPerEU: 26
; AccumOffset: 28
; Occupancy: 8
; WaveLimiterHint : 0
; COMPUTE_PGM_RSRC2:SCRATCH_EN: 0
; COMPUTE_PGM_RSRC2:USER_SGPR: 6
; COMPUTE_PGM_RSRC2:TRAP_HANDLER: 0
; COMPUTE_PGM_RSRC2:TGID_X_EN: 1
; COMPUTE_PGM_RSRC2:TGID_Y_EN: 0
; COMPUTE_PGM_RSRC2:TGID_Z_EN: 0
; COMPUTE_PGM_RSRC2:TIDIG_COMP_CNT: 1
; COMPUTE_PGM_RSRC3_GFX90A:ACCUM_OFFSET: 6
; COMPUTE_PGM_RSRC3_GFX90A:TG_SPLIT: 0
	.section	.text._ZN12_GLOBAL__N_121softmax_warp_backwardIdddLi3ELb1ELb0ELi64EEEvPT0_PKT_S5_iiiPKb,"axG",@progbits,_ZN12_GLOBAL__N_121softmax_warp_backwardIdddLi3ELb1ELb0ELi64EEEvPT0_PKT_S5_iiiPKb,comdat
	.globl	_ZN12_GLOBAL__N_121softmax_warp_backwardIdddLi3ELb1ELb0ELi64EEEvPT0_PKT_S5_iiiPKb ; -- Begin function _ZN12_GLOBAL__N_121softmax_warp_backwardIdddLi3ELb1ELb0ELi64EEEvPT0_PKT_S5_iiiPKb
	.p2align	8
	.type	_ZN12_GLOBAL__N_121softmax_warp_backwardIdddLi3ELb1ELb0ELi64EEEvPT0_PKT_S5_iiiPKb,@function
_ZN12_GLOBAL__N_121softmax_warp_backwardIdddLi3ELb1ELb0ELi64EEEvPT0_PKT_S5_iiiPKb: ; @_ZN12_GLOBAL__N_121softmax_warp_backwardIdddLi3ELb1ELb0ELi64EEEvPT0_PKT_S5_iiiPKb
; %bb.0:
	s_load_dword s2, s[4:5], 0x3c
	s_load_dwordx4 s[8:11], s[4:5], 0x18
	s_load_dwordx4 s[12:15], s[4:5], 0x0
	s_load_dwordx2 s[0:1], s[4:5], 0x10
	v_bfe_u32 v1, v0, 10, 10
	s_waitcnt lgkmcnt(0)
	s_lshr_b32 s2, s2, 16
	s_mul_i32 s6, s6, s2
	v_add_lshl_u32 v1, s6, v1, 1
	v_and_b32_e32 v0, 7, v0
	v_mad_u64_u32 v[2:3], s[2:3], v1, s9, v[0:1]
	v_ashrrev_i32_e32 v3, 31, v2
	v_lshlrev_b64 v[4:5], 3, v[2:3]
	v_sub_u32_e32 v18, s8, v1
	v_mov_b32_e32 v1, s15
	v_add_co_u32_e32 v10, vcc, s14, v4
	v_addc_co_u32_e32 v11, vcc, v1, v5, vcc
	v_mov_b32_e32 v1, s1
	v_add_co_u32_e32 v12, vcc, s0, v4
	v_addc_co_u32_e32 v13, vcc, v1, v5, vcc
	v_cmp_gt_i32_e32 vcc, s10, v0
	v_cmp_lt_i32_e64 s[0:1], 0, v18
	v_pk_mov_b32 v[0:1], 0, 0
	s_and_b64 s[4:5], vcc, s[0:1]
	v_pk_mov_b32 v[6:7], v[0:1], v[0:1] op_sel:[0,1]
	v_pk_mov_b32 v[8:9], v[0:1], v[0:1] op_sel:[0,1]
	s_and_saveexec_b64 s[2:3], s[4:5]
	s_cbranch_execz .LBB210_2
; %bb.1:
	global_load_dwordx2 v[6:7], v[10:11], off
	global_load_dwordx2 v[8:9], v[12:13], off
.LBB210_2:
	s_or_b64 exec, exec, s[2:3]
	v_cmp_lt_i32_e64 s[2:3], 1, v18
	s_and_b64 s[2:3], vcc, s[2:3]
	v_pk_mov_b32 v[2:3], v[0:1], v[0:1] op_sel:[0,1]
	s_and_saveexec_b64 s[4:5], s[2:3]
	s_cbranch_execz .LBB210_4
; %bb.3:
	s_mov_b32 s11, 0
	s_lshl_b64 s[6:7], s[10:11], 3
	v_mov_b32_e32 v3, s7
	v_add_co_u32_e64 v0, s[2:3], s6, v10
	v_addc_co_u32_e64 v1, s[2:3], v11, v3, s[2:3]
	v_add_co_u32_e64 v2, s[2:3], s6, v12
	v_addc_co_u32_e64 v3, s[2:3], v13, v3, s[2:3]
	global_load_dwordx2 v[0:1], v[0:1], off
	s_nop 0
	global_load_dwordx2 v[2:3], v[2:3], off
.LBB210_4:
	s_or_b64 exec, exec, s[4:5]
	v_mbcnt_lo_u32_b32 v14, -1, 0
	v_mbcnt_hi_u32_b32 v19, -1, v14
	v_and_b32_e32 v14, 0x78, v19
	v_add_u32_e32 v20, 8, v14
	v_xor_b32_e32 v14, 4, v19
	v_cmp_lt_i32_e64 s[2:3], v14, v20
	v_cndmask_b32_e64 v14, v19, v14, s[2:3]
	s_waitcnt vmcnt(1)
	v_add_f64 v[10:11], v[6:7], 0
	v_lshlrev_b32_e32 v17, 2, v14
	ds_bpermute_b32 v14, v17, v10
	ds_bpermute_b32 v15, v17, v11
	v_add_f64 v[12:13], v[0:1], 0
	ds_bpermute_b32 v16, v17, v12
	ds_bpermute_b32 v17, v17, v13
	s_waitcnt lgkmcnt(2)
	v_add_f64 v[10:11], v[10:11], v[14:15]
	v_xor_b32_e32 v14, 2, v19
	v_cmp_lt_i32_e64 s[2:3], v14, v20
	v_cndmask_b32_e64 v14, v19, v14, s[2:3]
	s_waitcnt lgkmcnt(0)
	v_add_f64 v[12:13], v[12:13], v[16:17]
	v_lshlrev_b32_e32 v17, 2, v14
	ds_bpermute_b32 v14, v17, v10
	ds_bpermute_b32 v15, v17, v11
	;; [unrolled: 1-line block ×4, first 2 shown]
	s_waitcnt lgkmcnt(2)
	v_add_f64 v[14:15], v[10:11], v[14:15]
	s_waitcnt lgkmcnt(0)
	v_add_f64 v[10:11], v[12:13], v[16:17]
	v_xor_b32_e32 v12, 1, v19
	v_cmp_lt_i32_e64 s[2:3], v12, v20
	v_cndmask_b32_e64 v12, v19, v12, s[2:3]
	v_lshlrev_b32_e32 v13, 2, v12
	ds_bpermute_b32 v16, v13, v14
	ds_bpermute_b32 v17, v13, v15
	;; [unrolled: 1-line block ×4, first 2 shown]
	s_and_saveexec_b64 s[2:3], s[0:1]
	s_cbranch_execz .LBB210_10
; %bb.5:
	v_mov_b32_e32 v19, s13
	v_add_co_u32_e64 v4, s[0:1], s12, v4
	v_addc_co_u32_e64 v5, s[0:1], v19, v5, s[0:1]
	s_and_saveexec_b64 s[4:5], vcc
	s_cbranch_execz .LBB210_7
; %bb.6:
	s_mov_b32 s0, 0x652b82fe
	s_mov_b32 s1, 0x3ff71547
	s_waitcnt lgkmcnt(2)
	v_add_f64 v[14:15], v[14:15], v[16:17]
	s_waitcnt vmcnt(0)
	v_mul_f64 v[16:17], v[8:9], s[0:1]
	s_mov_b32 s0, 0xfefa39ef
	v_rndne_f64_e32 v[16:17], v[16:17]
	s_mov_b32 s1, 0xbfe62e42
	v_fma_f64 v[20:21], s[0:1], v[16:17], v[8:9]
	s_mov_b32 s0, 0x3b39803f
	s_mov_b32 s1, 0xbc7abc9e
	v_fmac_f64_e32 v[20:21], s[0:1], v[16:17]
	s_mov_b32 s0, 0x6a5dcb37
	v_mov_b32_e32 v22, 0xfca7ab0c
	v_mov_b32_e32 v23, 0x3e928af3
	s_mov_b32 s1, 0x3e5ade15
	v_fmac_f64_e32 v[22:23], s[0:1], v[20:21]
	v_mov_b32_e32 v24, 0x623fde64
	v_mov_b32_e32 v25, 0x3ec71dee
	v_fmac_f64_e32 v[24:25], v[20:21], v[22:23]
	v_mov_b32_e32 v22, 0x7c89e6b0
	v_mov_b32_e32 v23, 0x3efa0199
	;; [unrolled: 3-line block ×8, first 2 shown]
	v_fmac_f64_e32 v[22:23], v[20:21], v[24:25]
	v_fma_f64 v[22:23], v[20:21], v[22:23], 1.0
	s_mov_b32 s0, 0
	s_mov_b32 s2, 0
	v_fma_f64 v[20:21], v[20:21], v[22:23], 1.0
	v_cvt_i32_f64_e32 v16, v[16:17]
	s_mov_b32 s1, 0x40900000
	s_mov_b32 s3, 0xc090cc00
	v_ldexp_f64 v[16:17], v[20:21], v16
	v_mov_b32_e32 v19, 0x7ff00000
	v_cmp_nlt_f64_e64 s[0:1], s[0:1], v[8:9]
	v_cmp_ngt_f64_e64 s[2:3], s[2:3], v[8:9]
	v_cndmask_b32_e64 v17, v19, v17, s[0:1]
	s_and_b64 s[0:1], s[2:3], s[0:1]
	v_cndmask_b32_e64 v9, 0, v17, s[2:3]
	v_cndmask_b32_e64 v8, 0, v16, s[0:1]
	v_fma_f64 v[6:7], -v[14:15], v[8:9], v[6:7]
	global_store_dwordx2 v[4:5], v[6:7], off
.LBB210_7:
	s_or_b64 exec, exec, s[4:5]
	v_cmp_ne_u32_e64 s[0:1], 1, v18
	s_and_b64 exec, exec, s[0:1]
	s_cbranch_execz .LBB210_10
; %bb.8:
	s_and_b64 exec, exec, vcc
	s_cbranch_execz .LBB210_10
; %bb.9:
	s_mov_b32 s0, 0x652b82fe
	s_mov_b32 s1, 0x3ff71547
	s_waitcnt vmcnt(0)
	v_mul_f64 v[8:9], v[2:3], s[0:1]
	s_mov_b32 s0, 0xfefa39ef
	v_rndne_f64_e32 v[8:9], v[8:9]
	s_mov_b32 s1, 0xbfe62e42
	s_waitcnt lgkmcnt(0)
	v_add_f64 v[6:7], v[10:11], v[12:13]
	v_fma_f64 v[10:11], s[0:1], v[8:9], v[2:3]
	s_mov_b32 s0, 0x3b39803f
	s_mov_b32 s1, 0xbc7abc9e
	v_fmac_f64_e32 v[10:11], s[0:1], v[8:9]
	s_mov_b32 s0, 0x6a5dcb37
	v_mov_b32_e32 v12, 0xfca7ab0c
	v_mov_b32_e32 v13, 0x3e928af3
	s_mov_b32 s1, 0x3e5ade15
	v_fmac_f64_e32 v[12:13], s[0:1], v[10:11]
	v_mov_b32_e32 v14, 0x623fde64
	v_mov_b32_e32 v15, 0x3ec71dee
	v_fmac_f64_e32 v[14:15], v[10:11], v[12:13]
	v_mov_b32_e32 v12, 0x7c89e6b0
	v_mov_b32_e32 v13, 0x3efa0199
	;; [unrolled: 3-line block ×8, first 2 shown]
	s_mov_b32 s0, 0
	v_fmac_f64_e32 v[12:13], v[10:11], v[14:15]
	s_mov_b32 s1, 0x40900000
	v_fma_f64 v[12:13], v[10:11], v[12:13], 1.0
	v_cmp_nlt_f64_e32 vcc, s[0:1], v[2:3]
	s_mov_b32 s0, 0
	v_fma_f64 v[10:11], v[10:11], v[12:13], 1.0
	v_cvt_i32_f64_e32 v8, v[8:9]
	s_mov_b32 s1, 0xc090cc00
	v_ldexp_f64 v[8:9], v[10:11], v8
	v_mov_b32_e32 v10, 0x7ff00000
	v_cmp_ngt_f64_e64 s[0:1], s[0:1], v[2:3]
	v_cndmask_b32_e32 v9, v10, v9, vcc
	s_mov_b32 s11, 0
	s_and_b64 vcc, s[0:1], vcc
	v_cndmask_b32_e64 v3, 0, v9, s[0:1]
	v_cndmask_b32_e32 v2, 0, v8, vcc
	s_lshl_b64 s[0:1], s[10:11], 3
	v_fma_f64 v[0:1], -v[6:7], v[2:3], v[0:1]
	v_mov_b32_e32 v3, s1
	v_add_co_u32_e32 v2, vcc, s0, v4
	v_addc_co_u32_e32 v3, vcc, v5, v3, vcc
	global_store_dwordx2 v[2:3], v[0:1], off
.LBB210_10:
	s_endpgm
	.section	.rodata,"a",@progbits
	.p2align	6, 0x0
	.amdhsa_kernel _ZN12_GLOBAL__N_121softmax_warp_backwardIdddLi3ELb1ELb0ELi64EEEvPT0_PKT_S5_iiiPKb
		.amdhsa_group_segment_fixed_size 0
		.amdhsa_private_segment_fixed_size 0
		.amdhsa_kernarg_size 304
		.amdhsa_user_sgpr_count 6
		.amdhsa_user_sgpr_private_segment_buffer 1
		.amdhsa_user_sgpr_dispatch_ptr 0
		.amdhsa_user_sgpr_queue_ptr 0
		.amdhsa_user_sgpr_kernarg_segment_ptr 1
		.amdhsa_user_sgpr_dispatch_id 0
		.amdhsa_user_sgpr_flat_scratch_init 0
		.amdhsa_user_sgpr_kernarg_preload_length 0
		.amdhsa_user_sgpr_kernarg_preload_offset 0
		.amdhsa_user_sgpr_private_segment_size 0
		.amdhsa_uses_dynamic_stack 0
		.amdhsa_system_sgpr_private_segment_wavefront_offset 0
		.amdhsa_system_sgpr_workgroup_id_x 1
		.amdhsa_system_sgpr_workgroup_id_y 0
		.amdhsa_system_sgpr_workgroup_id_z 0
		.amdhsa_system_sgpr_workgroup_info 0
		.amdhsa_system_vgpr_workitem_id 1
		.amdhsa_next_free_vgpr 26
		.amdhsa_next_free_sgpr 16
		.amdhsa_accum_offset 28
		.amdhsa_reserve_vcc 1
		.amdhsa_reserve_flat_scratch 0
		.amdhsa_float_round_mode_32 0
		.amdhsa_float_round_mode_16_64 0
		.amdhsa_float_denorm_mode_32 3
		.amdhsa_float_denorm_mode_16_64 3
		.amdhsa_dx10_clamp 1
		.amdhsa_ieee_mode 1
		.amdhsa_fp16_overflow 0
		.amdhsa_tg_split 0
		.amdhsa_exception_fp_ieee_invalid_op 0
		.amdhsa_exception_fp_denorm_src 0
		.amdhsa_exception_fp_ieee_div_zero 0
		.amdhsa_exception_fp_ieee_overflow 0
		.amdhsa_exception_fp_ieee_underflow 0
		.amdhsa_exception_fp_ieee_inexact 0
		.amdhsa_exception_int_div_zero 0
	.end_amdhsa_kernel
	.section	.text._ZN12_GLOBAL__N_121softmax_warp_backwardIdddLi3ELb1ELb0ELi64EEEvPT0_PKT_S5_iiiPKb,"axG",@progbits,_ZN12_GLOBAL__N_121softmax_warp_backwardIdddLi3ELb1ELb0ELi64EEEvPT0_PKT_S5_iiiPKb,comdat
.Lfunc_end210:
	.size	_ZN12_GLOBAL__N_121softmax_warp_backwardIdddLi3ELb1ELb0ELi64EEEvPT0_PKT_S5_iiiPKb, .Lfunc_end210-_ZN12_GLOBAL__N_121softmax_warp_backwardIdddLi3ELb1ELb0ELi64EEEvPT0_PKT_S5_iiiPKb
                                        ; -- End function
	.section	.AMDGPU.csdata,"",@progbits
; Kernel info:
; codeLenInByte = 1416
; NumSgprs: 20
; NumVgprs: 26
; NumAgprs: 0
; TotalNumVgprs: 26
; ScratchSize: 0
; MemoryBound: 0
; FloatMode: 240
; IeeeMode: 1
; LDSByteSize: 0 bytes/workgroup (compile time only)
; SGPRBlocks: 2
; VGPRBlocks: 3
; NumSGPRsForWavesPerEU: 20
; NumVGPRsForWavesPerEU: 26
; AccumOffset: 28
; Occupancy: 8
; WaveLimiterHint : 0
; COMPUTE_PGM_RSRC2:SCRATCH_EN: 0
; COMPUTE_PGM_RSRC2:USER_SGPR: 6
; COMPUTE_PGM_RSRC2:TRAP_HANDLER: 0
; COMPUTE_PGM_RSRC2:TGID_X_EN: 1
; COMPUTE_PGM_RSRC2:TGID_Y_EN: 0
; COMPUTE_PGM_RSRC2:TGID_Z_EN: 0
; COMPUTE_PGM_RSRC2:TIDIG_COMP_CNT: 1
; COMPUTE_PGM_RSRC3_GFX90A:ACCUM_OFFSET: 6
; COMPUTE_PGM_RSRC3_GFX90A:TG_SPLIT: 0
	.section	.text._ZN12_GLOBAL__N_121softmax_warp_backwardIdddLi3ELb1ELb0ELi32EEEvPT0_PKT_S5_iiiPKb,"axG",@progbits,_ZN12_GLOBAL__N_121softmax_warp_backwardIdddLi3ELb1ELb0ELi32EEEvPT0_PKT_S5_iiiPKb,comdat
	.globl	_ZN12_GLOBAL__N_121softmax_warp_backwardIdddLi3ELb1ELb0ELi32EEEvPT0_PKT_S5_iiiPKb ; -- Begin function _ZN12_GLOBAL__N_121softmax_warp_backwardIdddLi3ELb1ELb0ELi32EEEvPT0_PKT_S5_iiiPKb
	.p2align	8
	.type	_ZN12_GLOBAL__N_121softmax_warp_backwardIdddLi3ELb1ELb0ELi32EEEvPT0_PKT_S5_iiiPKb,@function
_ZN12_GLOBAL__N_121softmax_warp_backwardIdddLi3ELb1ELb0ELi32EEEvPT0_PKT_S5_iiiPKb: ; @_ZN12_GLOBAL__N_121softmax_warp_backwardIdddLi3ELb1ELb0ELi32EEEvPT0_PKT_S5_iiiPKb
; %bb.0:
	s_load_dword s2, s[4:5], 0x3c
	s_load_dwordx4 s[8:11], s[4:5], 0x18
	s_load_dwordx4 s[12:15], s[4:5], 0x0
	s_load_dwordx2 s[0:1], s[4:5], 0x10
	v_bfe_u32 v1, v0, 10, 10
	s_waitcnt lgkmcnt(0)
	s_lshr_b32 s2, s2, 16
	s_mul_i32 s6, s6, s2
	v_add_lshl_u32 v1, s6, v1, 1
	v_and_b32_e32 v0, 7, v0
	v_mad_u64_u32 v[2:3], s[2:3], v1, s9, v[0:1]
	v_ashrrev_i32_e32 v3, 31, v2
	v_lshlrev_b64 v[4:5], 3, v[2:3]
	v_sub_u32_e32 v18, s8, v1
	v_mov_b32_e32 v1, s15
	v_add_co_u32_e32 v10, vcc, s14, v4
	v_addc_co_u32_e32 v11, vcc, v1, v5, vcc
	v_mov_b32_e32 v1, s1
	v_add_co_u32_e32 v12, vcc, s0, v4
	v_addc_co_u32_e32 v13, vcc, v1, v5, vcc
	v_cmp_gt_i32_e32 vcc, s10, v0
	v_cmp_lt_i32_e64 s[0:1], 0, v18
	v_pk_mov_b32 v[0:1], 0, 0
	s_and_b64 s[4:5], vcc, s[0:1]
	v_pk_mov_b32 v[6:7], v[0:1], v[0:1] op_sel:[0,1]
	v_pk_mov_b32 v[8:9], v[0:1], v[0:1] op_sel:[0,1]
	s_and_saveexec_b64 s[2:3], s[4:5]
	s_cbranch_execz .LBB211_2
; %bb.1:
	global_load_dwordx2 v[6:7], v[10:11], off
	global_load_dwordx2 v[8:9], v[12:13], off
.LBB211_2:
	s_or_b64 exec, exec, s[2:3]
	v_cmp_lt_i32_e64 s[2:3], 1, v18
	s_and_b64 s[2:3], vcc, s[2:3]
	v_pk_mov_b32 v[2:3], v[0:1], v[0:1] op_sel:[0,1]
	s_and_saveexec_b64 s[4:5], s[2:3]
	s_cbranch_execz .LBB211_4
; %bb.3:
	s_mov_b32 s11, 0
	s_lshl_b64 s[6:7], s[10:11], 3
	v_mov_b32_e32 v3, s7
	v_add_co_u32_e64 v0, s[2:3], s6, v10
	v_addc_co_u32_e64 v1, s[2:3], v11, v3, s[2:3]
	v_add_co_u32_e64 v2, s[2:3], s6, v12
	v_addc_co_u32_e64 v3, s[2:3], v13, v3, s[2:3]
	global_load_dwordx2 v[0:1], v[0:1], off
	s_nop 0
	global_load_dwordx2 v[2:3], v[2:3], off
.LBB211_4:
	s_or_b64 exec, exec, s[4:5]
	v_mbcnt_lo_u32_b32 v14, -1, 0
	v_mbcnt_hi_u32_b32 v19, -1, v14
	v_and_b32_e32 v14, 0x78, v19
	v_add_u32_e32 v20, 8, v14
	v_xor_b32_e32 v14, 4, v19
	v_cmp_lt_i32_e64 s[2:3], v14, v20
	v_cndmask_b32_e64 v14, v19, v14, s[2:3]
	s_waitcnt vmcnt(1)
	v_add_f64 v[10:11], v[6:7], 0
	v_lshlrev_b32_e32 v17, 2, v14
	ds_bpermute_b32 v14, v17, v10
	ds_bpermute_b32 v15, v17, v11
	v_add_f64 v[12:13], v[0:1], 0
	ds_bpermute_b32 v16, v17, v12
	ds_bpermute_b32 v17, v17, v13
	s_waitcnt lgkmcnt(2)
	v_add_f64 v[10:11], v[10:11], v[14:15]
	v_xor_b32_e32 v14, 2, v19
	v_cmp_lt_i32_e64 s[2:3], v14, v20
	v_cndmask_b32_e64 v14, v19, v14, s[2:3]
	s_waitcnt lgkmcnt(0)
	v_add_f64 v[12:13], v[12:13], v[16:17]
	v_lshlrev_b32_e32 v17, 2, v14
	ds_bpermute_b32 v14, v17, v10
	ds_bpermute_b32 v15, v17, v11
	;; [unrolled: 1-line block ×4, first 2 shown]
	s_waitcnt lgkmcnt(2)
	v_add_f64 v[14:15], v[10:11], v[14:15]
	s_waitcnt lgkmcnt(0)
	v_add_f64 v[10:11], v[12:13], v[16:17]
	v_xor_b32_e32 v12, 1, v19
	v_cmp_lt_i32_e64 s[2:3], v12, v20
	v_cndmask_b32_e64 v12, v19, v12, s[2:3]
	v_lshlrev_b32_e32 v13, 2, v12
	ds_bpermute_b32 v16, v13, v14
	ds_bpermute_b32 v17, v13, v15
	ds_bpermute_b32 v12, v13, v10
	ds_bpermute_b32 v13, v13, v11
	s_and_saveexec_b64 s[2:3], s[0:1]
	s_cbranch_execz .LBB211_10
; %bb.5:
	v_mov_b32_e32 v19, s13
	v_add_co_u32_e64 v4, s[0:1], s12, v4
	v_addc_co_u32_e64 v5, s[0:1], v19, v5, s[0:1]
	s_and_saveexec_b64 s[4:5], vcc
	s_cbranch_execz .LBB211_7
; %bb.6:
	s_mov_b32 s0, 0x652b82fe
	s_mov_b32 s1, 0x3ff71547
	s_waitcnt lgkmcnt(2)
	v_add_f64 v[14:15], v[14:15], v[16:17]
	s_waitcnt vmcnt(0)
	v_mul_f64 v[16:17], v[8:9], s[0:1]
	s_mov_b32 s0, 0xfefa39ef
	v_rndne_f64_e32 v[16:17], v[16:17]
	s_mov_b32 s1, 0xbfe62e42
	v_fma_f64 v[20:21], s[0:1], v[16:17], v[8:9]
	s_mov_b32 s0, 0x3b39803f
	s_mov_b32 s1, 0xbc7abc9e
	v_fmac_f64_e32 v[20:21], s[0:1], v[16:17]
	s_mov_b32 s0, 0x6a5dcb37
	v_mov_b32_e32 v22, 0xfca7ab0c
	v_mov_b32_e32 v23, 0x3e928af3
	s_mov_b32 s1, 0x3e5ade15
	v_fmac_f64_e32 v[22:23], s[0:1], v[20:21]
	v_mov_b32_e32 v24, 0x623fde64
	v_mov_b32_e32 v25, 0x3ec71dee
	v_fmac_f64_e32 v[24:25], v[20:21], v[22:23]
	v_mov_b32_e32 v22, 0x7c89e6b0
	v_mov_b32_e32 v23, 0x3efa0199
	;; [unrolled: 3-line block ×8, first 2 shown]
	v_fmac_f64_e32 v[22:23], v[20:21], v[24:25]
	v_fma_f64 v[22:23], v[20:21], v[22:23], 1.0
	s_mov_b32 s0, 0
	s_mov_b32 s2, 0
	v_fma_f64 v[20:21], v[20:21], v[22:23], 1.0
	v_cvt_i32_f64_e32 v16, v[16:17]
	s_mov_b32 s1, 0x40900000
	s_mov_b32 s3, 0xc090cc00
	v_ldexp_f64 v[16:17], v[20:21], v16
	v_mov_b32_e32 v19, 0x7ff00000
	v_cmp_nlt_f64_e64 s[0:1], s[0:1], v[8:9]
	v_cmp_ngt_f64_e64 s[2:3], s[2:3], v[8:9]
	v_cndmask_b32_e64 v17, v19, v17, s[0:1]
	s_and_b64 s[0:1], s[2:3], s[0:1]
	v_cndmask_b32_e64 v9, 0, v17, s[2:3]
	v_cndmask_b32_e64 v8, 0, v16, s[0:1]
	v_fma_f64 v[6:7], -v[14:15], v[8:9], v[6:7]
	global_store_dwordx2 v[4:5], v[6:7], off
.LBB211_7:
	s_or_b64 exec, exec, s[4:5]
	v_cmp_ne_u32_e64 s[0:1], 1, v18
	s_and_b64 exec, exec, s[0:1]
	s_cbranch_execz .LBB211_10
; %bb.8:
	s_and_b64 exec, exec, vcc
	s_cbranch_execz .LBB211_10
; %bb.9:
	s_mov_b32 s0, 0x652b82fe
	s_mov_b32 s1, 0x3ff71547
	s_waitcnt vmcnt(0)
	v_mul_f64 v[8:9], v[2:3], s[0:1]
	s_mov_b32 s0, 0xfefa39ef
	v_rndne_f64_e32 v[8:9], v[8:9]
	s_mov_b32 s1, 0xbfe62e42
	s_waitcnt lgkmcnt(0)
	v_add_f64 v[6:7], v[10:11], v[12:13]
	v_fma_f64 v[10:11], s[0:1], v[8:9], v[2:3]
	s_mov_b32 s0, 0x3b39803f
	s_mov_b32 s1, 0xbc7abc9e
	v_fmac_f64_e32 v[10:11], s[0:1], v[8:9]
	s_mov_b32 s0, 0x6a5dcb37
	v_mov_b32_e32 v12, 0xfca7ab0c
	v_mov_b32_e32 v13, 0x3e928af3
	s_mov_b32 s1, 0x3e5ade15
	v_fmac_f64_e32 v[12:13], s[0:1], v[10:11]
	v_mov_b32_e32 v14, 0x623fde64
	v_mov_b32_e32 v15, 0x3ec71dee
	v_fmac_f64_e32 v[14:15], v[10:11], v[12:13]
	v_mov_b32_e32 v12, 0x7c89e6b0
	v_mov_b32_e32 v13, 0x3efa0199
	;; [unrolled: 3-line block ×8, first 2 shown]
	s_mov_b32 s0, 0
	v_fmac_f64_e32 v[12:13], v[10:11], v[14:15]
	s_mov_b32 s1, 0x40900000
	v_fma_f64 v[12:13], v[10:11], v[12:13], 1.0
	v_cmp_nlt_f64_e32 vcc, s[0:1], v[2:3]
	s_mov_b32 s0, 0
	v_fma_f64 v[10:11], v[10:11], v[12:13], 1.0
	v_cvt_i32_f64_e32 v8, v[8:9]
	s_mov_b32 s1, 0xc090cc00
	v_ldexp_f64 v[8:9], v[10:11], v8
	v_mov_b32_e32 v10, 0x7ff00000
	v_cmp_ngt_f64_e64 s[0:1], s[0:1], v[2:3]
	v_cndmask_b32_e32 v9, v10, v9, vcc
	s_mov_b32 s11, 0
	s_and_b64 vcc, s[0:1], vcc
	v_cndmask_b32_e64 v3, 0, v9, s[0:1]
	v_cndmask_b32_e32 v2, 0, v8, vcc
	s_lshl_b64 s[0:1], s[10:11], 3
	v_fma_f64 v[0:1], -v[6:7], v[2:3], v[0:1]
	v_mov_b32_e32 v3, s1
	v_add_co_u32_e32 v2, vcc, s0, v4
	v_addc_co_u32_e32 v3, vcc, v5, v3, vcc
	global_store_dwordx2 v[2:3], v[0:1], off
.LBB211_10:
	s_endpgm
	.section	.rodata,"a",@progbits
	.p2align	6, 0x0
	.amdhsa_kernel _ZN12_GLOBAL__N_121softmax_warp_backwardIdddLi3ELb1ELb0ELi32EEEvPT0_PKT_S5_iiiPKb
		.amdhsa_group_segment_fixed_size 0
		.amdhsa_private_segment_fixed_size 0
		.amdhsa_kernarg_size 304
		.amdhsa_user_sgpr_count 6
		.amdhsa_user_sgpr_private_segment_buffer 1
		.amdhsa_user_sgpr_dispatch_ptr 0
		.amdhsa_user_sgpr_queue_ptr 0
		.amdhsa_user_sgpr_kernarg_segment_ptr 1
		.amdhsa_user_sgpr_dispatch_id 0
		.amdhsa_user_sgpr_flat_scratch_init 0
		.amdhsa_user_sgpr_kernarg_preload_length 0
		.amdhsa_user_sgpr_kernarg_preload_offset 0
		.amdhsa_user_sgpr_private_segment_size 0
		.amdhsa_uses_dynamic_stack 0
		.amdhsa_system_sgpr_private_segment_wavefront_offset 0
		.amdhsa_system_sgpr_workgroup_id_x 1
		.amdhsa_system_sgpr_workgroup_id_y 0
		.amdhsa_system_sgpr_workgroup_id_z 0
		.amdhsa_system_sgpr_workgroup_info 0
		.amdhsa_system_vgpr_workitem_id 1
		.amdhsa_next_free_vgpr 26
		.amdhsa_next_free_sgpr 16
		.amdhsa_accum_offset 28
		.amdhsa_reserve_vcc 1
		.amdhsa_reserve_flat_scratch 0
		.amdhsa_float_round_mode_32 0
		.amdhsa_float_round_mode_16_64 0
		.amdhsa_float_denorm_mode_32 3
		.amdhsa_float_denorm_mode_16_64 3
		.amdhsa_dx10_clamp 1
		.amdhsa_ieee_mode 1
		.amdhsa_fp16_overflow 0
		.amdhsa_tg_split 0
		.amdhsa_exception_fp_ieee_invalid_op 0
		.amdhsa_exception_fp_denorm_src 0
		.amdhsa_exception_fp_ieee_div_zero 0
		.amdhsa_exception_fp_ieee_overflow 0
		.amdhsa_exception_fp_ieee_underflow 0
		.amdhsa_exception_fp_ieee_inexact 0
		.amdhsa_exception_int_div_zero 0
	.end_amdhsa_kernel
	.section	.text._ZN12_GLOBAL__N_121softmax_warp_backwardIdddLi3ELb1ELb0ELi32EEEvPT0_PKT_S5_iiiPKb,"axG",@progbits,_ZN12_GLOBAL__N_121softmax_warp_backwardIdddLi3ELb1ELb0ELi32EEEvPT0_PKT_S5_iiiPKb,comdat
.Lfunc_end211:
	.size	_ZN12_GLOBAL__N_121softmax_warp_backwardIdddLi3ELb1ELb0ELi32EEEvPT0_PKT_S5_iiiPKb, .Lfunc_end211-_ZN12_GLOBAL__N_121softmax_warp_backwardIdddLi3ELb1ELb0ELi32EEEvPT0_PKT_S5_iiiPKb
                                        ; -- End function
	.section	.AMDGPU.csdata,"",@progbits
; Kernel info:
; codeLenInByte = 1416
; NumSgprs: 20
; NumVgprs: 26
; NumAgprs: 0
; TotalNumVgprs: 26
; ScratchSize: 0
; MemoryBound: 0
; FloatMode: 240
; IeeeMode: 1
; LDSByteSize: 0 bytes/workgroup (compile time only)
; SGPRBlocks: 2
; VGPRBlocks: 3
; NumSGPRsForWavesPerEU: 20
; NumVGPRsForWavesPerEU: 26
; AccumOffset: 28
; Occupancy: 8
; WaveLimiterHint : 0
; COMPUTE_PGM_RSRC2:SCRATCH_EN: 0
; COMPUTE_PGM_RSRC2:USER_SGPR: 6
; COMPUTE_PGM_RSRC2:TRAP_HANDLER: 0
; COMPUTE_PGM_RSRC2:TGID_X_EN: 1
; COMPUTE_PGM_RSRC2:TGID_Y_EN: 0
; COMPUTE_PGM_RSRC2:TGID_Z_EN: 0
; COMPUTE_PGM_RSRC2:TIDIG_COMP_CNT: 1
; COMPUTE_PGM_RSRC3_GFX90A:ACCUM_OFFSET: 6
; COMPUTE_PGM_RSRC3_GFX90A:TG_SPLIT: 0
	.section	.text._ZN12_GLOBAL__N_121softmax_warp_backwardIdddLi4ELb1ELb0ELi64EEEvPT0_PKT_S5_iiiPKb,"axG",@progbits,_ZN12_GLOBAL__N_121softmax_warp_backwardIdddLi4ELb1ELb0ELi64EEEvPT0_PKT_S5_iiiPKb,comdat
	.globl	_ZN12_GLOBAL__N_121softmax_warp_backwardIdddLi4ELb1ELb0ELi64EEEvPT0_PKT_S5_iiiPKb ; -- Begin function _ZN12_GLOBAL__N_121softmax_warp_backwardIdddLi4ELb1ELb0ELi64EEEvPT0_PKT_S5_iiiPKb
	.p2align	8
	.type	_ZN12_GLOBAL__N_121softmax_warp_backwardIdddLi4ELb1ELb0ELi64EEEvPT0_PKT_S5_iiiPKb,@function
_ZN12_GLOBAL__N_121softmax_warp_backwardIdddLi4ELb1ELb0ELi64EEEvPT0_PKT_S5_iiiPKb: ; @_ZN12_GLOBAL__N_121softmax_warp_backwardIdddLi4ELb1ELb0ELi64EEEvPT0_PKT_S5_iiiPKb
; %bb.0:
	s_load_dword s2, s[4:5], 0x3c
	s_load_dwordx4 s[8:11], s[4:5], 0x18
	s_load_dwordx4 s[12:15], s[4:5], 0x0
	s_load_dwordx2 s[0:1], s[4:5], 0x10
	v_bfe_u32 v1, v0, 10, 10
	s_waitcnt lgkmcnt(0)
	s_lshr_b32 s2, s2, 16
	s_mul_i32 s6, s6, s2
	v_add_lshl_u32 v1, s6, v1, 1
	v_and_b32_e32 v0, 15, v0
	v_mad_u64_u32 v[2:3], s[2:3], v1, s9, v[0:1]
	v_ashrrev_i32_e32 v3, 31, v2
	v_lshlrev_b64 v[4:5], 3, v[2:3]
	v_sub_u32_e32 v18, s8, v1
	v_mov_b32_e32 v1, s15
	v_add_co_u32_e32 v10, vcc, s14, v4
	v_addc_co_u32_e32 v11, vcc, v1, v5, vcc
	v_mov_b32_e32 v1, s1
	v_add_co_u32_e32 v12, vcc, s0, v4
	v_addc_co_u32_e32 v13, vcc, v1, v5, vcc
	v_cmp_gt_i32_e32 vcc, s10, v0
	v_cmp_lt_i32_e64 s[0:1], 0, v18
	v_pk_mov_b32 v[0:1], 0, 0
	s_and_b64 s[4:5], vcc, s[0:1]
	v_pk_mov_b32 v[6:7], v[0:1], v[0:1] op_sel:[0,1]
	v_pk_mov_b32 v[8:9], v[0:1], v[0:1] op_sel:[0,1]
	s_and_saveexec_b64 s[2:3], s[4:5]
	s_cbranch_execz .LBB212_2
; %bb.1:
	global_load_dwordx2 v[6:7], v[10:11], off
	global_load_dwordx2 v[8:9], v[12:13], off
.LBB212_2:
	s_or_b64 exec, exec, s[2:3]
	v_cmp_lt_i32_e64 s[2:3], 1, v18
	s_and_b64 s[2:3], vcc, s[2:3]
	v_pk_mov_b32 v[2:3], v[0:1], v[0:1] op_sel:[0,1]
	s_and_saveexec_b64 s[4:5], s[2:3]
	s_cbranch_execz .LBB212_4
; %bb.3:
	s_mov_b32 s11, 0
	s_lshl_b64 s[6:7], s[10:11], 3
	v_mov_b32_e32 v3, s7
	v_add_co_u32_e64 v0, s[2:3], s6, v10
	v_addc_co_u32_e64 v1, s[2:3], v11, v3, s[2:3]
	v_add_co_u32_e64 v2, s[2:3], s6, v12
	v_addc_co_u32_e64 v3, s[2:3], v13, v3, s[2:3]
	global_load_dwordx2 v[0:1], v[0:1], off
	s_nop 0
	global_load_dwordx2 v[2:3], v[2:3], off
.LBB212_4:
	s_or_b64 exec, exec, s[4:5]
	v_mbcnt_lo_u32_b32 v14, -1, 0
	v_mbcnt_hi_u32_b32 v19, -1, v14
	v_and_b32_e32 v14, 0x70, v19
	v_add_u32_e32 v20, 16, v14
	v_xor_b32_e32 v14, 8, v19
	v_cmp_lt_i32_e64 s[2:3], v14, v20
	v_cndmask_b32_e64 v14, v19, v14, s[2:3]
	s_waitcnt vmcnt(1)
	v_add_f64 v[10:11], v[6:7], 0
	v_lshlrev_b32_e32 v17, 2, v14
	ds_bpermute_b32 v14, v17, v10
	ds_bpermute_b32 v15, v17, v11
	v_add_f64 v[12:13], v[0:1], 0
	ds_bpermute_b32 v16, v17, v12
	ds_bpermute_b32 v17, v17, v13
	s_waitcnt lgkmcnt(2)
	v_add_f64 v[10:11], v[10:11], v[14:15]
	v_xor_b32_e32 v14, 4, v19
	v_cmp_lt_i32_e64 s[2:3], v14, v20
	v_cndmask_b32_e64 v14, v19, v14, s[2:3]
	s_waitcnt lgkmcnt(0)
	v_add_f64 v[12:13], v[12:13], v[16:17]
	v_lshlrev_b32_e32 v17, 2, v14
	ds_bpermute_b32 v14, v17, v10
	ds_bpermute_b32 v15, v17, v11
	;; [unrolled: 1-line block ×4, first 2 shown]
	s_waitcnt lgkmcnt(2)
	v_add_f64 v[10:11], v[10:11], v[14:15]
	v_xor_b32_e32 v14, 2, v19
	v_cmp_lt_i32_e64 s[2:3], v14, v20
	v_cndmask_b32_e64 v14, v19, v14, s[2:3]
	s_waitcnt lgkmcnt(0)
	v_add_f64 v[12:13], v[12:13], v[16:17]
	v_lshlrev_b32_e32 v17, 2, v14
	ds_bpermute_b32 v14, v17, v10
	ds_bpermute_b32 v15, v17, v11
	;; [unrolled: 1-line block ×4, first 2 shown]
	s_waitcnt lgkmcnt(2)
	v_add_f64 v[14:15], v[10:11], v[14:15]
	s_waitcnt lgkmcnt(0)
	v_add_f64 v[10:11], v[12:13], v[16:17]
	v_xor_b32_e32 v12, 1, v19
	v_cmp_lt_i32_e64 s[2:3], v12, v20
	v_cndmask_b32_e64 v12, v19, v12, s[2:3]
	v_lshlrev_b32_e32 v13, 2, v12
	ds_bpermute_b32 v16, v13, v14
	ds_bpermute_b32 v17, v13, v15
	;; [unrolled: 1-line block ×4, first 2 shown]
	s_and_saveexec_b64 s[2:3], s[0:1]
	s_cbranch_execz .LBB212_10
; %bb.5:
	v_mov_b32_e32 v19, s13
	v_add_co_u32_e64 v4, s[0:1], s12, v4
	v_addc_co_u32_e64 v5, s[0:1], v19, v5, s[0:1]
	s_and_saveexec_b64 s[4:5], vcc
	s_cbranch_execz .LBB212_7
; %bb.6:
	s_mov_b32 s0, 0x652b82fe
	s_mov_b32 s1, 0x3ff71547
	s_waitcnt lgkmcnt(2)
	v_add_f64 v[14:15], v[14:15], v[16:17]
	s_waitcnt vmcnt(0)
	v_mul_f64 v[16:17], v[8:9], s[0:1]
	s_mov_b32 s0, 0xfefa39ef
	v_rndne_f64_e32 v[16:17], v[16:17]
	s_mov_b32 s1, 0xbfe62e42
	v_fma_f64 v[20:21], s[0:1], v[16:17], v[8:9]
	s_mov_b32 s0, 0x3b39803f
	s_mov_b32 s1, 0xbc7abc9e
	v_fmac_f64_e32 v[20:21], s[0:1], v[16:17]
	s_mov_b32 s0, 0x6a5dcb37
	v_mov_b32_e32 v22, 0xfca7ab0c
	v_mov_b32_e32 v23, 0x3e928af3
	s_mov_b32 s1, 0x3e5ade15
	v_fmac_f64_e32 v[22:23], s[0:1], v[20:21]
	v_mov_b32_e32 v24, 0x623fde64
	v_mov_b32_e32 v25, 0x3ec71dee
	v_fmac_f64_e32 v[24:25], v[20:21], v[22:23]
	v_mov_b32_e32 v22, 0x7c89e6b0
	v_mov_b32_e32 v23, 0x3efa0199
	;; [unrolled: 3-line block ×8, first 2 shown]
	v_fmac_f64_e32 v[22:23], v[20:21], v[24:25]
	v_fma_f64 v[22:23], v[20:21], v[22:23], 1.0
	s_mov_b32 s0, 0
	s_mov_b32 s2, 0
	v_fma_f64 v[20:21], v[20:21], v[22:23], 1.0
	v_cvt_i32_f64_e32 v16, v[16:17]
	s_mov_b32 s1, 0x40900000
	s_mov_b32 s3, 0xc090cc00
	v_ldexp_f64 v[16:17], v[20:21], v16
	v_mov_b32_e32 v19, 0x7ff00000
	v_cmp_nlt_f64_e64 s[0:1], s[0:1], v[8:9]
	v_cmp_ngt_f64_e64 s[2:3], s[2:3], v[8:9]
	v_cndmask_b32_e64 v17, v19, v17, s[0:1]
	s_and_b64 s[0:1], s[2:3], s[0:1]
	v_cndmask_b32_e64 v9, 0, v17, s[2:3]
	v_cndmask_b32_e64 v8, 0, v16, s[0:1]
	v_fma_f64 v[6:7], -v[14:15], v[8:9], v[6:7]
	global_store_dwordx2 v[4:5], v[6:7], off
.LBB212_7:
	s_or_b64 exec, exec, s[4:5]
	v_cmp_ne_u32_e64 s[0:1], 1, v18
	s_and_b64 exec, exec, s[0:1]
	s_cbranch_execz .LBB212_10
; %bb.8:
	s_and_b64 exec, exec, vcc
	s_cbranch_execz .LBB212_10
; %bb.9:
	s_mov_b32 s0, 0x652b82fe
	s_mov_b32 s1, 0x3ff71547
	s_waitcnt vmcnt(0)
	v_mul_f64 v[8:9], v[2:3], s[0:1]
	s_mov_b32 s0, 0xfefa39ef
	v_rndne_f64_e32 v[8:9], v[8:9]
	s_mov_b32 s1, 0xbfe62e42
	s_waitcnt lgkmcnt(0)
	v_add_f64 v[6:7], v[10:11], v[12:13]
	v_fma_f64 v[10:11], s[0:1], v[8:9], v[2:3]
	s_mov_b32 s0, 0x3b39803f
	s_mov_b32 s1, 0xbc7abc9e
	v_fmac_f64_e32 v[10:11], s[0:1], v[8:9]
	s_mov_b32 s0, 0x6a5dcb37
	v_mov_b32_e32 v12, 0xfca7ab0c
	v_mov_b32_e32 v13, 0x3e928af3
	s_mov_b32 s1, 0x3e5ade15
	v_fmac_f64_e32 v[12:13], s[0:1], v[10:11]
	v_mov_b32_e32 v14, 0x623fde64
	v_mov_b32_e32 v15, 0x3ec71dee
	v_fmac_f64_e32 v[14:15], v[10:11], v[12:13]
	v_mov_b32_e32 v12, 0x7c89e6b0
	v_mov_b32_e32 v13, 0x3efa0199
	;; [unrolled: 3-line block ×8, first 2 shown]
	s_mov_b32 s0, 0
	v_fmac_f64_e32 v[12:13], v[10:11], v[14:15]
	s_mov_b32 s1, 0x40900000
	v_fma_f64 v[12:13], v[10:11], v[12:13], 1.0
	v_cmp_nlt_f64_e32 vcc, s[0:1], v[2:3]
	s_mov_b32 s0, 0
	v_fma_f64 v[10:11], v[10:11], v[12:13], 1.0
	v_cvt_i32_f64_e32 v8, v[8:9]
	s_mov_b32 s1, 0xc090cc00
	v_ldexp_f64 v[8:9], v[10:11], v8
	v_mov_b32_e32 v10, 0x7ff00000
	v_cmp_ngt_f64_e64 s[0:1], s[0:1], v[2:3]
	v_cndmask_b32_e32 v9, v10, v9, vcc
	s_mov_b32 s11, 0
	s_and_b64 vcc, s[0:1], vcc
	v_cndmask_b32_e64 v3, 0, v9, s[0:1]
	v_cndmask_b32_e32 v2, 0, v8, vcc
	s_lshl_b64 s[0:1], s[10:11], 3
	v_fma_f64 v[0:1], -v[6:7], v[2:3], v[0:1]
	v_mov_b32_e32 v3, s1
	v_add_co_u32_e32 v2, vcc, s0, v4
	v_addc_co_u32_e32 v3, vcc, v5, v3, vcc
	global_store_dwordx2 v[2:3], v[0:1], off
.LBB212_10:
	s_endpgm
	.section	.rodata,"a",@progbits
	.p2align	6, 0x0
	.amdhsa_kernel _ZN12_GLOBAL__N_121softmax_warp_backwardIdddLi4ELb1ELb0ELi64EEEvPT0_PKT_S5_iiiPKb
		.amdhsa_group_segment_fixed_size 0
		.amdhsa_private_segment_fixed_size 0
		.amdhsa_kernarg_size 304
		.amdhsa_user_sgpr_count 6
		.amdhsa_user_sgpr_private_segment_buffer 1
		.amdhsa_user_sgpr_dispatch_ptr 0
		.amdhsa_user_sgpr_queue_ptr 0
		.amdhsa_user_sgpr_kernarg_segment_ptr 1
		.amdhsa_user_sgpr_dispatch_id 0
		.amdhsa_user_sgpr_flat_scratch_init 0
		.amdhsa_user_sgpr_kernarg_preload_length 0
		.amdhsa_user_sgpr_kernarg_preload_offset 0
		.amdhsa_user_sgpr_private_segment_size 0
		.amdhsa_uses_dynamic_stack 0
		.amdhsa_system_sgpr_private_segment_wavefront_offset 0
		.amdhsa_system_sgpr_workgroup_id_x 1
		.amdhsa_system_sgpr_workgroup_id_y 0
		.amdhsa_system_sgpr_workgroup_id_z 0
		.amdhsa_system_sgpr_workgroup_info 0
		.amdhsa_system_vgpr_workitem_id 1
		.amdhsa_next_free_vgpr 26
		.amdhsa_next_free_sgpr 16
		.amdhsa_accum_offset 28
		.amdhsa_reserve_vcc 1
		.amdhsa_reserve_flat_scratch 0
		.amdhsa_float_round_mode_32 0
		.amdhsa_float_round_mode_16_64 0
		.amdhsa_float_denorm_mode_32 3
		.amdhsa_float_denorm_mode_16_64 3
		.amdhsa_dx10_clamp 1
		.amdhsa_ieee_mode 1
		.amdhsa_fp16_overflow 0
		.amdhsa_tg_split 0
		.amdhsa_exception_fp_ieee_invalid_op 0
		.amdhsa_exception_fp_denorm_src 0
		.amdhsa_exception_fp_ieee_div_zero 0
		.amdhsa_exception_fp_ieee_overflow 0
		.amdhsa_exception_fp_ieee_underflow 0
		.amdhsa_exception_fp_ieee_inexact 0
		.amdhsa_exception_int_div_zero 0
	.end_amdhsa_kernel
	.section	.text._ZN12_GLOBAL__N_121softmax_warp_backwardIdddLi4ELb1ELb0ELi64EEEvPT0_PKT_S5_iiiPKb,"axG",@progbits,_ZN12_GLOBAL__N_121softmax_warp_backwardIdddLi4ELb1ELb0ELi64EEEvPT0_PKT_S5_iiiPKb,comdat
.Lfunc_end212:
	.size	_ZN12_GLOBAL__N_121softmax_warp_backwardIdddLi4ELb1ELb0ELi64EEEvPT0_PKT_S5_iiiPKb, .Lfunc_end212-_ZN12_GLOBAL__N_121softmax_warp_backwardIdddLi4ELb1ELb0ELi64EEEvPT0_PKT_S5_iiiPKb
                                        ; -- End function
	.section	.AMDGPU.csdata,"",@progbits
; Kernel info:
; codeLenInByte = 1496
; NumSgprs: 20
; NumVgprs: 26
; NumAgprs: 0
; TotalNumVgprs: 26
; ScratchSize: 0
; MemoryBound: 0
; FloatMode: 240
; IeeeMode: 1
; LDSByteSize: 0 bytes/workgroup (compile time only)
; SGPRBlocks: 2
; VGPRBlocks: 3
; NumSGPRsForWavesPerEU: 20
; NumVGPRsForWavesPerEU: 26
; AccumOffset: 28
; Occupancy: 8
; WaveLimiterHint : 0
; COMPUTE_PGM_RSRC2:SCRATCH_EN: 0
; COMPUTE_PGM_RSRC2:USER_SGPR: 6
; COMPUTE_PGM_RSRC2:TRAP_HANDLER: 0
; COMPUTE_PGM_RSRC2:TGID_X_EN: 1
; COMPUTE_PGM_RSRC2:TGID_Y_EN: 0
; COMPUTE_PGM_RSRC2:TGID_Z_EN: 0
; COMPUTE_PGM_RSRC2:TIDIG_COMP_CNT: 1
; COMPUTE_PGM_RSRC3_GFX90A:ACCUM_OFFSET: 6
; COMPUTE_PGM_RSRC3_GFX90A:TG_SPLIT: 0
	.section	.text._ZN12_GLOBAL__N_121softmax_warp_backwardIdddLi4ELb1ELb0ELi32EEEvPT0_PKT_S5_iiiPKb,"axG",@progbits,_ZN12_GLOBAL__N_121softmax_warp_backwardIdddLi4ELb1ELb0ELi32EEEvPT0_PKT_S5_iiiPKb,comdat
	.globl	_ZN12_GLOBAL__N_121softmax_warp_backwardIdddLi4ELb1ELb0ELi32EEEvPT0_PKT_S5_iiiPKb ; -- Begin function _ZN12_GLOBAL__N_121softmax_warp_backwardIdddLi4ELb1ELb0ELi32EEEvPT0_PKT_S5_iiiPKb
	.p2align	8
	.type	_ZN12_GLOBAL__N_121softmax_warp_backwardIdddLi4ELb1ELb0ELi32EEEvPT0_PKT_S5_iiiPKb,@function
_ZN12_GLOBAL__N_121softmax_warp_backwardIdddLi4ELb1ELb0ELi32EEEvPT0_PKT_S5_iiiPKb: ; @_ZN12_GLOBAL__N_121softmax_warp_backwardIdddLi4ELb1ELb0ELi32EEEvPT0_PKT_S5_iiiPKb
; %bb.0:
	s_load_dword s2, s[4:5], 0x3c
	s_load_dwordx4 s[8:11], s[4:5], 0x18
	s_load_dwordx4 s[12:15], s[4:5], 0x0
	s_load_dwordx2 s[0:1], s[4:5], 0x10
	v_bfe_u32 v1, v0, 10, 10
	s_waitcnt lgkmcnt(0)
	s_lshr_b32 s2, s2, 16
	s_mul_i32 s6, s6, s2
	v_add_lshl_u32 v1, s6, v1, 1
	v_and_b32_e32 v0, 15, v0
	v_mad_u64_u32 v[2:3], s[2:3], v1, s9, v[0:1]
	v_ashrrev_i32_e32 v3, 31, v2
	v_lshlrev_b64 v[4:5], 3, v[2:3]
	v_sub_u32_e32 v18, s8, v1
	v_mov_b32_e32 v1, s15
	v_add_co_u32_e32 v10, vcc, s14, v4
	v_addc_co_u32_e32 v11, vcc, v1, v5, vcc
	v_mov_b32_e32 v1, s1
	v_add_co_u32_e32 v12, vcc, s0, v4
	v_addc_co_u32_e32 v13, vcc, v1, v5, vcc
	v_cmp_gt_i32_e32 vcc, s10, v0
	v_cmp_lt_i32_e64 s[0:1], 0, v18
	v_pk_mov_b32 v[0:1], 0, 0
	s_and_b64 s[4:5], vcc, s[0:1]
	v_pk_mov_b32 v[6:7], v[0:1], v[0:1] op_sel:[0,1]
	v_pk_mov_b32 v[8:9], v[0:1], v[0:1] op_sel:[0,1]
	s_and_saveexec_b64 s[2:3], s[4:5]
	s_cbranch_execz .LBB213_2
; %bb.1:
	global_load_dwordx2 v[6:7], v[10:11], off
	global_load_dwordx2 v[8:9], v[12:13], off
.LBB213_2:
	s_or_b64 exec, exec, s[2:3]
	v_cmp_lt_i32_e64 s[2:3], 1, v18
	s_and_b64 s[2:3], vcc, s[2:3]
	v_pk_mov_b32 v[2:3], v[0:1], v[0:1] op_sel:[0,1]
	s_and_saveexec_b64 s[4:5], s[2:3]
	s_cbranch_execz .LBB213_4
; %bb.3:
	s_mov_b32 s11, 0
	s_lshl_b64 s[6:7], s[10:11], 3
	v_mov_b32_e32 v3, s7
	v_add_co_u32_e64 v0, s[2:3], s6, v10
	v_addc_co_u32_e64 v1, s[2:3], v11, v3, s[2:3]
	v_add_co_u32_e64 v2, s[2:3], s6, v12
	v_addc_co_u32_e64 v3, s[2:3], v13, v3, s[2:3]
	global_load_dwordx2 v[0:1], v[0:1], off
	s_nop 0
	global_load_dwordx2 v[2:3], v[2:3], off
.LBB213_4:
	s_or_b64 exec, exec, s[4:5]
	v_mbcnt_lo_u32_b32 v14, -1, 0
	v_mbcnt_hi_u32_b32 v19, -1, v14
	v_and_b32_e32 v14, 0x70, v19
	v_add_u32_e32 v20, 16, v14
	v_xor_b32_e32 v14, 8, v19
	v_cmp_lt_i32_e64 s[2:3], v14, v20
	v_cndmask_b32_e64 v14, v19, v14, s[2:3]
	s_waitcnt vmcnt(1)
	v_add_f64 v[10:11], v[6:7], 0
	v_lshlrev_b32_e32 v17, 2, v14
	ds_bpermute_b32 v14, v17, v10
	ds_bpermute_b32 v15, v17, v11
	v_add_f64 v[12:13], v[0:1], 0
	ds_bpermute_b32 v16, v17, v12
	ds_bpermute_b32 v17, v17, v13
	s_waitcnt lgkmcnt(2)
	v_add_f64 v[10:11], v[10:11], v[14:15]
	v_xor_b32_e32 v14, 4, v19
	v_cmp_lt_i32_e64 s[2:3], v14, v20
	v_cndmask_b32_e64 v14, v19, v14, s[2:3]
	s_waitcnt lgkmcnt(0)
	v_add_f64 v[12:13], v[12:13], v[16:17]
	v_lshlrev_b32_e32 v17, 2, v14
	ds_bpermute_b32 v14, v17, v10
	ds_bpermute_b32 v15, v17, v11
	;; [unrolled: 1-line block ×4, first 2 shown]
	s_waitcnt lgkmcnt(2)
	v_add_f64 v[10:11], v[10:11], v[14:15]
	v_xor_b32_e32 v14, 2, v19
	v_cmp_lt_i32_e64 s[2:3], v14, v20
	v_cndmask_b32_e64 v14, v19, v14, s[2:3]
	s_waitcnt lgkmcnt(0)
	v_add_f64 v[12:13], v[12:13], v[16:17]
	v_lshlrev_b32_e32 v17, 2, v14
	ds_bpermute_b32 v14, v17, v10
	ds_bpermute_b32 v15, v17, v11
	;; [unrolled: 1-line block ×4, first 2 shown]
	s_waitcnt lgkmcnt(2)
	v_add_f64 v[14:15], v[10:11], v[14:15]
	s_waitcnt lgkmcnt(0)
	v_add_f64 v[10:11], v[12:13], v[16:17]
	v_xor_b32_e32 v12, 1, v19
	v_cmp_lt_i32_e64 s[2:3], v12, v20
	v_cndmask_b32_e64 v12, v19, v12, s[2:3]
	v_lshlrev_b32_e32 v13, 2, v12
	ds_bpermute_b32 v16, v13, v14
	ds_bpermute_b32 v17, v13, v15
	;; [unrolled: 1-line block ×4, first 2 shown]
	s_and_saveexec_b64 s[2:3], s[0:1]
	s_cbranch_execz .LBB213_10
; %bb.5:
	v_mov_b32_e32 v19, s13
	v_add_co_u32_e64 v4, s[0:1], s12, v4
	v_addc_co_u32_e64 v5, s[0:1], v19, v5, s[0:1]
	s_and_saveexec_b64 s[4:5], vcc
	s_cbranch_execz .LBB213_7
; %bb.6:
	s_mov_b32 s0, 0x652b82fe
	s_mov_b32 s1, 0x3ff71547
	s_waitcnt lgkmcnt(2)
	v_add_f64 v[14:15], v[14:15], v[16:17]
	s_waitcnt vmcnt(0)
	v_mul_f64 v[16:17], v[8:9], s[0:1]
	s_mov_b32 s0, 0xfefa39ef
	v_rndne_f64_e32 v[16:17], v[16:17]
	s_mov_b32 s1, 0xbfe62e42
	v_fma_f64 v[20:21], s[0:1], v[16:17], v[8:9]
	s_mov_b32 s0, 0x3b39803f
	s_mov_b32 s1, 0xbc7abc9e
	v_fmac_f64_e32 v[20:21], s[0:1], v[16:17]
	s_mov_b32 s0, 0x6a5dcb37
	v_mov_b32_e32 v22, 0xfca7ab0c
	v_mov_b32_e32 v23, 0x3e928af3
	s_mov_b32 s1, 0x3e5ade15
	v_fmac_f64_e32 v[22:23], s[0:1], v[20:21]
	v_mov_b32_e32 v24, 0x623fde64
	v_mov_b32_e32 v25, 0x3ec71dee
	v_fmac_f64_e32 v[24:25], v[20:21], v[22:23]
	v_mov_b32_e32 v22, 0x7c89e6b0
	v_mov_b32_e32 v23, 0x3efa0199
	;; [unrolled: 3-line block ×8, first 2 shown]
	v_fmac_f64_e32 v[22:23], v[20:21], v[24:25]
	v_fma_f64 v[22:23], v[20:21], v[22:23], 1.0
	s_mov_b32 s0, 0
	s_mov_b32 s2, 0
	v_fma_f64 v[20:21], v[20:21], v[22:23], 1.0
	v_cvt_i32_f64_e32 v16, v[16:17]
	s_mov_b32 s1, 0x40900000
	s_mov_b32 s3, 0xc090cc00
	v_ldexp_f64 v[16:17], v[20:21], v16
	v_mov_b32_e32 v19, 0x7ff00000
	v_cmp_nlt_f64_e64 s[0:1], s[0:1], v[8:9]
	v_cmp_ngt_f64_e64 s[2:3], s[2:3], v[8:9]
	v_cndmask_b32_e64 v17, v19, v17, s[0:1]
	s_and_b64 s[0:1], s[2:3], s[0:1]
	v_cndmask_b32_e64 v9, 0, v17, s[2:3]
	v_cndmask_b32_e64 v8, 0, v16, s[0:1]
	v_fma_f64 v[6:7], -v[14:15], v[8:9], v[6:7]
	global_store_dwordx2 v[4:5], v[6:7], off
.LBB213_7:
	s_or_b64 exec, exec, s[4:5]
	v_cmp_ne_u32_e64 s[0:1], 1, v18
	s_and_b64 exec, exec, s[0:1]
	s_cbranch_execz .LBB213_10
; %bb.8:
	s_and_b64 exec, exec, vcc
	s_cbranch_execz .LBB213_10
; %bb.9:
	s_mov_b32 s0, 0x652b82fe
	s_mov_b32 s1, 0x3ff71547
	s_waitcnt vmcnt(0)
	v_mul_f64 v[8:9], v[2:3], s[0:1]
	s_mov_b32 s0, 0xfefa39ef
	v_rndne_f64_e32 v[8:9], v[8:9]
	s_mov_b32 s1, 0xbfe62e42
	s_waitcnt lgkmcnt(0)
	v_add_f64 v[6:7], v[10:11], v[12:13]
	v_fma_f64 v[10:11], s[0:1], v[8:9], v[2:3]
	s_mov_b32 s0, 0x3b39803f
	s_mov_b32 s1, 0xbc7abc9e
	v_fmac_f64_e32 v[10:11], s[0:1], v[8:9]
	s_mov_b32 s0, 0x6a5dcb37
	v_mov_b32_e32 v12, 0xfca7ab0c
	v_mov_b32_e32 v13, 0x3e928af3
	s_mov_b32 s1, 0x3e5ade15
	v_fmac_f64_e32 v[12:13], s[0:1], v[10:11]
	v_mov_b32_e32 v14, 0x623fde64
	v_mov_b32_e32 v15, 0x3ec71dee
	v_fmac_f64_e32 v[14:15], v[10:11], v[12:13]
	v_mov_b32_e32 v12, 0x7c89e6b0
	v_mov_b32_e32 v13, 0x3efa0199
	;; [unrolled: 3-line block ×8, first 2 shown]
	s_mov_b32 s0, 0
	v_fmac_f64_e32 v[12:13], v[10:11], v[14:15]
	s_mov_b32 s1, 0x40900000
	v_fma_f64 v[12:13], v[10:11], v[12:13], 1.0
	v_cmp_nlt_f64_e32 vcc, s[0:1], v[2:3]
	s_mov_b32 s0, 0
	v_fma_f64 v[10:11], v[10:11], v[12:13], 1.0
	v_cvt_i32_f64_e32 v8, v[8:9]
	s_mov_b32 s1, 0xc090cc00
	v_ldexp_f64 v[8:9], v[10:11], v8
	v_mov_b32_e32 v10, 0x7ff00000
	v_cmp_ngt_f64_e64 s[0:1], s[0:1], v[2:3]
	v_cndmask_b32_e32 v9, v10, v9, vcc
	s_mov_b32 s11, 0
	s_and_b64 vcc, s[0:1], vcc
	v_cndmask_b32_e64 v3, 0, v9, s[0:1]
	v_cndmask_b32_e32 v2, 0, v8, vcc
	s_lshl_b64 s[0:1], s[10:11], 3
	v_fma_f64 v[0:1], -v[6:7], v[2:3], v[0:1]
	v_mov_b32_e32 v3, s1
	v_add_co_u32_e32 v2, vcc, s0, v4
	v_addc_co_u32_e32 v3, vcc, v5, v3, vcc
	global_store_dwordx2 v[2:3], v[0:1], off
.LBB213_10:
	s_endpgm
	.section	.rodata,"a",@progbits
	.p2align	6, 0x0
	.amdhsa_kernel _ZN12_GLOBAL__N_121softmax_warp_backwardIdddLi4ELb1ELb0ELi32EEEvPT0_PKT_S5_iiiPKb
		.amdhsa_group_segment_fixed_size 0
		.amdhsa_private_segment_fixed_size 0
		.amdhsa_kernarg_size 304
		.amdhsa_user_sgpr_count 6
		.amdhsa_user_sgpr_private_segment_buffer 1
		.amdhsa_user_sgpr_dispatch_ptr 0
		.amdhsa_user_sgpr_queue_ptr 0
		.amdhsa_user_sgpr_kernarg_segment_ptr 1
		.amdhsa_user_sgpr_dispatch_id 0
		.amdhsa_user_sgpr_flat_scratch_init 0
		.amdhsa_user_sgpr_kernarg_preload_length 0
		.amdhsa_user_sgpr_kernarg_preload_offset 0
		.amdhsa_user_sgpr_private_segment_size 0
		.amdhsa_uses_dynamic_stack 0
		.amdhsa_system_sgpr_private_segment_wavefront_offset 0
		.amdhsa_system_sgpr_workgroup_id_x 1
		.amdhsa_system_sgpr_workgroup_id_y 0
		.amdhsa_system_sgpr_workgroup_id_z 0
		.amdhsa_system_sgpr_workgroup_info 0
		.amdhsa_system_vgpr_workitem_id 1
		.amdhsa_next_free_vgpr 26
		.amdhsa_next_free_sgpr 16
		.amdhsa_accum_offset 28
		.amdhsa_reserve_vcc 1
		.amdhsa_reserve_flat_scratch 0
		.amdhsa_float_round_mode_32 0
		.amdhsa_float_round_mode_16_64 0
		.amdhsa_float_denorm_mode_32 3
		.amdhsa_float_denorm_mode_16_64 3
		.amdhsa_dx10_clamp 1
		.amdhsa_ieee_mode 1
		.amdhsa_fp16_overflow 0
		.amdhsa_tg_split 0
		.amdhsa_exception_fp_ieee_invalid_op 0
		.amdhsa_exception_fp_denorm_src 0
		.amdhsa_exception_fp_ieee_div_zero 0
		.amdhsa_exception_fp_ieee_overflow 0
		.amdhsa_exception_fp_ieee_underflow 0
		.amdhsa_exception_fp_ieee_inexact 0
		.amdhsa_exception_int_div_zero 0
	.end_amdhsa_kernel
	.section	.text._ZN12_GLOBAL__N_121softmax_warp_backwardIdddLi4ELb1ELb0ELi32EEEvPT0_PKT_S5_iiiPKb,"axG",@progbits,_ZN12_GLOBAL__N_121softmax_warp_backwardIdddLi4ELb1ELb0ELi32EEEvPT0_PKT_S5_iiiPKb,comdat
.Lfunc_end213:
	.size	_ZN12_GLOBAL__N_121softmax_warp_backwardIdddLi4ELb1ELb0ELi32EEEvPT0_PKT_S5_iiiPKb, .Lfunc_end213-_ZN12_GLOBAL__N_121softmax_warp_backwardIdddLi4ELb1ELb0ELi32EEEvPT0_PKT_S5_iiiPKb
                                        ; -- End function
	.section	.AMDGPU.csdata,"",@progbits
; Kernel info:
; codeLenInByte = 1496
; NumSgprs: 20
; NumVgprs: 26
; NumAgprs: 0
; TotalNumVgprs: 26
; ScratchSize: 0
; MemoryBound: 0
; FloatMode: 240
; IeeeMode: 1
; LDSByteSize: 0 bytes/workgroup (compile time only)
; SGPRBlocks: 2
; VGPRBlocks: 3
; NumSGPRsForWavesPerEU: 20
; NumVGPRsForWavesPerEU: 26
; AccumOffset: 28
; Occupancy: 8
; WaveLimiterHint : 0
; COMPUTE_PGM_RSRC2:SCRATCH_EN: 0
; COMPUTE_PGM_RSRC2:USER_SGPR: 6
; COMPUTE_PGM_RSRC2:TRAP_HANDLER: 0
; COMPUTE_PGM_RSRC2:TGID_X_EN: 1
; COMPUTE_PGM_RSRC2:TGID_Y_EN: 0
; COMPUTE_PGM_RSRC2:TGID_Z_EN: 0
; COMPUTE_PGM_RSRC2:TIDIG_COMP_CNT: 1
; COMPUTE_PGM_RSRC3_GFX90A:ACCUM_OFFSET: 6
; COMPUTE_PGM_RSRC3_GFX90A:TG_SPLIT: 0
	.section	.text._ZN12_GLOBAL__N_121softmax_warp_backwardIdddLi5ELb1ELb0ELi64EEEvPT0_PKT_S5_iiiPKb,"axG",@progbits,_ZN12_GLOBAL__N_121softmax_warp_backwardIdddLi5ELb1ELb0ELi64EEEvPT0_PKT_S5_iiiPKb,comdat
	.globl	_ZN12_GLOBAL__N_121softmax_warp_backwardIdddLi5ELb1ELb0ELi64EEEvPT0_PKT_S5_iiiPKb ; -- Begin function _ZN12_GLOBAL__N_121softmax_warp_backwardIdddLi5ELb1ELb0ELi64EEEvPT0_PKT_S5_iiiPKb
	.p2align	8
	.type	_ZN12_GLOBAL__N_121softmax_warp_backwardIdddLi5ELb1ELb0ELi64EEEvPT0_PKT_S5_iiiPKb,@function
_ZN12_GLOBAL__N_121softmax_warp_backwardIdddLi5ELb1ELb0ELi64EEEvPT0_PKT_S5_iiiPKb: ; @_ZN12_GLOBAL__N_121softmax_warp_backwardIdddLi5ELb1ELb0ELi64EEEvPT0_PKT_S5_iiiPKb
; %bb.0:
	s_load_dword s2, s[4:5], 0x3c
	s_load_dwordx4 s[8:11], s[4:5], 0x18
	s_load_dwordx4 s[12:15], s[4:5], 0x0
	s_load_dwordx2 s[0:1], s[4:5], 0x10
	v_bfe_u32 v1, v0, 10, 10
	s_waitcnt lgkmcnt(0)
	s_lshr_b32 s2, s2, 16
	s_mul_i32 s6, s6, s2
	v_add_lshl_u32 v1, s6, v1, 1
	v_and_b32_e32 v0, 31, v0
	v_mad_u64_u32 v[2:3], s[2:3], v1, s9, v[0:1]
	v_ashrrev_i32_e32 v3, 31, v2
	v_lshlrev_b64 v[6:7], 3, v[2:3]
	v_sub_u32_e32 v18, s8, v1
	v_mov_b32_e32 v1, s15
	v_add_co_u32_e32 v10, vcc, s14, v6
	v_addc_co_u32_e32 v11, vcc, v1, v7, vcc
	v_mov_b32_e32 v1, s1
	v_add_co_u32_e32 v12, vcc, s0, v6
	v_addc_co_u32_e32 v13, vcc, v1, v7, vcc
	v_cmp_gt_i32_e32 vcc, s10, v0
	v_cmp_lt_i32_e64 s[0:1], 0, v18
	v_pk_mov_b32 v[0:1], 0, 0
	s_and_b64 s[4:5], vcc, s[0:1]
	v_pk_mov_b32 v[4:5], v[0:1], v[0:1] op_sel:[0,1]
	v_pk_mov_b32 v[8:9], v[0:1], v[0:1] op_sel:[0,1]
	s_and_saveexec_b64 s[2:3], s[4:5]
	s_cbranch_execz .LBB214_2
; %bb.1:
	global_load_dwordx2 v[4:5], v[10:11], off
	global_load_dwordx2 v[8:9], v[12:13], off
.LBB214_2:
	s_or_b64 exec, exec, s[2:3]
	v_cmp_lt_i32_e64 s[2:3], 1, v18
	s_and_b64 s[2:3], vcc, s[2:3]
	v_pk_mov_b32 v[2:3], v[0:1], v[0:1] op_sel:[0,1]
	s_and_saveexec_b64 s[4:5], s[2:3]
	s_cbranch_execz .LBB214_4
; %bb.3:
	s_mov_b32 s11, 0
	s_lshl_b64 s[6:7], s[10:11], 3
	v_mov_b32_e32 v3, s7
	v_add_co_u32_e64 v0, s[2:3], s6, v10
	v_addc_co_u32_e64 v1, s[2:3], v11, v3, s[2:3]
	v_add_co_u32_e64 v2, s[2:3], s6, v12
	v_addc_co_u32_e64 v3, s[2:3], v13, v3, s[2:3]
	global_load_dwordx2 v[0:1], v[0:1], off
	s_nop 0
	global_load_dwordx2 v[2:3], v[2:3], off
.LBB214_4:
	s_or_b64 exec, exec, s[4:5]
	v_mbcnt_lo_u32_b32 v14, -1, 0
	v_mbcnt_hi_u32_b32 v19, -1, v14
	v_and_b32_e32 v14, 0x60, v19
	v_add_u32_e32 v20, 32, v14
	v_xor_b32_e32 v14, 16, v19
	v_cmp_lt_i32_e64 s[2:3], v14, v20
	v_cndmask_b32_e64 v14, v19, v14, s[2:3]
	s_waitcnt vmcnt(1)
	v_add_f64 v[10:11], v[4:5], 0
	v_lshlrev_b32_e32 v17, 2, v14
	ds_bpermute_b32 v14, v17, v10
	ds_bpermute_b32 v15, v17, v11
	v_add_f64 v[12:13], v[0:1], 0
	ds_bpermute_b32 v16, v17, v12
	ds_bpermute_b32 v17, v17, v13
	s_waitcnt lgkmcnt(2)
	v_add_f64 v[10:11], v[10:11], v[14:15]
	v_xor_b32_e32 v14, 8, v19
	v_cmp_lt_i32_e64 s[2:3], v14, v20
	v_cndmask_b32_e64 v14, v19, v14, s[2:3]
	s_waitcnt lgkmcnt(0)
	v_add_f64 v[12:13], v[12:13], v[16:17]
	v_lshlrev_b32_e32 v17, 2, v14
	ds_bpermute_b32 v14, v17, v10
	ds_bpermute_b32 v15, v17, v11
	ds_bpermute_b32 v16, v17, v12
	ds_bpermute_b32 v17, v17, v13
	s_waitcnt lgkmcnt(2)
	v_add_f64 v[10:11], v[10:11], v[14:15]
	v_xor_b32_e32 v14, 4, v19
	v_cmp_lt_i32_e64 s[2:3], v14, v20
	v_cndmask_b32_e64 v14, v19, v14, s[2:3]
	s_waitcnt lgkmcnt(0)
	v_add_f64 v[12:13], v[12:13], v[16:17]
	v_lshlrev_b32_e32 v17, 2, v14
	ds_bpermute_b32 v14, v17, v10
	ds_bpermute_b32 v15, v17, v11
	;; [unrolled: 12-line block ×3, first 2 shown]
	ds_bpermute_b32 v16, v17, v12
	ds_bpermute_b32 v17, v17, v13
	s_waitcnt lgkmcnt(2)
	v_add_f64 v[14:15], v[10:11], v[14:15]
	s_waitcnt lgkmcnt(0)
	v_add_f64 v[10:11], v[12:13], v[16:17]
	v_xor_b32_e32 v12, 1, v19
	v_cmp_lt_i32_e64 s[2:3], v12, v20
	v_cndmask_b32_e64 v12, v19, v12, s[2:3]
	v_lshlrev_b32_e32 v13, 2, v12
	ds_bpermute_b32 v16, v13, v14
	ds_bpermute_b32 v17, v13, v15
	;; [unrolled: 1-line block ×4, first 2 shown]
	s_and_saveexec_b64 s[2:3], s[0:1]
	s_cbranch_execz .LBB214_10
; %bb.5:
	v_mov_b32_e32 v19, s13
	v_add_co_u32_e64 v6, s[0:1], s12, v6
	v_addc_co_u32_e64 v7, s[0:1], v19, v7, s[0:1]
	s_and_saveexec_b64 s[4:5], vcc
	s_cbranch_execz .LBB214_7
; %bb.6:
	s_mov_b32 s0, 0x652b82fe
	s_mov_b32 s1, 0x3ff71547
	s_waitcnt lgkmcnt(2)
	v_add_f64 v[14:15], v[14:15], v[16:17]
	s_waitcnt vmcnt(0)
	v_mul_f64 v[16:17], v[8:9], s[0:1]
	s_mov_b32 s0, 0xfefa39ef
	v_rndne_f64_e32 v[16:17], v[16:17]
	s_mov_b32 s1, 0xbfe62e42
	v_fma_f64 v[20:21], s[0:1], v[16:17], v[8:9]
	s_mov_b32 s0, 0x3b39803f
	s_mov_b32 s1, 0xbc7abc9e
	v_fmac_f64_e32 v[20:21], s[0:1], v[16:17]
	s_mov_b32 s0, 0x6a5dcb37
	v_mov_b32_e32 v22, 0xfca7ab0c
	v_mov_b32_e32 v23, 0x3e928af3
	s_mov_b32 s1, 0x3e5ade15
	v_fmac_f64_e32 v[22:23], s[0:1], v[20:21]
	v_mov_b32_e32 v24, 0x623fde64
	v_mov_b32_e32 v25, 0x3ec71dee
	v_fmac_f64_e32 v[24:25], v[20:21], v[22:23]
	v_mov_b32_e32 v22, 0x7c89e6b0
	v_mov_b32_e32 v23, 0x3efa0199
	;; [unrolled: 3-line block ×8, first 2 shown]
	v_fmac_f64_e32 v[22:23], v[20:21], v[24:25]
	v_fma_f64 v[22:23], v[20:21], v[22:23], 1.0
	s_mov_b32 s0, 0
	s_mov_b32 s2, 0
	v_fma_f64 v[20:21], v[20:21], v[22:23], 1.0
	v_cvt_i32_f64_e32 v16, v[16:17]
	s_mov_b32 s1, 0x40900000
	s_mov_b32 s3, 0xc090cc00
	v_ldexp_f64 v[16:17], v[20:21], v16
	v_mov_b32_e32 v19, 0x7ff00000
	v_cmp_nlt_f64_e64 s[0:1], s[0:1], v[8:9]
	v_cmp_ngt_f64_e64 s[2:3], s[2:3], v[8:9]
	v_cndmask_b32_e64 v17, v19, v17, s[0:1]
	s_and_b64 s[0:1], s[2:3], s[0:1]
	v_cndmask_b32_e64 v9, 0, v17, s[2:3]
	v_cndmask_b32_e64 v8, 0, v16, s[0:1]
	v_fma_f64 v[4:5], -v[14:15], v[8:9], v[4:5]
	global_store_dwordx2 v[6:7], v[4:5], off
.LBB214_7:
	s_or_b64 exec, exec, s[4:5]
	v_cmp_ne_u32_e64 s[0:1], 1, v18
	s_and_b64 exec, exec, s[0:1]
	s_cbranch_execz .LBB214_10
; %bb.8:
	s_and_b64 exec, exec, vcc
	s_cbranch_execz .LBB214_10
; %bb.9:
	s_mov_b32 s0, 0x652b82fe
	s_mov_b32 s1, 0x3ff71547
	s_waitcnt vmcnt(0)
	v_mul_f64 v[8:9], v[2:3], s[0:1]
	s_mov_b32 s0, 0xfefa39ef
	v_rndne_f64_e32 v[8:9], v[8:9]
	s_mov_b32 s1, 0xbfe62e42
	s_waitcnt lgkmcnt(0)
	v_add_f64 v[4:5], v[10:11], v[12:13]
	v_fma_f64 v[10:11], s[0:1], v[8:9], v[2:3]
	s_mov_b32 s0, 0x3b39803f
	s_mov_b32 s1, 0xbc7abc9e
	v_fmac_f64_e32 v[10:11], s[0:1], v[8:9]
	s_mov_b32 s0, 0x6a5dcb37
	v_mov_b32_e32 v12, 0xfca7ab0c
	v_mov_b32_e32 v13, 0x3e928af3
	s_mov_b32 s1, 0x3e5ade15
	v_fmac_f64_e32 v[12:13], s[0:1], v[10:11]
	v_mov_b32_e32 v14, 0x623fde64
	v_mov_b32_e32 v15, 0x3ec71dee
	v_fmac_f64_e32 v[14:15], v[10:11], v[12:13]
	v_mov_b32_e32 v12, 0x7c89e6b0
	v_mov_b32_e32 v13, 0x3efa0199
	;; [unrolled: 3-line block ×8, first 2 shown]
	s_mov_b32 s0, 0
	v_fmac_f64_e32 v[12:13], v[10:11], v[14:15]
	s_mov_b32 s1, 0x40900000
	v_fma_f64 v[12:13], v[10:11], v[12:13], 1.0
	v_cmp_nlt_f64_e32 vcc, s[0:1], v[2:3]
	s_mov_b32 s0, 0
	v_fma_f64 v[10:11], v[10:11], v[12:13], 1.0
	v_cvt_i32_f64_e32 v8, v[8:9]
	s_mov_b32 s1, 0xc090cc00
	v_ldexp_f64 v[8:9], v[10:11], v8
	v_mov_b32_e32 v10, 0x7ff00000
	v_cmp_ngt_f64_e64 s[0:1], s[0:1], v[2:3]
	v_cndmask_b32_e32 v9, v10, v9, vcc
	s_mov_b32 s11, 0
	s_and_b64 vcc, s[0:1], vcc
	v_cndmask_b32_e64 v3, 0, v9, s[0:1]
	v_cndmask_b32_e32 v2, 0, v8, vcc
	s_lshl_b64 s[0:1], s[10:11], 3
	v_fma_f64 v[0:1], -v[4:5], v[2:3], v[0:1]
	v_mov_b32_e32 v3, s1
	v_add_co_u32_e32 v2, vcc, s0, v6
	v_addc_co_u32_e32 v3, vcc, v7, v3, vcc
	global_store_dwordx2 v[2:3], v[0:1], off
.LBB214_10:
	s_endpgm
	.section	.rodata,"a",@progbits
	.p2align	6, 0x0
	.amdhsa_kernel _ZN12_GLOBAL__N_121softmax_warp_backwardIdddLi5ELb1ELb0ELi64EEEvPT0_PKT_S5_iiiPKb
		.amdhsa_group_segment_fixed_size 0
		.amdhsa_private_segment_fixed_size 0
		.amdhsa_kernarg_size 304
		.amdhsa_user_sgpr_count 6
		.amdhsa_user_sgpr_private_segment_buffer 1
		.amdhsa_user_sgpr_dispatch_ptr 0
		.amdhsa_user_sgpr_queue_ptr 0
		.amdhsa_user_sgpr_kernarg_segment_ptr 1
		.amdhsa_user_sgpr_dispatch_id 0
		.amdhsa_user_sgpr_flat_scratch_init 0
		.amdhsa_user_sgpr_kernarg_preload_length 0
		.amdhsa_user_sgpr_kernarg_preload_offset 0
		.amdhsa_user_sgpr_private_segment_size 0
		.amdhsa_uses_dynamic_stack 0
		.amdhsa_system_sgpr_private_segment_wavefront_offset 0
		.amdhsa_system_sgpr_workgroup_id_x 1
		.amdhsa_system_sgpr_workgroup_id_y 0
		.amdhsa_system_sgpr_workgroup_id_z 0
		.amdhsa_system_sgpr_workgroup_info 0
		.amdhsa_system_vgpr_workitem_id 1
		.amdhsa_next_free_vgpr 26
		.amdhsa_next_free_sgpr 16
		.amdhsa_accum_offset 28
		.amdhsa_reserve_vcc 1
		.amdhsa_reserve_flat_scratch 0
		.amdhsa_float_round_mode_32 0
		.amdhsa_float_round_mode_16_64 0
		.amdhsa_float_denorm_mode_32 3
		.amdhsa_float_denorm_mode_16_64 3
		.amdhsa_dx10_clamp 1
		.amdhsa_ieee_mode 1
		.amdhsa_fp16_overflow 0
		.amdhsa_tg_split 0
		.amdhsa_exception_fp_ieee_invalid_op 0
		.amdhsa_exception_fp_denorm_src 0
		.amdhsa_exception_fp_ieee_div_zero 0
		.amdhsa_exception_fp_ieee_overflow 0
		.amdhsa_exception_fp_ieee_underflow 0
		.amdhsa_exception_fp_ieee_inexact 0
		.amdhsa_exception_int_div_zero 0
	.end_amdhsa_kernel
	.section	.text._ZN12_GLOBAL__N_121softmax_warp_backwardIdddLi5ELb1ELb0ELi64EEEvPT0_PKT_S5_iiiPKb,"axG",@progbits,_ZN12_GLOBAL__N_121softmax_warp_backwardIdddLi5ELb1ELb0ELi64EEEvPT0_PKT_S5_iiiPKb,comdat
.Lfunc_end214:
	.size	_ZN12_GLOBAL__N_121softmax_warp_backwardIdddLi5ELb1ELb0ELi64EEEvPT0_PKT_S5_iiiPKb, .Lfunc_end214-_ZN12_GLOBAL__N_121softmax_warp_backwardIdddLi5ELb1ELb0ELi64EEEvPT0_PKT_S5_iiiPKb
                                        ; -- End function
	.section	.AMDGPU.csdata,"",@progbits
; Kernel info:
; codeLenInByte = 1576
; NumSgprs: 20
; NumVgprs: 26
; NumAgprs: 0
; TotalNumVgprs: 26
; ScratchSize: 0
; MemoryBound: 0
; FloatMode: 240
; IeeeMode: 1
; LDSByteSize: 0 bytes/workgroup (compile time only)
; SGPRBlocks: 2
; VGPRBlocks: 3
; NumSGPRsForWavesPerEU: 20
; NumVGPRsForWavesPerEU: 26
; AccumOffset: 28
; Occupancy: 8
; WaveLimiterHint : 0
; COMPUTE_PGM_RSRC2:SCRATCH_EN: 0
; COMPUTE_PGM_RSRC2:USER_SGPR: 6
; COMPUTE_PGM_RSRC2:TRAP_HANDLER: 0
; COMPUTE_PGM_RSRC2:TGID_X_EN: 1
; COMPUTE_PGM_RSRC2:TGID_Y_EN: 0
; COMPUTE_PGM_RSRC2:TGID_Z_EN: 0
; COMPUTE_PGM_RSRC2:TIDIG_COMP_CNT: 1
; COMPUTE_PGM_RSRC3_GFX90A:ACCUM_OFFSET: 6
; COMPUTE_PGM_RSRC3_GFX90A:TG_SPLIT: 0
	.section	.text._ZN12_GLOBAL__N_121softmax_warp_backwardIdddLi5ELb1ELb0ELi32EEEvPT0_PKT_S5_iiiPKb,"axG",@progbits,_ZN12_GLOBAL__N_121softmax_warp_backwardIdddLi5ELb1ELb0ELi32EEEvPT0_PKT_S5_iiiPKb,comdat
	.globl	_ZN12_GLOBAL__N_121softmax_warp_backwardIdddLi5ELb1ELb0ELi32EEEvPT0_PKT_S5_iiiPKb ; -- Begin function _ZN12_GLOBAL__N_121softmax_warp_backwardIdddLi5ELb1ELb0ELi32EEEvPT0_PKT_S5_iiiPKb
	.p2align	8
	.type	_ZN12_GLOBAL__N_121softmax_warp_backwardIdddLi5ELb1ELb0ELi32EEEvPT0_PKT_S5_iiiPKb,@function
_ZN12_GLOBAL__N_121softmax_warp_backwardIdddLi5ELb1ELb0ELi32EEEvPT0_PKT_S5_iiiPKb: ; @_ZN12_GLOBAL__N_121softmax_warp_backwardIdddLi5ELb1ELb0ELi32EEEvPT0_PKT_S5_iiiPKb
; %bb.0:
	s_load_dword s2, s[4:5], 0x3c
	s_load_dwordx4 s[8:11], s[4:5], 0x18
	s_load_dwordx4 s[12:15], s[4:5], 0x0
	s_load_dwordx2 s[0:1], s[4:5], 0x10
	v_bfe_u32 v1, v0, 10, 10
	s_waitcnt lgkmcnt(0)
	s_lshr_b32 s2, s2, 16
	s_mul_i32 s6, s6, s2
	v_add_lshl_u32 v1, s6, v1, 1
	v_and_b32_e32 v0, 31, v0
	v_mad_u64_u32 v[2:3], s[2:3], v1, s9, v[0:1]
	v_ashrrev_i32_e32 v3, 31, v2
	v_lshlrev_b64 v[6:7], 3, v[2:3]
	v_sub_u32_e32 v18, s8, v1
	v_mov_b32_e32 v1, s15
	v_add_co_u32_e32 v10, vcc, s14, v6
	v_addc_co_u32_e32 v11, vcc, v1, v7, vcc
	v_mov_b32_e32 v1, s1
	v_add_co_u32_e32 v12, vcc, s0, v6
	v_addc_co_u32_e32 v13, vcc, v1, v7, vcc
	v_cmp_gt_i32_e32 vcc, s10, v0
	v_cmp_lt_i32_e64 s[0:1], 0, v18
	v_pk_mov_b32 v[0:1], 0, 0
	s_and_b64 s[4:5], vcc, s[0:1]
	v_pk_mov_b32 v[4:5], v[0:1], v[0:1] op_sel:[0,1]
	v_pk_mov_b32 v[8:9], v[0:1], v[0:1] op_sel:[0,1]
	s_and_saveexec_b64 s[2:3], s[4:5]
	s_cbranch_execz .LBB215_2
; %bb.1:
	global_load_dwordx2 v[4:5], v[10:11], off
	global_load_dwordx2 v[8:9], v[12:13], off
.LBB215_2:
	s_or_b64 exec, exec, s[2:3]
	v_cmp_lt_i32_e64 s[2:3], 1, v18
	s_and_b64 s[2:3], vcc, s[2:3]
	v_pk_mov_b32 v[2:3], v[0:1], v[0:1] op_sel:[0,1]
	s_and_saveexec_b64 s[4:5], s[2:3]
	s_cbranch_execz .LBB215_4
; %bb.3:
	s_mov_b32 s11, 0
	s_lshl_b64 s[6:7], s[10:11], 3
	v_mov_b32_e32 v3, s7
	v_add_co_u32_e64 v0, s[2:3], s6, v10
	v_addc_co_u32_e64 v1, s[2:3], v11, v3, s[2:3]
	v_add_co_u32_e64 v2, s[2:3], s6, v12
	v_addc_co_u32_e64 v3, s[2:3], v13, v3, s[2:3]
	global_load_dwordx2 v[0:1], v[0:1], off
	s_nop 0
	global_load_dwordx2 v[2:3], v[2:3], off
.LBB215_4:
	s_or_b64 exec, exec, s[4:5]
	v_mbcnt_lo_u32_b32 v14, -1, 0
	v_mbcnt_hi_u32_b32 v19, -1, v14
	v_and_b32_e32 v14, 0x60, v19
	v_add_u32_e32 v20, 32, v14
	v_xor_b32_e32 v14, 16, v19
	v_cmp_lt_i32_e64 s[2:3], v14, v20
	v_cndmask_b32_e64 v14, v19, v14, s[2:3]
	s_waitcnt vmcnt(1)
	v_add_f64 v[10:11], v[4:5], 0
	v_lshlrev_b32_e32 v17, 2, v14
	ds_bpermute_b32 v14, v17, v10
	ds_bpermute_b32 v15, v17, v11
	v_add_f64 v[12:13], v[0:1], 0
	ds_bpermute_b32 v16, v17, v12
	ds_bpermute_b32 v17, v17, v13
	s_waitcnt lgkmcnt(2)
	v_add_f64 v[10:11], v[10:11], v[14:15]
	v_xor_b32_e32 v14, 8, v19
	v_cmp_lt_i32_e64 s[2:3], v14, v20
	v_cndmask_b32_e64 v14, v19, v14, s[2:3]
	s_waitcnt lgkmcnt(0)
	v_add_f64 v[12:13], v[12:13], v[16:17]
	v_lshlrev_b32_e32 v17, 2, v14
	ds_bpermute_b32 v14, v17, v10
	ds_bpermute_b32 v15, v17, v11
	ds_bpermute_b32 v16, v17, v12
	ds_bpermute_b32 v17, v17, v13
	s_waitcnt lgkmcnt(2)
	v_add_f64 v[10:11], v[10:11], v[14:15]
	v_xor_b32_e32 v14, 4, v19
	v_cmp_lt_i32_e64 s[2:3], v14, v20
	v_cndmask_b32_e64 v14, v19, v14, s[2:3]
	s_waitcnt lgkmcnt(0)
	v_add_f64 v[12:13], v[12:13], v[16:17]
	v_lshlrev_b32_e32 v17, 2, v14
	ds_bpermute_b32 v14, v17, v10
	ds_bpermute_b32 v15, v17, v11
	;; [unrolled: 12-line block ×3, first 2 shown]
	ds_bpermute_b32 v16, v17, v12
	ds_bpermute_b32 v17, v17, v13
	s_waitcnt lgkmcnt(2)
	v_add_f64 v[14:15], v[10:11], v[14:15]
	s_waitcnt lgkmcnt(0)
	v_add_f64 v[10:11], v[12:13], v[16:17]
	v_xor_b32_e32 v12, 1, v19
	v_cmp_lt_i32_e64 s[2:3], v12, v20
	v_cndmask_b32_e64 v12, v19, v12, s[2:3]
	v_lshlrev_b32_e32 v13, 2, v12
	ds_bpermute_b32 v16, v13, v14
	ds_bpermute_b32 v17, v13, v15
	;; [unrolled: 1-line block ×4, first 2 shown]
	s_and_saveexec_b64 s[2:3], s[0:1]
	s_cbranch_execz .LBB215_10
; %bb.5:
	v_mov_b32_e32 v19, s13
	v_add_co_u32_e64 v6, s[0:1], s12, v6
	v_addc_co_u32_e64 v7, s[0:1], v19, v7, s[0:1]
	s_and_saveexec_b64 s[4:5], vcc
	s_cbranch_execz .LBB215_7
; %bb.6:
	s_mov_b32 s0, 0x652b82fe
	s_mov_b32 s1, 0x3ff71547
	s_waitcnt lgkmcnt(2)
	v_add_f64 v[14:15], v[14:15], v[16:17]
	s_waitcnt vmcnt(0)
	v_mul_f64 v[16:17], v[8:9], s[0:1]
	s_mov_b32 s0, 0xfefa39ef
	v_rndne_f64_e32 v[16:17], v[16:17]
	s_mov_b32 s1, 0xbfe62e42
	v_fma_f64 v[20:21], s[0:1], v[16:17], v[8:9]
	s_mov_b32 s0, 0x3b39803f
	s_mov_b32 s1, 0xbc7abc9e
	v_fmac_f64_e32 v[20:21], s[0:1], v[16:17]
	s_mov_b32 s0, 0x6a5dcb37
	v_mov_b32_e32 v22, 0xfca7ab0c
	v_mov_b32_e32 v23, 0x3e928af3
	s_mov_b32 s1, 0x3e5ade15
	v_fmac_f64_e32 v[22:23], s[0:1], v[20:21]
	v_mov_b32_e32 v24, 0x623fde64
	v_mov_b32_e32 v25, 0x3ec71dee
	v_fmac_f64_e32 v[24:25], v[20:21], v[22:23]
	v_mov_b32_e32 v22, 0x7c89e6b0
	v_mov_b32_e32 v23, 0x3efa0199
	;; [unrolled: 3-line block ×8, first 2 shown]
	v_fmac_f64_e32 v[22:23], v[20:21], v[24:25]
	v_fma_f64 v[22:23], v[20:21], v[22:23], 1.0
	s_mov_b32 s0, 0
	s_mov_b32 s2, 0
	v_fma_f64 v[20:21], v[20:21], v[22:23], 1.0
	v_cvt_i32_f64_e32 v16, v[16:17]
	s_mov_b32 s1, 0x40900000
	s_mov_b32 s3, 0xc090cc00
	v_ldexp_f64 v[16:17], v[20:21], v16
	v_mov_b32_e32 v19, 0x7ff00000
	v_cmp_nlt_f64_e64 s[0:1], s[0:1], v[8:9]
	v_cmp_ngt_f64_e64 s[2:3], s[2:3], v[8:9]
	v_cndmask_b32_e64 v17, v19, v17, s[0:1]
	s_and_b64 s[0:1], s[2:3], s[0:1]
	v_cndmask_b32_e64 v9, 0, v17, s[2:3]
	v_cndmask_b32_e64 v8, 0, v16, s[0:1]
	v_fma_f64 v[4:5], -v[14:15], v[8:9], v[4:5]
	global_store_dwordx2 v[6:7], v[4:5], off
.LBB215_7:
	s_or_b64 exec, exec, s[4:5]
	v_cmp_ne_u32_e64 s[0:1], 1, v18
	s_and_b64 exec, exec, s[0:1]
	s_cbranch_execz .LBB215_10
; %bb.8:
	s_and_b64 exec, exec, vcc
	s_cbranch_execz .LBB215_10
; %bb.9:
	s_mov_b32 s0, 0x652b82fe
	s_mov_b32 s1, 0x3ff71547
	s_waitcnt vmcnt(0)
	v_mul_f64 v[8:9], v[2:3], s[0:1]
	s_mov_b32 s0, 0xfefa39ef
	v_rndne_f64_e32 v[8:9], v[8:9]
	s_mov_b32 s1, 0xbfe62e42
	s_waitcnt lgkmcnt(0)
	v_add_f64 v[4:5], v[10:11], v[12:13]
	v_fma_f64 v[10:11], s[0:1], v[8:9], v[2:3]
	s_mov_b32 s0, 0x3b39803f
	s_mov_b32 s1, 0xbc7abc9e
	v_fmac_f64_e32 v[10:11], s[0:1], v[8:9]
	s_mov_b32 s0, 0x6a5dcb37
	v_mov_b32_e32 v12, 0xfca7ab0c
	v_mov_b32_e32 v13, 0x3e928af3
	s_mov_b32 s1, 0x3e5ade15
	v_fmac_f64_e32 v[12:13], s[0:1], v[10:11]
	v_mov_b32_e32 v14, 0x623fde64
	v_mov_b32_e32 v15, 0x3ec71dee
	v_fmac_f64_e32 v[14:15], v[10:11], v[12:13]
	v_mov_b32_e32 v12, 0x7c89e6b0
	v_mov_b32_e32 v13, 0x3efa0199
	;; [unrolled: 3-line block ×8, first 2 shown]
	s_mov_b32 s0, 0
	v_fmac_f64_e32 v[12:13], v[10:11], v[14:15]
	s_mov_b32 s1, 0x40900000
	v_fma_f64 v[12:13], v[10:11], v[12:13], 1.0
	v_cmp_nlt_f64_e32 vcc, s[0:1], v[2:3]
	s_mov_b32 s0, 0
	v_fma_f64 v[10:11], v[10:11], v[12:13], 1.0
	v_cvt_i32_f64_e32 v8, v[8:9]
	s_mov_b32 s1, 0xc090cc00
	v_ldexp_f64 v[8:9], v[10:11], v8
	v_mov_b32_e32 v10, 0x7ff00000
	v_cmp_ngt_f64_e64 s[0:1], s[0:1], v[2:3]
	v_cndmask_b32_e32 v9, v10, v9, vcc
	s_mov_b32 s11, 0
	s_and_b64 vcc, s[0:1], vcc
	v_cndmask_b32_e64 v3, 0, v9, s[0:1]
	v_cndmask_b32_e32 v2, 0, v8, vcc
	s_lshl_b64 s[0:1], s[10:11], 3
	v_fma_f64 v[0:1], -v[4:5], v[2:3], v[0:1]
	v_mov_b32_e32 v3, s1
	v_add_co_u32_e32 v2, vcc, s0, v6
	v_addc_co_u32_e32 v3, vcc, v7, v3, vcc
	global_store_dwordx2 v[2:3], v[0:1], off
.LBB215_10:
	s_endpgm
	.section	.rodata,"a",@progbits
	.p2align	6, 0x0
	.amdhsa_kernel _ZN12_GLOBAL__N_121softmax_warp_backwardIdddLi5ELb1ELb0ELi32EEEvPT0_PKT_S5_iiiPKb
		.amdhsa_group_segment_fixed_size 0
		.amdhsa_private_segment_fixed_size 0
		.amdhsa_kernarg_size 304
		.amdhsa_user_sgpr_count 6
		.amdhsa_user_sgpr_private_segment_buffer 1
		.amdhsa_user_sgpr_dispatch_ptr 0
		.amdhsa_user_sgpr_queue_ptr 0
		.amdhsa_user_sgpr_kernarg_segment_ptr 1
		.amdhsa_user_sgpr_dispatch_id 0
		.amdhsa_user_sgpr_flat_scratch_init 0
		.amdhsa_user_sgpr_kernarg_preload_length 0
		.amdhsa_user_sgpr_kernarg_preload_offset 0
		.amdhsa_user_sgpr_private_segment_size 0
		.amdhsa_uses_dynamic_stack 0
		.amdhsa_system_sgpr_private_segment_wavefront_offset 0
		.amdhsa_system_sgpr_workgroup_id_x 1
		.amdhsa_system_sgpr_workgroup_id_y 0
		.amdhsa_system_sgpr_workgroup_id_z 0
		.amdhsa_system_sgpr_workgroup_info 0
		.amdhsa_system_vgpr_workitem_id 1
		.amdhsa_next_free_vgpr 26
		.amdhsa_next_free_sgpr 16
		.amdhsa_accum_offset 28
		.amdhsa_reserve_vcc 1
		.amdhsa_reserve_flat_scratch 0
		.amdhsa_float_round_mode_32 0
		.amdhsa_float_round_mode_16_64 0
		.amdhsa_float_denorm_mode_32 3
		.amdhsa_float_denorm_mode_16_64 3
		.amdhsa_dx10_clamp 1
		.amdhsa_ieee_mode 1
		.amdhsa_fp16_overflow 0
		.amdhsa_tg_split 0
		.amdhsa_exception_fp_ieee_invalid_op 0
		.amdhsa_exception_fp_denorm_src 0
		.amdhsa_exception_fp_ieee_div_zero 0
		.amdhsa_exception_fp_ieee_overflow 0
		.amdhsa_exception_fp_ieee_underflow 0
		.amdhsa_exception_fp_ieee_inexact 0
		.amdhsa_exception_int_div_zero 0
	.end_amdhsa_kernel
	.section	.text._ZN12_GLOBAL__N_121softmax_warp_backwardIdddLi5ELb1ELb0ELi32EEEvPT0_PKT_S5_iiiPKb,"axG",@progbits,_ZN12_GLOBAL__N_121softmax_warp_backwardIdddLi5ELb1ELb0ELi32EEEvPT0_PKT_S5_iiiPKb,comdat
.Lfunc_end215:
	.size	_ZN12_GLOBAL__N_121softmax_warp_backwardIdddLi5ELb1ELb0ELi32EEEvPT0_PKT_S5_iiiPKb, .Lfunc_end215-_ZN12_GLOBAL__N_121softmax_warp_backwardIdddLi5ELb1ELb0ELi32EEEvPT0_PKT_S5_iiiPKb
                                        ; -- End function
	.section	.AMDGPU.csdata,"",@progbits
; Kernel info:
; codeLenInByte = 1576
; NumSgprs: 20
; NumVgprs: 26
; NumAgprs: 0
; TotalNumVgprs: 26
; ScratchSize: 0
; MemoryBound: 0
; FloatMode: 240
; IeeeMode: 1
; LDSByteSize: 0 bytes/workgroup (compile time only)
; SGPRBlocks: 2
; VGPRBlocks: 3
; NumSGPRsForWavesPerEU: 20
; NumVGPRsForWavesPerEU: 26
; AccumOffset: 28
; Occupancy: 8
; WaveLimiterHint : 0
; COMPUTE_PGM_RSRC2:SCRATCH_EN: 0
; COMPUTE_PGM_RSRC2:USER_SGPR: 6
; COMPUTE_PGM_RSRC2:TRAP_HANDLER: 0
; COMPUTE_PGM_RSRC2:TGID_X_EN: 1
; COMPUTE_PGM_RSRC2:TGID_Y_EN: 0
; COMPUTE_PGM_RSRC2:TGID_Z_EN: 0
; COMPUTE_PGM_RSRC2:TIDIG_COMP_CNT: 1
; COMPUTE_PGM_RSRC3_GFX90A:ACCUM_OFFSET: 6
; COMPUTE_PGM_RSRC3_GFX90A:TG_SPLIT: 0
	.section	.text._ZN12_GLOBAL__N_121softmax_warp_backwardIdddLi6ELb1ELb0ELi64EEEvPT0_PKT_S5_iiiPKb,"axG",@progbits,_ZN12_GLOBAL__N_121softmax_warp_backwardIdddLi6ELb1ELb0ELi64EEEvPT0_PKT_S5_iiiPKb,comdat
	.globl	_ZN12_GLOBAL__N_121softmax_warp_backwardIdddLi6ELb1ELb0ELi64EEEvPT0_PKT_S5_iiiPKb ; -- Begin function _ZN12_GLOBAL__N_121softmax_warp_backwardIdddLi6ELb1ELb0ELi64EEEvPT0_PKT_S5_iiiPKb
	.p2align	8
	.type	_ZN12_GLOBAL__N_121softmax_warp_backwardIdddLi6ELb1ELb0ELi64EEEvPT0_PKT_S5_iiiPKb,@function
_ZN12_GLOBAL__N_121softmax_warp_backwardIdddLi6ELb1ELb0ELi64EEEvPT0_PKT_S5_iiiPKb: ; @_ZN12_GLOBAL__N_121softmax_warp_backwardIdddLi6ELb1ELb0ELi64EEEvPT0_PKT_S5_iiiPKb
; %bb.0:
	s_load_dword s2, s[4:5], 0x3c
	s_load_dwordx4 s[8:11], s[4:5], 0x18
	s_load_dwordx4 s[12:15], s[4:5], 0x0
	s_load_dwordx2 s[0:1], s[4:5], 0x10
	v_bfe_u32 v1, v0, 10, 10
	s_waitcnt lgkmcnt(0)
	s_lshr_b32 s2, s2, 16
	s_mul_i32 s6, s6, s2
	v_add_lshl_u32 v1, s6, v1, 1
	v_and_b32_e32 v0, 63, v0
	v_mad_u64_u32 v[2:3], s[2:3], v1, s9, v[0:1]
	v_ashrrev_i32_e32 v3, 31, v2
	v_lshlrev_b64 v[8:9], 3, v[2:3]
	v_sub_u32_e32 v18, s8, v1
	v_mov_b32_e32 v1, s15
	v_add_co_u32_e32 v10, vcc, s14, v8
	v_addc_co_u32_e32 v11, vcc, v1, v9, vcc
	v_mov_b32_e32 v1, s1
	v_add_co_u32_e32 v12, vcc, s0, v8
	v_addc_co_u32_e32 v13, vcc, v1, v9, vcc
	v_cmp_gt_i32_e32 vcc, s10, v0
	v_cmp_lt_i32_e64 s[0:1], 0, v18
	v_pk_mov_b32 v[0:1], 0, 0
	s_and_b64 s[4:5], vcc, s[0:1]
	v_pk_mov_b32 v[4:5], v[0:1], v[0:1] op_sel:[0,1]
	v_pk_mov_b32 v[6:7], v[0:1], v[0:1] op_sel:[0,1]
	s_and_saveexec_b64 s[2:3], s[4:5]
	s_cbranch_execz .LBB216_2
; %bb.1:
	global_load_dwordx2 v[4:5], v[10:11], off
	global_load_dwordx2 v[6:7], v[12:13], off
.LBB216_2:
	s_or_b64 exec, exec, s[2:3]
	v_cmp_lt_i32_e64 s[2:3], 1, v18
	s_and_b64 s[2:3], vcc, s[2:3]
	v_pk_mov_b32 v[2:3], v[0:1], v[0:1] op_sel:[0,1]
	s_and_saveexec_b64 s[4:5], s[2:3]
	s_cbranch_execz .LBB216_4
; %bb.3:
	s_mov_b32 s11, 0
	s_lshl_b64 s[6:7], s[10:11], 3
	v_mov_b32_e32 v3, s7
	v_add_co_u32_e64 v0, s[2:3], s6, v10
	v_addc_co_u32_e64 v1, s[2:3], v11, v3, s[2:3]
	v_add_co_u32_e64 v2, s[2:3], s6, v12
	v_addc_co_u32_e64 v3, s[2:3], v13, v3, s[2:3]
	global_load_dwordx2 v[0:1], v[0:1], off
	s_nop 0
	global_load_dwordx2 v[2:3], v[2:3], off
.LBB216_4:
	s_or_b64 exec, exec, s[4:5]
	v_mbcnt_lo_u32_b32 v14, -1, 0
	v_mbcnt_hi_u32_b32 v19, -1, v14
	v_and_b32_e32 v14, 64, v19
	v_add_u32_e32 v20, 64, v14
	v_xor_b32_e32 v14, 32, v19
	v_cmp_lt_i32_e64 s[2:3], v14, v20
	v_cndmask_b32_e64 v14, v19, v14, s[2:3]
	s_waitcnt vmcnt(1)
	v_add_f64 v[10:11], v[4:5], 0
	v_lshlrev_b32_e32 v17, 2, v14
	ds_bpermute_b32 v14, v17, v10
	ds_bpermute_b32 v15, v17, v11
	v_add_f64 v[12:13], v[0:1], 0
	ds_bpermute_b32 v16, v17, v12
	ds_bpermute_b32 v17, v17, v13
	s_waitcnt lgkmcnt(2)
	v_add_f64 v[10:11], v[10:11], v[14:15]
	v_xor_b32_e32 v14, 16, v19
	v_cmp_lt_i32_e64 s[2:3], v14, v20
	v_cndmask_b32_e64 v14, v19, v14, s[2:3]
	s_waitcnt lgkmcnt(0)
	v_add_f64 v[12:13], v[12:13], v[16:17]
	v_lshlrev_b32_e32 v17, 2, v14
	ds_bpermute_b32 v14, v17, v10
	ds_bpermute_b32 v15, v17, v11
	ds_bpermute_b32 v16, v17, v12
	ds_bpermute_b32 v17, v17, v13
	s_waitcnt lgkmcnt(2)
	v_add_f64 v[10:11], v[10:11], v[14:15]
	v_xor_b32_e32 v14, 8, v19
	v_cmp_lt_i32_e64 s[2:3], v14, v20
	v_cndmask_b32_e64 v14, v19, v14, s[2:3]
	s_waitcnt lgkmcnt(0)
	v_add_f64 v[12:13], v[12:13], v[16:17]
	v_lshlrev_b32_e32 v17, 2, v14
	ds_bpermute_b32 v14, v17, v10
	ds_bpermute_b32 v15, v17, v11
	;; [unrolled: 12-line block ×4, first 2 shown]
	ds_bpermute_b32 v16, v17, v12
	ds_bpermute_b32 v17, v17, v13
	s_waitcnt lgkmcnt(2)
	v_add_f64 v[14:15], v[10:11], v[14:15]
	s_waitcnt lgkmcnt(0)
	v_add_f64 v[10:11], v[12:13], v[16:17]
	v_xor_b32_e32 v12, 1, v19
	v_cmp_lt_i32_e64 s[2:3], v12, v20
	v_cndmask_b32_e64 v12, v19, v12, s[2:3]
	v_lshlrev_b32_e32 v13, 2, v12
	ds_bpermute_b32 v16, v13, v14
	ds_bpermute_b32 v17, v13, v15
	;; [unrolled: 1-line block ×4, first 2 shown]
	s_and_saveexec_b64 s[2:3], s[0:1]
	s_cbranch_execz .LBB216_10
; %bb.5:
	v_mov_b32_e32 v19, s13
	v_add_co_u32_e64 v8, s[0:1], s12, v8
	v_addc_co_u32_e64 v9, s[0:1], v19, v9, s[0:1]
	s_and_saveexec_b64 s[4:5], vcc
	s_cbranch_execz .LBB216_7
; %bb.6:
	s_mov_b32 s0, 0x652b82fe
	s_mov_b32 s1, 0x3ff71547
	s_waitcnt lgkmcnt(2)
	v_add_f64 v[14:15], v[14:15], v[16:17]
	s_waitcnt vmcnt(0)
	v_mul_f64 v[16:17], v[6:7], s[0:1]
	s_mov_b32 s0, 0xfefa39ef
	v_rndne_f64_e32 v[16:17], v[16:17]
	s_mov_b32 s1, 0xbfe62e42
	v_fma_f64 v[20:21], s[0:1], v[16:17], v[6:7]
	s_mov_b32 s0, 0x3b39803f
	s_mov_b32 s1, 0xbc7abc9e
	v_fmac_f64_e32 v[20:21], s[0:1], v[16:17]
	s_mov_b32 s0, 0x6a5dcb37
	v_mov_b32_e32 v22, 0xfca7ab0c
	v_mov_b32_e32 v23, 0x3e928af3
	s_mov_b32 s1, 0x3e5ade15
	v_fmac_f64_e32 v[22:23], s[0:1], v[20:21]
	v_mov_b32_e32 v24, 0x623fde64
	v_mov_b32_e32 v25, 0x3ec71dee
	v_fmac_f64_e32 v[24:25], v[20:21], v[22:23]
	v_mov_b32_e32 v22, 0x7c89e6b0
	v_mov_b32_e32 v23, 0x3efa0199
	;; [unrolled: 3-line block ×8, first 2 shown]
	v_fmac_f64_e32 v[22:23], v[20:21], v[24:25]
	v_fma_f64 v[22:23], v[20:21], v[22:23], 1.0
	s_mov_b32 s0, 0
	s_mov_b32 s2, 0
	v_fma_f64 v[20:21], v[20:21], v[22:23], 1.0
	v_cvt_i32_f64_e32 v16, v[16:17]
	s_mov_b32 s1, 0x40900000
	s_mov_b32 s3, 0xc090cc00
	v_ldexp_f64 v[16:17], v[20:21], v16
	v_mov_b32_e32 v19, 0x7ff00000
	v_cmp_nlt_f64_e64 s[0:1], s[0:1], v[6:7]
	v_cmp_ngt_f64_e64 s[2:3], s[2:3], v[6:7]
	v_cndmask_b32_e64 v17, v19, v17, s[0:1]
	s_and_b64 s[0:1], s[2:3], s[0:1]
	v_cndmask_b32_e64 v7, 0, v17, s[2:3]
	v_cndmask_b32_e64 v6, 0, v16, s[0:1]
	v_fma_f64 v[4:5], -v[14:15], v[6:7], v[4:5]
	global_store_dwordx2 v[8:9], v[4:5], off
.LBB216_7:
	s_or_b64 exec, exec, s[4:5]
	v_cmp_ne_u32_e64 s[0:1], 1, v18
	s_and_b64 exec, exec, s[0:1]
	s_cbranch_execz .LBB216_10
; %bb.8:
	s_and_b64 exec, exec, vcc
	s_cbranch_execz .LBB216_10
; %bb.9:
	s_mov_b32 s0, 0x652b82fe
	s_mov_b32 s1, 0x3ff71547
	s_waitcnt vmcnt(0)
	v_mul_f64 v[6:7], v[2:3], s[0:1]
	s_mov_b32 s0, 0xfefa39ef
	v_rndne_f64_e32 v[6:7], v[6:7]
	s_mov_b32 s1, 0xbfe62e42
	s_waitcnt lgkmcnt(0)
	v_add_f64 v[4:5], v[10:11], v[12:13]
	v_fma_f64 v[10:11], s[0:1], v[6:7], v[2:3]
	s_mov_b32 s0, 0x3b39803f
	s_mov_b32 s1, 0xbc7abc9e
	v_fmac_f64_e32 v[10:11], s[0:1], v[6:7]
	s_mov_b32 s0, 0x6a5dcb37
	v_mov_b32_e32 v12, 0xfca7ab0c
	v_mov_b32_e32 v13, 0x3e928af3
	s_mov_b32 s1, 0x3e5ade15
	v_fmac_f64_e32 v[12:13], s[0:1], v[10:11]
	v_mov_b32_e32 v14, 0x623fde64
	v_mov_b32_e32 v15, 0x3ec71dee
	v_fmac_f64_e32 v[14:15], v[10:11], v[12:13]
	v_mov_b32_e32 v12, 0x7c89e6b0
	v_mov_b32_e32 v13, 0x3efa0199
	;; [unrolled: 3-line block ×8, first 2 shown]
	s_mov_b32 s0, 0
	v_fmac_f64_e32 v[12:13], v[10:11], v[14:15]
	s_mov_b32 s1, 0x40900000
	v_fma_f64 v[12:13], v[10:11], v[12:13], 1.0
	v_cmp_nlt_f64_e32 vcc, s[0:1], v[2:3]
	s_mov_b32 s0, 0
	v_fma_f64 v[10:11], v[10:11], v[12:13], 1.0
	v_cvt_i32_f64_e32 v6, v[6:7]
	s_mov_b32 s1, 0xc090cc00
	v_ldexp_f64 v[6:7], v[10:11], v6
	v_mov_b32_e32 v10, 0x7ff00000
	v_cmp_ngt_f64_e64 s[0:1], s[0:1], v[2:3]
	v_cndmask_b32_e32 v7, v10, v7, vcc
	s_mov_b32 s11, 0
	s_and_b64 vcc, s[0:1], vcc
	v_cndmask_b32_e64 v3, 0, v7, s[0:1]
	v_cndmask_b32_e32 v2, 0, v6, vcc
	s_lshl_b64 s[0:1], s[10:11], 3
	v_fma_f64 v[0:1], -v[4:5], v[2:3], v[0:1]
	v_mov_b32_e32 v3, s1
	v_add_co_u32_e32 v2, vcc, s0, v8
	v_addc_co_u32_e32 v3, vcc, v9, v3, vcc
	global_store_dwordx2 v[2:3], v[0:1], off
.LBB216_10:
	s_endpgm
	.section	.rodata,"a",@progbits
	.p2align	6, 0x0
	.amdhsa_kernel _ZN12_GLOBAL__N_121softmax_warp_backwardIdddLi6ELb1ELb0ELi64EEEvPT0_PKT_S5_iiiPKb
		.amdhsa_group_segment_fixed_size 0
		.amdhsa_private_segment_fixed_size 0
		.amdhsa_kernarg_size 304
		.amdhsa_user_sgpr_count 6
		.amdhsa_user_sgpr_private_segment_buffer 1
		.amdhsa_user_sgpr_dispatch_ptr 0
		.amdhsa_user_sgpr_queue_ptr 0
		.amdhsa_user_sgpr_kernarg_segment_ptr 1
		.amdhsa_user_sgpr_dispatch_id 0
		.amdhsa_user_sgpr_flat_scratch_init 0
		.amdhsa_user_sgpr_kernarg_preload_length 0
		.amdhsa_user_sgpr_kernarg_preload_offset 0
		.amdhsa_user_sgpr_private_segment_size 0
		.amdhsa_uses_dynamic_stack 0
		.amdhsa_system_sgpr_private_segment_wavefront_offset 0
		.amdhsa_system_sgpr_workgroup_id_x 1
		.amdhsa_system_sgpr_workgroup_id_y 0
		.amdhsa_system_sgpr_workgroup_id_z 0
		.amdhsa_system_sgpr_workgroup_info 0
		.amdhsa_system_vgpr_workitem_id 1
		.amdhsa_next_free_vgpr 26
		.amdhsa_next_free_sgpr 16
		.amdhsa_accum_offset 28
		.amdhsa_reserve_vcc 1
		.amdhsa_reserve_flat_scratch 0
		.amdhsa_float_round_mode_32 0
		.amdhsa_float_round_mode_16_64 0
		.amdhsa_float_denorm_mode_32 3
		.amdhsa_float_denorm_mode_16_64 3
		.amdhsa_dx10_clamp 1
		.amdhsa_ieee_mode 1
		.amdhsa_fp16_overflow 0
		.amdhsa_tg_split 0
		.amdhsa_exception_fp_ieee_invalid_op 0
		.amdhsa_exception_fp_denorm_src 0
		.amdhsa_exception_fp_ieee_div_zero 0
		.amdhsa_exception_fp_ieee_overflow 0
		.amdhsa_exception_fp_ieee_underflow 0
		.amdhsa_exception_fp_ieee_inexact 0
		.amdhsa_exception_int_div_zero 0
	.end_amdhsa_kernel
	.section	.text._ZN12_GLOBAL__N_121softmax_warp_backwardIdddLi6ELb1ELb0ELi64EEEvPT0_PKT_S5_iiiPKb,"axG",@progbits,_ZN12_GLOBAL__N_121softmax_warp_backwardIdddLi6ELb1ELb0ELi64EEEvPT0_PKT_S5_iiiPKb,comdat
.Lfunc_end216:
	.size	_ZN12_GLOBAL__N_121softmax_warp_backwardIdddLi6ELb1ELb0ELi64EEEvPT0_PKT_S5_iiiPKb, .Lfunc_end216-_ZN12_GLOBAL__N_121softmax_warp_backwardIdddLi6ELb1ELb0ELi64EEEvPT0_PKT_S5_iiiPKb
                                        ; -- End function
	.section	.AMDGPU.csdata,"",@progbits
; Kernel info:
; codeLenInByte = 1652
; NumSgprs: 20
; NumVgprs: 26
; NumAgprs: 0
; TotalNumVgprs: 26
; ScratchSize: 0
; MemoryBound: 0
; FloatMode: 240
; IeeeMode: 1
; LDSByteSize: 0 bytes/workgroup (compile time only)
; SGPRBlocks: 2
; VGPRBlocks: 3
; NumSGPRsForWavesPerEU: 20
; NumVGPRsForWavesPerEU: 26
; AccumOffset: 28
; Occupancy: 8
; WaveLimiterHint : 0
; COMPUTE_PGM_RSRC2:SCRATCH_EN: 0
; COMPUTE_PGM_RSRC2:USER_SGPR: 6
; COMPUTE_PGM_RSRC2:TRAP_HANDLER: 0
; COMPUTE_PGM_RSRC2:TGID_X_EN: 1
; COMPUTE_PGM_RSRC2:TGID_Y_EN: 0
; COMPUTE_PGM_RSRC2:TGID_Z_EN: 0
; COMPUTE_PGM_RSRC2:TIDIG_COMP_CNT: 1
; COMPUTE_PGM_RSRC3_GFX90A:ACCUM_OFFSET: 6
; COMPUTE_PGM_RSRC3_GFX90A:TG_SPLIT: 0
	.section	.text._ZN12_GLOBAL__N_121softmax_warp_backwardIdddLi6ELb1ELb0ELi32EEEvPT0_PKT_S5_iiiPKb,"axG",@progbits,_ZN12_GLOBAL__N_121softmax_warp_backwardIdddLi6ELb1ELb0ELi32EEEvPT0_PKT_S5_iiiPKb,comdat
	.globl	_ZN12_GLOBAL__N_121softmax_warp_backwardIdddLi6ELb1ELb0ELi32EEEvPT0_PKT_S5_iiiPKb ; -- Begin function _ZN12_GLOBAL__N_121softmax_warp_backwardIdddLi6ELb1ELb0ELi32EEEvPT0_PKT_S5_iiiPKb
	.p2align	8
	.type	_ZN12_GLOBAL__N_121softmax_warp_backwardIdddLi6ELb1ELb0ELi32EEEvPT0_PKT_S5_iiiPKb,@function
_ZN12_GLOBAL__N_121softmax_warp_backwardIdddLi6ELb1ELb0ELi32EEEvPT0_PKT_S5_iiiPKb: ; @_ZN12_GLOBAL__N_121softmax_warp_backwardIdddLi6ELb1ELb0ELi32EEEvPT0_PKT_S5_iiiPKb
; %bb.0:
	s_load_dword s2, s[4:5], 0x3c
	s_load_dwordx4 s[8:11], s[4:5], 0x18
	s_load_dwordx4 s[12:15], s[4:5], 0x0
	s_load_dwordx2 s[0:1], s[4:5], 0x10
	v_bfe_u32 v1, v0, 10, 10
	s_waitcnt lgkmcnt(0)
	s_lshr_b32 s2, s2, 16
	s_mul_i32 s6, s6, s2
	v_add_lshl_u32 v1, s6, v1, 1
	v_and_b32_e32 v0, 31, v0
	v_mad_u64_u32 v[2:3], s[2:3], v1, s9, v[0:1]
	v_ashrrev_i32_e32 v3, 31, v2
	v_lshlrev_b64 v[6:7], 3, v[2:3]
	v_sub_u32_e32 v26, s8, v1
	v_mov_b32_e32 v1, s15
	v_add_co_u32_e32 v18, vcc, s14, v6
	v_addc_co_u32_e32 v19, vcc, v1, v7, vcc
	v_mov_b32_e32 v1, s1
	v_add_co_u32_e32 v20, vcc, s0, v6
	v_cmp_lt_i32_e64 s[2:3], 0, v26
	v_cmp_gt_i32_e64 s[0:1], s10, v0
	v_pk_mov_b32 v[10:11], 0, 0
	v_addc_co_u32_e32 v21, vcc, v1, v7, vcc
	s_and_b64 s[6:7], s[2:3], s[0:1]
	v_pk_mov_b32 v[14:15], v[10:11], v[10:11] op_sel:[0,1]
	v_pk_mov_b32 v[16:17], v[10:11], v[10:11] op_sel:[0,1]
	s_and_saveexec_b64 s[4:5], s[6:7]
	s_cbranch_execz .LBB217_2
; %bb.1:
	global_load_dwordx2 v[14:15], v[18:19], off
	global_load_dwordx2 v[16:17], v[20:21], off
.LBB217_2:
	s_or_b64 exec, exec, s[4:5]
	v_or_b32_e32 v0, 32, v0
	v_cmp_gt_i32_e32 vcc, s10, v0
	s_and_b64 s[6:7], s[2:3], vcc
	v_pk_mov_b32 v[12:13], v[10:11], v[10:11] op_sel:[0,1]
	s_and_saveexec_b64 s[4:5], s[6:7]
	s_cbranch_execz .LBB217_4
; %bb.3:
	global_load_dwordx2 v[10:11], v[18:19], off offset:256
	global_load_dwordx2 v[12:13], v[20:21], off offset:256
.LBB217_4:
	s_or_b64 exec, exec, s[4:5]
	v_cmp_lt_i32_e64 s[4:5], 1, v26
	v_pk_mov_b32 v[0:1], 0, 0
	s_and_b64 s[6:7], s[4:5], s[0:1]
	v_pk_mov_b32 v[4:5], v[0:1], v[0:1] op_sel:[0,1]
	v_pk_mov_b32 v[8:9], v[0:1], v[0:1] op_sel:[0,1]
	s_and_saveexec_b64 s[8:9], s[6:7]
	s_cbranch_execz .LBB217_6
; %bb.5:
	s_mov_b32 s11, 0
	s_lshl_b64 s[14:15], s[10:11], 3
	v_mov_b32_e32 v8, s15
	v_add_co_u32_e64 v2, s[6:7], s14, v18
	v_addc_co_u32_e64 v3, s[6:7], v19, v8, s[6:7]
	global_load_dwordx2 v[4:5], v[2:3], off
	v_add_co_u32_e64 v2, s[6:7], s14, v20
	v_addc_co_u32_e64 v3, s[6:7], v21, v8, s[6:7]
	global_load_dwordx2 v[8:9], v[2:3], off
.LBB217_6:
	s_or_b64 exec, exec, s[8:9]
	s_and_b64 s[4:5], s[4:5], vcc
	v_pk_mov_b32 v[2:3], v[0:1], v[0:1] op_sel:[0,1]
	s_and_saveexec_b64 s[6:7], s[4:5]
	s_cbranch_execz .LBB217_8
; %bb.7:
	s_mov_b32 s11, 0
	s_lshl_b64 s[8:9], s[10:11], 3
	v_mov_b32_e32 v3, s9
	v_add_co_u32_e64 v0, s[4:5], s8, v18
	v_addc_co_u32_e64 v1, s[4:5], v19, v3, s[4:5]
	v_add_co_u32_e64 v2, s[4:5], s8, v20
	v_addc_co_u32_e64 v3, s[4:5], v21, v3, s[4:5]
	global_load_dwordx2 v[0:1], v[0:1], off offset:256
	s_nop 0
	global_load_dwordx2 v[2:3], v[2:3], off offset:256
.LBB217_8:
	s_or_b64 exec, exec, s[6:7]
	v_mbcnt_lo_u32_b32 v22, -1, 0
	v_mbcnt_hi_u32_b32 v27, -1, v22
	v_and_b32_e32 v22, 0x60, v27
	v_add_u32_e32 v28, 32, v22
	v_xor_b32_e32 v22, 16, v27
	v_cmp_lt_i32_e64 s[4:5], v22, v28
	s_waitcnt vmcnt(1)
	v_add_f64 v[18:19], v[14:15], 0
	v_cndmask_b32_e64 v22, v27, v22, s[4:5]
	v_add_f64 v[18:19], v[18:19], v[10:11]
	v_lshlrev_b32_e32 v25, 2, v22
	ds_bpermute_b32 v22, v25, v18
	ds_bpermute_b32 v23, v25, v19
	v_add_f64 v[20:21], v[4:5], 0
	v_add_f64 v[20:21], v[20:21], v[0:1]
	ds_bpermute_b32 v24, v25, v20
	ds_bpermute_b32 v25, v25, v21
	s_waitcnt lgkmcnt(2)
	v_add_f64 v[18:19], v[18:19], v[22:23]
	v_xor_b32_e32 v22, 8, v27
	v_cmp_lt_i32_e64 s[4:5], v22, v28
	v_cndmask_b32_e64 v22, v27, v22, s[4:5]
	s_waitcnt lgkmcnt(0)
	v_add_f64 v[20:21], v[20:21], v[24:25]
	v_lshlrev_b32_e32 v25, 2, v22
	ds_bpermute_b32 v22, v25, v18
	ds_bpermute_b32 v23, v25, v19
	ds_bpermute_b32 v24, v25, v20
	ds_bpermute_b32 v25, v25, v21
	s_waitcnt lgkmcnt(2)
	v_add_f64 v[18:19], v[18:19], v[22:23]
	v_xor_b32_e32 v22, 4, v27
	v_cmp_lt_i32_e64 s[4:5], v22, v28
	v_cndmask_b32_e64 v22, v27, v22, s[4:5]
	s_waitcnt lgkmcnt(0)
	v_add_f64 v[20:21], v[20:21], v[24:25]
	v_lshlrev_b32_e32 v25, 2, v22
	ds_bpermute_b32 v22, v25, v18
	ds_bpermute_b32 v23, v25, v19
	;; [unrolled: 12-line block ×3, first 2 shown]
	ds_bpermute_b32 v24, v25, v20
	ds_bpermute_b32 v25, v25, v21
	s_waitcnt lgkmcnt(2)
	v_add_f64 v[22:23], v[18:19], v[22:23]
	s_waitcnt lgkmcnt(0)
	v_add_f64 v[18:19], v[20:21], v[24:25]
	v_xor_b32_e32 v20, 1, v27
	v_cmp_lt_i32_e64 s[4:5], v20, v28
	v_cndmask_b32_e64 v20, v27, v20, s[4:5]
	v_lshlrev_b32_e32 v21, 2, v20
	ds_bpermute_b32 v24, v21, v22
	ds_bpermute_b32 v25, v21, v23
	;; [unrolled: 1-line block ×4, first 2 shown]
	s_and_saveexec_b64 s[4:5], s[2:3]
	s_cbranch_execz .LBB217_12
; %bb.9:
	v_mov_b32_e32 v27, s13
	v_add_co_u32_e64 v6, s[2:3], s12, v6
	v_addc_co_u32_e64 v7, s[2:3], v27, v7, s[2:3]
	s_waitcnt lgkmcnt(2)
	v_add_f64 v[22:23], v[22:23], v[24:25]
	s_and_saveexec_b64 s[6:7], s[0:1]
	s_cbranch_execnz .LBB217_13
; %bb.10:
	s_or_b64 exec, exec, s[6:7]
	s_and_saveexec_b64 s[6:7], vcc
	s_cbranch_execnz .LBB217_14
.LBB217_11:
	s_or_b64 exec, exec, s[6:7]
	v_cmp_ne_u32_e64 s[2:3], 1, v26
	s_and_b64 exec, exec, s[2:3]
	s_cbranch_execnz .LBB217_15
.LBB217_12:
	s_endpgm
.LBB217_13:
	s_mov_b32 s2, 0x652b82fe
	s_mov_b32 s3, 0x3ff71547
	s_waitcnt vmcnt(0)
	v_mul_f64 v[24:25], v[16:17], s[2:3]
	s_mov_b32 s2, 0xfefa39ef
	v_rndne_f64_e32 v[24:25], v[24:25]
	s_mov_b32 s3, 0xbfe62e42
	v_fma_f64 v[28:29], s[2:3], v[24:25], v[16:17]
	s_mov_b32 s2, 0x3b39803f
	s_mov_b32 s3, 0xbc7abc9e
	v_fmac_f64_e32 v[28:29], s[2:3], v[24:25]
	s_mov_b32 s2, 0x6a5dcb37
	v_mov_b32_e32 v30, 0xfca7ab0c
	v_mov_b32_e32 v31, 0x3e928af3
	s_mov_b32 s3, 0x3e5ade15
	v_fmac_f64_e32 v[30:31], s[2:3], v[28:29]
	v_mov_b32_e32 v32, 0x623fde64
	v_mov_b32_e32 v33, 0x3ec71dee
	v_fmac_f64_e32 v[32:33], v[28:29], v[30:31]
	v_mov_b32_e32 v30, 0x7c89e6b0
	v_mov_b32_e32 v31, 0x3efa0199
	;; [unrolled: 3-line block ×8, first 2 shown]
	v_fmac_f64_e32 v[30:31], v[28:29], v[32:33]
	v_fma_f64 v[30:31], v[28:29], v[30:31], 1.0
	s_mov_b32 s2, 0
	s_mov_b32 s4, 0
	v_fma_f64 v[28:29], v[28:29], v[30:31], 1.0
	v_cvt_i32_f64_e32 v24, v[24:25]
	s_mov_b32 s3, 0x40900000
	s_mov_b32 s5, 0xc090cc00
	v_ldexp_f64 v[24:25], v[28:29], v24
	v_mov_b32_e32 v27, 0x7ff00000
	v_cmp_nlt_f64_e64 s[2:3], s[2:3], v[16:17]
	v_cmp_ngt_f64_e64 s[4:5], s[4:5], v[16:17]
	v_cndmask_b32_e64 v25, v27, v25, s[2:3]
	s_and_b64 s[2:3], s[4:5], s[2:3]
	v_cndmask_b32_e64 v17, 0, v25, s[4:5]
	v_cndmask_b32_e64 v16, 0, v24, s[2:3]
	v_fma_f64 v[14:15], -v[22:23], v[16:17], v[14:15]
	global_store_dwordx2 v[6:7], v[14:15], off
	s_or_b64 exec, exec, s[6:7]
	s_and_saveexec_b64 s[6:7], vcc
	s_cbranch_execz .LBB217_11
.LBB217_14:
	s_mov_b32 s2, 0x652b82fe
	s_mov_b32 s3, 0x3ff71547
	s_waitcnt vmcnt(0)
	v_mul_f64 v[14:15], v[12:13], s[2:3]
	s_mov_b32 s2, 0xfefa39ef
	v_rndne_f64_e32 v[14:15], v[14:15]
	s_mov_b32 s3, 0xbfe62e42
	v_fma_f64 v[16:17], s[2:3], v[14:15], v[12:13]
	s_mov_b32 s2, 0x3b39803f
	s_mov_b32 s3, 0xbc7abc9e
	v_fmac_f64_e32 v[16:17], s[2:3], v[14:15]
	s_mov_b32 s2, 0x6a5dcb37
	v_mov_b32_e32 v24, 0xfca7ab0c
	v_mov_b32_e32 v25, 0x3e928af3
	s_mov_b32 s3, 0x3e5ade15
	v_fmac_f64_e32 v[24:25], s[2:3], v[16:17]
	v_mov_b32_e32 v28, 0x623fde64
	v_mov_b32_e32 v29, 0x3ec71dee
	v_fmac_f64_e32 v[28:29], v[16:17], v[24:25]
	v_mov_b32_e32 v24, 0x7c89e6b0
	v_mov_b32_e32 v25, 0x3efa0199
	v_fmac_f64_e32 v[24:25], v[16:17], v[28:29]
	v_mov_b32_e32 v28, 0x14761f6e
	v_mov_b32_e32 v29, 0x3f2a01a0
	v_fmac_f64_e32 v[28:29], v[16:17], v[24:25]
	v_mov_b32_e32 v24, 0x1852b7b0
	v_mov_b32_e32 v25, 0x3f56c16c
	v_fmac_f64_e32 v[24:25], v[16:17], v[28:29]
	v_mov_b32_e32 v28, 0x11122322
	v_mov_b32_e32 v29, 0x3f811111
	v_fmac_f64_e32 v[28:29], v[16:17], v[24:25]
	v_mov_b32_e32 v24, 0x555502a1
	v_mov_b32_e32 v25, 0x3fa55555
	v_fmac_f64_e32 v[24:25], v[16:17], v[28:29]
	v_mov_b32_e32 v28, 0x55555511
	v_mov_b32_e32 v29, 0x3fc55555
	v_fmac_f64_e32 v[28:29], v[16:17], v[24:25]
	v_mov_b32_e32 v24, 11
	v_mov_b32_e32 v25, 0x3fe00000
	v_fmac_f64_e32 v[24:25], v[16:17], v[28:29]
	v_fma_f64 v[24:25], v[16:17], v[24:25], 1.0
	s_mov_b32 s2, 0
	s_mov_b32 s4, 0
	v_fma_f64 v[16:17], v[16:17], v[24:25], 1.0
	v_cvt_i32_f64_e32 v14, v[14:15]
	s_mov_b32 s3, 0x40900000
	s_mov_b32 s5, 0xc090cc00
	v_ldexp_f64 v[14:15], v[16:17], v14
	v_mov_b32_e32 v16, 0x7ff00000
	v_cmp_nlt_f64_e64 s[2:3], s[2:3], v[12:13]
	v_cmp_ngt_f64_e64 s[4:5], s[4:5], v[12:13]
	v_cndmask_b32_e64 v15, v16, v15, s[2:3]
	s_and_b64 s[2:3], s[4:5], s[2:3]
	v_cndmask_b32_e64 v13, 0, v15, s[4:5]
	v_cndmask_b32_e64 v12, 0, v14, s[2:3]
	v_fma_f64 v[10:11], -v[22:23], v[12:13], v[10:11]
	global_store_dwordx2 v[6:7], v[10:11], off offset:256
	s_or_b64 exec, exec, s[6:7]
	v_cmp_ne_u32_e64 s[2:3], 1, v26
	s_and_b64 exec, exec, s[2:3]
	s_cbranch_execz .LBB217_12
.LBB217_15:
	s_waitcnt lgkmcnt(0)
	v_add_f64 v[10:11], v[18:19], v[20:21]
	s_and_saveexec_b64 s[4:5], s[0:1]
	s_cbranch_execz .LBB217_17
; %bb.16:
	s_mov_b32 s0, 0x652b82fe
	s_mov_b32 s1, 0x3ff71547
	s_waitcnt vmcnt(0)
	v_mul_f64 v[12:13], v[8:9], s[0:1]
	s_mov_b32 s0, 0xfefa39ef
	v_rndne_f64_e32 v[12:13], v[12:13]
	s_mov_b32 s1, 0xbfe62e42
	v_fma_f64 v[14:15], s[0:1], v[12:13], v[8:9]
	s_mov_b32 s0, 0x3b39803f
	s_mov_b32 s1, 0xbc7abc9e
	v_fmac_f64_e32 v[14:15], s[0:1], v[12:13]
	s_mov_b32 s0, 0x6a5dcb37
	v_mov_b32_e32 v16, 0xfca7ab0c
	v_mov_b32_e32 v17, 0x3e928af3
	s_mov_b32 s1, 0x3e5ade15
	v_fmac_f64_e32 v[16:17], s[0:1], v[14:15]
	v_mov_b32_e32 v18, 0x623fde64
	v_mov_b32_e32 v19, 0x3ec71dee
	v_fmac_f64_e32 v[18:19], v[14:15], v[16:17]
	v_mov_b32_e32 v16, 0x7c89e6b0
	v_mov_b32_e32 v17, 0x3efa0199
	;; [unrolled: 3-line block ×8, first 2 shown]
	v_fmac_f64_e32 v[16:17], v[14:15], v[18:19]
	v_fma_f64 v[16:17], v[14:15], v[16:17], 1.0
	s_mov_b32 s0, 0
	s_mov_b32 s2, 0
	v_fma_f64 v[14:15], v[14:15], v[16:17], 1.0
	v_cvt_i32_f64_e32 v12, v[12:13]
	s_mov_b32 s1, 0x40900000
	s_mov_b32 s3, 0xc090cc00
	v_ldexp_f64 v[12:13], v[14:15], v12
	v_mov_b32_e32 v14, 0x7ff00000
	v_cmp_nlt_f64_e64 s[0:1], s[0:1], v[8:9]
	v_cmp_ngt_f64_e64 s[2:3], s[2:3], v[8:9]
	v_cndmask_b32_e64 v13, v14, v13, s[0:1]
	s_mov_b32 s11, 0
	s_and_b64 s[0:1], s[2:3], s[0:1]
	v_cndmask_b32_e64 v9, 0, v13, s[2:3]
	v_cndmask_b32_e64 v8, 0, v12, s[0:1]
	s_lshl_b64 s[0:1], s[10:11], 3
	v_fma_f64 v[4:5], -v[10:11], v[8:9], v[4:5]
	v_mov_b32_e32 v9, s1
	v_add_co_u32_e64 v8, s[0:1], s0, v6
	v_addc_co_u32_e64 v9, s[0:1], v7, v9, s[0:1]
	global_store_dwordx2 v[8:9], v[4:5], off
.LBB217_17:
	s_or_b64 exec, exec, s[4:5]
	s_and_b64 exec, exec, vcc
	s_cbranch_execz .LBB217_12
; %bb.18:
	s_mov_b32 s0, 0x652b82fe
	s_mov_b32 s1, 0x3ff71547
	s_waitcnt vmcnt(0)
	v_mul_f64 v[4:5], v[2:3], s[0:1]
	s_mov_b32 s0, 0xfefa39ef
	v_rndne_f64_e32 v[4:5], v[4:5]
	s_mov_b32 s1, 0xbfe62e42
	v_fma_f64 v[8:9], s[0:1], v[4:5], v[2:3]
	s_mov_b32 s0, 0x3b39803f
	s_mov_b32 s1, 0xbc7abc9e
	v_fmac_f64_e32 v[8:9], s[0:1], v[4:5]
	s_mov_b32 s0, 0x6a5dcb37
	v_mov_b32_e32 v12, 0xfca7ab0c
	v_mov_b32_e32 v13, 0x3e928af3
	s_mov_b32 s1, 0x3e5ade15
	v_fmac_f64_e32 v[12:13], s[0:1], v[8:9]
	v_mov_b32_e32 v14, 0x623fde64
	v_mov_b32_e32 v15, 0x3ec71dee
	v_fmac_f64_e32 v[14:15], v[8:9], v[12:13]
	v_mov_b32_e32 v12, 0x7c89e6b0
	v_mov_b32_e32 v13, 0x3efa0199
	;; [unrolled: 3-line block ×8, first 2 shown]
	s_mov_b32 s0, 0
	v_fmac_f64_e32 v[12:13], v[8:9], v[14:15]
	s_mov_b32 s1, 0x40900000
	v_fma_f64 v[12:13], v[8:9], v[12:13], 1.0
	v_cmp_nlt_f64_e32 vcc, s[0:1], v[2:3]
	s_mov_b32 s0, 0
	v_fma_f64 v[8:9], v[8:9], v[12:13], 1.0
	v_cvt_i32_f64_e32 v4, v[4:5]
	s_mov_b32 s1, 0xc090cc00
	v_ldexp_f64 v[4:5], v[8:9], v4
	v_mov_b32_e32 v8, 0x7ff00000
	v_cmp_ngt_f64_e64 s[0:1], s[0:1], v[2:3]
	v_cndmask_b32_e32 v5, v8, v5, vcc
	s_and_b64 vcc, s[0:1], vcc
	s_ashr_i32 s11, s10, 31
	v_cndmask_b32_e64 v3, 0, v5, s[0:1]
	v_cndmask_b32_e32 v2, 0, v4, vcc
	s_lshl_b64 s[0:1], s[10:11], 3
	v_fma_f64 v[0:1], -v[10:11], v[2:3], v[0:1]
	v_mov_b32_e32 v3, s1
	v_add_co_u32_e32 v2, vcc, s0, v6
	v_addc_co_u32_e32 v3, vcc, v7, v3, vcc
	global_store_dwordx2 v[2:3], v[0:1], off offset:256
	s_endpgm
	.section	.rodata,"a",@progbits
	.p2align	6, 0x0
	.amdhsa_kernel _ZN12_GLOBAL__N_121softmax_warp_backwardIdddLi6ELb1ELb0ELi32EEEvPT0_PKT_S5_iiiPKb
		.amdhsa_group_segment_fixed_size 0
		.amdhsa_private_segment_fixed_size 0
		.amdhsa_kernarg_size 304
		.amdhsa_user_sgpr_count 6
		.amdhsa_user_sgpr_private_segment_buffer 1
		.amdhsa_user_sgpr_dispatch_ptr 0
		.amdhsa_user_sgpr_queue_ptr 0
		.amdhsa_user_sgpr_kernarg_segment_ptr 1
		.amdhsa_user_sgpr_dispatch_id 0
		.amdhsa_user_sgpr_flat_scratch_init 0
		.amdhsa_user_sgpr_kernarg_preload_length 0
		.amdhsa_user_sgpr_kernarg_preload_offset 0
		.amdhsa_user_sgpr_private_segment_size 0
		.amdhsa_uses_dynamic_stack 0
		.amdhsa_system_sgpr_private_segment_wavefront_offset 0
		.amdhsa_system_sgpr_workgroup_id_x 1
		.amdhsa_system_sgpr_workgroup_id_y 0
		.amdhsa_system_sgpr_workgroup_id_z 0
		.amdhsa_system_sgpr_workgroup_info 0
		.amdhsa_system_vgpr_workitem_id 1
		.amdhsa_next_free_vgpr 34
		.amdhsa_next_free_sgpr 16
		.amdhsa_accum_offset 36
		.amdhsa_reserve_vcc 1
		.amdhsa_reserve_flat_scratch 0
		.amdhsa_float_round_mode_32 0
		.amdhsa_float_round_mode_16_64 0
		.amdhsa_float_denorm_mode_32 3
		.amdhsa_float_denorm_mode_16_64 3
		.amdhsa_dx10_clamp 1
		.amdhsa_ieee_mode 1
		.amdhsa_fp16_overflow 0
		.amdhsa_tg_split 0
		.amdhsa_exception_fp_ieee_invalid_op 0
		.amdhsa_exception_fp_denorm_src 0
		.amdhsa_exception_fp_ieee_div_zero 0
		.amdhsa_exception_fp_ieee_overflow 0
		.amdhsa_exception_fp_ieee_underflow 0
		.amdhsa_exception_fp_ieee_inexact 0
		.amdhsa_exception_int_div_zero 0
	.end_amdhsa_kernel
	.section	.text._ZN12_GLOBAL__N_121softmax_warp_backwardIdddLi6ELb1ELb0ELi32EEEvPT0_PKT_S5_iiiPKb,"axG",@progbits,_ZN12_GLOBAL__N_121softmax_warp_backwardIdddLi6ELb1ELb0ELi32EEEvPT0_PKT_S5_iiiPKb,comdat
.Lfunc_end217:
	.size	_ZN12_GLOBAL__N_121softmax_warp_backwardIdddLi6ELb1ELb0ELi32EEEvPT0_PKT_S5_iiiPKb, .Lfunc_end217-_ZN12_GLOBAL__N_121softmax_warp_backwardIdddLi6ELb1ELb0ELi32EEEvPT0_PKT_S5_iiiPKb
                                        ; -- End function
	.section	.AMDGPU.csdata,"",@progbits
; Kernel info:
; codeLenInByte = 2608
; NumSgprs: 20
; NumVgprs: 34
; NumAgprs: 0
; TotalNumVgprs: 34
; ScratchSize: 0
; MemoryBound: 0
; FloatMode: 240
; IeeeMode: 1
; LDSByteSize: 0 bytes/workgroup (compile time only)
; SGPRBlocks: 2
; VGPRBlocks: 4
; NumSGPRsForWavesPerEU: 20
; NumVGPRsForWavesPerEU: 34
; AccumOffset: 36
; Occupancy: 8
; WaveLimiterHint : 0
; COMPUTE_PGM_RSRC2:SCRATCH_EN: 0
; COMPUTE_PGM_RSRC2:USER_SGPR: 6
; COMPUTE_PGM_RSRC2:TRAP_HANDLER: 0
; COMPUTE_PGM_RSRC2:TGID_X_EN: 1
; COMPUTE_PGM_RSRC2:TGID_Y_EN: 0
; COMPUTE_PGM_RSRC2:TGID_Z_EN: 0
; COMPUTE_PGM_RSRC2:TIDIG_COMP_CNT: 1
; COMPUTE_PGM_RSRC3_GFX90A:ACCUM_OFFSET: 8
; COMPUTE_PGM_RSRC3_GFX90A:TG_SPLIT: 0
	.section	.text._ZN12_GLOBAL__N_121softmax_warp_backwardIdddLi7ELb1ELb0ELi64EEEvPT0_PKT_S5_iiiPKb,"axG",@progbits,_ZN12_GLOBAL__N_121softmax_warp_backwardIdddLi7ELb1ELb0ELi64EEEvPT0_PKT_S5_iiiPKb,comdat
	.globl	_ZN12_GLOBAL__N_121softmax_warp_backwardIdddLi7ELb1ELb0ELi64EEEvPT0_PKT_S5_iiiPKb ; -- Begin function _ZN12_GLOBAL__N_121softmax_warp_backwardIdddLi7ELb1ELb0ELi64EEEvPT0_PKT_S5_iiiPKb
	.p2align	8
	.type	_ZN12_GLOBAL__N_121softmax_warp_backwardIdddLi7ELb1ELb0ELi64EEEvPT0_PKT_S5_iiiPKb,@function
_ZN12_GLOBAL__N_121softmax_warp_backwardIdddLi7ELb1ELb0ELi64EEEvPT0_PKT_S5_iiiPKb: ; @_ZN12_GLOBAL__N_121softmax_warp_backwardIdddLi7ELb1ELb0ELi64EEEvPT0_PKT_S5_iiiPKb
; %bb.0:
	s_load_dword s2, s[4:5], 0x3c
	s_load_dwordx4 s[8:11], s[4:5], 0x18
	s_load_dwordx4 s[12:15], s[4:5], 0x0
	s_load_dwordx2 s[0:1], s[4:5], 0x10
	v_bfe_u32 v1, v0, 10, 10
	s_waitcnt lgkmcnt(0)
	s_lshr_b32 s2, s2, 16
	s_mul_i32 s6, s6, s2
	v_add_lshl_u32 v1, s6, v1, 1
	v_and_b32_e32 v0, 63, v0
	v_mad_u64_u32 v[2:3], s[2:3], v1, s9, v[0:1]
	v_ashrrev_i32_e32 v3, 31, v2
	v_lshlrev_b64 v[8:9], 3, v[2:3]
	v_sub_u32_e32 v26, s8, v1
	v_mov_b32_e32 v1, s15
	v_add_co_u32_e32 v18, vcc, s14, v8
	v_addc_co_u32_e32 v19, vcc, v1, v9, vcc
	v_mov_b32_e32 v1, s1
	v_add_co_u32_e32 v20, vcc, s0, v8
	v_cmp_lt_i32_e64 s[2:3], 0, v26
	v_cmp_gt_i32_e64 s[0:1], s10, v0
	v_pk_mov_b32 v[10:11], 0, 0
	v_addc_co_u32_e32 v21, vcc, v1, v9, vcc
	s_and_b64 s[6:7], s[2:3], s[0:1]
	v_pk_mov_b32 v[14:15], v[10:11], v[10:11] op_sel:[0,1]
	v_pk_mov_b32 v[16:17], v[10:11], v[10:11] op_sel:[0,1]
	s_and_saveexec_b64 s[4:5], s[6:7]
	s_cbranch_execz .LBB218_2
; %bb.1:
	global_load_dwordx2 v[14:15], v[18:19], off
	global_load_dwordx2 v[16:17], v[20:21], off
.LBB218_2:
	s_or_b64 exec, exec, s[4:5]
	v_or_b32_e32 v0, 64, v0
	v_cmp_gt_i32_e32 vcc, s10, v0
	s_and_b64 s[6:7], s[2:3], vcc
	v_pk_mov_b32 v[12:13], v[10:11], v[10:11] op_sel:[0,1]
	s_and_saveexec_b64 s[4:5], s[6:7]
	s_cbranch_execz .LBB218_4
; %bb.3:
	global_load_dwordx2 v[10:11], v[18:19], off offset:512
	global_load_dwordx2 v[12:13], v[20:21], off offset:512
.LBB218_4:
	s_or_b64 exec, exec, s[4:5]
	v_cmp_lt_i32_e64 s[4:5], 1, v26
	v_pk_mov_b32 v[0:1], 0, 0
	s_and_b64 s[6:7], s[4:5], s[0:1]
	v_pk_mov_b32 v[4:5], v[0:1], v[0:1] op_sel:[0,1]
	v_pk_mov_b32 v[6:7], v[0:1], v[0:1] op_sel:[0,1]
	s_and_saveexec_b64 s[8:9], s[6:7]
	s_cbranch_execz .LBB218_6
; %bb.5:
	s_mov_b32 s11, 0
	s_lshl_b64 s[14:15], s[10:11], 3
	v_mov_b32_e32 v6, s15
	v_add_co_u32_e64 v2, s[6:7], s14, v18
	v_addc_co_u32_e64 v3, s[6:7], v19, v6, s[6:7]
	global_load_dwordx2 v[4:5], v[2:3], off
	v_add_co_u32_e64 v2, s[6:7], s14, v20
	v_addc_co_u32_e64 v3, s[6:7], v21, v6, s[6:7]
	global_load_dwordx2 v[6:7], v[2:3], off
.LBB218_6:
	s_or_b64 exec, exec, s[8:9]
	s_and_b64 s[4:5], s[4:5], vcc
	v_pk_mov_b32 v[2:3], v[0:1], v[0:1] op_sel:[0,1]
	s_and_saveexec_b64 s[6:7], s[4:5]
	s_cbranch_execz .LBB218_8
; %bb.7:
	s_mov_b32 s11, 0
	s_lshl_b64 s[8:9], s[10:11], 3
	v_mov_b32_e32 v3, s9
	v_add_co_u32_e64 v0, s[4:5], s8, v18
	v_addc_co_u32_e64 v1, s[4:5], v19, v3, s[4:5]
	v_add_co_u32_e64 v2, s[4:5], s8, v20
	v_addc_co_u32_e64 v3, s[4:5], v21, v3, s[4:5]
	global_load_dwordx2 v[0:1], v[0:1], off offset:512
	s_nop 0
	global_load_dwordx2 v[2:3], v[2:3], off offset:512
.LBB218_8:
	s_or_b64 exec, exec, s[6:7]
	v_mbcnt_lo_u32_b32 v22, -1, 0
	v_mbcnt_hi_u32_b32 v27, -1, v22
	v_and_b32_e32 v22, 64, v27
	v_add_u32_e32 v28, 64, v22
	v_xor_b32_e32 v22, 32, v27
	v_cmp_lt_i32_e64 s[4:5], v22, v28
	s_waitcnt vmcnt(1)
	v_add_f64 v[18:19], v[14:15], 0
	v_cndmask_b32_e64 v22, v27, v22, s[4:5]
	v_add_f64 v[18:19], v[18:19], v[10:11]
	v_lshlrev_b32_e32 v25, 2, v22
	ds_bpermute_b32 v22, v25, v18
	ds_bpermute_b32 v23, v25, v19
	v_add_f64 v[20:21], v[4:5], 0
	v_add_f64 v[20:21], v[20:21], v[0:1]
	ds_bpermute_b32 v24, v25, v20
	ds_bpermute_b32 v25, v25, v21
	s_waitcnt lgkmcnt(2)
	v_add_f64 v[18:19], v[18:19], v[22:23]
	v_xor_b32_e32 v22, 16, v27
	v_cmp_lt_i32_e64 s[4:5], v22, v28
	v_cndmask_b32_e64 v22, v27, v22, s[4:5]
	s_waitcnt lgkmcnt(0)
	v_add_f64 v[20:21], v[20:21], v[24:25]
	v_lshlrev_b32_e32 v25, 2, v22
	ds_bpermute_b32 v22, v25, v18
	ds_bpermute_b32 v23, v25, v19
	ds_bpermute_b32 v24, v25, v20
	ds_bpermute_b32 v25, v25, v21
	s_waitcnt lgkmcnt(2)
	v_add_f64 v[18:19], v[18:19], v[22:23]
	v_xor_b32_e32 v22, 8, v27
	v_cmp_lt_i32_e64 s[4:5], v22, v28
	v_cndmask_b32_e64 v22, v27, v22, s[4:5]
	s_waitcnt lgkmcnt(0)
	v_add_f64 v[20:21], v[20:21], v[24:25]
	v_lshlrev_b32_e32 v25, 2, v22
	ds_bpermute_b32 v22, v25, v18
	ds_bpermute_b32 v23, v25, v19
	ds_bpermute_b32 v24, v25, v20
	ds_bpermute_b32 v25, v25, v21
	s_waitcnt lgkmcnt(2)
	v_add_f64 v[18:19], v[18:19], v[22:23]
	v_xor_b32_e32 v22, 4, v27
	v_cmp_lt_i32_e64 s[4:5], v22, v28
	v_cndmask_b32_e64 v22, v27, v22, s[4:5]
	s_waitcnt lgkmcnt(0)
	v_add_f64 v[20:21], v[20:21], v[24:25]
	v_lshlrev_b32_e32 v25, 2, v22
	ds_bpermute_b32 v22, v25, v18
	ds_bpermute_b32 v23, v25, v19
	ds_bpermute_b32 v24, v25, v20
	ds_bpermute_b32 v25, v25, v21
	s_waitcnt lgkmcnt(2)
	v_add_f64 v[18:19], v[18:19], v[22:23]
	v_xor_b32_e32 v22, 2, v27
	v_cmp_lt_i32_e64 s[4:5], v22, v28
	v_cndmask_b32_e64 v22, v27, v22, s[4:5]
	s_waitcnt lgkmcnt(0)
	v_add_f64 v[20:21], v[20:21], v[24:25]
	v_lshlrev_b32_e32 v25, 2, v22
	ds_bpermute_b32 v22, v25, v18
	ds_bpermute_b32 v23, v25, v19
	ds_bpermute_b32 v24, v25, v20
	ds_bpermute_b32 v25, v25, v21
	s_waitcnt lgkmcnt(2)
	v_add_f64 v[22:23], v[18:19], v[22:23]
	s_waitcnt lgkmcnt(0)
	v_add_f64 v[18:19], v[20:21], v[24:25]
	v_xor_b32_e32 v20, 1, v27
	v_cmp_lt_i32_e64 s[4:5], v20, v28
	v_cndmask_b32_e64 v20, v27, v20, s[4:5]
	v_lshlrev_b32_e32 v21, 2, v20
	ds_bpermute_b32 v24, v21, v22
	ds_bpermute_b32 v25, v21, v23
	;; [unrolled: 1-line block ×4, first 2 shown]
	s_and_saveexec_b64 s[4:5], s[2:3]
	s_cbranch_execz .LBB218_12
; %bb.9:
	v_mov_b32_e32 v27, s13
	v_add_co_u32_e64 v8, s[2:3], s12, v8
	v_addc_co_u32_e64 v9, s[2:3], v27, v9, s[2:3]
	s_waitcnt lgkmcnt(2)
	v_add_f64 v[22:23], v[22:23], v[24:25]
	s_and_saveexec_b64 s[6:7], s[0:1]
	s_cbranch_execnz .LBB218_13
; %bb.10:
	s_or_b64 exec, exec, s[6:7]
	s_and_saveexec_b64 s[6:7], vcc
	s_cbranch_execnz .LBB218_14
.LBB218_11:
	s_or_b64 exec, exec, s[6:7]
	v_cmp_ne_u32_e64 s[2:3], 1, v26
	s_and_b64 exec, exec, s[2:3]
	s_cbranch_execnz .LBB218_15
.LBB218_12:
	s_endpgm
.LBB218_13:
	s_mov_b32 s2, 0x652b82fe
	s_mov_b32 s3, 0x3ff71547
	s_waitcnt vmcnt(0)
	v_mul_f64 v[24:25], v[16:17], s[2:3]
	s_mov_b32 s2, 0xfefa39ef
	v_rndne_f64_e32 v[24:25], v[24:25]
	s_mov_b32 s3, 0xbfe62e42
	v_fma_f64 v[28:29], s[2:3], v[24:25], v[16:17]
	s_mov_b32 s2, 0x3b39803f
	s_mov_b32 s3, 0xbc7abc9e
	v_fmac_f64_e32 v[28:29], s[2:3], v[24:25]
	s_mov_b32 s2, 0x6a5dcb37
	v_mov_b32_e32 v30, 0xfca7ab0c
	v_mov_b32_e32 v31, 0x3e928af3
	s_mov_b32 s3, 0x3e5ade15
	v_fmac_f64_e32 v[30:31], s[2:3], v[28:29]
	v_mov_b32_e32 v32, 0x623fde64
	v_mov_b32_e32 v33, 0x3ec71dee
	v_fmac_f64_e32 v[32:33], v[28:29], v[30:31]
	v_mov_b32_e32 v30, 0x7c89e6b0
	v_mov_b32_e32 v31, 0x3efa0199
	;; [unrolled: 3-line block ×8, first 2 shown]
	v_fmac_f64_e32 v[30:31], v[28:29], v[32:33]
	v_fma_f64 v[30:31], v[28:29], v[30:31], 1.0
	s_mov_b32 s2, 0
	s_mov_b32 s4, 0
	v_fma_f64 v[28:29], v[28:29], v[30:31], 1.0
	v_cvt_i32_f64_e32 v24, v[24:25]
	s_mov_b32 s3, 0x40900000
	s_mov_b32 s5, 0xc090cc00
	v_ldexp_f64 v[24:25], v[28:29], v24
	v_mov_b32_e32 v27, 0x7ff00000
	v_cmp_nlt_f64_e64 s[2:3], s[2:3], v[16:17]
	v_cmp_ngt_f64_e64 s[4:5], s[4:5], v[16:17]
	v_cndmask_b32_e64 v25, v27, v25, s[2:3]
	s_and_b64 s[2:3], s[4:5], s[2:3]
	v_cndmask_b32_e64 v17, 0, v25, s[4:5]
	v_cndmask_b32_e64 v16, 0, v24, s[2:3]
	v_fma_f64 v[14:15], -v[22:23], v[16:17], v[14:15]
	global_store_dwordx2 v[8:9], v[14:15], off
	s_or_b64 exec, exec, s[6:7]
	s_and_saveexec_b64 s[6:7], vcc
	s_cbranch_execz .LBB218_11
.LBB218_14:
	s_mov_b32 s2, 0x652b82fe
	s_mov_b32 s3, 0x3ff71547
	s_waitcnt vmcnt(0)
	v_mul_f64 v[14:15], v[12:13], s[2:3]
	s_mov_b32 s2, 0xfefa39ef
	v_rndne_f64_e32 v[14:15], v[14:15]
	s_mov_b32 s3, 0xbfe62e42
	v_fma_f64 v[16:17], s[2:3], v[14:15], v[12:13]
	s_mov_b32 s2, 0x3b39803f
	s_mov_b32 s3, 0xbc7abc9e
	v_fmac_f64_e32 v[16:17], s[2:3], v[14:15]
	s_mov_b32 s2, 0x6a5dcb37
	v_mov_b32_e32 v24, 0xfca7ab0c
	v_mov_b32_e32 v25, 0x3e928af3
	s_mov_b32 s3, 0x3e5ade15
	v_fmac_f64_e32 v[24:25], s[2:3], v[16:17]
	v_mov_b32_e32 v28, 0x623fde64
	v_mov_b32_e32 v29, 0x3ec71dee
	v_fmac_f64_e32 v[28:29], v[16:17], v[24:25]
	v_mov_b32_e32 v24, 0x7c89e6b0
	v_mov_b32_e32 v25, 0x3efa0199
	;; [unrolled: 3-line block ×8, first 2 shown]
	v_fmac_f64_e32 v[24:25], v[16:17], v[28:29]
	v_fma_f64 v[24:25], v[16:17], v[24:25], 1.0
	s_mov_b32 s2, 0
	s_mov_b32 s4, 0
	v_fma_f64 v[16:17], v[16:17], v[24:25], 1.0
	v_cvt_i32_f64_e32 v14, v[14:15]
	s_mov_b32 s3, 0x40900000
	s_mov_b32 s5, 0xc090cc00
	v_ldexp_f64 v[14:15], v[16:17], v14
	v_mov_b32_e32 v16, 0x7ff00000
	v_cmp_nlt_f64_e64 s[2:3], s[2:3], v[12:13]
	v_cmp_ngt_f64_e64 s[4:5], s[4:5], v[12:13]
	v_cndmask_b32_e64 v15, v16, v15, s[2:3]
	s_and_b64 s[2:3], s[4:5], s[2:3]
	v_cndmask_b32_e64 v13, 0, v15, s[4:5]
	v_cndmask_b32_e64 v12, 0, v14, s[2:3]
	v_fma_f64 v[10:11], -v[22:23], v[12:13], v[10:11]
	global_store_dwordx2 v[8:9], v[10:11], off offset:512
	s_or_b64 exec, exec, s[6:7]
	v_cmp_ne_u32_e64 s[2:3], 1, v26
	s_and_b64 exec, exec, s[2:3]
	s_cbranch_execz .LBB218_12
.LBB218_15:
	s_waitcnt lgkmcnt(0)
	v_add_f64 v[10:11], v[18:19], v[20:21]
	s_and_saveexec_b64 s[4:5], s[0:1]
	s_cbranch_execz .LBB218_17
; %bb.16:
	s_mov_b32 s0, 0x652b82fe
	s_mov_b32 s1, 0x3ff71547
	s_waitcnt vmcnt(0)
	v_mul_f64 v[12:13], v[6:7], s[0:1]
	s_mov_b32 s0, 0xfefa39ef
	v_rndne_f64_e32 v[12:13], v[12:13]
	s_mov_b32 s1, 0xbfe62e42
	v_fma_f64 v[14:15], s[0:1], v[12:13], v[6:7]
	s_mov_b32 s0, 0x3b39803f
	s_mov_b32 s1, 0xbc7abc9e
	v_fmac_f64_e32 v[14:15], s[0:1], v[12:13]
	s_mov_b32 s0, 0x6a5dcb37
	v_mov_b32_e32 v16, 0xfca7ab0c
	v_mov_b32_e32 v17, 0x3e928af3
	s_mov_b32 s1, 0x3e5ade15
	v_fmac_f64_e32 v[16:17], s[0:1], v[14:15]
	v_mov_b32_e32 v18, 0x623fde64
	v_mov_b32_e32 v19, 0x3ec71dee
	v_fmac_f64_e32 v[18:19], v[14:15], v[16:17]
	v_mov_b32_e32 v16, 0x7c89e6b0
	v_mov_b32_e32 v17, 0x3efa0199
	;; [unrolled: 3-line block ×8, first 2 shown]
	v_fmac_f64_e32 v[16:17], v[14:15], v[18:19]
	v_fma_f64 v[16:17], v[14:15], v[16:17], 1.0
	s_mov_b32 s0, 0
	s_mov_b32 s2, 0
	v_fma_f64 v[14:15], v[14:15], v[16:17], 1.0
	v_cvt_i32_f64_e32 v12, v[12:13]
	s_mov_b32 s1, 0x40900000
	s_mov_b32 s3, 0xc090cc00
	v_ldexp_f64 v[12:13], v[14:15], v12
	v_mov_b32_e32 v14, 0x7ff00000
	v_cmp_nlt_f64_e64 s[0:1], s[0:1], v[6:7]
	v_cmp_ngt_f64_e64 s[2:3], s[2:3], v[6:7]
	v_cndmask_b32_e64 v13, v14, v13, s[0:1]
	s_mov_b32 s11, 0
	s_and_b64 s[0:1], s[2:3], s[0:1]
	v_cndmask_b32_e64 v7, 0, v13, s[2:3]
	v_cndmask_b32_e64 v6, 0, v12, s[0:1]
	s_lshl_b64 s[0:1], s[10:11], 3
	v_fma_f64 v[4:5], -v[10:11], v[6:7], v[4:5]
	v_mov_b32_e32 v7, s1
	v_add_co_u32_e64 v6, s[0:1], s0, v8
	v_addc_co_u32_e64 v7, s[0:1], v9, v7, s[0:1]
	global_store_dwordx2 v[6:7], v[4:5], off
.LBB218_17:
	s_or_b64 exec, exec, s[4:5]
	s_and_b64 exec, exec, vcc
	s_cbranch_execz .LBB218_12
; %bb.18:
	s_mov_b32 s0, 0x652b82fe
	s_mov_b32 s1, 0x3ff71547
	s_waitcnt vmcnt(0)
	v_mul_f64 v[4:5], v[2:3], s[0:1]
	s_mov_b32 s0, 0xfefa39ef
	v_rndne_f64_e32 v[4:5], v[4:5]
	s_mov_b32 s1, 0xbfe62e42
	v_fma_f64 v[6:7], s[0:1], v[4:5], v[2:3]
	s_mov_b32 s0, 0x3b39803f
	s_mov_b32 s1, 0xbc7abc9e
	v_fmac_f64_e32 v[6:7], s[0:1], v[4:5]
	s_mov_b32 s0, 0x6a5dcb37
	v_mov_b32_e32 v12, 0xfca7ab0c
	v_mov_b32_e32 v13, 0x3e928af3
	s_mov_b32 s1, 0x3e5ade15
	v_fmac_f64_e32 v[12:13], s[0:1], v[6:7]
	v_mov_b32_e32 v14, 0x623fde64
	v_mov_b32_e32 v15, 0x3ec71dee
	v_fmac_f64_e32 v[14:15], v[6:7], v[12:13]
	v_mov_b32_e32 v12, 0x7c89e6b0
	v_mov_b32_e32 v13, 0x3efa0199
	;; [unrolled: 3-line block ×8, first 2 shown]
	s_mov_b32 s0, 0
	v_fmac_f64_e32 v[12:13], v[6:7], v[14:15]
	s_mov_b32 s1, 0x40900000
	v_fma_f64 v[12:13], v[6:7], v[12:13], 1.0
	v_cmp_nlt_f64_e32 vcc, s[0:1], v[2:3]
	s_mov_b32 s0, 0
	v_fma_f64 v[6:7], v[6:7], v[12:13], 1.0
	v_cvt_i32_f64_e32 v4, v[4:5]
	s_mov_b32 s1, 0xc090cc00
	v_ldexp_f64 v[4:5], v[6:7], v4
	v_mov_b32_e32 v6, 0x7ff00000
	v_cmp_ngt_f64_e64 s[0:1], s[0:1], v[2:3]
	v_cndmask_b32_e32 v5, v6, v5, vcc
	s_and_b64 vcc, s[0:1], vcc
	s_ashr_i32 s11, s10, 31
	v_cndmask_b32_e64 v3, 0, v5, s[0:1]
	v_cndmask_b32_e32 v2, 0, v4, vcc
	s_lshl_b64 s[0:1], s[10:11], 3
	v_fma_f64 v[0:1], -v[10:11], v[2:3], v[0:1]
	v_mov_b32_e32 v3, s1
	v_add_co_u32_e32 v2, vcc, s0, v8
	v_addc_co_u32_e32 v3, vcc, v9, v3, vcc
	global_store_dwordx2 v[2:3], v[0:1], off offset:512
	s_endpgm
	.section	.rodata,"a",@progbits
	.p2align	6, 0x0
	.amdhsa_kernel _ZN12_GLOBAL__N_121softmax_warp_backwardIdddLi7ELb1ELb0ELi64EEEvPT0_PKT_S5_iiiPKb
		.amdhsa_group_segment_fixed_size 0
		.amdhsa_private_segment_fixed_size 0
		.amdhsa_kernarg_size 304
		.amdhsa_user_sgpr_count 6
		.amdhsa_user_sgpr_private_segment_buffer 1
		.amdhsa_user_sgpr_dispatch_ptr 0
		.amdhsa_user_sgpr_queue_ptr 0
		.amdhsa_user_sgpr_kernarg_segment_ptr 1
		.amdhsa_user_sgpr_dispatch_id 0
		.amdhsa_user_sgpr_flat_scratch_init 0
		.amdhsa_user_sgpr_kernarg_preload_length 0
		.amdhsa_user_sgpr_kernarg_preload_offset 0
		.amdhsa_user_sgpr_private_segment_size 0
		.amdhsa_uses_dynamic_stack 0
		.amdhsa_system_sgpr_private_segment_wavefront_offset 0
		.amdhsa_system_sgpr_workgroup_id_x 1
		.amdhsa_system_sgpr_workgroup_id_y 0
		.amdhsa_system_sgpr_workgroup_id_z 0
		.amdhsa_system_sgpr_workgroup_info 0
		.amdhsa_system_vgpr_workitem_id 1
		.amdhsa_next_free_vgpr 34
		.amdhsa_next_free_sgpr 16
		.amdhsa_accum_offset 36
		.amdhsa_reserve_vcc 1
		.amdhsa_reserve_flat_scratch 0
		.amdhsa_float_round_mode_32 0
		.amdhsa_float_round_mode_16_64 0
		.amdhsa_float_denorm_mode_32 3
		.amdhsa_float_denorm_mode_16_64 3
		.amdhsa_dx10_clamp 1
		.amdhsa_ieee_mode 1
		.amdhsa_fp16_overflow 0
		.amdhsa_tg_split 0
		.amdhsa_exception_fp_ieee_invalid_op 0
		.amdhsa_exception_fp_denorm_src 0
		.amdhsa_exception_fp_ieee_div_zero 0
		.amdhsa_exception_fp_ieee_overflow 0
		.amdhsa_exception_fp_ieee_underflow 0
		.amdhsa_exception_fp_ieee_inexact 0
		.amdhsa_exception_int_div_zero 0
	.end_amdhsa_kernel
	.section	.text._ZN12_GLOBAL__N_121softmax_warp_backwardIdddLi7ELb1ELb0ELi64EEEvPT0_PKT_S5_iiiPKb,"axG",@progbits,_ZN12_GLOBAL__N_121softmax_warp_backwardIdddLi7ELb1ELb0ELi64EEEvPT0_PKT_S5_iiiPKb,comdat
.Lfunc_end218:
	.size	_ZN12_GLOBAL__N_121softmax_warp_backwardIdddLi7ELb1ELb0ELi64EEEvPT0_PKT_S5_iiiPKb, .Lfunc_end218-_ZN12_GLOBAL__N_121softmax_warp_backwardIdddLi7ELb1ELb0ELi64EEEvPT0_PKT_S5_iiiPKb
                                        ; -- End function
	.section	.AMDGPU.csdata,"",@progbits
; Kernel info:
; codeLenInByte = 2684
; NumSgprs: 20
; NumVgprs: 34
; NumAgprs: 0
; TotalNumVgprs: 34
; ScratchSize: 0
; MemoryBound: 0
; FloatMode: 240
; IeeeMode: 1
; LDSByteSize: 0 bytes/workgroup (compile time only)
; SGPRBlocks: 2
; VGPRBlocks: 4
; NumSGPRsForWavesPerEU: 20
; NumVGPRsForWavesPerEU: 34
; AccumOffset: 36
; Occupancy: 8
; WaveLimiterHint : 0
; COMPUTE_PGM_RSRC2:SCRATCH_EN: 0
; COMPUTE_PGM_RSRC2:USER_SGPR: 6
; COMPUTE_PGM_RSRC2:TRAP_HANDLER: 0
; COMPUTE_PGM_RSRC2:TGID_X_EN: 1
; COMPUTE_PGM_RSRC2:TGID_Y_EN: 0
; COMPUTE_PGM_RSRC2:TGID_Z_EN: 0
; COMPUTE_PGM_RSRC2:TIDIG_COMP_CNT: 1
; COMPUTE_PGM_RSRC3_GFX90A:ACCUM_OFFSET: 8
; COMPUTE_PGM_RSRC3_GFX90A:TG_SPLIT: 0
	.section	.text._ZN12_GLOBAL__N_121softmax_warp_backwardIdddLi7ELb1ELb0ELi32EEEvPT0_PKT_S5_iiiPKb,"axG",@progbits,_ZN12_GLOBAL__N_121softmax_warp_backwardIdddLi7ELb1ELb0ELi32EEEvPT0_PKT_S5_iiiPKb,comdat
	.globl	_ZN12_GLOBAL__N_121softmax_warp_backwardIdddLi7ELb1ELb0ELi32EEEvPT0_PKT_S5_iiiPKb ; -- Begin function _ZN12_GLOBAL__N_121softmax_warp_backwardIdddLi7ELb1ELb0ELi32EEEvPT0_PKT_S5_iiiPKb
	.p2align	8
	.type	_ZN12_GLOBAL__N_121softmax_warp_backwardIdddLi7ELb1ELb0ELi32EEEvPT0_PKT_S5_iiiPKb,@function
_ZN12_GLOBAL__N_121softmax_warp_backwardIdddLi7ELb1ELb0ELi32EEEvPT0_PKT_S5_iiiPKb: ; @_ZN12_GLOBAL__N_121softmax_warp_backwardIdddLi7ELb1ELb0ELi32EEEvPT0_PKT_S5_iiiPKb
; %bb.0:
	s_load_dword s2, s[4:5], 0x3c
	s_load_dwordx4 s[12:15], s[4:5], 0x18
	s_load_dwordx4 s[16:19], s[4:5], 0x0
	s_load_dwordx2 s[0:1], s[4:5], 0x10
	v_bfe_u32 v1, v0, 10, 10
	s_waitcnt lgkmcnt(0)
	s_lshr_b32 s2, s2, 16
	s_mul_i32 s6, s6, s2
	v_add_lshl_u32 v1, s6, v1, 1
	v_and_b32_e32 v0, 31, v0
	v_mad_u64_u32 v[2:3], s[2:3], v1, s13, v[0:1]
	v_ashrrev_i32_e32 v3, 31, v2
	v_lshlrev_b64 v[32:33], 3, v[2:3]
	v_sub_u32_e32 v42, s12, v1
	v_mov_b32_e32 v1, s19
	v_add_co_u32_e32 v28, vcc, s18, v32
	v_addc_co_u32_e32 v29, vcc, v1, v33, vcc
	v_mov_b32_e32 v1, s1
	v_add_co_u32_e32 v30, vcc, s0, v32
	v_cmp_lt_i32_e64 s[6:7], 0, v42
	v_cmp_gt_i32_e64 s[4:5], s14, v0
	v_pk_mov_b32 v[24:25], 0, 0
	v_addc_co_u32_e32 v31, vcc, v1, v33, vcc
	s_and_b64 s[2:3], s[6:7], s[4:5]
	v_pk_mov_b32 v[36:37], v[24:25], v[24:25] op_sel:[0,1]
	v_pk_mov_b32 v[38:39], v[24:25], v[24:25] op_sel:[0,1]
	s_and_saveexec_b64 s[0:1], s[2:3]
	s_cbranch_execz .LBB219_2
; %bb.1:
	global_load_dwordx2 v[36:37], v[28:29], off
	global_load_dwordx2 v[38:39], v[30:31], off
.LBB219_2:
	s_or_b64 exec, exec, s[0:1]
	v_or_b32_e32 v1, 32, v0
	v_cmp_gt_i32_e64 s[2:3], s14, v1
	s_and_b64 s[8:9], s[6:7], s[2:3]
	v_pk_mov_b32 v[26:27], v[24:25], v[24:25] op_sel:[0,1]
	s_and_saveexec_b64 s[0:1], s[8:9]
	s_cbranch_execz .LBB219_4
; %bb.3:
	global_load_dwordx2 v[24:25], v[28:29], off offset:256
	global_load_dwordx2 v[26:27], v[30:31], off offset:256
.LBB219_4:
	s_or_b64 exec, exec, s[0:1]
	v_or_b32_e32 v1, 64, v0
	v_cmp_gt_i32_e64 s[0:1], s14, v1
	v_pk_mov_b32 v[16:17], 0, 0
	s_and_b64 s[10:11], s[6:7], s[0:1]
	v_pk_mov_b32 v[20:21], v[16:17], v[16:17] op_sel:[0,1]
	v_pk_mov_b32 v[22:23], v[16:17], v[16:17] op_sel:[0,1]
	s_and_saveexec_b64 s[8:9], s[10:11]
	s_cbranch_execz .LBB219_6
; %bb.5:
	global_load_dwordx2 v[20:21], v[28:29], off offset:512
	global_load_dwordx2 v[22:23], v[30:31], off offset:512
.LBB219_6:
	s_or_b64 exec, exec, s[8:9]
	v_or_b32_e32 v0, 0x60, v0
	v_cmp_gt_i32_e32 vcc, s14, v0
	s_and_b64 s[10:11], s[6:7], vcc
	v_pk_mov_b32 v[18:19], v[16:17], v[16:17] op_sel:[0,1]
	s_and_saveexec_b64 s[8:9], s[10:11]
	s_cbranch_execz .LBB219_8
; %bb.7:
	global_load_dwordx2 v[16:17], v[28:29], off offset:768
	global_load_dwordx2 v[18:19], v[30:31], off offset:768
.LBB219_8:
	s_or_b64 exec, exec, s[8:9]
	v_cmp_lt_i32_e64 s[8:9], 1, v42
	v_pk_mov_b32 v[8:9], 0, 0
	s_and_b64 s[10:11], s[8:9], s[4:5]
	v_pk_mov_b32 v[12:13], v[8:9], v[8:9] op_sel:[0,1]
	v_pk_mov_b32 v[14:15], v[8:9], v[8:9] op_sel:[0,1]
	s_and_saveexec_b64 s[12:13], s[10:11]
	s_cbranch_execz .LBB219_10
; %bb.9:
	s_mov_b32 s15, 0
	s_lshl_b64 s[18:19], s[14:15], 3
	v_mov_b32_e32 v2, s19
	v_add_co_u32_e64 v0, s[10:11], s18, v28
	v_addc_co_u32_e64 v1, s[10:11], v29, v2, s[10:11]
	global_load_dwordx2 v[12:13], v[0:1], off
	v_add_co_u32_e64 v0, s[10:11], s18, v30
	v_addc_co_u32_e64 v1, s[10:11], v31, v2, s[10:11]
	global_load_dwordx2 v[14:15], v[0:1], off
.LBB219_10:
	s_or_b64 exec, exec, s[12:13]
	s_and_b64 s[10:11], s[8:9], s[2:3]
	v_pk_mov_b32 v[10:11], v[8:9], v[8:9] op_sel:[0,1]
	s_and_saveexec_b64 s[12:13], s[10:11]
	s_cbranch_execz .LBB219_12
; %bb.11:
	s_mov_b32 s15, 0
	s_lshl_b64 s[18:19], s[14:15], 3
	v_mov_b32_e32 v2, s19
	v_add_co_u32_e64 v0, s[10:11], s18, v28
	v_addc_co_u32_e64 v1, s[10:11], v29, v2, s[10:11]
	global_load_dwordx2 v[8:9], v[0:1], off offset:256
	v_add_co_u32_e64 v0, s[10:11], s18, v30
	v_addc_co_u32_e64 v1, s[10:11], v31, v2, s[10:11]
	global_load_dwordx2 v[10:11], v[0:1], off offset:256
.LBB219_12:
	s_or_b64 exec, exec, s[12:13]
	v_pk_mov_b32 v[0:1], 0, 0
	s_and_b64 s[10:11], s[8:9], s[0:1]
	v_pk_mov_b32 v[4:5], v[0:1], v[0:1] op_sel:[0,1]
	v_pk_mov_b32 v[6:7], v[0:1], v[0:1] op_sel:[0,1]
	s_and_saveexec_b64 s[12:13], s[10:11]
	s_cbranch_execz .LBB219_14
; %bb.13:
	s_mov_b32 s15, 0
	s_lshl_b64 s[18:19], s[14:15], 3
	v_mov_b32_e32 v6, s19
	v_add_co_u32_e64 v2, s[10:11], s18, v28
	v_addc_co_u32_e64 v3, s[10:11], v29, v6, s[10:11]
	global_load_dwordx2 v[4:5], v[2:3], off offset:512
	v_add_co_u32_e64 v2, s[10:11], s18, v30
	v_addc_co_u32_e64 v3, s[10:11], v31, v6, s[10:11]
	global_load_dwordx2 v[6:7], v[2:3], off offset:512
.LBB219_14:
	s_or_b64 exec, exec, s[12:13]
	s_and_b64 s[8:9], s[8:9], vcc
	v_pk_mov_b32 v[2:3], v[0:1], v[0:1] op_sel:[0,1]
	s_and_saveexec_b64 s[10:11], s[8:9]
	s_cbranch_execz .LBB219_16
; %bb.15:
	s_mov_b32 s15, 0
	s_lshl_b64 s[12:13], s[14:15], 3
	v_mov_b32_e32 v3, s13
	v_add_co_u32_e64 v0, s[8:9], s12, v28
	v_addc_co_u32_e64 v1, s[8:9], v29, v3, s[8:9]
	v_add_co_u32_e64 v2, s[8:9], s12, v30
	v_addc_co_u32_e64 v3, s[8:9], v31, v3, s[8:9]
	global_load_dwordx2 v[0:1], v[0:1], off offset:768
	s_nop 0
	global_load_dwordx2 v[2:3], v[2:3], off offset:768
.LBB219_16:
	s_or_b64 exec, exec, s[10:11]
	v_mbcnt_lo_u32_b32 v34, -1, 0
	v_mbcnt_hi_u32_b32 v43, -1, v34
	v_and_b32_e32 v34, 0x60, v43
	s_waitcnt vmcnt(1)
	v_add_f64 v[28:29], v[36:37], 0
	v_add_u32_e32 v44, 32, v34
	v_xor_b32_e32 v34, 16, v43
	v_add_f64 v[28:29], v[28:29], v[24:25]
	v_cmp_lt_i32_e64 s[8:9], v34, v44
	v_add_f64 v[28:29], v[28:29], v[20:21]
	v_cndmask_b32_e64 v34, v43, v34, s[8:9]
	v_add_f64 v[28:29], v[28:29], v[16:17]
	v_add_f64 v[30:31], v[12:13], 0
	v_lshlrev_b32_e32 v41, 2, v34
	v_add_f64 v[30:31], v[30:31], v[8:9]
	ds_bpermute_b32 v34, v41, v28
	ds_bpermute_b32 v35, v41, v29
	v_add_f64 v[30:31], v[30:31], v[4:5]
	v_add_f64 v[30:31], v[30:31], v[0:1]
	ds_bpermute_b32 v40, v41, v30
	ds_bpermute_b32 v41, v41, v31
	s_waitcnt lgkmcnt(2)
	v_add_f64 v[28:29], v[28:29], v[34:35]
	v_xor_b32_e32 v34, 8, v43
	v_cmp_lt_i32_e64 s[8:9], v34, v44
	v_cndmask_b32_e64 v34, v43, v34, s[8:9]
	s_waitcnt lgkmcnt(0)
	v_add_f64 v[30:31], v[30:31], v[40:41]
	v_lshlrev_b32_e32 v41, 2, v34
	ds_bpermute_b32 v34, v41, v28
	ds_bpermute_b32 v35, v41, v29
	ds_bpermute_b32 v40, v41, v30
	ds_bpermute_b32 v41, v41, v31
	s_waitcnt lgkmcnt(2)
	v_add_f64 v[28:29], v[28:29], v[34:35]
	v_xor_b32_e32 v34, 4, v43
	v_cmp_lt_i32_e64 s[8:9], v34, v44
	v_cndmask_b32_e64 v34, v43, v34, s[8:9]
	s_waitcnt lgkmcnt(0)
	v_add_f64 v[30:31], v[30:31], v[40:41]
	v_lshlrev_b32_e32 v41, 2, v34
	ds_bpermute_b32 v34, v41, v28
	ds_bpermute_b32 v35, v41, v29
	;; [unrolled: 12-line block ×3, first 2 shown]
	ds_bpermute_b32 v40, v41, v30
	ds_bpermute_b32 v41, v41, v31
	s_waitcnt lgkmcnt(2)
	v_add_f64 v[34:35], v[28:29], v[34:35]
	s_waitcnt lgkmcnt(0)
	v_add_f64 v[28:29], v[30:31], v[40:41]
	v_xor_b32_e32 v30, 1, v43
	v_cmp_lt_i32_e64 s[8:9], v30, v44
	v_cndmask_b32_e64 v30, v43, v30, s[8:9]
	v_lshlrev_b32_e32 v31, 2, v30
	ds_bpermute_b32 v40, v31, v34
	ds_bpermute_b32 v41, v31, v35
	;; [unrolled: 1-line block ×4, first 2 shown]
	s_and_saveexec_b64 s[8:9], s[6:7]
	s_cbranch_execz .LBB219_22
; %bb.17:
	v_mov_b32_e32 v43, s17
	v_add_co_u32_e64 v32, s[6:7], s16, v32
	v_addc_co_u32_e64 v33, s[6:7], v43, v33, s[6:7]
	s_waitcnt lgkmcnt(2)
	v_add_f64 v[34:35], v[34:35], v[40:41]
	s_and_saveexec_b64 s[10:11], s[4:5]
	s_cbranch_execnz .LBB219_23
; %bb.18:
	s_or_b64 exec, exec, s[10:11]
	s_and_saveexec_b64 s[10:11], s[2:3]
	s_cbranch_execnz .LBB219_24
.LBB219_19:
	s_or_b64 exec, exec, s[10:11]
	s_and_saveexec_b64 s[10:11], s[0:1]
	s_cbranch_execnz .LBB219_25
.LBB219_20:
	s_or_b64 exec, exec, s[10:11]
	s_and_saveexec_b64 s[10:11], vcc
	s_cbranch_execnz .LBB219_26
.LBB219_21:
	s_or_b64 exec, exec, s[10:11]
	v_cmp_ne_u32_e64 s[6:7], 1, v42
	s_and_b64 exec, exec, s[6:7]
	s_cbranch_execnz .LBB219_27
.LBB219_22:
	s_endpgm
.LBB219_23:
	s_mov_b32 s6, 0x652b82fe
	s_mov_b32 s7, 0x3ff71547
	s_waitcnt vmcnt(0)
	v_mul_f64 v[40:41], v[38:39], s[6:7]
	s_mov_b32 s6, 0xfefa39ef
	v_rndne_f64_e32 v[40:41], v[40:41]
	s_mov_b32 s7, 0xbfe62e42
	v_fma_f64 v[44:45], s[6:7], v[40:41], v[38:39]
	s_mov_b32 s6, 0x3b39803f
	s_mov_b32 s7, 0xbc7abc9e
	v_fmac_f64_e32 v[44:45], s[6:7], v[40:41]
	s_mov_b32 s6, 0x6a5dcb37
	v_mov_b32_e32 v46, 0xfca7ab0c
	v_mov_b32_e32 v47, 0x3e928af3
	s_mov_b32 s7, 0x3e5ade15
	v_fmac_f64_e32 v[46:47], s[6:7], v[44:45]
	v_mov_b32_e32 v48, 0x623fde64
	v_mov_b32_e32 v49, 0x3ec71dee
	v_fmac_f64_e32 v[48:49], v[44:45], v[46:47]
	v_mov_b32_e32 v46, 0x7c89e6b0
	v_mov_b32_e32 v47, 0x3efa0199
	;; [unrolled: 3-line block ×8, first 2 shown]
	v_fmac_f64_e32 v[46:47], v[44:45], v[48:49]
	v_fma_f64 v[46:47], v[44:45], v[46:47], 1.0
	s_mov_b32 s6, 0
	s_mov_b32 s8, 0
	v_fma_f64 v[44:45], v[44:45], v[46:47], 1.0
	v_cvt_i32_f64_e32 v40, v[40:41]
	s_mov_b32 s7, 0x40900000
	s_mov_b32 s9, 0xc090cc00
	v_ldexp_f64 v[40:41], v[44:45], v40
	v_mov_b32_e32 v43, 0x7ff00000
	v_cmp_nlt_f64_e64 s[6:7], s[6:7], v[38:39]
	v_cmp_ngt_f64_e64 s[8:9], s[8:9], v[38:39]
	v_cndmask_b32_e64 v41, v43, v41, s[6:7]
	s_and_b64 s[6:7], s[8:9], s[6:7]
	v_cndmask_b32_e64 v39, 0, v41, s[8:9]
	v_cndmask_b32_e64 v38, 0, v40, s[6:7]
	v_fma_f64 v[36:37], -v[34:35], v[38:39], v[36:37]
	global_store_dwordx2 v[32:33], v[36:37], off
	s_or_b64 exec, exec, s[10:11]
	s_and_saveexec_b64 s[10:11], s[2:3]
	s_cbranch_execz .LBB219_19
.LBB219_24:
	s_mov_b32 s6, 0x652b82fe
	s_mov_b32 s7, 0x3ff71547
	s_waitcnt vmcnt(0)
	v_mul_f64 v[36:37], v[26:27], s[6:7]
	s_mov_b32 s6, 0xfefa39ef
	v_rndne_f64_e32 v[36:37], v[36:37]
	s_mov_b32 s7, 0xbfe62e42
	v_fma_f64 v[38:39], s[6:7], v[36:37], v[26:27]
	s_mov_b32 s6, 0x3b39803f
	s_mov_b32 s7, 0xbc7abc9e
	v_fmac_f64_e32 v[38:39], s[6:7], v[36:37]
	s_mov_b32 s6, 0x6a5dcb37
	v_mov_b32_e32 v40, 0xfca7ab0c
	v_mov_b32_e32 v41, 0x3e928af3
	s_mov_b32 s7, 0x3e5ade15
	v_fmac_f64_e32 v[40:41], s[6:7], v[38:39]
	v_mov_b32_e32 v44, 0x623fde64
	v_mov_b32_e32 v45, 0x3ec71dee
	v_fmac_f64_e32 v[44:45], v[38:39], v[40:41]
	v_mov_b32_e32 v40, 0x7c89e6b0
	v_mov_b32_e32 v41, 0x3efa0199
	;; [unrolled: 3-line block ×8, first 2 shown]
	v_fmac_f64_e32 v[40:41], v[38:39], v[44:45]
	v_fma_f64 v[40:41], v[38:39], v[40:41], 1.0
	s_mov_b32 s6, 0
	s_mov_b32 s8, 0
	v_fma_f64 v[38:39], v[38:39], v[40:41], 1.0
	v_cvt_i32_f64_e32 v36, v[36:37]
	s_mov_b32 s7, 0x40900000
	s_mov_b32 s9, 0xc090cc00
	v_ldexp_f64 v[36:37], v[38:39], v36
	v_mov_b32_e32 v38, 0x7ff00000
	v_cmp_nlt_f64_e64 s[6:7], s[6:7], v[26:27]
	v_cmp_ngt_f64_e64 s[8:9], s[8:9], v[26:27]
	v_cndmask_b32_e64 v37, v38, v37, s[6:7]
	s_and_b64 s[6:7], s[8:9], s[6:7]
	v_cndmask_b32_e64 v27, 0, v37, s[8:9]
	v_cndmask_b32_e64 v26, 0, v36, s[6:7]
	v_fma_f64 v[24:25], -v[34:35], v[26:27], v[24:25]
	global_store_dwordx2 v[32:33], v[24:25], off offset:256
	s_or_b64 exec, exec, s[10:11]
	s_and_saveexec_b64 s[10:11], s[0:1]
	s_cbranch_execz .LBB219_20
.LBB219_25:
	s_mov_b32 s6, 0x652b82fe
	s_mov_b32 s7, 0x3ff71547
	s_waitcnt vmcnt(0)
	v_mul_f64 v[24:25], v[22:23], s[6:7]
	s_mov_b32 s6, 0xfefa39ef
	v_rndne_f64_e32 v[24:25], v[24:25]
	s_mov_b32 s7, 0xbfe62e42
	v_fma_f64 v[26:27], s[6:7], v[24:25], v[22:23]
	s_mov_b32 s6, 0x3b39803f
	s_mov_b32 s7, 0xbc7abc9e
	v_fmac_f64_e32 v[26:27], s[6:7], v[24:25]
	s_mov_b32 s6, 0x6a5dcb37
	v_mov_b32_e32 v36, 0xfca7ab0c
	v_mov_b32_e32 v37, 0x3e928af3
	s_mov_b32 s7, 0x3e5ade15
	v_fmac_f64_e32 v[36:37], s[6:7], v[26:27]
	v_mov_b32_e32 v38, 0x623fde64
	v_mov_b32_e32 v39, 0x3ec71dee
	v_fmac_f64_e32 v[38:39], v[26:27], v[36:37]
	v_mov_b32_e32 v36, 0x7c89e6b0
	v_mov_b32_e32 v37, 0x3efa0199
	;; [unrolled: 3-line block ×8, first 2 shown]
	v_fmac_f64_e32 v[36:37], v[26:27], v[38:39]
	v_fma_f64 v[36:37], v[26:27], v[36:37], 1.0
	s_mov_b32 s6, 0
	s_mov_b32 s8, 0
	v_fma_f64 v[26:27], v[26:27], v[36:37], 1.0
	v_cvt_i32_f64_e32 v24, v[24:25]
	s_mov_b32 s7, 0x40900000
	s_mov_b32 s9, 0xc090cc00
	v_ldexp_f64 v[24:25], v[26:27], v24
	v_mov_b32_e32 v26, 0x7ff00000
	v_cmp_nlt_f64_e64 s[6:7], s[6:7], v[22:23]
	v_cmp_ngt_f64_e64 s[8:9], s[8:9], v[22:23]
	v_cndmask_b32_e64 v25, v26, v25, s[6:7]
	s_and_b64 s[6:7], s[8:9], s[6:7]
	v_cndmask_b32_e64 v23, 0, v25, s[8:9]
	v_cndmask_b32_e64 v22, 0, v24, s[6:7]
	v_fma_f64 v[20:21], -v[34:35], v[22:23], v[20:21]
	global_store_dwordx2 v[32:33], v[20:21], off offset:512
	s_or_b64 exec, exec, s[10:11]
	s_and_saveexec_b64 s[10:11], vcc
	s_cbranch_execz .LBB219_21
.LBB219_26:
	s_mov_b32 s6, 0x652b82fe
	s_mov_b32 s7, 0x3ff71547
	s_waitcnt vmcnt(0)
	v_mul_f64 v[20:21], v[18:19], s[6:7]
	s_mov_b32 s6, 0xfefa39ef
	v_rndne_f64_e32 v[20:21], v[20:21]
	s_mov_b32 s7, 0xbfe62e42
	v_fma_f64 v[22:23], s[6:7], v[20:21], v[18:19]
	s_mov_b32 s6, 0x3b39803f
	s_mov_b32 s7, 0xbc7abc9e
	v_fmac_f64_e32 v[22:23], s[6:7], v[20:21]
	s_mov_b32 s6, 0x6a5dcb37
	v_mov_b32_e32 v24, 0xfca7ab0c
	v_mov_b32_e32 v25, 0x3e928af3
	s_mov_b32 s7, 0x3e5ade15
	v_fmac_f64_e32 v[24:25], s[6:7], v[22:23]
	v_mov_b32_e32 v26, 0x623fde64
	v_mov_b32_e32 v27, 0x3ec71dee
	v_fmac_f64_e32 v[26:27], v[22:23], v[24:25]
	v_mov_b32_e32 v24, 0x7c89e6b0
	v_mov_b32_e32 v25, 0x3efa0199
	;; [unrolled: 3-line block ×8, first 2 shown]
	v_fmac_f64_e32 v[24:25], v[22:23], v[26:27]
	v_fma_f64 v[24:25], v[22:23], v[24:25], 1.0
	s_mov_b32 s6, 0
	s_mov_b32 s8, 0
	v_fma_f64 v[22:23], v[22:23], v[24:25], 1.0
	v_cvt_i32_f64_e32 v20, v[20:21]
	s_mov_b32 s7, 0x40900000
	s_mov_b32 s9, 0xc090cc00
	v_ldexp_f64 v[20:21], v[22:23], v20
	v_mov_b32_e32 v22, 0x7ff00000
	v_cmp_nlt_f64_e64 s[6:7], s[6:7], v[18:19]
	v_cmp_ngt_f64_e64 s[8:9], s[8:9], v[18:19]
	v_cndmask_b32_e64 v21, v22, v21, s[6:7]
	s_and_b64 s[6:7], s[8:9], s[6:7]
	v_cndmask_b32_e64 v19, 0, v21, s[8:9]
	v_cndmask_b32_e64 v18, 0, v20, s[6:7]
	v_fma_f64 v[16:17], -v[34:35], v[18:19], v[16:17]
	global_store_dwordx2 v[32:33], v[16:17], off offset:768
	s_or_b64 exec, exec, s[10:11]
	v_cmp_ne_u32_e64 s[6:7], 1, v42
	s_and_b64 exec, exec, s[6:7]
	s_cbranch_execz .LBB219_22
.LBB219_27:
	s_ashr_i32 s15, s14, 31
	s_lshl_b64 s[6:7], s[14:15], 3
	s_waitcnt vmcnt(0)
	v_mov_b32_e32 v19, s7
	v_add_co_u32_e64 v18, s[6:7], s6, v32
	s_waitcnt lgkmcnt(0)
	v_add_f64 v[16:17], v[28:29], v[30:31]
	v_addc_co_u32_e64 v19, s[6:7], v33, v19, s[6:7]
	s_and_saveexec_b64 s[8:9], s[4:5]
	s_cbranch_execnz .LBB219_31
; %bb.28:
	s_or_b64 exec, exec, s[8:9]
	s_and_saveexec_b64 s[6:7], s[2:3]
	s_cbranch_execnz .LBB219_32
.LBB219_29:
	s_or_b64 exec, exec, s[6:7]
	s_and_saveexec_b64 s[4:5], s[0:1]
	s_cbranch_execnz .LBB219_33
.LBB219_30:
	s_or_b64 exec, exec, s[4:5]
	s_and_b64 exec, exec, vcc
	s_cbranch_execz .LBB219_22
	s_branch .LBB219_34
.LBB219_31:
	s_mov_b32 s4, 0x652b82fe
	s_mov_b32 s5, 0x3ff71547
	v_mul_f64 v[20:21], v[14:15], s[4:5]
	s_mov_b32 s4, 0xfefa39ef
	v_rndne_f64_e32 v[20:21], v[20:21]
	s_mov_b32 s5, 0xbfe62e42
	v_fma_f64 v[22:23], s[4:5], v[20:21], v[14:15]
	s_mov_b32 s4, 0x3b39803f
	s_mov_b32 s5, 0xbc7abc9e
	v_fmac_f64_e32 v[22:23], s[4:5], v[20:21]
	s_mov_b32 s4, 0x6a5dcb37
	v_mov_b32_e32 v24, 0xfca7ab0c
	v_mov_b32_e32 v25, 0x3e928af3
	s_mov_b32 s5, 0x3e5ade15
	v_fmac_f64_e32 v[24:25], s[4:5], v[22:23]
	v_mov_b32_e32 v26, 0x623fde64
	v_mov_b32_e32 v27, 0x3ec71dee
	v_fmac_f64_e32 v[26:27], v[22:23], v[24:25]
	v_mov_b32_e32 v24, 0x7c89e6b0
	v_mov_b32_e32 v25, 0x3efa0199
	;; [unrolled: 3-line block ×8, first 2 shown]
	v_fmac_f64_e32 v[24:25], v[22:23], v[26:27]
	v_fma_f64 v[24:25], v[22:23], v[24:25], 1.0
	s_mov_b32 s4, 0
	s_mov_b32 s6, 0
	v_fma_f64 v[22:23], v[22:23], v[24:25], 1.0
	v_cvt_i32_f64_e32 v20, v[20:21]
	s_mov_b32 s5, 0x40900000
	s_mov_b32 s7, 0xc090cc00
	v_ldexp_f64 v[20:21], v[22:23], v20
	v_mov_b32_e32 v22, 0x7ff00000
	v_cmp_nlt_f64_e64 s[4:5], s[4:5], v[14:15]
	v_cmp_ngt_f64_e64 s[6:7], s[6:7], v[14:15]
	v_cndmask_b32_e64 v21, v22, v21, s[4:5]
	s_and_b64 s[4:5], s[6:7], s[4:5]
	v_cndmask_b32_e64 v15, 0, v21, s[6:7]
	v_cndmask_b32_e64 v14, 0, v20, s[4:5]
	v_fma_f64 v[12:13], -v[16:17], v[14:15], v[12:13]
	global_store_dwordx2 v[18:19], v[12:13], off
	s_or_b64 exec, exec, s[8:9]
	s_and_saveexec_b64 s[6:7], s[2:3]
	s_cbranch_execz .LBB219_29
.LBB219_32:
	s_mov_b32 s2, 0x652b82fe
	s_mov_b32 s3, 0x3ff71547
	v_mul_f64 v[12:13], v[10:11], s[2:3]
	s_mov_b32 s2, 0xfefa39ef
	v_rndne_f64_e32 v[12:13], v[12:13]
	s_mov_b32 s3, 0xbfe62e42
	v_fma_f64 v[14:15], s[2:3], v[12:13], v[10:11]
	s_mov_b32 s2, 0x3b39803f
	s_mov_b32 s3, 0xbc7abc9e
	v_fmac_f64_e32 v[14:15], s[2:3], v[12:13]
	s_mov_b32 s2, 0x6a5dcb37
	v_mov_b32_e32 v20, 0xfca7ab0c
	v_mov_b32_e32 v21, 0x3e928af3
	s_mov_b32 s3, 0x3e5ade15
	v_fmac_f64_e32 v[20:21], s[2:3], v[14:15]
	v_mov_b32_e32 v22, 0x623fde64
	v_mov_b32_e32 v23, 0x3ec71dee
	v_fmac_f64_e32 v[22:23], v[14:15], v[20:21]
	v_mov_b32_e32 v20, 0x7c89e6b0
	v_mov_b32_e32 v21, 0x3efa0199
	;; [unrolled: 3-line block ×8, first 2 shown]
	v_fmac_f64_e32 v[20:21], v[14:15], v[22:23]
	v_fma_f64 v[20:21], v[14:15], v[20:21], 1.0
	s_mov_b32 s2, 0
	s_mov_b32 s4, 0
	v_fma_f64 v[14:15], v[14:15], v[20:21], 1.0
	v_cvt_i32_f64_e32 v12, v[12:13]
	s_mov_b32 s3, 0x40900000
	s_mov_b32 s5, 0xc090cc00
	v_ldexp_f64 v[12:13], v[14:15], v12
	v_mov_b32_e32 v14, 0x7ff00000
	v_cmp_nlt_f64_e64 s[2:3], s[2:3], v[10:11]
	v_cmp_ngt_f64_e64 s[4:5], s[4:5], v[10:11]
	v_cndmask_b32_e64 v13, v14, v13, s[2:3]
	s_and_b64 s[2:3], s[4:5], s[2:3]
	v_cndmask_b32_e64 v11, 0, v13, s[4:5]
	v_cndmask_b32_e64 v10, 0, v12, s[2:3]
	v_fma_f64 v[8:9], -v[16:17], v[10:11], v[8:9]
	global_store_dwordx2 v[18:19], v[8:9], off offset:256
	s_or_b64 exec, exec, s[6:7]
	s_and_saveexec_b64 s[4:5], s[0:1]
	s_cbranch_execz .LBB219_30
.LBB219_33:
	s_mov_b32 s0, 0x652b82fe
	s_mov_b32 s1, 0x3ff71547
	v_mul_f64 v[8:9], v[6:7], s[0:1]
	s_mov_b32 s0, 0xfefa39ef
	v_rndne_f64_e32 v[8:9], v[8:9]
	s_mov_b32 s1, 0xbfe62e42
	v_fma_f64 v[10:11], s[0:1], v[8:9], v[6:7]
	s_mov_b32 s0, 0x3b39803f
	s_mov_b32 s1, 0xbc7abc9e
	v_fmac_f64_e32 v[10:11], s[0:1], v[8:9]
	s_mov_b32 s0, 0x6a5dcb37
	v_mov_b32_e32 v12, 0xfca7ab0c
	v_mov_b32_e32 v13, 0x3e928af3
	s_mov_b32 s1, 0x3e5ade15
	v_fmac_f64_e32 v[12:13], s[0:1], v[10:11]
	v_mov_b32_e32 v14, 0x623fde64
	v_mov_b32_e32 v15, 0x3ec71dee
	v_fmac_f64_e32 v[14:15], v[10:11], v[12:13]
	v_mov_b32_e32 v12, 0x7c89e6b0
	v_mov_b32_e32 v13, 0x3efa0199
	;; [unrolled: 3-line block ×8, first 2 shown]
	v_fmac_f64_e32 v[12:13], v[10:11], v[14:15]
	v_fma_f64 v[12:13], v[10:11], v[12:13], 1.0
	s_mov_b32 s0, 0
	s_mov_b32 s2, 0
	v_fma_f64 v[10:11], v[10:11], v[12:13], 1.0
	v_cvt_i32_f64_e32 v8, v[8:9]
	s_mov_b32 s1, 0x40900000
	s_mov_b32 s3, 0xc090cc00
	v_ldexp_f64 v[8:9], v[10:11], v8
	v_mov_b32_e32 v10, 0x7ff00000
	v_cmp_nlt_f64_e64 s[0:1], s[0:1], v[6:7]
	v_cmp_ngt_f64_e64 s[2:3], s[2:3], v[6:7]
	v_cndmask_b32_e64 v9, v10, v9, s[0:1]
	s_and_b64 s[0:1], s[2:3], s[0:1]
	v_cndmask_b32_e64 v7, 0, v9, s[2:3]
	v_cndmask_b32_e64 v6, 0, v8, s[0:1]
	v_fma_f64 v[4:5], -v[16:17], v[6:7], v[4:5]
	global_store_dwordx2 v[18:19], v[4:5], off offset:512
	s_or_b64 exec, exec, s[4:5]
	s_and_b64 exec, exec, vcc
	s_cbranch_execz .LBB219_22
.LBB219_34:
	s_mov_b32 s0, 0x652b82fe
	s_mov_b32 s1, 0x3ff71547
	v_mul_f64 v[4:5], v[2:3], s[0:1]
	s_mov_b32 s0, 0xfefa39ef
	v_rndne_f64_e32 v[4:5], v[4:5]
	s_mov_b32 s1, 0xbfe62e42
	v_fma_f64 v[6:7], s[0:1], v[4:5], v[2:3]
	s_mov_b32 s0, 0x3b39803f
	s_mov_b32 s1, 0xbc7abc9e
	v_fmac_f64_e32 v[6:7], s[0:1], v[4:5]
	s_mov_b32 s0, 0x6a5dcb37
	v_mov_b32_e32 v8, 0xfca7ab0c
	v_mov_b32_e32 v9, 0x3e928af3
	s_mov_b32 s1, 0x3e5ade15
	v_fmac_f64_e32 v[8:9], s[0:1], v[6:7]
	v_mov_b32_e32 v10, 0x623fde64
	v_mov_b32_e32 v11, 0x3ec71dee
	v_fmac_f64_e32 v[10:11], v[6:7], v[8:9]
	v_mov_b32_e32 v8, 0x7c89e6b0
	v_mov_b32_e32 v9, 0x3efa0199
	;; [unrolled: 3-line block ×8, first 2 shown]
	s_mov_b32 s0, 0
	v_fmac_f64_e32 v[8:9], v[6:7], v[10:11]
	s_mov_b32 s1, 0x40900000
	v_fma_f64 v[8:9], v[6:7], v[8:9], 1.0
	v_cmp_nlt_f64_e32 vcc, s[0:1], v[2:3]
	s_mov_b32 s0, 0
	v_fma_f64 v[6:7], v[6:7], v[8:9], 1.0
	v_cvt_i32_f64_e32 v4, v[4:5]
	s_mov_b32 s1, 0xc090cc00
	v_ldexp_f64 v[4:5], v[6:7], v4
	v_mov_b32_e32 v6, 0x7ff00000
	v_cmp_ngt_f64_e64 s[0:1], s[0:1], v[2:3]
	v_cndmask_b32_e32 v5, v6, v5, vcc
	s_and_b64 vcc, s[0:1], vcc
	v_cndmask_b32_e64 v3, 0, v5, s[0:1]
	v_cndmask_b32_e32 v2, 0, v4, vcc
	v_fma_f64 v[0:1], -v[16:17], v[2:3], v[0:1]
	global_store_dwordx2 v[18:19], v[0:1], off offset:768
	s_endpgm
	.section	.rodata,"a",@progbits
	.p2align	6, 0x0
	.amdhsa_kernel _ZN12_GLOBAL__N_121softmax_warp_backwardIdddLi7ELb1ELb0ELi32EEEvPT0_PKT_S5_iiiPKb
		.amdhsa_group_segment_fixed_size 0
		.amdhsa_private_segment_fixed_size 0
		.amdhsa_kernarg_size 304
		.amdhsa_user_sgpr_count 6
		.amdhsa_user_sgpr_private_segment_buffer 1
		.amdhsa_user_sgpr_dispatch_ptr 0
		.amdhsa_user_sgpr_queue_ptr 0
		.amdhsa_user_sgpr_kernarg_segment_ptr 1
		.amdhsa_user_sgpr_dispatch_id 0
		.amdhsa_user_sgpr_flat_scratch_init 0
		.amdhsa_user_sgpr_kernarg_preload_length 0
		.amdhsa_user_sgpr_kernarg_preload_offset 0
		.amdhsa_user_sgpr_private_segment_size 0
		.amdhsa_uses_dynamic_stack 0
		.amdhsa_system_sgpr_private_segment_wavefront_offset 0
		.amdhsa_system_sgpr_workgroup_id_x 1
		.amdhsa_system_sgpr_workgroup_id_y 0
		.amdhsa_system_sgpr_workgroup_id_z 0
		.amdhsa_system_sgpr_workgroup_info 0
		.amdhsa_system_vgpr_workitem_id 1
		.amdhsa_next_free_vgpr 50
		.amdhsa_next_free_sgpr 20
		.amdhsa_accum_offset 52
		.amdhsa_reserve_vcc 1
		.amdhsa_reserve_flat_scratch 0
		.amdhsa_float_round_mode_32 0
		.amdhsa_float_round_mode_16_64 0
		.amdhsa_float_denorm_mode_32 3
		.amdhsa_float_denorm_mode_16_64 3
		.amdhsa_dx10_clamp 1
		.amdhsa_ieee_mode 1
		.amdhsa_fp16_overflow 0
		.amdhsa_tg_split 0
		.amdhsa_exception_fp_ieee_invalid_op 0
		.amdhsa_exception_fp_denorm_src 0
		.amdhsa_exception_fp_ieee_div_zero 0
		.amdhsa_exception_fp_ieee_overflow 0
		.amdhsa_exception_fp_ieee_underflow 0
		.amdhsa_exception_fp_ieee_inexact 0
		.amdhsa_exception_int_div_zero 0
	.end_amdhsa_kernel
	.section	.text._ZN12_GLOBAL__N_121softmax_warp_backwardIdddLi7ELb1ELb0ELi32EEEvPT0_PKT_S5_iiiPKb,"axG",@progbits,_ZN12_GLOBAL__N_121softmax_warp_backwardIdddLi7ELb1ELb0ELi32EEEvPT0_PKT_S5_iiiPKb,comdat
.Lfunc_end219:
	.size	_ZN12_GLOBAL__N_121softmax_warp_backwardIdddLi7ELb1ELb0ELi32EEEvPT0_PKT_S5_iiiPKb, .Lfunc_end219-_ZN12_GLOBAL__N_121softmax_warp_backwardIdddLi7ELb1ELb0ELi32EEEvPT0_PKT_S5_iiiPKb
                                        ; -- End function
	.section	.AMDGPU.csdata,"",@progbits
; Kernel info:
; codeLenInByte = 4580
; NumSgprs: 24
; NumVgprs: 50
; NumAgprs: 0
; TotalNumVgprs: 50
; ScratchSize: 0
; MemoryBound: 0
; FloatMode: 240
; IeeeMode: 1
; LDSByteSize: 0 bytes/workgroup (compile time only)
; SGPRBlocks: 2
; VGPRBlocks: 6
; NumSGPRsForWavesPerEU: 24
; NumVGPRsForWavesPerEU: 50
; AccumOffset: 52
; Occupancy: 8
; WaveLimiterHint : 0
; COMPUTE_PGM_RSRC2:SCRATCH_EN: 0
; COMPUTE_PGM_RSRC2:USER_SGPR: 6
; COMPUTE_PGM_RSRC2:TRAP_HANDLER: 0
; COMPUTE_PGM_RSRC2:TGID_X_EN: 1
; COMPUTE_PGM_RSRC2:TGID_Y_EN: 0
; COMPUTE_PGM_RSRC2:TGID_Z_EN: 0
; COMPUTE_PGM_RSRC2:TIDIG_COMP_CNT: 1
; COMPUTE_PGM_RSRC3_GFX90A:ACCUM_OFFSET: 12
; COMPUTE_PGM_RSRC3_GFX90A:TG_SPLIT: 0
	.section	.text._ZN12_GLOBAL__N_121softmax_warp_backwardIdddLi8ELb1ELb0ELi64EEEvPT0_PKT_S5_iiiPKb,"axG",@progbits,_ZN12_GLOBAL__N_121softmax_warp_backwardIdddLi8ELb1ELb0ELi64EEEvPT0_PKT_S5_iiiPKb,comdat
	.globl	_ZN12_GLOBAL__N_121softmax_warp_backwardIdddLi8ELb1ELb0ELi64EEEvPT0_PKT_S5_iiiPKb ; -- Begin function _ZN12_GLOBAL__N_121softmax_warp_backwardIdddLi8ELb1ELb0ELi64EEEvPT0_PKT_S5_iiiPKb
	.p2align	8
	.type	_ZN12_GLOBAL__N_121softmax_warp_backwardIdddLi8ELb1ELb0ELi64EEEvPT0_PKT_S5_iiiPKb,@function
_ZN12_GLOBAL__N_121softmax_warp_backwardIdddLi8ELb1ELb0ELi64EEEvPT0_PKT_S5_iiiPKb: ; @_ZN12_GLOBAL__N_121softmax_warp_backwardIdddLi8ELb1ELb0ELi64EEEvPT0_PKT_S5_iiiPKb
; %bb.0:
	s_load_dword s2, s[4:5], 0x3c
	s_load_dwordx4 s[12:15], s[4:5], 0x18
	s_load_dwordx4 s[8:11], s[4:5], 0x0
	s_load_dwordx2 s[0:1], s[4:5], 0x10
	v_bfe_u32 v1, v0, 10, 10
	s_waitcnt lgkmcnt(0)
	s_lshr_b32 s2, s2, 16
	s_mul_i32 s6, s6, s2
	v_add_u32_e32 v1, s6, v1
	v_and_b32_e32 v2, 63, v0
	v_sub_u32_e32 v22, s12, v1
	v_mad_u64_u32 v[0:1], s[2:3], v1, s13, v[2:3]
	v_ashrrev_i32_e32 v1, 31, v0
	v_lshlrev_b64 v[4:5], 3, v[0:1]
	v_mov_b32_e32 v0, s11
	v_add_co_u32_e32 v8, vcc, s10, v4
	v_addc_co_u32_e32 v9, vcc, v0, v5, vcc
	v_mov_b32_e32 v0, s1
	v_add_co_u32_e32 v20, vcc, s0, v4
	v_cmp_lt_i32_e64 s[6:7], 0, v22
	v_cmp_gt_i32_e64 s[4:5], s14, v2
	v_pk_mov_b32 v[12:13], 0, 0
	v_addc_co_u32_e32 v21, vcc, v0, v5, vcc
	s_and_b64 s[2:3], s[6:7], s[4:5]
	v_pk_mov_b32 v[16:17], v[12:13], v[12:13] op_sel:[0,1]
	v_pk_mov_b32 v[18:19], v[12:13], v[12:13] op_sel:[0,1]
	s_and_saveexec_b64 s[0:1], s[2:3]
	s_cbranch_execz .LBB220_2
; %bb.1:
	global_load_dwordx2 v[16:17], v[8:9], off
	global_load_dwordx2 v[18:19], v[20:21], off
.LBB220_2:
	s_or_b64 exec, exec, s[0:1]
	v_or_b32_e32 v0, 64, v2
	v_cmp_gt_i32_e64 s[2:3], s14, v0
	s_and_b64 s[10:11], s[6:7], s[2:3]
	v_pk_mov_b32 v[14:15], v[12:13], v[12:13] op_sel:[0,1]
	s_and_saveexec_b64 s[0:1], s[10:11]
	s_cbranch_execz .LBB220_4
; %bb.3:
	global_load_dwordx2 v[12:13], v[8:9], off offset:512
	global_load_dwordx2 v[14:15], v[20:21], off offset:512
.LBB220_4:
	s_or_b64 exec, exec, s[0:1]
	v_or_b32_e32 v0, 0x80, v2
	v_cmp_gt_i32_e64 s[0:1], s14, v0
	v_pk_mov_b32 v[0:1], 0, 0
	s_and_b64 s[12:13], s[6:7], s[0:1]
	v_pk_mov_b32 v[6:7], v[0:1], v[0:1] op_sel:[0,1]
	v_pk_mov_b32 v[10:11], v[0:1], v[0:1] op_sel:[0,1]
	s_and_saveexec_b64 s[10:11], s[12:13]
	s_cbranch_execz .LBB220_6
; %bb.5:
	global_load_dwordx2 v[6:7], v[8:9], off offset:1024
	global_load_dwordx2 v[10:11], v[20:21], off offset:1024
.LBB220_6:
	s_or_b64 exec, exec, s[10:11]
	v_or_b32_e32 v2, 0xc0, v2
	v_cmp_gt_i32_e32 vcc, s14, v2
	s_and_b64 s[10:11], s[6:7], vcc
	v_pk_mov_b32 v[2:3], v[0:1], v[0:1] op_sel:[0,1]
	s_and_saveexec_b64 s[6:7], s[10:11]
	s_cbranch_execz .LBB220_8
; %bb.7:
	global_load_dwordx2 v[0:1], v[8:9], off offset:1536
	global_load_dwordx2 v[2:3], v[20:21], off offset:1536
.LBB220_8:
	s_or_b64 exec, exec, s[6:7]
	v_mbcnt_lo_u32_b32 v20, -1, 0
	v_mbcnt_hi_u32_b32 v23, -1, v20
	v_and_b32_e32 v20, 64, v23
	s_waitcnt vmcnt(1)
	v_add_f64 v[8:9], v[16:17], 0
	v_add_u32_e32 v24, 64, v20
	v_xor_b32_e32 v20, 32, v23
	v_add_f64 v[8:9], v[8:9], v[12:13]
	v_cmp_lt_i32_e64 s[6:7], v20, v24
	v_add_f64 v[8:9], v[8:9], v[6:7]
	v_cndmask_b32_e64 v20, v23, v20, s[6:7]
	v_add_f64 v[8:9], v[8:9], v[0:1]
	v_lshlrev_b32_e32 v21, 2, v20
	ds_bpermute_b32 v20, v21, v8
	ds_bpermute_b32 v21, v21, v9
	s_waitcnt lgkmcnt(0)
	v_add_f64 v[8:9], v[8:9], v[20:21]
	v_xor_b32_e32 v20, 16, v23
	v_cmp_lt_i32_e64 s[6:7], v20, v24
	v_cndmask_b32_e64 v20, v23, v20, s[6:7]
	v_lshlrev_b32_e32 v21, 2, v20
	ds_bpermute_b32 v20, v21, v8
	ds_bpermute_b32 v21, v21, v9
	s_waitcnt lgkmcnt(0)
	v_add_f64 v[8:9], v[8:9], v[20:21]
	v_xor_b32_e32 v20, 8, v23
	v_cmp_lt_i32_e64 s[6:7], v20, v24
	v_cndmask_b32_e64 v20, v23, v20, s[6:7]
	;; [unrolled: 8-line block ×5, first 2 shown]
	v_lshlrev_b32_e32 v21, 2, v20
	ds_bpermute_b32 v20, v21, v8
	ds_bpermute_b32 v21, v21, v9
	v_cmp_lt_i32_e64 s[6:7], 0, v22
	s_and_saveexec_b64 s[10:11], s[6:7]
	s_cbranch_execz .LBB220_14
; %bb.9:
	v_mov_b32_e32 v22, s9
	v_add_co_u32_e64 v4, s[6:7], s8, v4
	v_addc_co_u32_e64 v5, s[6:7], v22, v5, s[6:7]
	s_waitcnt lgkmcnt(0)
	v_add_f64 v[8:9], v[8:9], v[20:21]
	s_and_saveexec_b64 s[8:9], s[4:5]
	s_cbranch_execnz .LBB220_15
; %bb.10:
	s_or_b64 exec, exec, s[8:9]
	s_and_saveexec_b64 s[6:7], s[2:3]
	s_cbranch_execnz .LBB220_16
.LBB220_11:
	s_or_b64 exec, exec, s[6:7]
	s_and_saveexec_b64 s[4:5], s[0:1]
	s_cbranch_execnz .LBB220_17
.LBB220_12:
	s_or_b64 exec, exec, s[4:5]
	s_and_b64 exec, exec, vcc
	s_cbranch_execz .LBB220_14
.LBB220_13:
	s_mov_b32 s0, 0x652b82fe
	s_mov_b32 s1, 0x3ff71547
	s_waitcnt vmcnt(0)
	v_mul_f64 v[6:7], v[2:3], s[0:1]
	s_mov_b32 s0, 0xfefa39ef
	v_rndne_f64_e32 v[6:7], v[6:7]
	s_mov_b32 s1, 0xbfe62e42
	v_fma_f64 v[10:11], s[0:1], v[6:7], v[2:3]
	s_mov_b32 s0, 0x3b39803f
	s_mov_b32 s1, 0xbc7abc9e
	v_fmac_f64_e32 v[10:11], s[0:1], v[6:7]
	s_mov_b32 s0, 0x6a5dcb37
	v_mov_b32_e32 v12, 0xfca7ab0c
	v_mov_b32_e32 v13, 0x3e928af3
	s_mov_b32 s1, 0x3e5ade15
	v_fmac_f64_e32 v[12:13], s[0:1], v[10:11]
	v_mov_b32_e32 v14, 0x623fde64
	v_mov_b32_e32 v15, 0x3ec71dee
	v_fmac_f64_e32 v[14:15], v[10:11], v[12:13]
	v_mov_b32_e32 v12, 0x7c89e6b0
	v_mov_b32_e32 v13, 0x3efa0199
	;; [unrolled: 3-line block ×8, first 2 shown]
	s_mov_b32 s0, 0
	v_fmac_f64_e32 v[12:13], v[10:11], v[14:15]
	s_mov_b32 s1, 0x40900000
	v_fma_f64 v[12:13], v[10:11], v[12:13], 1.0
	v_cmp_nlt_f64_e32 vcc, s[0:1], v[2:3]
	s_mov_b32 s0, 0
	v_fma_f64 v[10:11], v[10:11], v[12:13], 1.0
	v_cvt_i32_f64_e32 v6, v[6:7]
	s_mov_b32 s1, 0xc090cc00
	v_ldexp_f64 v[6:7], v[10:11], v6
	v_mov_b32_e32 v10, 0x7ff00000
	v_cmp_ngt_f64_e64 s[0:1], s[0:1], v[2:3]
	v_cndmask_b32_e32 v7, v10, v7, vcc
	s_and_b64 vcc, s[0:1], vcc
	v_cndmask_b32_e64 v3, 0, v7, s[0:1]
	v_cndmask_b32_e32 v2, 0, v6, vcc
	v_fma_f64 v[0:1], -v[8:9], v[2:3], v[0:1]
	global_store_dwordx2 v[4:5], v[0:1], off offset:1536
.LBB220_14:
	s_endpgm
.LBB220_15:
	s_mov_b32 s4, 0x652b82fe
	s_mov_b32 s5, 0x3ff71547
	s_waitcnt vmcnt(0)
	v_mul_f64 v[20:21], v[18:19], s[4:5]
	s_mov_b32 s4, 0xfefa39ef
	v_rndne_f64_e32 v[20:21], v[20:21]
	s_mov_b32 s5, 0xbfe62e42
	v_fma_f64 v[22:23], s[4:5], v[20:21], v[18:19]
	s_mov_b32 s4, 0x3b39803f
	s_mov_b32 s5, 0xbc7abc9e
	v_fmac_f64_e32 v[22:23], s[4:5], v[20:21]
	s_mov_b32 s4, 0x6a5dcb37
	v_mov_b32_e32 v24, 0xfca7ab0c
	v_mov_b32_e32 v25, 0x3e928af3
	s_mov_b32 s5, 0x3e5ade15
	v_fmac_f64_e32 v[24:25], s[4:5], v[22:23]
	v_mov_b32_e32 v26, 0x623fde64
	v_mov_b32_e32 v27, 0x3ec71dee
	v_fmac_f64_e32 v[26:27], v[22:23], v[24:25]
	v_mov_b32_e32 v24, 0x7c89e6b0
	v_mov_b32_e32 v25, 0x3efa0199
	;; [unrolled: 3-line block ×8, first 2 shown]
	v_fmac_f64_e32 v[24:25], v[22:23], v[26:27]
	v_fma_f64 v[24:25], v[22:23], v[24:25], 1.0
	s_mov_b32 s4, 0
	s_mov_b32 s6, 0
	v_fma_f64 v[22:23], v[22:23], v[24:25], 1.0
	v_cvt_i32_f64_e32 v20, v[20:21]
	s_mov_b32 s5, 0x40900000
	s_mov_b32 s7, 0xc090cc00
	v_ldexp_f64 v[20:21], v[22:23], v20
	v_mov_b32_e32 v22, 0x7ff00000
	v_cmp_nlt_f64_e64 s[4:5], s[4:5], v[18:19]
	v_cmp_ngt_f64_e64 s[6:7], s[6:7], v[18:19]
	v_cndmask_b32_e64 v21, v22, v21, s[4:5]
	s_and_b64 s[4:5], s[6:7], s[4:5]
	v_cndmask_b32_e64 v19, 0, v21, s[6:7]
	v_cndmask_b32_e64 v18, 0, v20, s[4:5]
	v_fma_f64 v[16:17], -v[8:9], v[18:19], v[16:17]
	global_store_dwordx2 v[4:5], v[16:17], off
	s_or_b64 exec, exec, s[8:9]
	s_and_saveexec_b64 s[6:7], s[2:3]
	s_cbranch_execz .LBB220_11
.LBB220_16:
	s_mov_b32 s2, 0x652b82fe
	s_mov_b32 s3, 0x3ff71547
	s_waitcnt vmcnt(0)
	v_mul_f64 v[16:17], v[14:15], s[2:3]
	s_mov_b32 s2, 0xfefa39ef
	v_rndne_f64_e32 v[16:17], v[16:17]
	s_mov_b32 s3, 0xbfe62e42
	v_fma_f64 v[18:19], s[2:3], v[16:17], v[14:15]
	s_mov_b32 s2, 0x3b39803f
	s_mov_b32 s3, 0xbc7abc9e
	v_fmac_f64_e32 v[18:19], s[2:3], v[16:17]
	s_mov_b32 s2, 0x6a5dcb37
	v_mov_b32_e32 v20, 0xfca7ab0c
	v_mov_b32_e32 v21, 0x3e928af3
	s_mov_b32 s3, 0x3e5ade15
	v_fmac_f64_e32 v[20:21], s[2:3], v[18:19]
	v_mov_b32_e32 v22, 0x623fde64
	v_mov_b32_e32 v23, 0x3ec71dee
	v_fmac_f64_e32 v[22:23], v[18:19], v[20:21]
	v_mov_b32_e32 v20, 0x7c89e6b0
	v_mov_b32_e32 v21, 0x3efa0199
	;; [unrolled: 3-line block ×8, first 2 shown]
	v_fmac_f64_e32 v[20:21], v[18:19], v[22:23]
	v_fma_f64 v[20:21], v[18:19], v[20:21], 1.0
	s_mov_b32 s2, 0
	s_mov_b32 s4, 0
	v_fma_f64 v[18:19], v[18:19], v[20:21], 1.0
	v_cvt_i32_f64_e32 v16, v[16:17]
	s_mov_b32 s3, 0x40900000
	s_mov_b32 s5, 0xc090cc00
	v_ldexp_f64 v[16:17], v[18:19], v16
	v_mov_b32_e32 v18, 0x7ff00000
	v_cmp_nlt_f64_e64 s[2:3], s[2:3], v[14:15]
	v_cmp_ngt_f64_e64 s[4:5], s[4:5], v[14:15]
	v_cndmask_b32_e64 v17, v18, v17, s[2:3]
	s_and_b64 s[2:3], s[4:5], s[2:3]
	v_cndmask_b32_e64 v15, 0, v17, s[4:5]
	v_cndmask_b32_e64 v14, 0, v16, s[2:3]
	v_fma_f64 v[12:13], -v[8:9], v[14:15], v[12:13]
	global_store_dwordx2 v[4:5], v[12:13], off offset:512
	s_or_b64 exec, exec, s[6:7]
	s_and_saveexec_b64 s[4:5], s[0:1]
	s_cbranch_execz .LBB220_12
.LBB220_17:
	s_mov_b32 s0, 0x652b82fe
	s_mov_b32 s1, 0x3ff71547
	s_waitcnt vmcnt(0)
	v_mul_f64 v[12:13], v[10:11], s[0:1]
	s_mov_b32 s0, 0xfefa39ef
	v_rndne_f64_e32 v[12:13], v[12:13]
	s_mov_b32 s1, 0xbfe62e42
	v_fma_f64 v[14:15], s[0:1], v[12:13], v[10:11]
	s_mov_b32 s0, 0x3b39803f
	s_mov_b32 s1, 0xbc7abc9e
	v_fmac_f64_e32 v[14:15], s[0:1], v[12:13]
	s_mov_b32 s0, 0x6a5dcb37
	v_mov_b32_e32 v16, 0xfca7ab0c
	v_mov_b32_e32 v17, 0x3e928af3
	s_mov_b32 s1, 0x3e5ade15
	v_fmac_f64_e32 v[16:17], s[0:1], v[14:15]
	v_mov_b32_e32 v18, 0x623fde64
	v_mov_b32_e32 v19, 0x3ec71dee
	v_fmac_f64_e32 v[18:19], v[14:15], v[16:17]
	v_mov_b32_e32 v16, 0x7c89e6b0
	v_mov_b32_e32 v17, 0x3efa0199
	;; [unrolled: 3-line block ×8, first 2 shown]
	v_fmac_f64_e32 v[16:17], v[14:15], v[18:19]
	v_fma_f64 v[16:17], v[14:15], v[16:17], 1.0
	s_mov_b32 s0, 0
	s_mov_b32 s2, 0
	v_fma_f64 v[14:15], v[14:15], v[16:17], 1.0
	v_cvt_i32_f64_e32 v12, v[12:13]
	s_mov_b32 s1, 0x40900000
	s_mov_b32 s3, 0xc090cc00
	v_ldexp_f64 v[12:13], v[14:15], v12
	v_mov_b32_e32 v14, 0x7ff00000
	v_cmp_nlt_f64_e64 s[0:1], s[0:1], v[10:11]
	v_cmp_ngt_f64_e64 s[2:3], s[2:3], v[10:11]
	v_cndmask_b32_e64 v13, v14, v13, s[0:1]
	s_and_b64 s[0:1], s[2:3], s[0:1]
	v_cndmask_b32_e64 v11, 0, v13, s[2:3]
	v_cndmask_b32_e64 v10, 0, v12, s[0:1]
	v_fma_f64 v[6:7], -v[8:9], v[10:11], v[6:7]
	global_store_dwordx2 v[4:5], v[6:7], off offset:1024
	s_or_b64 exec, exec, s[4:5]
	s_and_b64 exec, exec, vcc
	s_cbranch_execnz .LBB220_13
	s_branch .LBB220_14
	.section	.rodata,"a",@progbits
	.p2align	6, 0x0
	.amdhsa_kernel _ZN12_GLOBAL__N_121softmax_warp_backwardIdddLi8ELb1ELb0ELi64EEEvPT0_PKT_S5_iiiPKb
		.amdhsa_group_segment_fixed_size 0
		.amdhsa_private_segment_fixed_size 0
		.amdhsa_kernarg_size 304
		.amdhsa_user_sgpr_count 6
		.amdhsa_user_sgpr_private_segment_buffer 1
		.amdhsa_user_sgpr_dispatch_ptr 0
		.amdhsa_user_sgpr_queue_ptr 0
		.amdhsa_user_sgpr_kernarg_segment_ptr 1
		.amdhsa_user_sgpr_dispatch_id 0
		.amdhsa_user_sgpr_flat_scratch_init 0
		.amdhsa_user_sgpr_kernarg_preload_length 0
		.amdhsa_user_sgpr_kernarg_preload_offset 0
		.amdhsa_user_sgpr_private_segment_size 0
		.amdhsa_uses_dynamic_stack 0
		.amdhsa_system_sgpr_private_segment_wavefront_offset 0
		.amdhsa_system_sgpr_workgroup_id_x 1
		.amdhsa_system_sgpr_workgroup_id_y 0
		.amdhsa_system_sgpr_workgroup_id_z 0
		.amdhsa_system_sgpr_workgroup_info 0
		.amdhsa_system_vgpr_workitem_id 1
		.amdhsa_next_free_vgpr 28
		.amdhsa_next_free_sgpr 16
		.amdhsa_accum_offset 28
		.amdhsa_reserve_vcc 1
		.amdhsa_reserve_flat_scratch 0
		.amdhsa_float_round_mode_32 0
		.amdhsa_float_round_mode_16_64 0
		.amdhsa_float_denorm_mode_32 3
		.amdhsa_float_denorm_mode_16_64 3
		.amdhsa_dx10_clamp 1
		.amdhsa_ieee_mode 1
		.amdhsa_fp16_overflow 0
		.amdhsa_tg_split 0
		.amdhsa_exception_fp_ieee_invalid_op 0
		.amdhsa_exception_fp_denorm_src 0
		.amdhsa_exception_fp_ieee_div_zero 0
		.amdhsa_exception_fp_ieee_overflow 0
		.amdhsa_exception_fp_ieee_underflow 0
		.amdhsa_exception_fp_ieee_inexact 0
		.amdhsa_exception_int_div_zero 0
	.end_amdhsa_kernel
	.section	.text._ZN12_GLOBAL__N_121softmax_warp_backwardIdddLi8ELb1ELb0ELi64EEEvPT0_PKT_S5_iiiPKb,"axG",@progbits,_ZN12_GLOBAL__N_121softmax_warp_backwardIdddLi8ELb1ELb0ELi64EEEvPT0_PKT_S5_iiiPKb,comdat
.Lfunc_end220:
	.size	_ZN12_GLOBAL__N_121softmax_warp_backwardIdddLi8ELb1ELb0ELi64EEEvPT0_PKT_S5_iiiPKb, .Lfunc_end220-_ZN12_GLOBAL__N_121softmax_warp_backwardIdddLi8ELb1ELb0ELi64EEEvPT0_PKT_S5_iiiPKb
                                        ; -- End function
	.section	.AMDGPU.csdata,"",@progbits
; Kernel info:
; codeLenInByte = 2392
; NumSgprs: 20
; NumVgprs: 28
; NumAgprs: 0
; TotalNumVgprs: 28
; ScratchSize: 0
; MemoryBound: 0
; FloatMode: 240
; IeeeMode: 1
; LDSByteSize: 0 bytes/workgroup (compile time only)
; SGPRBlocks: 2
; VGPRBlocks: 3
; NumSGPRsForWavesPerEU: 20
; NumVGPRsForWavesPerEU: 28
; AccumOffset: 28
; Occupancy: 8
; WaveLimiterHint : 0
; COMPUTE_PGM_RSRC2:SCRATCH_EN: 0
; COMPUTE_PGM_RSRC2:USER_SGPR: 6
; COMPUTE_PGM_RSRC2:TRAP_HANDLER: 0
; COMPUTE_PGM_RSRC2:TGID_X_EN: 1
; COMPUTE_PGM_RSRC2:TGID_Y_EN: 0
; COMPUTE_PGM_RSRC2:TGID_Z_EN: 0
; COMPUTE_PGM_RSRC2:TIDIG_COMP_CNT: 1
; COMPUTE_PGM_RSRC3_GFX90A:ACCUM_OFFSET: 6
; COMPUTE_PGM_RSRC3_GFX90A:TG_SPLIT: 0
	.section	.text._ZN12_GLOBAL__N_121softmax_warp_backwardIdddLi8ELb1ELb0ELi32EEEvPT0_PKT_S5_iiiPKb,"axG",@progbits,_ZN12_GLOBAL__N_121softmax_warp_backwardIdddLi8ELb1ELb0ELi32EEEvPT0_PKT_S5_iiiPKb,comdat
	.globl	_ZN12_GLOBAL__N_121softmax_warp_backwardIdddLi8ELb1ELb0ELi32EEEvPT0_PKT_S5_iiiPKb ; -- Begin function _ZN12_GLOBAL__N_121softmax_warp_backwardIdddLi8ELb1ELb0ELi32EEEvPT0_PKT_S5_iiiPKb
	.p2align	8
	.type	_ZN12_GLOBAL__N_121softmax_warp_backwardIdddLi8ELb1ELb0ELi32EEEvPT0_PKT_S5_iiiPKb,@function
_ZN12_GLOBAL__N_121softmax_warp_backwardIdddLi8ELb1ELb0ELi32EEEvPT0_PKT_S5_iiiPKb: ; @_ZN12_GLOBAL__N_121softmax_warp_backwardIdddLi8ELb1ELb0ELi32EEEvPT0_PKT_S5_iiiPKb
; %bb.0:
	s_load_dword s2, s[4:5], 0x3c
	s_load_dwordx4 s[20:23], s[4:5], 0x18
	s_load_dwordx4 s[16:19], s[4:5], 0x0
	s_load_dwordx2 s[0:1], s[4:5], 0x10
	v_bfe_u32 v1, v0, 10, 10
	s_waitcnt lgkmcnt(0)
	s_lshr_b32 s2, s2, 16
	s_mul_i32 s6, s6, s2
	v_add_u32_e32 v1, s6, v1
	v_and_b32_e32 v2, 31, v0
	v_sub_u32_e32 v38, s20, v1
	v_mad_u64_u32 v[0:1], s[2:3], v1, s21, v[2:3]
	v_ashrrev_i32_e32 v1, 31, v0
	v_lshlrev_b64 v[4:5], 3, v[0:1]
	v_mov_b32_e32 v0, s19
	v_add_co_u32_e32 v6, vcc, s18, v4
	v_addc_co_u32_e32 v7, vcc, v0, v5, vcc
	v_mov_b32_e32 v0, s1
	v_add_co_u32_e32 v36, vcc, s0, v4
	v_cmp_lt_i32_e64 s[14:15], 0, v38
	v_cmp_gt_i32_e64 s[12:13], s22, v2
	v_pk_mov_b32 v[28:29], 0, 0
	v_addc_co_u32_e32 v37, vcc, v0, v5, vcc
	s_and_b64 s[2:3], s[14:15], s[12:13]
	v_pk_mov_b32 v[32:33], v[28:29], v[28:29] op_sel:[0,1]
	v_pk_mov_b32 v[34:35], v[28:29], v[28:29] op_sel:[0,1]
	s_and_saveexec_b64 s[0:1], s[2:3]
	s_cbranch_execz .LBB221_2
; %bb.1:
	global_load_dwordx2 v[32:33], v[6:7], off
	global_load_dwordx2 v[34:35], v[36:37], off
.LBB221_2:
	s_or_b64 exec, exec, s[0:1]
	v_or_b32_e32 v0, 32, v2
	v_cmp_gt_i32_e64 s[10:11], s22, v0
	s_and_b64 s[2:3], s[14:15], s[10:11]
	v_pk_mov_b32 v[30:31], v[28:29], v[28:29] op_sel:[0,1]
	s_and_saveexec_b64 s[0:1], s[2:3]
	s_cbranch_execz .LBB221_4
; %bb.3:
	global_load_dwordx2 v[28:29], v[6:7], off offset:256
	global_load_dwordx2 v[30:31], v[36:37], off offset:256
.LBB221_4:
	s_or_b64 exec, exec, s[0:1]
	v_or_b32_e32 v0, 64, v2
	v_cmp_gt_i32_e64 s[8:9], s22, v0
	v_pk_mov_b32 v[20:21], 0, 0
	s_and_b64 s[2:3], s[14:15], s[8:9]
	v_pk_mov_b32 v[24:25], v[20:21], v[20:21] op_sel:[0,1]
	v_pk_mov_b32 v[26:27], v[20:21], v[20:21] op_sel:[0,1]
	s_and_saveexec_b64 s[0:1], s[2:3]
	s_cbranch_execz .LBB221_6
; %bb.5:
	global_load_dwordx2 v[24:25], v[6:7], off offset:512
	global_load_dwordx2 v[26:27], v[36:37], off offset:512
.LBB221_6:
	s_or_b64 exec, exec, s[0:1]
	v_or_b32_e32 v0, 0x60, v2
	v_cmp_gt_i32_e64 s[6:7], s22, v0
	s_and_b64 s[2:3], s[14:15], s[6:7]
	v_pk_mov_b32 v[22:23], v[20:21], v[20:21] op_sel:[0,1]
	s_and_saveexec_b64 s[0:1], s[2:3]
	s_cbranch_execz .LBB221_8
; %bb.7:
	global_load_dwordx2 v[20:21], v[6:7], off offset:768
	global_load_dwordx2 v[22:23], v[36:37], off offset:768
.LBB221_8:
	s_or_b64 exec, exec, s[0:1]
	v_or_b32_e32 v0, 0x80, v2
	v_cmp_gt_i32_e64 s[4:5], s22, v0
	v_pk_mov_b32 v[12:13], 0, 0
	s_and_b64 s[2:3], s[14:15], s[4:5]
	v_pk_mov_b32 v[16:17], v[12:13], v[12:13] op_sel:[0,1]
	v_pk_mov_b32 v[18:19], v[12:13], v[12:13] op_sel:[0,1]
	s_and_saveexec_b64 s[0:1], s[2:3]
	s_cbranch_execz .LBB221_10
; %bb.9:
	global_load_dwordx2 v[16:17], v[6:7], off offset:1024
	global_load_dwordx2 v[18:19], v[36:37], off offset:1024
.LBB221_10:
	;; [unrolled: 24-line block ×3, first 2 shown]
	s_or_b64 exec, exec, s[18:19]
	v_or_b32_e32 v2, 0xe0, v2
	v_cmp_gt_i32_e32 vcc, s22, v2
	s_and_b64 s[18:19], s[14:15], vcc
	v_pk_mov_b32 v[2:3], v[0:1], v[0:1] op_sel:[0,1]
	s_and_saveexec_b64 s[14:15], s[18:19]
	s_cbranch_execz .LBB221_16
; %bb.15:
	global_load_dwordx2 v[0:1], v[6:7], off offset:1792
	global_load_dwordx2 v[2:3], v[36:37], off offset:1792
.LBB221_16:
	s_or_b64 exec, exec, s[14:15]
	s_waitcnt vmcnt(1)
	v_add_f64 v[6:7], v[32:33], 0
	v_add_f64 v[6:7], v[6:7], v[28:29]
	v_mbcnt_lo_u32_b32 v36, -1, 0
	v_add_f64 v[6:7], v[6:7], v[24:25]
	v_mbcnt_hi_u32_b32 v39, -1, v36
	v_add_f64 v[6:7], v[6:7], v[20:21]
	v_and_b32_e32 v36, 0x60, v39
	v_add_f64 v[6:7], v[6:7], v[16:17]
	v_add_u32_e32 v40, 32, v36
	v_xor_b32_e32 v36, 16, v39
	v_add_f64 v[6:7], v[6:7], v[12:13]
	v_cmp_lt_i32_e64 s[14:15], v36, v40
	v_add_f64 v[6:7], v[6:7], v[8:9]
	v_cndmask_b32_e64 v36, v39, v36, s[14:15]
	v_add_f64 v[6:7], v[6:7], v[0:1]
	v_lshlrev_b32_e32 v37, 2, v36
	ds_bpermute_b32 v36, v37, v6
	ds_bpermute_b32 v37, v37, v7
	s_waitcnt lgkmcnt(0)
	v_add_f64 v[6:7], v[6:7], v[36:37]
	v_xor_b32_e32 v36, 8, v39
	v_cmp_lt_i32_e64 s[14:15], v36, v40
	v_cndmask_b32_e64 v36, v39, v36, s[14:15]
	v_lshlrev_b32_e32 v37, 2, v36
	ds_bpermute_b32 v36, v37, v6
	ds_bpermute_b32 v37, v37, v7
	s_waitcnt lgkmcnt(0)
	v_add_f64 v[6:7], v[6:7], v[36:37]
	v_xor_b32_e32 v36, 4, v39
	v_cmp_lt_i32_e64 s[14:15], v36, v40
	v_cndmask_b32_e64 v36, v39, v36, s[14:15]
	;; [unrolled: 8-line block ×4, first 2 shown]
	v_lshlrev_b32_e32 v37, 2, v36
	ds_bpermute_b32 v36, v37, v6
	ds_bpermute_b32 v37, v37, v7
	v_cmp_lt_i32_e64 s[14:15], 0, v38
	s_and_saveexec_b64 s[18:19], s[14:15]
	s_cbranch_execz .LBB221_26
; %bb.17:
	v_mov_b32_e32 v38, s17
	v_add_co_u32_e64 v4, s[14:15], s16, v4
	v_addc_co_u32_e64 v5, s[14:15], v38, v5, s[14:15]
	s_waitcnt lgkmcnt(0)
	v_add_f64 v[6:7], v[6:7], v[36:37]
	s_and_saveexec_b64 s[16:17], s[12:13]
	s_cbranch_execnz .LBB221_27
; %bb.18:
	s_or_b64 exec, exec, s[16:17]
	s_and_saveexec_b64 s[14:15], s[10:11]
	s_cbranch_execnz .LBB221_28
.LBB221_19:
	s_or_b64 exec, exec, s[14:15]
	s_and_saveexec_b64 s[12:13], s[8:9]
	s_cbranch_execnz .LBB221_29
.LBB221_20:
	s_or_b64 exec, exec, s[12:13]
	s_and_saveexec_b64 s[10:11], s[6:7]
	s_cbranch_execnz .LBB221_30
.LBB221_21:
	s_or_b64 exec, exec, s[10:11]
	s_and_saveexec_b64 s[8:9], s[4:5]
	s_cbranch_execnz .LBB221_31
.LBB221_22:
	s_or_b64 exec, exec, s[8:9]
	s_and_saveexec_b64 s[6:7], s[2:3]
	s_cbranch_execnz .LBB221_32
.LBB221_23:
	s_or_b64 exec, exec, s[6:7]
	s_and_saveexec_b64 s[4:5], s[0:1]
	s_cbranch_execnz .LBB221_33
.LBB221_24:
	s_or_b64 exec, exec, s[4:5]
	s_and_b64 exec, exec, vcc
	s_cbranch_execz .LBB221_26
.LBB221_25:
	s_mov_b32 s0, 0x652b82fe
	s_mov_b32 s1, 0x3ff71547
	s_waitcnt vmcnt(0)
	v_mul_f64 v[8:9], v[2:3], s[0:1]
	s_mov_b32 s0, 0xfefa39ef
	v_rndne_f64_e32 v[8:9], v[8:9]
	s_mov_b32 s1, 0xbfe62e42
	v_fma_f64 v[10:11], s[0:1], v[8:9], v[2:3]
	s_mov_b32 s0, 0x3b39803f
	s_mov_b32 s1, 0xbc7abc9e
	v_fmac_f64_e32 v[10:11], s[0:1], v[8:9]
	s_mov_b32 s0, 0x6a5dcb37
	v_mov_b32_e32 v12, 0xfca7ab0c
	v_mov_b32_e32 v13, 0x3e928af3
	s_mov_b32 s1, 0x3e5ade15
	v_fmac_f64_e32 v[12:13], s[0:1], v[10:11]
	v_mov_b32_e32 v14, 0x623fde64
	v_mov_b32_e32 v15, 0x3ec71dee
	v_fmac_f64_e32 v[14:15], v[10:11], v[12:13]
	v_mov_b32_e32 v12, 0x7c89e6b0
	v_mov_b32_e32 v13, 0x3efa0199
	v_fmac_f64_e32 v[12:13], v[10:11], v[14:15]
	v_mov_b32_e32 v14, 0x14761f6e
	v_mov_b32_e32 v15, 0x3f2a01a0
	v_fmac_f64_e32 v[14:15], v[10:11], v[12:13]
	v_mov_b32_e32 v12, 0x1852b7b0
	v_mov_b32_e32 v13, 0x3f56c16c
	v_fmac_f64_e32 v[12:13], v[10:11], v[14:15]
	v_mov_b32_e32 v14, 0x11122322
	v_mov_b32_e32 v15, 0x3f811111
	v_fmac_f64_e32 v[14:15], v[10:11], v[12:13]
	v_mov_b32_e32 v12, 0x555502a1
	v_mov_b32_e32 v13, 0x3fa55555
	v_fmac_f64_e32 v[12:13], v[10:11], v[14:15]
	v_mov_b32_e32 v14, 0x55555511
	v_mov_b32_e32 v15, 0x3fc55555
	v_fmac_f64_e32 v[14:15], v[10:11], v[12:13]
	v_mov_b32_e32 v12, 11
	v_mov_b32_e32 v13, 0x3fe00000
	s_mov_b32 s0, 0
	v_fmac_f64_e32 v[12:13], v[10:11], v[14:15]
	s_mov_b32 s1, 0x40900000
	v_fma_f64 v[12:13], v[10:11], v[12:13], 1.0
	v_cmp_nlt_f64_e32 vcc, s[0:1], v[2:3]
	s_mov_b32 s0, 0
	v_fma_f64 v[10:11], v[10:11], v[12:13], 1.0
	v_cvt_i32_f64_e32 v8, v[8:9]
	s_mov_b32 s1, 0xc090cc00
	v_ldexp_f64 v[8:9], v[10:11], v8
	v_mov_b32_e32 v10, 0x7ff00000
	v_cmp_ngt_f64_e64 s[0:1], s[0:1], v[2:3]
	v_cndmask_b32_e32 v9, v10, v9, vcc
	s_and_b64 vcc, s[0:1], vcc
	v_cndmask_b32_e64 v3, 0, v9, s[0:1]
	v_cndmask_b32_e32 v2, 0, v8, vcc
	v_fma_f64 v[0:1], -v[6:7], v[2:3], v[0:1]
	global_store_dwordx2 v[4:5], v[0:1], off offset:1792
.LBB221_26:
	s_endpgm
.LBB221_27:
	s_mov_b32 s12, 0x652b82fe
	s_mov_b32 s13, 0x3ff71547
	s_waitcnt vmcnt(0)
	v_mul_f64 v[36:37], v[34:35], s[12:13]
	s_mov_b32 s12, 0xfefa39ef
	v_rndne_f64_e32 v[36:37], v[36:37]
	s_mov_b32 s13, 0xbfe62e42
	v_fma_f64 v[38:39], s[12:13], v[36:37], v[34:35]
	s_mov_b32 s12, 0x3b39803f
	s_mov_b32 s13, 0xbc7abc9e
	v_fmac_f64_e32 v[38:39], s[12:13], v[36:37]
	s_mov_b32 s12, 0x6a5dcb37
	v_mov_b32_e32 v40, 0xfca7ab0c
	v_mov_b32_e32 v41, 0x3e928af3
	s_mov_b32 s13, 0x3e5ade15
	v_fmac_f64_e32 v[40:41], s[12:13], v[38:39]
	v_mov_b32_e32 v42, 0x623fde64
	v_mov_b32_e32 v43, 0x3ec71dee
	v_fmac_f64_e32 v[42:43], v[38:39], v[40:41]
	v_mov_b32_e32 v40, 0x7c89e6b0
	v_mov_b32_e32 v41, 0x3efa0199
	;; [unrolled: 3-line block ×8, first 2 shown]
	v_fmac_f64_e32 v[40:41], v[38:39], v[42:43]
	v_fma_f64 v[40:41], v[38:39], v[40:41], 1.0
	s_mov_b32 s12, 0
	s_mov_b32 s14, 0
	v_fma_f64 v[38:39], v[38:39], v[40:41], 1.0
	v_cvt_i32_f64_e32 v36, v[36:37]
	s_mov_b32 s13, 0x40900000
	s_mov_b32 s15, 0xc090cc00
	v_ldexp_f64 v[36:37], v[38:39], v36
	v_mov_b32_e32 v38, 0x7ff00000
	v_cmp_nlt_f64_e64 s[12:13], s[12:13], v[34:35]
	v_cmp_ngt_f64_e64 s[14:15], s[14:15], v[34:35]
	v_cndmask_b32_e64 v37, v38, v37, s[12:13]
	s_and_b64 s[12:13], s[14:15], s[12:13]
	v_cndmask_b32_e64 v35, 0, v37, s[14:15]
	v_cndmask_b32_e64 v34, 0, v36, s[12:13]
	v_fma_f64 v[32:33], -v[6:7], v[34:35], v[32:33]
	global_store_dwordx2 v[4:5], v[32:33], off
	s_or_b64 exec, exec, s[16:17]
	s_and_saveexec_b64 s[14:15], s[10:11]
	s_cbranch_execz .LBB221_19
.LBB221_28:
	s_mov_b32 s10, 0x652b82fe
	s_mov_b32 s11, 0x3ff71547
	s_waitcnt vmcnt(0)
	v_mul_f64 v[32:33], v[30:31], s[10:11]
	s_mov_b32 s10, 0xfefa39ef
	v_rndne_f64_e32 v[32:33], v[32:33]
	s_mov_b32 s11, 0xbfe62e42
	v_fma_f64 v[34:35], s[10:11], v[32:33], v[30:31]
	s_mov_b32 s10, 0x3b39803f
	s_mov_b32 s11, 0xbc7abc9e
	v_fmac_f64_e32 v[34:35], s[10:11], v[32:33]
	s_mov_b32 s10, 0x6a5dcb37
	v_mov_b32_e32 v36, 0xfca7ab0c
	v_mov_b32_e32 v37, 0x3e928af3
	s_mov_b32 s11, 0x3e5ade15
	v_fmac_f64_e32 v[36:37], s[10:11], v[34:35]
	v_mov_b32_e32 v38, 0x623fde64
	v_mov_b32_e32 v39, 0x3ec71dee
	v_fmac_f64_e32 v[38:39], v[34:35], v[36:37]
	v_mov_b32_e32 v36, 0x7c89e6b0
	v_mov_b32_e32 v37, 0x3efa0199
	v_fmac_f64_e32 v[36:37], v[34:35], v[38:39]
	v_mov_b32_e32 v38, 0x14761f6e
	v_mov_b32_e32 v39, 0x3f2a01a0
	v_fmac_f64_e32 v[38:39], v[34:35], v[36:37]
	v_mov_b32_e32 v36, 0x1852b7b0
	v_mov_b32_e32 v37, 0x3f56c16c
	v_fmac_f64_e32 v[36:37], v[34:35], v[38:39]
	v_mov_b32_e32 v38, 0x11122322
	v_mov_b32_e32 v39, 0x3f811111
	v_fmac_f64_e32 v[38:39], v[34:35], v[36:37]
	v_mov_b32_e32 v36, 0x555502a1
	v_mov_b32_e32 v37, 0x3fa55555
	v_fmac_f64_e32 v[36:37], v[34:35], v[38:39]
	v_mov_b32_e32 v38, 0x55555511
	v_mov_b32_e32 v39, 0x3fc55555
	v_fmac_f64_e32 v[38:39], v[34:35], v[36:37]
	v_mov_b32_e32 v36, 11
	v_mov_b32_e32 v37, 0x3fe00000
	v_fmac_f64_e32 v[36:37], v[34:35], v[38:39]
	v_fma_f64 v[36:37], v[34:35], v[36:37], 1.0
	s_mov_b32 s10, 0
	s_mov_b32 s12, 0
	v_fma_f64 v[34:35], v[34:35], v[36:37], 1.0
	v_cvt_i32_f64_e32 v32, v[32:33]
	s_mov_b32 s11, 0x40900000
	s_mov_b32 s13, 0xc090cc00
	v_ldexp_f64 v[32:33], v[34:35], v32
	v_mov_b32_e32 v34, 0x7ff00000
	v_cmp_nlt_f64_e64 s[10:11], s[10:11], v[30:31]
	v_cmp_ngt_f64_e64 s[12:13], s[12:13], v[30:31]
	v_cndmask_b32_e64 v33, v34, v33, s[10:11]
	s_and_b64 s[10:11], s[12:13], s[10:11]
	v_cndmask_b32_e64 v31, 0, v33, s[12:13]
	v_cndmask_b32_e64 v30, 0, v32, s[10:11]
	v_fma_f64 v[28:29], -v[6:7], v[30:31], v[28:29]
	global_store_dwordx2 v[4:5], v[28:29], off offset:256
	s_or_b64 exec, exec, s[14:15]
	s_and_saveexec_b64 s[12:13], s[8:9]
	s_cbranch_execz .LBB221_20
.LBB221_29:
	s_mov_b32 s8, 0x652b82fe
	s_mov_b32 s9, 0x3ff71547
	s_waitcnt vmcnt(0)
	v_mul_f64 v[28:29], v[26:27], s[8:9]
	s_mov_b32 s8, 0xfefa39ef
	v_rndne_f64_e32 v[28:29], v[28:29]
	s_mov_b32 s9, 0xbfe62e42
	v_fma_f64 v[30:31], s[8:9], v[28:29], v[26:27]
	s_mov_b32 s8, 0x3b39803f
	s_mov_b32 s9, 0xbc7abc9e
	v_fmac_f64_e32 v[30:31], s[8:9], v[28:29]
	s_mov_b32 s8, 0x6a5dcb37
	v_mov_b32_e32 v32, 0xfca7ab0c
	v_mov_b32_e32 v33, 0x3e928af3
	s_mov_b32 s9, 0x3e5ade15
	v_fmac_f64_e32 v[32:33], s[8:9], v[30:31]
	v_mov_b32_e32 v34, 0x623fde64
	v_mov_b32_e32 v35, 0x3ec71dee
	v_fmac_f64_e32 v[34:35], v[30:31], v[32:33]
	v_mov_b32_e32 v32, 0x7c89e6b0
	v_mov_b32_e32 v33, 0x3efa0199
	;; [unrolled: 3-line block ×8, first 2 shown]
	v_fmac_f64_e32 v[32:33], v[30:31], v[34:35]
	v_fma_f64 v[32:33], v[30:31], v[32:33], 1.0
	s_mov_b32 s8, 0
	s_mov_b32 s10, 0
	v_fma_f64 v[30:31], v[30:31], v[32:33], 1.0
	v_cvt_i32_f64_e32 v28, v[28:29]
	s_mov_b32 s9, 0x40900000
	s_mov_b32 s11, 0xc090cc00
	v_ldexp_f64 v[28:29], v[30:31], v28
	v_mov_b32_e32 v30, 0x7ff00000
	v_cmp_nlt_f64_e64 s[8:9], s[8:9], v[26:27]
	v_cmp_ngt_f64_e64 s[10:11], s[10:11], v[26:27]
	v_cndmask_b32_e64 v29, v30, v29, s[8:9]
	s_and_b64 s[8:9], s[10:11], s[8:9]
	v_cndmask_b32_e64 v27, 0, v29, s[10:11]
	v_cndmask_b32_e64 v26, 0, v28, s[8:9]
	v_fma_f64 v[24:25], -v[6:7], v[26:27], v[24:25]
	global_store_dwordx2 v[4:5], v[24:25], off offset:512
	s_or_b64 exec, exec, s[12:13]
	s_and_saveexec_b64 s[10:11], s[6:7]
	s_cbranch_execz .LBB221_21
.LBB221_30:
	s_mov_b32 s6, 0x652b82fe
	s_mov_b32 s7, 0x3ff71547
	s_waitcnt vmcnt(0)
	v_mul_f64 v[24:25], v[22:23], s[6:7]
	s_mov_b32 s6, 0xfefa39ef
	v_rndne_f64_e32 v[24:25], v[24:25]
	s_mov_b32 s7, 0xbfe62e42
	v_fma_f64 v[26:27], s[6:7], v[24:25], v[22:23]
	s_mov_b32 s6, 0x3b39803f
	s_mov_b32 s7, 0xbc7abc9e
	v_fmac_f64_e32 v[26:27], s[6:7], v[24:25]
	s_mov_b32 s6, 0x6a5dcb37
	v_mov_b32_e32 v28, 0xfca7ab0c
	v_mov_b32_e32 v29, 0x3e928af3
	s_mov_b32 s7, 0x3e5ade15
	v_fmac_f64_e32 v[28:29], s[6:7], v[26:27]
	v_mov_b32_e32 v30, 0x623fde64
	v_mov_b32_e32 v31, 0x3ec71dee
	v_fmac_f64_e32 v[30:31], v[26:27], v[28:29]
	v_mov_b32_e32 v28, 0x7c89e6b0
	v_mov_b32_e32 v29, 0x3efa0199
	v_fmac_f64_e32 v[28:29], v[26:27], v[30:31]
	v_mov_b32_e32 v30, 0x14761f6e
	v_mov_b32_e32 v31, 0x3f2a01a0
	v_fmac_f64_e32 v[30:31], v[26:27], v[28:29]
	v_mov_b32_e32 v28, 0x1852b7b0
	v_mov_b32_e32 v29, 0x3f56c16c
	v_fmac_f64_e32 v[28:29], v[26:27], v[30:31]
	v_mov_b32_e32 v30, 0x11122322
	v_mov_b32_e32 v31, 0x3f811111
	v_fmac_f64_e32 v[30:31], v[26:27], v[28:29]
	v_mov_b32_e32 v28, 0x555502a1
	v_mov_b32_e32 v29, 0x3fa55555
	v_fmac_f64_e32 v[28:29], v[26:27], v[30:31]
	v_mov_b32_e32 v30, 0x55555511
	v_mov_b32_e32 v31, 0x3fc55555
	v_fmac_f64_e32 v[30:31], v[26:27], v[28:29]
	v_mov_b32_e32 v28, 11
	v_mov_b32_e32 v29, 0x3fe00000
	v_fmac_f64_e32 v[28:29], v[26:27], v[30:31]
	v_fma_f64 v[28:29], v[26:27], v[28:29], 1.0
	s_mov_b32 s6, 0
	s_mov_b32 s8, 0
	v_fma_f64 v[26:27], v[26:27], v[28:29], 1.0
	v_cvt_i32_f64_e32 v24, v[24:25]
	s_mov_b32 s7, 0x40900000
	s_mov_b32 s9, 0xc090cc00
	v_ldexp_f64 v[24:25], v[26:27], v24
	v_mov_b32_e32 v26, 0x7ff00000
	v_cmp_nlt_f64_e64 s[6:7], s[6:7], v[22:23]
	v_cmp_ngt_f64_e64 s[8:9], s[8:9], v[22:23]
	v_cndmask_b32_e64 v25, v26, v25, s[6:7]
	s_and_b64 s[6:7], s[8:9], s[6:7]
	v_cndmask_b32_e64 v23, 0, v25, s[8:9]
	v_cndmask_b32_e64 v22, 0, v24, s[6:7]
	v_fma_f64 v[20:21], -v[6:7], v[22:23], v[20:21]
	global_store_dwordx2 v[4:5], v[20:21], off offset:768
	s_or_b64 exec, exec, s[10:11]
	s_and_saveexec_b64 s[8:9], s[4:5]
	s_cbranch_execz .LBB221_22
.LBB221_31:
	s_mov_b32 s4, 0x652b82fe
	s_mov_b32 s5, 0x3ff71547
	s_waitcnt vmcnt(0)
	v_mul_f64 v[20:21], v[18:19], s[4:5]
	s_mov_b32 s4, 0xfefa39ef
	v_rndne_f64_e32 v[20:21], v[20:21]
	s_mov_b32 s5, 0xbfe62e42
	v_fma_f64 v[22:23], s[4:5], v[20:21], v[18:19]
	s_mov_b32 s4, 0x3b39803f
	s_mov_b32 s5, 0xbc7abc9e
	v_fmac_f64_e32 v[22:23], s[4:5], v[20:21]
	s_mov_b32 s4, 0x6a5dcb37
	v_mov_b32_e32 v24, 0xfca7ab0c
	v_mov_b32_e32 v25, 0x3e928af3
	s_mov_b32 s5, 0x3e5ade15
	v_fmac_f64_e32 v[24:25], s[4:5], v[22:23]
	v_mov_b32_e32 v26, 0x623fde64
	v_mov_b32_e32 v27, 0x3ec71dee
	v_fmac_f64_e32 v[26:27], v[22:23], v[24:25]
	v_mov_b32_e32 v24, 0x7c89e6b0
	v_mov_b32_e32 v25, 0x3efa0199
	;; [unrolled: 3-line block ×8, first 2 shown]
	v_fmac_f64_e32 v[24:25], v[22:23], v[26:27]
	v_fma_f64 v[24:25], v[22:23], v[24:25], 1.0
	s_mov_b32 s4, 0
	s_mov_b32 s6, 0
	v_fma_f64 v[22:23], v[22:23], v[24:25], 1.0
	v_cvt_i32_f64_e32 v20, v[20:21]
	s_mov_b32 s5, 0x40900000
	s_mov_b32 s7, 0xc090cc00
	v_ldexp_f64 v[20:21], v[22:23], v20
	v_mov_b32_e32 v22, 0x7ff00000
	v_cmp_nlt_f64_e64 s[4:5], s[4:5], v[18:19]
	v_cmp_ngt_f64_e64 s[6:7], s[6:7], v[18:19]
	v_cndmask_b32_e64 v21, v22, v21, s[4:5]
	s_and_b64 s[4:5], s[6:7], s[4:5]
	v_cndmask_b32_e64 v19, 0, v21, s[6:7]
	v_cndmask_b32_e64 v18, 0, v20, s[4:5]
	v_fma_f64 v[16:17], -v[6:7], v[18:19], v[16:17]
	global_store_dwordx2 v[4:5], v[16:17], off offset:1024
	s_or_b64 exec, exec, s[8:9]
	s_and_saveexec_b64 s[6:7], s[2:3]
	s_cbranch_execz .LBB221_23
.LBB221_32:
	s_mov_b32 s2, 0x652b82fe
	s_mov_b32 s3, 0x3ff71547
	s_waitcnt vmcnt(0)
	v_mul_f64 v[16:17], v[14:15], s[2:3]
	s_mov_b32 s2, 0xfefa39ef
	v_rndne_f64_e32 v[16:17], v[16:17]
	s_mov_b32 s3, 0xbfe62e42
	v_fma_f64 v[18:19], s[2:3], v[16:17], v[14:15]
	s_mov_b32 s2, 0x3b39803f
	s_mov_b32 s3, 0xbc7abc9e
	v_fmac_f64_e32 v[18:19], s[2:3], v[16:17]
	s_mov_b32 s2, 0x6a5dcb37
	v_mov_b32_e32 v20, 0xfca7ab0c
	v_mov_b32_e32 v21, 0x3e928af3
	s_mov_b32 s3, 0x3e5ade15
	v_fmac_f64_e32 v[20:21], s[2:3], v[18:19]
	v_mov_b32_e32 v22, 0x623fde64
	v_mov_b32_e32 v23, 0x3ec71dee
	v_fmac_f64_e32 v[22:23], v[18:19], v[20:21]
	v_mov_b32_e32 v20, 0x7c89e6b0
	v_mov_b32_e32 v21, 0x3efa0199
	;; [unrolled: 3-line block ×8, first 2 shown]
	v_fmac_f64_e32 v[20:21], v[18:19], v[22:23]
	v_fma_f64 v[20:21], v[18:19], v[20:21], 1.0
	s_mov_b32 s2, 0
	s_mov_b32 s4, 0
	v_fma_f64 v[18:19], v[18:19], v[20:21], 1.0
	v_cvt_i32_f64_e32 v16, v[16:17]
	s_mov_b32 s3, 0x40900000
	s_mov_b32 s5, 0xc090cc00
	v_ldexp_f64 v[16:17], v[18:19], v16
	v_mov_b32_e32 v18, 0x7ff00000
	v_cmp_nlt_f64_e64 s[2:3], s[2:3], v[14:15]
	v_cmp_ngt_f64_e64 s[4:5], s[4:5], v[14:15]
	v_cndmask_b32_e64 v17, v18, v17, s[2:3]
	s_and_b64 s[2:3], s[4:5], s[2:3]
	v_cndmask_b32_e64 v15, 0, v17, s[4:5]
	v_cndmask_b32_e64 v14, 0, v16, s[2:3]
	v_fma_f64 v[12:13], -v[6:7], v[14:15], v[12:13]
	global_store_dwordx2 v[4:5], v[12:13], off offset:1280
	s_or_b64 exec, exec, s[6:7]
	s_and_saveexec_b64 s[4:5], s[0:1]
	s_cbranch_execz .LBB221_24
.LBB221_33:
	s_mov_b32 s0, 0x652b82fe
	s_mov_b32 s1, 0x3ff71547
	s_waitcnt vmcnt(0)
	v_mul_f64 v[12:13], v[10:11], s[0:1]
	s_mov_b32 s0, 0xfefa39ef
	v_rndne_f64_e32 v[12:13], v[12:13]
	s_mov_b32 s1, 0xbfe62e42
	v_fma_f64 v[14:15], s[0:1], v[12:13], v[10:11]
	s_mov_b32 s0, 0x3b39803f
	s_mov_b32 s1, 0xbc7abc9e
	v_fmac_f64_e32 v[14:15], s[0:1], v[12:13]
	s_mov_b32 s0, 0x6a5dcb37
	v_mov_b32_e32 v16, 0xfca7ab0c
	v_mov_b32_e32 v17, 0x3e928af3
	s_mov_b32 s1, 0x3e5ade15
	v_fmac_f64_e32 v[16:17], s[0:1], v[14:15]
	v_mov_b32_e32 v18, 0x623fde64
	v_mov_b32_e32 v19, 0x3ec71dee
	v_fmac_f64_e32 v[18:19], v[14:15], v[16:17]
	v_mov_b32_e32 v16, 0x7c89e6b0
	v_mov_b32_e32 v17, 0x3efa0199
	;; [unrolled: 3-line block ×8, first 2 shown]
	v_fmac_f64_e32 v[16:17], v[14:15], v[18:19]
	v_fma_f64 v[16:17], v[14:15], v[16:17], 1.0
	s_mov_b32 s0, 0
	s_mov_b32 s2, 0
	v_fma_f64 v[14:15], v[14:15], v[16:17], 1.0
	v_cvt_i32_f64_e32 v12, v[12:13]
	s_mov_b32 s1, 0x40900000
	s_mov_b32 s3, 0xc090cc00
	v_ldexp_f64 v[12:13], v[14:15], v12
	v_mov_b32_e32 v14, 0x7ff00000
	v_cmp_nlt_f64_e64 s[0:1], s[0:1], v[10:11]
	v_cmp_ngt_f64_e64 s[2:3], s[2:3], v[10:11]
	v_cndmask_b32_e64 v13, v14, v13, s[0:1]
	s_and_b64 s[0:1], s[2:3], s[0:1]
	v_cndmask_b32_e64 v11, 0, v13, s[2:3]
	v_cndmask_b32_e64 v10, 0, v12, s[0:1]
	v_fma_f64 v[8:9], -v[6:7], v[10:11], v[8:9]
	global_store_dwordx2 v[4:5], v[8:9], off offset:1536
	s_or_b64 exec, exec, s[4:5]
	s_and_b64 exec, exec, vcc
	s_cbranch_execnz .LBB221_25
	s_branch .LBB221_26
	.section	.rodata,"a",@progbits
	.p2align	6, 0x0
	.amdhsa_kernel _ZN12_GLOBAL__N_121softmax_warp_backwardIdddLi8ELb1ELb0ELi32EEEvPT0_PKT_S5_iiiPKb
		.amdhsa_group_segment_fixed_size 0
		.amdhsa_private_segment_fixed_size 0
		.amdhsa_kernarg_size 304
		.amdhsa_user_sgpr_count 6
		.amdhsa_user_sgpr_private_segment_buffer 1
		.amdhsa_user_sgpr_dispatch_ptr 0
		.amdhsa_user_sgpr_queue_ptr 0
		.amdhsa_user_sgpr_kernarg_segment_ptr 1
		.amdhsa_user_sgpr_dispatch_id 0
		.amdhsa_user_sgpr_flat_scratch_init 0
		.amdhsa_user_sgpr_kernarg_preload_length 0
		.amdhsa_user_sgpr_kernarg_preload_offset 0
		.amdhsa_user_sgpr_private_segment_size 0
		.amdhsa_uses_dynamic_stack 0
		.amdhsa_system_sgpr_private_segment_wavefront_offset 0
		.amdhsa_system_sgpr_workgroup_id_x 1
		.amdhsa_system_sgpr_workgroup_id_y 0
		.amdhsa_system_sgpr_workgroup_id_z 0
		.amdhsa_system_sgpr_workgroup_info 0
		.amdhsa_system_vgpr_workitem_id 1
		.amdhsa_next_free_vgpr 44
		.amdhsa_next_free_sgpr 24
		.amdhsa_accum_offset 44
		.amdhsa_reserve_vcc 1
		.amdhsa_reserve_flat_scratch 0
		.amdhsa_float_round_mode_32 0
		.amdhsa_float_round_mode_16_64 0
		.amdhsa_float_denorm_mode_32 3
		.amdhsa_float_denorm_mode_16_64 3
		.amdhsa_dx10_clamp 1
		.amdhsa_ieee_mode 1
		.amdhsa_fp16_overflow 0
		.amdhsa_tg_split 0
		.amdhsa_exception_fp_ieee_invalid_op 0
		.amdhsa_exception_fp_denorm_src 0
		.amdhsa_exception_fp_ieee_div_zero 0
		.amdhsa_exception_fp_ieee_overflow 0
		.amdhsa_exception_fp_ieee_underflow 0
		.amdhsa_exception_fp_ieee_inexact 0
		.amdhsa_exception_int_div_zero 0
	.end_amdhsa_kernel
	.section	.text._ZN12_GLOBAL__N_121softmax_warp_backwardIdddLi8ELb1ELb0ELi32EEEvPT0_PKT_S5_iiiPKb,"axG",@progbits,_ZN12_GLOBAL__N_121softmax_warp_backwardIdddLi8ELb1ELb0ELi32EEEvPT0_PKT_S5_iiiPKb,comdat
.Lfunc_end221:
	.size	_ZN12_GLOBAL__N_121softmax_warp_backwardIdddLi8ELb1ELb0ELi32EEEvPT0_PKT_S5_iiiPKb, .Lfunc_end221-_ZN12_GLOBAL__N_121softmax_warp_backwardIdddLi8ELb1ELb0ELi32EEEvPT0_PKT_S5_iiiPKb
                                        ; -- End function
	.section	.AMDGPU.csdata,"",@progbits
; Kernel info:
; codeLenInByte = 4276
; NumSgprs: 28
; NumVgprs: 44
; NumAgprs: 0
; TotalNumVgprs: 44
; ScratchSize: 0
; MemoryBound: 0
; FloatMode: 240
; IeeeMode: 1
; LDSByteSize: 0 bytes/workgroup (compile time only)
; SGPRBlocks: 3
; VGPRBlocks: 5
; NumSGPRsForWavesPerEU: 28
; NumVGPRsForWavesPerEU: 44
; AccumOffset: 44
; Occupancy: 8
; WaveLimiterHint : 0
; COMPUTE_PGM_RSRC2:SCRATCH_EN: 0
; COMPUTE_PGM_RSRC2:USER_SGPR: 6
; COMPUTE_PGM_RSRC2:TRAP_HANDLER: 0
; COMPUTE_PGM_RSRC2:TGID_X_EN: 1
; COMPUTE_PGM_RSRC2:TGID_Y_EN: 0
; COMPUTE_PGM_RSRC2:TGID_Z_EN: 0
; COMPUTE_PGM_RSRC2:TIDIG_COMP_CNT: 1
; COMPUTE_PGM_RSRC3_GFX90A:ACCUM_OFFSET: 10
; COMPUTE_PGM_RSRC3_GFX90A:TG_SPLIT: 0
	.section	.text._ZN12_GLOBAL__N_121softmax_warp_backwardIdddLi9ELb1ELb0ELi64EEEvPT0_PKT_S5_iiiPKb,"axG",@progbits,_ZN12_GLOBAL__N_121softmax_warp_backwardIdddLi9ELb1ELb0ELi64EEEvPT0_PKT_S5_iiiPKb,comdat
	.globl	_ZN12_GLOBAL__N_121softmax_warp_backwardIdddLi9ELb1ELb0ELi64EEEvPT0_PKT_S5_iiiPKb ; -- Begin function _ZN12_GLOBAL__N_121softmax_warp_backwardIdddLi9ELb1ELb0ELi64EEEvPT0_PKT_S5_iiiPKb
	.p2align	8
	.type	_ZN12_GLOBAL__N_121softmax_warp_backwardIdddLi9ELb1ELb0ELi64EEEvPT0_PKT_S5_iiiPKb,@function
_ZN12_GLOBAL__N_121softmax_warp_backwardIdddLi9ELb1ELb0ELi64EEEvPT0_PKT_S5_iiiPKb: ; @_ZN12_GLOBAL__N_121softmax_warp_backwardIdddLi9ELb1ELb0ELi64EEEvPT0_PKT_S5_iiiPKb
; %bb.0:
	s_load_dword s2, s[4:5], 0x3c
	s_load_dwordx4 s[20:23], s[4:5], 0x18
	s_load_dwordx4 s[16:19], s[4:5], 0x0
	s_load_dwordx2 s[0:1], s[4:5], 0x10
	v_bfe_u32 v1, v0, 10, 10
	s_waitcnt lgkmcnt(0)
	s_lshr_b32 s2, s2, 16
	s_mul_i32 s6, s6, s2
	v_add_u32_e32 v1, s6, v1
	v_and_b32_e32 v2, 63, v0
	v_sub_u32_e32 v38, s20, v1
	v_mad_u64_u32 v[0:1], s[2:3], v1, s21, v[2:3]
	v_ashrrev_i32_e32 v1, 31, v0
	v_lshlrev_b64 v[4:5], 3, v[0:1]
	v_mov_b32_e32 v0, s19
	v_add_co_u32_e32 v8, vcc, s18, v4
	v_addc_co_u32_e32 v9, vcc, v0, v5, vcc
	v_mov_b32_e32 v0, s1
	v_add_co_u32_e32 v36, vcc, s0, v4
	v_cmp_lt_i32_e64 s[14:15], 0, v38
	v_cmp_gt_i32_e64 s[12:13], s22, v2
	v_pk_mov_b32 v[28:29], 0, 0
	v_addc_co_u32_e32 v37, vcc, v0, v5, vcc
	s_and_b64 s[2:3], s[14:15], s[12:13]
	v_pk_mov_b32 v[32:33], v[28:29], v[28:29] op_sel:[0,1]
	v_pk_mov_b32 v[34:35], v[28:29], v[28:29] op_sel:[0,1]
	s_and_saveexec_b64 s[0:1], s[2:3]
	s_cbranch_execz .LBB222_2
; %bb.1:
	global_load_dwordx2 v[32:33], v[8:9], off
	global_load_dwordx2 v[34:35], v[36:37], off
.LBB222_2:
	s_or_b64 exec, exec, s[0:1]
	v_or_b32_e32 v0, 64, v2
	v_cmp_gt_i32_e64 s[10:11], s22, v0
	s_and_b64 s[2:3], s[14:15], s[10:11]
	v_pk_mov_b32 v[30:31], v[28:29], v[28:29] op_sel:[0,1]
	s_and_saveexec_b64 s[0:1], s[2:3]
	s_cbranch_execz .LBB222_4
; %bb.3:
	global_load_dwordx2 v[28:29], v[8:9], off offset:512
	global_load_dwordx2 v[30:31], v[36:37], off offset:512
.LBB222_4:
	s_or_b64 exec, exec, s[0:1]
	v_or_b32_e32 v0, 0x80, v2
	v_cmp_gt_i32_e64 s[8:9], s22, v0
	v_pk_mov_b32 v[20:21], 0, 0
	s_and_b64 s[2:3], s[14:15], s[8:9]
	v_pk_mov_b32 v[24:25], v[20:21], v[20:21] op_sel:[0,1]
	v_pk_mov_b32 v[26:27], v[20:21], v[20:21] op_sel:[0,1]
	s_and_saveexec_b64 s[0:1], s[2:3]
	s_cbranch_execz .LBB222_6
; %bb.5:
	global_load_dwordx2 v[24:25], v[8:9], off offset:1024
	global_load_dwordx2 v[26:27], v[36:37], off offset:1024
.LBB222_6:
	s_or_b64 exec, exec, s[0:1]
	v_or_b32_e32 v0, 0xc0, v2
	v_cmp_gt_i32_e64 s[6:7], s22, v0
	s_and_b64 s[2:3], s[14:15], s[6:7]
	v_pk_mov_b32 v[22:23], v[20:21], v[20:21] op_sel:[0,1]
	s_and_saveexec_b64 s[0:1], s[2:3]
	s_cbranch_execz .LBB222_8
; %bb.7:
	global_load_dwordx2 v[20:21], v[8:9], off offset:1536
	global_load_dwordx2 v[22:23], v[36:37], off offset:1536
.LBB222_8:
	s_or_b64 exec, exec, s[0:1]
	v_or_b32_e32 v0, 0x100, v2
	v_cmp_gt_i32_e64 s[4:5], s22, v0
	v_pk_mov_b32 v[12:13], 0, 0
	s_and_b64 s[2:3], s[14:15], s[4:5]
	v_pk_mov_b32 v[16:17], v[12:13], v[12:13] op_sel:[0,1]
	v_pk_mov_b32 v[18:19], v[12:13], v[12:13] op_sel:[0,1]
	s_and_saveexec_b64 s[0:1], s[2:3]
	s_cbranch_execz .LBB222_10
; %bb.9:
	global_load_dwordx2 v[16:17], v[8:9], off offset:2048
	global_load_dwordx2 v[18:19], v[36:37], off offset:2048
.LBB222_10:
	;; [unrolled: 24-line block ×3, first 2 shown]
	s_or_b64 exec, exec, s[18:19]
	v_or_b32_e32 v2, 0x1c0, v2
	v_cmp_gt_i32_e32 vcc, s22, v2
	s_and_b64 s[18:19], s[14:15], vcc
	v_pk_mov_b32 v[2:3], v[0:1], v[0:1] op_sel:[0,1]
	s_and_saveexec_b64 s[14:15], s[18:19]
	s_cbranch_execz .LBB222_16
; %bb.15:
	global_load_dwordx2 v[0:1], v[8:9], off offset:3584
	global_load_dwordx2 v[2:3], v[36:37], off offset:3584
.LBB222_16:
	s_or_b64 exec, exec, s[14:15]
	s_waitcnt vmcnt(1)
	v_add_f64 v[8:9], v[32:33], 0
	v_add_f64 v[8:9], v[8:9], v[28:29]
	v_mbcnt_lo_u32_b32 v36, -1, 0
	v_add_f64 v[8:9], v[8:9], v[24:25]
	v_mbcnt_hi_u32_b32 v39, -1, v36
	v_add_f64 v[8:9], v[8:9], v[20:21]
	v_and_b32_e32 v36, 64, v39
	v_add_f64 v[8:9], v[8:9], v[16:17]
	v_add_u32_e32 v40, 64, v36
	v_xor_b32_e32 v36, 32, v39
	v_add_f64 v[8:9], v[8:9], v[12:13]
	v_cmp_lt_i32_e64 s[14:15], v36, v40
	v_add_f64 v[8:9], v[8:9], v[6:7]
	v_cndmask_b32_e64 v36, v39, v36, s[14:15]
	v_add_f64 v[8:9], v[8:9], v[0:1]
	v_lshlrev_b32_e32 v37, 2, v36
	ds_bpermute_b32 v36, v37, v8
	ds_bpermute_b32 v37, v37, v9
	s_waitcnt lgkmcnt(0)
	v_add_f64 v[8:9], v[8:9], v[36:37]
	v_xor_b32_e32 v36, 16, v39
	v_cmp_lt_i32_e64 s[14:15], v36, v40
	v_cndmask_b32_e64 v36, v39, v36, s[14:15]
	v_lshlrev_b32_e32 v37, 2, v36
	ds_bpermute_b32 v36, v37, v8
	ds_bpermute_b32 v37, v37, v9
	s_waitcnt lgkmcnt(0)
	v_add_f64 v[8:9], v[8:9], v[36:37]
	v_xor_b32_e32 v36, 8, v39
	v_cmp_lt_i32_e64 s[14:15], v36, v40
	v_cndmask_b32_e64 v36, v39, v36, s[14:15]
	;; [unrolled: 8-line block ×5, first 2 shown]
	v_lshlrev_b32_e32 v37, 2, v36
	ds_bpermute_b32 v36, v37, v8
	ds_bpermute_b32 v37, v37, v9
	v_cmp_lt_i32_e64 s[14:15], 0, v38
	s_and_saveexec_b64 s[18:19], s[14:15]
	s_cbranch_execz .LBB222_26
; %bb.17:
	v_mov_b32_e32 v38, s17
	v_add_co_u32_e64 v4, s[14:15], s16, v4
	v_addc_co_u32_e64 v5, s[14:15], v38, v5, s[14:15]
	s_waitcnt lgkmcnt(0)
	v_add_f64 v[8:9], v[8:9], v[36:37]
	s_and_saveexec_b64 s[16:17], s[12:13]
	s_cbranch_execnz .LBB222_27
; %bb.18:
	s_or_b64 exec, exec, s[16:17]
	s_and_saveexec_b64 s[14:15], s[10:11]
	s_cbranch_execnz .LBB222_28
.LBB222_19:
	s_or_b64 exec, exec, s[14:15]
	s_and_saveexec_b64 s[12:13], s[8:9]
	s_cbranch_execnz .LBB222_29
.LBB222_20:
	s_or_b64 exec, exec, s[12:13]
	s_and_saveexec_b64 s[10:11], s[6:7]
	s_cbranch_execnz .LBB222_30
.LBB222_21:
	s_or_b64 exec, exec, s[10:11]
	s_and_saveexec_b64 s[8:9], s[4:5]
	s_cbranch_execnz .LBB222_31
.LBB222_22:
	s_or_b64 exec, exec, s[8:9]
	s_and_saveexec_b64 s[6:7], s[2:3]
	s_cbranch_execnz .LBB222_32
.LBB222_23:
	s_or_b64 exec, exec, s[6:7]
	s_and_saveexec_b64 s[4:5], s[0:1]
	s_cbranch_execnz .LBB222_33
.LBB222_24:
	s_or_b64 exec, exec, s[4:5]
	s_and_b64 exec, exec, vcc
	s_cbranch_execz .LBB222_26
.LBB222_25:
	s_mov_b32 s0, 0x652b82fe
	s_mov_b32 s1, 0x3ff71547
	s_waitcnt vmcnt(0)
	v_mul_f64 v[6:7], v[2:3], s[0:1]
	s_mov_b32 s0, 0xfefa39ef
	v_rndne_f64_e32 v[6:7], v[6:7]
	s_mov_b32 s1, 0xbfe62e42
	v_fma_f64 v[10:11], s[0:1], v[6:7], v[2:3]
	s_mov_b32 s0, 0x3b39803f
	s_mov_b32 s1, 0xbc7abc9e
	v_fmac_f64_e32 v[10:11], s[0:1], v[6:7]
	s_mov_b32 s0, 0x6a5dcb37
	v_mov_b32_e32 v12, 0xfca7ab0c
	v_mov_b32_e32 v13, 0x3e928af3
	s_mov_b32 s1, 0x3e5ade15
	v_fmac_f64_e32 v[12:13], s[0:1], v[10:11]
	v_mov_b32_e32 v14, 0x623fde64
	v_mov_b32_e32 v15, 0x3ec71dee
	v_fmac_f64_e32 v[14:15], v[10:11], v[12:13]
	v_mov_b32_e32 v12, 0x7c89e6b0
	v_mov_b32_e32 v13, 0x3efa0199
	;; [unrolled: 3-line block ×8, first 2 shown]
	s_mov_b32 s0, 0
	v_fmac_f64_e32 v[12:13], v[10:11], v[14:15]
	s_mov_b32 s1, 0x40900000
	v_fma_f64 v[12:13], v[10:11], v[12:13], 1.0
	v_cmp_nlt_f64_e32 vcc, s[0:1], v[2:3]
	s_mov_b32 s0, 0
	v_fma_f64 v[10:11], v[10:11], v[12:13], 1.0
	v_cvt_i32_f64_e32 v6, v[6:7]
	s_mov_b32 s1, 0xc090cc00
	v_ldexp_f64 v[6:7], v[10:11], v6
	v_mov_b32_e32 v10, 0x7ff00000
	v_cmp_ngt_f64_e64 s[0:1], s[0:1], v[2:3]
	v_cndmask_b32_e32 v7, v10, v7, vcc
	s_and_b64 vcc, s[0:1], vcc
	v_cndmask_b32_e64 v3, 0, v7, s[0:1]
	v_cndmask_b32_e32 v2, 0, v6, vcc
	v_fma_f64 v[0:1], -v[8:9], v[2:3], v[0:1]
	global_store_dwordx2 v[4:5], v[0:1], off offset:3584
.LBB222_26:
	s_endpgm
.LBB222_27:
	s_mov_b32 s12, 0x652b82fe
	s_mov_b32 s13, 0x3ff71547
	s_waitcnt vmcnt(0)
	v_mul_f64 v[36:37], v[34:35], s[12:13]
	s_mov_b32 s12, 0xfefa39ef
	v_rndne_f64_e32 v[36:37], v[36:37]
	s_mov_b32 s13, 0xbfe62e42
	v_fma_f64 v[38:39], s[12:13], v[36:37], v[34:35]
	s_mov_b32 s12, 0x3b39803f
	s_mov_b32 s13, 0xbc7abc9e
	v_fmac_f64_e32 v[38:39], s[12:13], v[36:37]
	s_mov_b32 s12, 0x6a5dcb37
	v_mov_b32_e32 v40, 0xfca7ab0c
	v_mov_b32_e32 v41, 0x3e928af3
	s_mov_b32 s13, 0x3e5ade15
	v_fmac_f64_e32 v[40:41], s[12:13], v[38:39]
	v_mov_b32_e32 v42, 0x623fde64
	v_mov_b32_e32 v43, 0x3ec71dee
	v_fmac_f64_e32 v[42:43], v[38:39], v[40:41]
	v_mov_b32_e32 v40, 0x7c89e6b0
	v_mov_b32_e32 v41, 0x3efa0199
	v_fmac_f64_e32 v[40:41], v[38:39], v[42:43]
	v_mov_b32_e32 v42, 0x14761f6e
	v_mov_b32_e32 v43, 0x3f2a01a0
	v_fmac_f64_e32 v[42:43], v[38:39], v[40:41]
	v_mov_b32_e32 v40, 0x1852b7b0
	v_mov_b32_e32 v41, 0x3f56c16c
	v_fmac_f64_e32 v[40:41], v[38:39], v[42:43]
	v_mov_b32_e32 v42, 0x11122322
	v_mov_b32_e32 v43, 0x3f811111
	v_fmac_f64_e32 v[42:43], v[38:39], v[40:41]
	v_mov_b32_e32 v40, 0x555502a1
	v_mov_b32_e32 v41, 0x3fa55555
	v_fmac_f64_e32 v[40:41], v[38:39], v[42:43]
	v_mov_b32_e32 v42, 0x55555511
	v_mov_b32_e32 v43, 0x3fc55555
	v_fmac_f64_e32 v[42:43], v[38:39], v[40:41]
	v_mov_b32_e32 v40, 11
	v_mov_b32_e32 v41, 0x3fe00000
	v_fmac_f64_e32 v[40:41], v[38:39], v[42:43]
	v_fma_f64 v[40:41], v[38:39], v[40:41], 1.0
	s_mov_b32 s12, 0
	s_mov_b32 s14, 0
	v_fma_f64 v[38:39], v[38:39], v[40:41], 1.0
	v_cvt_i32_f64_e32 v36, v[36:37]
	s_mov_b32 s13, 0x40900000
	s_mov_b32 s15, 0xc090cc00
	v_ldexp_f64 v[36:37], v[38:39], v36
	v_mov_b32_e32 v38, 0x7ff00000
	v_cmp_nlt_f64_e64 s[12:13], s[12:13], v[34:35]
	v_cmp_ngt_f64_e64 s[14:15], s[14:15], v[34:35]
	v_cndmask_b32_e64 v37, v38, v37, s[12:13]
	s_and_b64 s[12:13], s[14:15], s[12:13]
	v_cndmask_b32_e64 v35, 0, v37, s[14:15]
	v_cndmask_b32_e64 v34, 0, v36, s[12:13]
	v_fma_f64 v[32:33], -v[8:9], v[34:35], v[32:33]
	global_store_dwordx2 v[4:5], v[32:33], off
	s_or_b64 exec, exec, s[16:17]
	s_and_saveexec_b64 s[14:15], s[10:11]
	s_cbranch_execz .LBB222_19
.LBB222_28:
	s_mov_b32 s10, 0x652b82fe
	s_mov_b32 s11, 0x3ff71547
	s_waitcnt vmcnt(0)
	v_mul_f64 v[32:33], v[30:31], s[10:11]
	s_mov_b32 s10, 0xfefa39ef
	v_rndne_f64_e32 v[32:33], v[32:33]
	s_mov_b32 s11, 0xbfe62e42
	v_fma_f64 v[34:35], s[10:11], v[32:33], v[30:31]
	s_mov_b32 s10, 0x3b39803f
	s_mov_b32 s11, 0xbc7abc9e
	v_fmac_f64_e32 v[34:35], s[10:11], v[32:33]
	s_mov_b32 s10, 0x6a5dcb37
	v_mov_b32_e32 v36, 0xfca7ab0c
	v_mov_b32_e32 v37, 0x3e928af3
	s_mov_b32 s11, 0x3e5ade15
	v_fmac_f64_e32 v[36:37], s[10:11], v[34:35]
	v_mov_b32_e32 v38, 0x623fde64
	v_mov_b32_e32 v39, 0x3ec71dee
	v_fmac_f64_e32 v[38:39], v[34:35], v[36:37]
	v_mov_b32_e32 v36, 0x7c89e6b0
	v_mov_b32_e32 v37, 0x3efa0199
	;; [unrolled: 3-line block ×8, first 2 shown]
	v_fmac_f64_e32 v[36:37], v[34:35], v[38:39]
	v_fma_f64 v[36:37], v[34:35], v[36:37], 1.0
	s_mov_b32 s10, 0
	s_mov_b32 s12, 0
	v_fma_f64 v[34:35], v[34:35], v[36:37], 1.0
	v_cvt_i32_f64_e32 v32, v[32:33]
	s_mov_b32 s11, 0x40900000
	s_mov_b32 s13, 0xc090cc00
	v_ldexp_f64 v[32:33], v[34:35], v32
	v_mov_b32_e32 v34, 0x7ff00000
	v_cmp_nlt_f64_e64 s[10:11], s[10:11], v[30:31]
	v_cmp_ngt_f64_e64 s[12:13], s[12:13], v[30:31]
	v_cndmask_b32_e64 v33, v34, v33, s[10:11]
	s_and_b64 s[10:11], s[12:13], s[10:11]
	v_cndmask_b32_e64 v31, 0, v33, s[12:13]
	v_cndmask_b32_e64 v30, 0, v32, s[10:11]
	v_fma_f64 v[28:29], -v[8:9], v[30:31], v[28:29]
	global_store_dwordx2 v[4:5], v[28:29], off offset:512
	s_or_b64 exec, exec, s[14:15]
	s_and_saveexec_b64 s[12:13], s[8:9]
	s_cbranch_execz .LBB222_20
.LBB222_29:
	s_mov_b32 s8, 0x652b82fe
	s_mov_b32 s9, 0x3ff71547
	s_waitcnt vmcnt(0)
	v_mul_f64 v[28:29], v[26:27], s[8:9]
	s_mov_b32 s8, 0xfefa39ef
	v_rndne_f64_e32 v[28:29], v[28:29]
	s_mov_b32 s9, 0xbfe62e42
	v_fma_f64 v[30:31], s[8:9], v[28:29], v[26:27]
	s_mov_b32 s8, 0x3b39803f
	s_mov_b32 s9, 0xbc7abc9e
	v_fmac_f64_e32 v[30:31], s[8:9], v[28:29]
	s_mov_b32 s8, 0x6a5dcb37
	v_mov_b32_e32 v32, 0xfca7ab0c
	v_mov_b32_e32 v33, 0x3e928af3
	s_mov_b32 s9, 0x3e5ade15
	v_fmac_f64_e32 v[32:33], s[8:9], v[30:31]
	v_mov_b32_e32 v34, 0x623fde64
	v_mov_b32_e32 v35, 0x3ec71dee
	v_fmac_f64_e32 v[34:35], v[30:31], v[32:33]
	v_mov_b32_e32 v32, 0x7c89e6b0
	v_mov_b32_e32 v33, 0x3efa0199
	;; [unrolled: 3-line block ×8, first 2 shown]
	v_fmac_f64_e32 v[32:33], v[30:31], v[34:35]
	v_fma_f64 v[32:33], v[30:31], v[32:33], 1.0
	s_mov_b32 s8, 0
	s_mov_b32 s10, 0
	v_fma_f64 v[30:31], v[30:31], v[32:33], 1.0
	v_cvt_i32_f64_e32 v28, v[28:29]
	s_mov_b32 s9, 0x40900000
	s_mov_b32 s11, 0xc090cc00
	v_ldexp_f64 v[28:29], v[30:31], v28
	v_mov_b32_e32 v30, 0x7ff00000
	v_cmp_nlt_f64_e64 s[8:9], s[8:9], v[26:27]
	v_cmp_ngt_f64_e64 s[10:11], s[10:11], v[26:27]
	v_cndmask_b32_e64 v29, v30, v29, s[8:9]
	s_and_b64 s[8:9], s[10:11], s[8:9]
	v_cndmask_b32_e64 v27, 0, v29, s[10:11]
	v_cndmask_b32_e64 v26, 0, v28, s[8:9]
	v_fma_f64 v[24:25], -v[8:9], v[26:27], v[24:25]
	global_store_dwordx2 v[4:5], v[24:25], off offset:1024
	s_or_b64 exec, exec, s[12:13]
	s_and_saveexec_b64 s[10:11], s[6:7]
	s_cbranch_execz .LBB222_21
.LBB222_30:
	s_mov_b32 s6, 0x652b82fe
	s_mov_b32 s7, 0x3ff71547
	s_waitcnt vmcnt(0)
	v_mul_f64 v[24:25], v[22:23], s[6:7]
	s_mov_b32 s6, 0xfefa39ef
	v_rndne_f64_e32 v[24:25], v[24:25]
	s_mov_b32 s7, 0xbfe62e42
	v_fma_f64 v[26:27], s[6:7], v[24:25], v[22:23]
	s_mov_b32 s6, 0x3b39803f
	s_mov_b32 s7, 0xbc7abc9e
	v_fmac_f64_e32 v[26:27], s[6:7], v[24:25]
	s_mov_b32 s6, 0x6a5dcb37
	v_mov_b32_e32 v28, 0xfca7ab0c
	v_mov_b32_e32 v29, 0x3e928af3
	s_mov_b32 s7, 0x3e5ade15
	v_fmac_f64_e32 v[28:29], s[6:7], v[26:27]
	v_mov_b32_e32 v30, 0x623fde64
	v_mov_b32_e32 v31, 0x3ec71dee
	v_fmac_f64_e32 v[30:31], v[26:27], v[28:29]
	v_mov_b32_e32 v28, 0x7c89e6b0
	v_mov_b32_e32 v29, 0x3efa0199
	;; [unrolled: 3-line block ×8, first 2 shown]
	v_fmac_f64_e32 v[28:29], v[26:27], v[30:31]
	v_fma_f64 v[28:29], v[26:27], v[28:29], 1.0
	s_mov_b32 s6, 0
	s_mov_b32 s8, 0
	v_fma_f64 v[26:27], v[26:27], v[28:29], 1.0
	v_cvt_i32_f64_e32 v24, v[24:25]
	s_mov_b32 s7, 0x40900000
	s_mov_b32 s9, 0xc090cc00
	v_ldexp_f64 v[24:25], v[26:27], v24
	v_mov_b32_e32 v26, 0x7ff00000
	v_cmp_nlt_f64_e64 s[6:7], s[6:7], v[22:23]
	v_cmp_ngt_f64_e64 s[8:9], s[8:9], v[22:23]
	v_cndmask_b32_e64 v25, v26, v25, s[6:7]
	s_and_b64 s[6:7], s[8:9], s[6:7]
	v_cndmask_b32_e64 v23, 0, v25, s[8:9]
	v_cndmask_b32_e64 v22, 0, v24, s[6:7]
	v_fma_f64 v[20:21], -v[8:9], v[22:23], v[20:21]
	global_store_dwordx2 v[4:5], v[20:21], off offset:1536
	s_or_b64 exec, exec, s[10:11]
	s_and_saveexec_b64 s[8:9], s[4:5]
	s_cbranch_execz .LBB222_22
.LBB222_31:
	s_mov_b32 s4, 0x652b82fe
	s_mov_b32 s5, 0x3ff71547
	s_waitcnt vmcnt(0)
	v_mul_f64 v[20:21], v[18:19], s[4:5]
	s_mov_b32 s4, 0xfefa39ef
	v_rndne_f64_e32 v[20:21], v[20:21]
	s_mov_b32 s5, 0xbfe62e42
	v_fma_f64 v[22:23], s[4:5], v[20:21], v[18:19]
	s_mov_b32 s4, 0x3b39803f
	s_mov_b32 s5, 0xbc7abc9e
	v_fmac_f64_e32 v[22:23], s[4:5], v[20:21]
	s_mov_b32 s4, 0x6a5dcb37
	v_mov_b32_e32 v24, 0xfca7ab0c
	v_mov_b32_e32 v25, 0x3e928af3
	s_mov_b32 s5, 0x3e5ade15
	v_fmac_f64_e32 v[24:25], s[4:5], v[22:23]
	v_mov_b32_e32 v26, 0x623fde64
	v_mov_b32_e32 v27, 0x3ec71dee
	v_fmac_f64_e32 v[26:27], v[22:23], v[24:25]
	v_mov_b32_e32 v24, 0x7c89e6b0
	v_mov_b32_e32 v25, 0x3efa0199
	;; [unrolled: 3-line block ×8, first 2 shown]
	v_fmac_f64_e32 v[24:25], v[22:23], v[26:27]
	v_fma_f64 v[24:25], v[22:23], v[24:25], 1.0
	s_mov_b32 s4, 0
	s_mov_b32 s6, 0
	v_fma_f64 v[22:23], v[22:23], v[24:25], 1.0
	v_cvt_i32_f64_e32 v20, v[20:21]
	s_mov_b32 s5, 0x40900000
	s_mov_b32 s7, 0xc090cc00
	v_ldexp_f64 v[20:21], v[22:23], v20
	v_mov_b32_e32 v22, 0x7ff00000
	v_cmp_nlt_f64_e64 s[4:5], s[4:5], v[18:19]
	v_cmp_ngt_f64_e64 s[6:7], s[6:7], v[18:19]
	v_cndmask_b32_e64 v21, v22, v21, s[4:5]
	s_and_b64 s[4:5], s[6:7], s[4:5]
	v_cndmask_b32_e64 v19, 0, v21, s[6:7]
	v_cndmask_b32_e64 v18, 0, v20, s[4:5]
	v_fma_f64 v[16:17], -v[8:9], v[18:19], v[16:17]
	global_store_dwordx2 v[4:5], v[16:17], off offset:2048
	s_or_b64 exec, exec, s[8:9]
	s_and_saveexec_b64 s[6:7], s[2:3]
	s_cbranch_execz .LBB222_23
.LBB222_32:
	s_mov_b32 s2, 0x652b82fe
	s_mov_b32 s3, 0x3ff71547
	s_waitcnt vmcnt(0)
	v_mul_f64 v[16:17], v[14:15], s[2:3]
	s_mov_b32 s2, 0xfefa39ef
	v_rndne_f64_e32 v[16:17], v[16:17]
	s_mov_b32 s3, 0xbfe62e42
	v_fma_f64 v[18:19], s[2:3], v[16:17], v[14:15]
	s_mov_b32 s2, 0x3b39803f
	s_mov_b32 s3, 0xbc7abc9e
	v_fmac_f64_e32 v[18:19], s[2:3], v[16:17]
	s_mov_b32 s2, 0x6a5dcb37
	v_mov_b32_e32 v20, 0xfca7ab0c
	v_mov_b32_e32 v21, 0x3e928af3
	s_mov_b32 s3, 0x3e5ade15
	v_fmac_f64_e32 v[20:21], s[2:3], v[18:19]
	v_mov_b32_e32 v22, 0x623fde64
	v_mov_b32_e32 v23, 0x3ec71dee
	v_fmac_f64_e32 v[22:23], v[18:19], v[20:21]
	v_mov_b32_e32 v20, 0x7c89e6b0
	v_mov_b32_e32 v21, 0x3efa0199
	;; [unrolled: 3-line block ×8, first 2 shown]
	v_fmac_f64_e32 v[20:21], v[18:19], v[22:23]
	v_fma_f64 v[20:21], v[18:19], v[20:21], 1.0
	s_mov_b32 s2, 0
	s_mov_b32 s4, 0
	v_fma_f64 v[18:19], v[18:19], v[20:21], 1.0
	v_cvt_i32_f64_e32 v16, v[16:17]
	s_mov_b32 s3, 0x40900000
	s_mov_b32 s5, 0xc090cc00
	v_ldexp_f64 v[16:17], v[18:19], v16
	v_mov_b32_e32 v18, 0x7ff00000
	v_cmp_nlt_f64_e64 s[2:3], s[2:3], v[14:15]
	v_cmp_ngt_f64_e64 s[4:5], s[4:5], v[14:15]
	v_cndmask_b32_e64 v17, v18, v17, s[2:3]
	s_and_b64 s[2:3], s[4:5], s[2:3]
	v_cndmask_b32_e64 v15, 0, v17, s[4:5]
	v_cndmask_b32_e64 v14, 0, v16, s[2:3]
	v_fma_f64 v[12:13], -v[8:9], v[14:15], v[12:13]
	global_store_dwordx2 v[4:5], v[12:13], off offset:2560
	s_or_b64 exec, exec, s[6:7]
	s_and_saveexec_b64 s[4:5], s[0:1]
	s_cbranch_execz .LBB222_24
.LBB222_33:
	s_mov_b32 s0, 0x652b82fe
	s_mov_b32 s1, 0x3ff71547
	s_waitcnt vmcnt(0)
	v_mul_f64 v[12:13], v[10:11], s[0:1]
	s_mov_b32 s0, 0xfefa39ef
	v_rndne_f64_e32 v[12:13], v[12:13]
	s_mov_b32 s1, 0xbfe62e42
	v_fma_f64 v[14:15], s[0:1], v[12:13], v[10:11]
	s_mov_b32 s0, 0x3b39803f
	s_mov_b32 s1, 0xbc7abc9e
	v_fmac_f64_e32 v[14:15], s[0:1], v[12:13]
	s_mov_b32 s0, 0x6a5dcb37
	v_mov_b32_e32 v16, 0xfca7ab0c
	v_mov_b32_e32 v17, 0x3e928af3
	s_mov_b32 s1, 0x3e5ade15
	v_fmac_f64_e32 v[16:17], s[0:1], v[14:15]
	v_mov_b32_e32 v18, 0x623fde64
	v_mov_b32_e32 v19, 0x3ec71dee
	v_fmac_f64_e32 v[18:19], v[14:15], v[16:17]
	v_mov_b32_e32 v16, 0x7c89e6b0
	v_mov_b32_e32 v17, 0x3efa0199
	;; [unrolled: 3-line block ×8, first 2 shown]
	v_fmac_f64_e32 v[16:17], v[14:15], v[18:19]
	v_fma_f64 v[16:17], v[14:15], v[16:17], 1.0
	s_mov_b32 s0, 0
	s_mov_b32 s2, 0
	v_fma_f64 v[14:15], v[14:15], v[16:17], 1.0
	v_cvt_i32_f64_e32 v12, v[12:13]
	s_mov_b32 s1, 0x40900000
	s_mov_b32 s3, 0xc090cc00
	v_ldexp_f64 v[12:13], v[14:15], v12
	v_mov_b32_e32 v14, 0x7ff00000
	v_cmp_nlt_f64_e64 s[0:1], s[0:1], v[10:11]
	v_cmp_ngt_f64_e64 s[2:3], s[2:3], v[10:11]
	v_cndmask_b32_e64 v13, v14, v13, s[0:1]
	s_and_b64 s[0:1], s[2:3], s[0:1]
	v_cndmask_b32_e64 v11, 0, v13, s[2:3]
	v_cndmask_b32_e64 v10, 0, v12, s[0:1]
	v_fma_f64 v[6:7], -v[8:9], v[10:11], v[6:7]
	global_store_dwordx2 v[4:5], v[6:7], off offset:3072
	s_or_b64 exec, exec, s[4:5]
	s_and_b64 exec, exec, vcc
	s_cbranch_execnz .LBB222_25
	s_branch .LBB222_26
	.section	.rodata,"a",@progbits
	.p2align	6, 0x0
	.amdhsa_kernel _ZN12_GLOBAL__N_121softmax_warp_backwardIdddLi9ELb1ELb0ELi64EEEvPT0_PKT_S5_iiiPKb
		.amdhsa_group_segment_fixed_size 0
		.amdhsa_private_segment_fixed_size 0
		.amdhsa_kernarg_size 304
		.amdhsa_user_sgpr_count 6
		.amdhsa_user_sgpr_private_segment_buffer 1
		.amdhsa_user_sgpr_dispatch_ptr 0
		.amdhsa_user_sgpr_queue_ptr 0
		.amdhsa_user_sgpr_kernarg_segment_ptr 1
		.amdhsa_user_sgpr_dispatch_id 0
		.amdhsa_user_sgpr_flat_scratch_init 0
		.amdhsa_user_sgpr_kernarg_preload_length 0
		.amdhsa_user_sgpr_kernarg_preload_offset 0
		.amdhsa_user_sgpr_private_segment_size 0
		.amdhsa_uses_dynamic_stack 0
		.amdhsa_system_sgpr_private_segment_wavefront_offset 0
		.amdhsa_system_sgpr_workgroup_id_x 1
		.amdhsa_system_sgpr_workgroup_id_y 0
		.amdhsa_system_sgpr_workgroup_id_z 0
		.amdhsa_system_sgpr_workgroup_info 0
		.amdhsa_system_vgpr_workitem_id 1
		.amdhsa_next_free_vgpr 44
		.amdhsa_next_free_sgpr 24
		.amdhsa_accum_offset 44
		.amdhsa_reserve_vcc 1
		.amdhsa_reserve_flat_scratch 0
		.amdhsa_float_round_mode_32 0
		.amdhsa_float_round_mode_16_64 0
		.amdhsa_float_denorm_mode_32 3
		.amdhsa_float_denorm_mode_16_64 3
		.amdhsa_dx10_clamp 1
		.amdhsa_ieee_mode 1
		.amdhsa_fp16_overflow 0
		.amdhsa_tg_split 0
		.amdhsa_exception_fp_ieee_invalid_op 0
		.amdhsa_exception_fp_denorm_src 0
		.amdhsa_exception_fp_ieee_div_zero 0
		.amdhsa_exception_fp_ieee_overflow 0
		.amdhsa_exception_fp_ieee_underflow 0
		.amdhsa_exception_fp_ieee_inexact 0
		.amdhsa_exception_int_div_zero 0
	.end_amdhsa_kernel
	.section	.text._ZN12_GLOBAL__N_121softmax_warp_backwardIdddLi9ELb1ELb0ELi64EEEvPT0_PKT_S5_iiiPKb,"axG",@progbits,_ZN12_GLOBAL__N_121softmax_warp_backwardIdddLi9ELb1ELb0ELi64EEEvPT0_PKT_S5_iiiPKb,comdat
.Lfunc_end222:
	.size	_ZN12_GLOBAL__N_121softmax_warp_backwardIdddLi9ELb1ELb0ELi64EEEvPT0_PKT_S5_iiiPKb, .Lfunc_end222-_ZN12_GLOBAL__N_121softmax_warp_backwardIdddLi9ELb1ELb0ELi64EEEvPT0_PKT_S5_iiiPKb
                                        ; -- End function
	.section	.AMDGPU.csdata,"",@progbits
; Kernel info:
; codeLenInByte = 4328
; NumSgprs: 28
; NumVgprs: 44
; NumAgprs: 0
; TotalNumVgprs: 44
; ScratchSize: 0
; MemoryBound: 0
; FloatMode: 240
; IeeeMode: 1
; LDSByteSize: 0 bytes/workgroup (compile time only)
; SGPRBlocks: 3
; VGPRBlocks: 5
; NumSGPRsForWavesPerEU: 28
; NumVGPRsForWavesPerEU: 44
; AccumOffset: 44
; Occupancy: 8
; WaveLimiterHint : 0
; COMPUTE_PGM_RSRC2:SCRATCH_EN: 0
; COMPUTE_PGM_RSRC2:USER_SGPR: 6
; COMPUTE_PGM_RSRC2:TRAP_HANDLER: 0
; COMPUTE_PGM_RSRC2:TGID_X_EN: 1
; COMPUTE_PGM_RSRC2:TGID_Y_EN: 0
; COMPUTE_PGM_RSRC2:TGID_Z_EN: 0
; COMPUTE_PGM_RSRC2:TIDIG_COMP_CNT: 1
; COMPUTE_PGM_RSRC3_GFX90A:ACCUM_OFFSET: 10
; COMPUTE_PGM_RSRC3_GFX90A:TG_SPLIT: 0
	.section	.text._ZN12_GLOBAL__N_121softmax_warp_backwardIdddLi9ELb1ELb0ELi32EEEvPT0_PKT_S5_iiiPKb,"axG",@progbits,_ZN12_GLOBAL__N_121softmax_warp_backwardIdddLi9ELb1ELb0ELi32EEEvPT0_PKT_S5_iiiPKb,comdat
	.globl	_ZN12_GLOBAL__N_121softmax_warp_backwardIdddLi9ELb1ELb0ELi32EEEvPT0_PKT_S5_iiiPKb ; -- Begin function _ZN12_GLOBAL__N_121softmax_warp_backwardIdddLi9ELb1ELb0ELi32EEEvPT0_PKT_S5_iiiPKb
	.p2align	8
	.type	_ZN12_GLOBAL__N_121softmax_warp_backwardIdddLi9ELb1ELb0ELi32EEEvPT0_PKT_S5_iiiPKb,@function
_ZN12_GLOBAL__N_121softmax_warp_backwardIdddLi9ELb1ELb0ELi32EEEvPT0_PKT_S5_iiiPKb: ; @_ZN12_GLOBAL__N_121softmax_warp_backwardIdddLi9ELb1ELb0ELi32EEEvPT0_PKT_S5_iiiPKb
; %bb.0:
	s_load_dword s2, s[4:5], 0x3c
	s_load_dwordx4 s[40:43], s[4:5], 0x18
	s_load_dwordx4 s[36:39], s[4:5], 0x0
	s_load_dwordx2 s[0:1], s[4:5], 0x10
	v_bfe_u32 v1, v0, 10, 10
	s_waitcnt lgkmcnt(0)
	s_lshr_b32 s2, s2, 16
	s_mul_i32 s6, s6, s2
	v_add_u32_e32 v1, s6, v1
	v_and_b32_e32 v2, 31, v0
	v_sub_u32_e32 v70, s40, v1
	v_mad_u64_u32 v[0:1], s[2:3], v1, s41, v[2:3]
	v_ashrrev_i32_e32 v1, 31, v0
	v_lshlrev_b64 v[4:5], 3, v[0:1]
	v_mov_b32_e32 v0, s39
	v_add_co_u32_e32 v8, vcc, s38, v4
	v_addc_co_u32_e32 v9, vcc, v0, v5, vcc
	v_mov_b32_e32 v0, s1
	v_add_co_u32_e32 v68, vcc, s0, v4
	v_cmp_lt_i32_e64 s[30:31], 0, v70
	v_cmp_gt_i32_e64 s[28:29], s42, v2
	v_pk_mov_b32 v[60:61], 0, 0
	v_addc_co_u32_e32 v69, vcc, v0, v5, vcc
	s_and_b64 s[2:3], s[30:31], s[28:29]
	v_pk_mov_b32 v[64:65], v[60:61], v[60:61] op_sel:[0,1]
	v_pk_mov_b32 v[66:67], v[60:61], v[60:61] op_sel:[0,1]
	s_and_saveexec_b64 s[0:1], s[2:3]
	s_cbranch_execz .LBB223_2
; %bb.1:
	global_load_dwordx2 v[64:65], v[8:9], off
	global_load_dwordx2 v[66:67], v[68:69], off
.LBB223_2:
	s_or_b64 exec, exec, s[0:1]
	v_or_b32_e32 v0, 32, v2
	v_cmp_gt_i32_e64 s[26:27], s42, v0
	s_and_b64 s[2:3], s[30:31], s[26:27]
	v_pk_mov_b32 v[62:63], v[60:61], v[60:61] op_sel:[0,1]
	s_and_saveexec_b64 s[0:1], s[2:3]
	s_cbranch_execz .LBB223_4
; %bb.3:
	global_load_dwordx2 v[60:61], v[8:9], off offset:256
	global_load_dwordx2 v[62:63], v[68:69], off offset:256
.LBB223_4:
	s_or_b64 exec, exec, s[0:1]
	v_or_b32_e32 v0, 64, v2
	v_cmp_gt_i32_e64 s[24:25], s42, v0
	v_pk_mov_b32 v[52:53], 0, 0
	s_and_b64 s[2:3], s[30:31], s[24:25]
	v_pk_mov_b32 v[56:57], v[52:53], v[52:53] op_sel:[0,1]
	v_pk_mov_b32 v[58:59], v[52:53], v[52:53] op_sel:[0,1]
	s_and_saveexec_b64 s[0:1], s[2:3]
	s_cbranch_execz .LBB223_6
; %bb.5:
	global_load_dwordx2 v[56:57], v[8:9], off offset:512
	global_load_dwordx2 v[58:59], v[68:69], off offset:512
.LBB223_6:
	s_or_b64 exec, exec, s[0:1]
	v_or_b32_e32 v0, 0x60, v2
	v_cmp_gt_i32_e64 s[22:23], s42, v0
	s_and_b64 s[2:3], s[30:31], s[22:23]
	v_pk_mov_b32 v[54:55], v[52:53], v[52:53] op_sel:[0,1]
	s_and_saveexec_b64 s[0:1], s[2:3]
	s_cbranch_execz .LBB223_8
; %bb.7:
	global_load_dwordx2 v[52:53], v[8:9], off offset:768
	global_load_dwordx2 v[54:55], v[68:69], off offset:768
.LBB223_8:
	s_or_b64 exec, exec, s[0:1]
	v_or_b32_e32 v0, 0x80, v2
	v_cmp_gt_i32_e64 s[20:21], s42, v0
	v_pk_mov_b32 v[44:45], 0, 0
	s_and_b64 s[2:3], s[30:31], s[20:21]
	v_pk_mov_b32 v[48:49], v[44:45], v[44:45] op_sel:[0,1]
	v_pk_mov_b32 v[50:51], v[44:45], v[44:45] op_sel:[0,1]
	s_and_saveexec_b64 s[0:1], s[2:3]
	s_cbranch_execz .LBB223_10
; %bb.9:
	global_load_dwordx2 v[48:49], v[8:9], off offset:1024
	global_load_dwordx2 v[50:51], v[68:69], off offset:1024
.LBB223_10:
	;; [unrolled: 24-line block ×7, first 2 shown]
	s_or_b64 exec, exec, s[34:35]
	v_or_b32_e32 v2, 0x1e0, v2
	v_cmp_gt_i32_e32 vcc, s42, v2
	s_and_b64 s[34:35], s[30:31], vcc
	v_pk_mov_b32 v[2:3], v[0:1], v[0:1] op_sel:[0,1]
	s_and_saveexec_b64 s[30:31], s[34:35]
	s_cbranch_execz .LBB223_32
; %bb.31:
	global_load_dwordx2 v[0:1], v[8:9], off offset:3840
	global_load_dwordx2 v[2:3], v[68:69], off offset:3840
.LBB223_32:
	s_or_b64 exec, exec, s[30:31]
	s_waitcnt vmcnt(1)
	v_add_f64 v[8:9], v[64:65], 0
	v_add_f64 v[8:9], v[8:9], v[60:61]
	;; [unrolled: 1-line block ×10, first 2 shown]
	v_mbcnt_lo_u32_b32 v68, -1, 0
	v_add_f64 v[8:9], v[8:9], v[24:25]
	v_mbcnt_hi_u32_b32 v71, -1, v68
	v_add_f64 v[8:9], v[8:9], v[20:21]
	v_and_b32_e32 v68, 0x60, v71
	v_add_f64 v[8:9], v[8:9], v[16:17]
	v_add_u32_e32 v72, 32, v68
	v_xor_b32_e32 v68, 16, v71
	v_add_f64 v[8:9], v[8:9], v[12:13]
	v_cmp_lt_i32_e64 s[30:31], v68, v72
	v_add_f64 v[8:9], v[8:9], v[6:7]
	v_cndmask_b32_e64 v68, v71, v68, s[30:31]
	v_add_f64 v[8:9], v[8:9], v[0:1]
	v_lshlrev_b32_e32 v69, 2, v68
	ds_bpermute_b32 v68, v69, v8
	ds_bpermute_b32 v69, v69, v9
	s_waitcnt lgkmcnt(0)
	v_add_f64 v[8:9], v[8:9], v[68:69]
	v_xor_b32_e32 v68, 8, v71
	v_cmp_lt_i32_e64 s[30:31], v68, v72
	v_cndmask_b32_e64 v68, v71, v68, s[30:31]
	v_lshlrev_b32_e32 v69, 2, v68
	ds_bpermute_b32 v68, v69, v8
	ds_bpermute_b32 v69, v69, v9
	s_waitcnt lgkmcnt(0)
	v_add_f64 v[8:9], v[8:9], v[68:69]
	v_xor_b32_e32 v68, 4, v71
	v_cmp_lt_i32_e64 s[30:31], v68, v72
	v_cndmask_b32_e64 v68, v71, v68, s[30:31]
	;; [unrolled: 8-line block ×4, first 2 shown]
	v_lshlrev_b32_e32 v69, 2, v68
	ds_bpermute_b32 v68, v69, v8
	ds_bpermute_b32 v69, v69, v9
	v_cmp_lt_i32_e64 s[30:31], 0, v70
	s_and_saveexec_b64 s[34:35], s[30:31]
	s_cbranch_execz .LBB223_50
; %bb.33:
	v_mov_b32_e32 v70, s37
	v_add_co_u32_e64 v4, s[30:31], s36, v4
	v_addc_co_u32_e64 v5, s[30:31], v70, v5, s[30:31]
	s_waitcnt lgkmcnt(0)
	v_add_f64 v[8:9], v[8:9], v[68:69]
	s_and_saveexec_b64 s[34:35], s[28:29]
	s_cbranch_execnz .LBB223_51
; %bb.34:
	s_or_b64 exec, exec, s[34:35]
	s_and_saveexec_b64 s[30:31], s[26:27]
	s_cbranch_execnz .LBB223_52
.LBB223_35:
	s_or_b64 exec, exec, s[30:31]
	s_and_saveexec_b64 s[28:29], s[24:25]
	s_cbranch_execnz .LBB223_53
.LBB223_36:
	s_or_b64 exec, exec, s[28:29]
	s_and_saveexec_b64 s[26:27], s[22:23]
	s_cbranch_execnz .LBB223_54
.LBB223_37:
	s_or_b64 exec, exec, s[26:27]
	s_and_saveexec_b64 s[24:25], s[20:21]
	s_cbranch_execnz .LBB223_55
.LBB223_38:
	s_or_b64 exec, exec, s[24:25]
	s_and_saveexec_b64 s[22:23], s[18:19]
	s_cbranch_execnz .LBB223_56
.LBB223_39:
	s_or_b64 exec, exec, s[22:23]
	s_and_saveexec_b64 s[20:21], s[16:17]
	s_cbranch_execnz .LBB223_57
.LBB223_40:
	s_or_b64 exec, exec, s[20:21]
	s_and_saveexec_b64 s[18:19], s[14:15]
	s_cbranch_execnz .LBB223_58
.LBB223_41:
	s_or_b64 exec, exec, s[18:19]
	s_and_saveexec_b64 s[16:17], s[12:13]
	s_cbranch_execnz .LBB223_59
.LBB223_42:
	s_or_b64 exec, exec, s[16:17]
	s_and_saveexec_b64 s[14:15], s[10:11]
	s_cbranch_execnz .LBB223_60
.LBB223_43:
	s_or_b64 exec, exec, s[14:15]
	s_and_saveexec_b64 s[12:13], s[8:9]
	s_cbranch_execnz .LBB223_61
.LBB223_44:
	s_or_b64 exec, exec, s[12:13]
	s_and_saveexec_b64 s[10:11], s[6:7]
	s_cbranch_execnz .LBB223_62
.LBB223_45:
	s_or_b64 exec, exec, s[10:11]
	s_and_saveexec_b64 s[8:9], s[4:5]
	s_cbranch_execnz .LBB223_63
.LBB223_46:
	s_or_b64 exec, exec, s[8:9]
	s_and_saveexec_b64 s[6:7], s[2:3]
	s_cbranch_execnz .LBB223_64
.LBB223_47:
	s_or_b64 exec, exec, s[6:7]
	s_and_saveexec_b64 s[4:5], s[0:1]
	s_cbranch_execnz .LBB223_65
.LBB223_48:
	s_or_b64 exec, exec, s[4:5]
	s_and_b64 exec, exec, vcc
	s_cbranch_execz .LBB223_50
.LBB223_49:
	s_mov_b32 s0, 0x652b82fe
	s_mov_b32 s1, 0x3ff71547
	s_waitcnt vmcnt(0)
	v_mul_f64 v[6:7], v[2:3], s[0:1]
	s_mov_b32 s0, 0xfefa39ef
	v_rndne_f64_e32 v[6:7], v[6:7]
	s_mov_b32 s1, 0xbfe62e42
	v_fma_f64 v[10:11], s[0:1], v[6:7], v[2:3]
	s_mov_b32 s0, 0x3b39803f
	s_mov_b32 s1, 0xbc7abc9e
	v_fmac_f64_e32 v[10:11], s[0:1], v[6:7]
	s_mov_b32 s0, 0x6a5dcb37
	v_mov_b32_e32 v12, 0xfca7ab0c
	v_mov_b32_e32 v13, 0x3e928af3
	s_mov_b32 s1, 0x3e5ade15
	v_fmac_f64_e32 v[12:13], s[0:1], v[10:11]
	v_mov_b32_e32 v14, 0x623fde64
	v_mov_b32_e32 v15, 0x3ec71dee
	v_fmac_f64_e32 v[14:15], v[10:11], v[12:13]
	v_mov_b32_e32 v12, 0x7c89e6b0
	v_mov_b32_e32 v13, 0x3efa0199
	;; [unrolled: 3-line block ×8, first 2 shown]
	s_mov_b32 s0, 0
	v_fmac_f64_e32 v[12:13], v[10:11], v[14:15]
	s_mov_b32 s1, 0x40900000
	v_fma_f64 v[12:13], v[10:11], v[12:13], 1.0
	v_cmp_nlt_f64_e32 vcc, s[0:1], v[2:3]
	s_mov_b32 s0, 0
	v_fma_f64 v[10:11], v[10:11], v[12:13], 1.0
	v_cvt_i32_f64_e32 v6, v[6:7]
	s_mov_b32 s1, 0xc090cc00
	v_ldexp_f64 v[6:7], v[10:11], v6
	v_mov_b32_e32 v10, 0x7ff00000
	v_cmp_ngt_f64_e64 s[0:1], s[0:1], v[2:3]
	v_cndmask_b32_e32 v7, v10, v7, vcc
	s_and_b64 vcc, s[0:1], vcc
	v_cndmask_b32_e64 v3, 0, v7, s[0:1]
	v_cndmask_b32_e32 v2, 0, v6, vcc
	v_fma_f64 v[0:1], -v[8:9], v[2:3], v[0:1]
	global_store_dwordx2 v[4:5], v[0:1], off offset:3840
.LBB223_50:
	s_endpgm
.LBB223_51:
	s_mov_b32 s28, 0x652b82fe
	s_mov_b32 s29, 0x3ff71547
	s_waitcnt vmcnt(0)
	v_mul_f64 v[68:69], v[66:67], s[28:29]
	s_mov_b32 s28, 0xfefa39ef
	v_rndne_f64_e32 v[68:69], v[68:69]
	s_mov_b32 s29, 0xbfe62e42
	v_fma_f64 v[70:71], s[28:29], v[68:69], v[66:67]
	s_mov_b32 s28, 0x3b39803f
	s_mov_b32 s29, 0xbc7abc9e
	v_fmac_f64_e32 v[70:71], s[28:29], v[68:69]
	s_mov_b32 s28, 0x6a5dcb37
	v_mov_b32_e32 v72, 0xfca7ab0c
	v_mov_b32_e32 v73, 0x3e928af3
	s_mov_b32 s29, 0x3e5ade15
	v_fmac_f64_e32 v[72:73], s[28:29], v[70:71]
	v_mov_b32_e32 v74, 0x623fde64
	v_mov_b32_e32 v75, 0x3ec71dee
	v_fmac_f64_e32 v[74:75], v[70:71], v[72:73]
	v_mov_b32_e32 v72, 0x7c89e6b0
	v_mov_b32_e32 v73, 0x3efa0199
	;; [unrolled: 3-line block ×8, first 2 shown]
	v_fmac_f64_e32 v[72:73], v[70:71], v[74:75]
	v_fma_f64 v[72:73], v[70:71], v[72:73], 1.0
	s_mov_b32 s28, 0
	s_mov_b32 s30, 0
	v_fma_f64 v[70:71], v[70:71], v[72:73], 1.0
	v_cvt_i32_f64_e32 v68, v[68:69]
	s_mov_b32 s29, 0x40900000
	s_mov_b32 s31, 0xc090cc00
	v_ldexp_f64 v[68:69], v[70:71], v68
	v_mov_b32_e32 v70, 0x7ff00000
	v_cmp_nlt_f64_e64 s[28:29], s[28:29], v[66:67]
	v_cmp_ngt_f64_e64 s[30:31], s[30:31], v[66:67]
	v_cndmask_b32_e64 v69, v70, v69, s[28:29]
	s_and_b64 s[28:29], s[30:31], s[28:29]
	v_cndmask_b32_e64 v67, 0, v69, s[30:31]
	v_cndmask_b32_e64 v66, 0, v68, s[28:29]
	v_fma_f64 v[64:65], -v[8:9], v[66:67], v[64:65]
	global_store_dwordx2 v[4:5], v[64:65], off
	s_or_b64 exec, exec, s[34:35]
	s_and_saveexec_b64 s[30:31], s[26:27]
	s_cbranch_execz .LBB223_35
.LBB223_52:
	s_mov_b32 s26, 0x652b82fe
	s_mov_b32 s27, 0x3ff71547
	s_waitcnt vmcnt(0)
	v_mul_f64 v[64:65], v[62:63], s[26:27]
	s_mov_b32 s26, 0xfefa39ef
	v_rndne_f64_e32 v[64:65], v[64:65]
	s_mov_b32 s27, 0xbfe62e42
	v_fma_f64 v[66:67], s[26:27], v[64:65], v[62:63]
	s_mov_b32 s26, 0x3b39803f
	s_mov_b32 s27, 0xbc7abc9e
	v_fmac_f64_e32 v[66:67], s[26:27], v[64:65]
	s_mov_b32 s26, 0x6a5dcb37
	v_mov_b32_e32 v68, 0xfca7ab0c
	v_mov_b32_e32 v69, 0x3e928af3
	s_mov_b32 s27, 0x3e5ade15
	v_fmac_f64_e32 v[68:69], s[26:27], v[66:67]
	v_mov_b32_e32 v70, 0x623fde64
	v_mov_b32_e32 v71, 0x3ec71dee
	v_fmac_f64_e32 v[70:71], v[66:67], v[68:69]
	v_mov_b32_e32 v68, 0x7c89e6b0
	v_mov_b32_e32 v69, 0x3efa0199
	;; [unrolled: 3-line block ×8, first 2 shown]
	v_fmac_f64_e32 v[68:69], v[66:67], v[70:71]
	v_fma_f64 v[68:69], v[66:67], v[68:69], 1.0
	s_mov_b32 s26, 0
	s_mov_b32 s28, 0
	v_fma_f64 v[66:67], v[66:67], v[68:69], 1.0
	v_cvt_i32_f64_e32 v64, v[64:65]
	s_mov_b32 s27, 0x40900000
	s_mov_b32 s29, 0xc090cc00
	v_ldexp_f64 v[64:65], v[66:67], v64
	v_mov_b32_e32 v66, 0x7ff00000
	v_cmp_nlt_f64_e64 s[26:27], s[26:27], v[62:63]
	v_cmp_ngt_f64_e64 s[28:29], s[28:29], v[62:63]
	v_cndmask_b32_e64 v65, v66, v65, s[26:27]
	s_and_b64 s[26:27], s[28:29], s[26:27]
	v_cndmask_b32_e64 v63, 0, v65, s[28:29]
	v_cndmask_b32_e64 v62, 0, v64, s[26:27]
	v_fma_f64 v[60:61], -v[8:9], v[62:63], v[60:61]
	global_store_dwordx2 v[4:5], v[60:61], off offset:256
	s_or_b64 exec, exec, s[30:31]
	s_and_saveexec_b64 s[28:29], s[24:25]
	s_cbranch_execz .LBB223_36
.LBB223_53:
	s_mov_b32 s24, 0x652b82fe
	s_mov_b32 s25, 0x3ff71547
	s_waitcnt vmcnt(0)
	v_mul_f64 v[60:61], v[58:59], s[24:25]
	s_mov_b32 s24, 0xfefa39ef
	v_rndne_f64_e32 v[60:61], v[60:61]
	s_mov_b32 s25, 0xbfe62e42
	v_fma_f64 v[62:63], s[24:25], v[60:61], v[58:59]
	s_mov_b32 s24, 0x3b39803f
	s_mov_b32 s25, 0xbc7abc9e
	v_fmac_f64_e32 v[62:63], s[24:25], v[60:61]
	s_mov_b32 s24, 0x6a5dcb37
	v_mov_b32_e32 v64, 0xfca7ab0c
	v_mov_b32_e32 v65, 0x3e928af3
	s_mov_b32 s25, 0x3e5ade15
	v_fmac_f64_e32 v[64:65], s[24:25], v[62:63]
	v_mov_b32_e32 v66, 0x623fde64
	v_mov_b32_e32 v67, 0x3ec71dee
	v_fmac_f64_e32 v[66:67], v[62:63], v[64:65]
	v_mov_b32_e32 v64, 0x7c89e6b0
	v_mov_b32_e32 v65, 0x3efa0199
	;; [unrolled: 3-line block ×8, first 2 shown]
	v_fmac_f64_e32 v[64:65], v[62:63], v[66:67]
	v_fma_f64 v[64:65], v[62:63], v[64:65], 1.0
	s_mov_b32 s24, 0
	s_mov_b32 s26, 0
	v_fma_f64 v[62:63], v[62:63], v[64:65], 1.0
	v_cvt_i32_f64_e32 v60, v[60:61]
	s_mov_b32 s25, 0x40900000
	s_mov_b32 s27, 0xc090cc00
	v_ldexp_f64 v[60:61], v[62:63], v60
	v_mov_b32_e32 v62, 0x7ff00000
	v_cmp_nlt_f64_e64 s[24:25], s[24:25], v[58:59]
	v_cmp_ngt_f64_e64 s[26:27], s[26:27], v[58:59]
	v_cndmask_b32_e64 v61, v62, v61, s[24:25]
	s_and_b64 s[24:25], s[26:27], s[24:25]
	v_cndmask_b32_e64 v59, 0, v61, s[26:27]
	v_cndmask_b32_e64 v58, 0, v60, s[24:25]
	v_fma_f64 v[56:57], -v[8:9], v[58:59], v[56:57]
	global_store_dwordx2 v[4:5], v[56:57], off offset:512
	s_or_b64 exec, exec, s[28:29]
	s_and_saveexec_b64 s[26:27], s[22:23]
	s_cbranch_execz .LBB223_37
.LBB223_54:
	s_mov_b32 s22, 0x652b82fe
	s_mov_b32 s23, 0x3ff71547
	s_waitcnt vmcnt(0)
	v_mul_f64 v[56:57], v[54:55], s[22:23]
	s_mov_b32 s22, 0xfefa39ef
	v_rndne_f64_e32 v[56:57], v[56:57]
	s_mov_b32 s23, 0xbfe62e42
	v_fma_f64 v[58:59], s[22:23], v[56:57], v[54:55]
	s_mov_b32 s22, 0x3b39803f
	s_mov_b32 s23, 0xbc7abc9e
	v_fmac_f64_e32 v[58:59], s[22:23], v[56:57]
	s_mov_b32 s22, 0x6a5dcb37
	v_mov_b32_e32 v60, 0xfca7ab0c
	v_mov_b32_e32 v61, 0x3e928af3
	s_mov_b32 s23, 0x3e5ade15
	v_fmac_f64_e32 v[60:61], s[22:23], v[58:59]
	v_mov_b32_e32 v62, 0x623fde64
	v_mov_b32_e32 v63, 0x3ec71dee
	v_fmac_f64_e32 v[62:63], v[58:59], v[60:61]
	v_mov_b32_e32 v60, 0x7c89e6b0
	v_mov_b32_e32 v61, 0x3efa0199
	;; [unrolled: 3-line block ×8, first 2 shown]
	v_fmac_f64_e32 v[60:61], v[58:59], v[62:63]
	v_fma_f64 v[60:61], v[58:59], v[60:61], 1.0
	s_mov_b32 s22, 0
	s_mov_b32 s24, 0
	v_fma_f64 v[58:59], v[58:59], v[60:61], 1.0
	v_cvt_i32_f64_e32 v56, v[56:57]
	s_mov_b32 s23, 0x40900000
	s_mov_b32 s25, 0xc090cc00
	v_ldexp_f64 v[56:57], v[58:59], v56
	v_mov_b32_e32 v58, 0x7ff00000
	v_cmp_nlt_f64_e64 s[22:23], s[22:23], v[54:55]
	v_cmp_ngt_f64_e64 s[24:25], s[24:25], v[54:55]
	v_cndmask_b32_e64 v57, v58, v57, s[22:23]
	s_and_b64 s[22:23], s[24:25], s[22:23]
	v_cndmask_b32_e64 v55, 0, v57, s[24:25]
	v_cndmask_b32_e64 v54, 0, v56, s[22:23]
	v_fma_f64 v[52:53], -v[8:9], v[54:55], v[52:53]
	global_store_dwordx2 v[4:5], v[52:53], off offset:768
	s_or_b64 exec, exec, s[26:27]
	s_and_saveexec_b64 s[24:25], s[20:21]
	s_cbranch_execz .LBB223_38
.LBB223_55:
	s_mov_b32 s20, 0x652b82fe
	s_mov_b32 s21, 0x3ff71547
	s_waitcnt vmcnt(0)
	v_mul_f64 v[52:53], v[50:51], s[20:21]
	s_mov_b32 s20, 0xfefa39ef
	v_rndne_f64_e32 v[52:53], v[52:53]
	s_mov_b32 s21, 0xbfe62e42
	v_fma_f64 v[54:55], s[20:21], v[52:53], v[50:51]
	s_mov_b32 s20, 0x3b39803f
	s_mov_b32 s21, 0xbc7abc9e
	v_fmac_f64_e32 v[54:55], s[20:21], v[52:53]
	s_mov_b32 s20, 0x6a5dcb37
	v_mov_b32_e32 v56, 0xfca7ab0c
	v_mov_b32_e32 v57, 0x3e928af3
	s_mov_b32 s21, 0x3e5ade15
	v_fmac_f64_e32 v[56:57], s[20:21], v[54:55]
	v_mov_b32_e32 v58, 0x623fde64
	v_mov_b32_e32 v59, 0x3ec71dee
	v_fmac_f64_e32 v[58:59], v[54:55], v[56:57]
	v_mov_b32_e32 v56, 0x7c89e6b0
	v_mov_b32_e32 v57, 0x3efa0199
	;; [unrolled: 3-line block ×8, first 2 shown]
	v_fmac_f64_e32 v[56:57], v[54:55], v[58:59]
	v_fma_f64 v[56:57], v[54:55], v[56:57], 1.0
	s_mov_b32 s20, 0
	s_mov_b32 s22, 0
	v_fma_f64 v[54:55], v[54:55], v[56:57], 1.0
	v_cvt_i32_f64_e32 v52, v[52:53]
	s_mov_b32 s21, 0x40900000
	s_mov_b32 s23, 0xc090cc00
	v_ldexp_f64 v[52:53], v[54:55], v52
	v_mov_b32_e32 v54, 0x7ff00000
	v_cmp_nlt_f64_e64 s[20:21], s[20:21], v[50:51]
	v_cmp_ngt_f64_e64 s[22:23], s[22:23], v[50:51]
	v_cndmask_b32_e64 v53, v54, v53, s[20:21]
	s_and_b64 s[20:21], s[22:23], s[20:21]
	v_cndmask_b32_e64 v51, 0, v53, s[22:23]
	v_cndmask_b32_e64 v50, 0, v52, s[20:21]
	v_fma_f64 v[48:49], -v[8:9], v[50:51], v[48:49]
	global_store_dwordx2 v[4:5], v[48:49], off offset:1024
	s_or_b64 exec, exec, s[24:25]
	s_and_saveexec_b64 s[22:23], s[18:19]
	s_cbranch_execz .LBB223_39
.LBB223_56:
	s_mov_b32 s18, 0x652b82fe
	s_mov_b32 s19, 0x3ff71547
	s_waitcnt vmcnt(0)
	v_mul_f64 v[48:49], v[46:47], s[18:19]
	s_mov_b32 s18, 0xfefa39ef
	v_rndne_f64_e32 v[48:49], v[48:49]
	s_mov_b32 s19, 0xbfe62e42
	v_fma_f64 v[50:51], s[18:19], v[48:49], v[46:47]
	s_mov_b32 s18, 0x3b39803f
	s_mov_b32 s19, 0xbc7abc9e
	v_fmac_f64_e32 v[50:51], s[18:19], v[48:49]
	s_mov_b32 s18, 0x6a5dcb37
	v_mov_b32_e32 v52, 0xfca7ab0c
	v_mov_b32_e32 v53, 0x3e928af3
	s_mov_b32 s19, 0x3e5ade15
	v_fmac_f64_e32 v[52:53], s[18:19], v[50:51]
	v_mov_b32_e32 v54, 0x623fde64
	v_mov_b32_e32 v55, 0x3ec71dee
	v_fmac_f64_e32 v[54:55], v[50:51], v[52:53]
	v_mov_b32_e32 v52, 0x7c89e6b0
	v_mov_b32_e32 v53, 0x3efa0199
	;; [unrolled: 3-line block ×8, first 2 shown]
	v_fmac_f64_e32 v[52:53], v[50:51], v[54:55]
	v_fma_f64 v[52:53], v[50:51], v[52:53], 1.0
	s_mov_b32 s18, 0
	s_mov_b32 s20, 0
	v_fma_f64 v[50:51], v[50:51], v[52:53], 1.0
	v_cvt_i32_f64_e32 v48, v[48:49]
	s_mov_b32 s19, 0x40900000
	s_mov_b32 s21, 0xc090cc00
	v_ldexp_f64 v[48:49], v[50:51], v48
	v_mov_b32_e32 v50, 0x7ff00000
	v_cmp_nlt_f64_e64 s[18:19], s[18:19], v[46:47]
	v_cmp_ngt_f64_e64 s[20:21], s[20:21], v[46:47]
	v_cndmask_b32_e64 v49, v50, v49, s[18:19]
	s_and_b64 s[18:19], s[20:21], s[18:19]
	v_cndmask_b32_e64 v47, 0, v49, s[20:21]
	v_cndmask_b32_e64 v46, 0, v48, s[18:19]
	v_fma_f64 v[44:45], -v[8:9], v[46:47], v[44:45]
	global_store_dwordx2 v[4:5], v[44:45], off offset:1280
	s_or_b64 exec, exec, s[22:23]
	s_and_saveexec_b64 s[20:21], s[16:17]
	s_cbranch_execz .LBB223_40
.LBB223_57:
	s_mov_b32 s16, 0x652b82fe
	s_mov_b32 s17, 0x3ff71547
	s_waitcnt vmcnt(0)
	v_mul_f64 v[44:45], v[42:43], s[16:17]
	s_mov_b32 s16, 0xfefa39ef
	v_rndne_f64_e32 v[44:45], v[44:45]
	s_mov_b32 s17, 0xbfe62e42
	v_fma_f64 v[46:47], s[16:17], v[44:45], v[42:43]
	s_mov_b32 s16, 0x3b39803f
	s_mov_b32 s17, 0xbc7abc9e
	v_fmac_f64_e32 v[46:47], s[16:17], v[44:45]
	s_mov_b32 s16, 0x6a5dcb37
	v_mov_b32_e32 v48, 0xfca7ab0c
	v_mov_b32_e32 v49, 0x3e928af3
	s_mov_b32 s17, 0x3e5ade15
	v_fmac_f64_e32 v[48:49], s[16:17], v[46:47]
	v_mov_b32_e32 v50, 0x623fde64
	v_mov_b32_e32 v51, 0x3ec71dee
	v_fmac_f64_e32 v[50:51], v[46:47], v[48:49]
	v_mov_b32_e32 v48, 0x7c89e6b0
	v_mov_b32_e32 v49, 0x3efa0199
	;; [unrolled: 3-line block ×8, first 2 shown]
	v_fmac_f64_e32 v[48:49], v[46:47], v[50:51]
	v_fma_f64 v[48:49], v[46:47], v[48:49], 1.0
	s_mov_b32 s16, 0
	s_mov_b32 s18, 0
	v_fma_f64 v[46:47], v[46:47], v[48:49], 1.0
	v_cvt_i32_f64_e32 v44, v[44:45]
	s_mov_b32 s17, 0x40900000
	s_mov_b32 s19, 0xc090cc00
	v_ldexp_f64 v[44:45], v[46:47], v44
	v_mov_b32_e32 v46, 0x7ff00000
	v_cmp_nlt_f64_e64 s[16:17], s[16:17], v[42:43]
	v_cmp_ngt_f64_e64 s[18:19], s[18:19], v[42:43]
	v_cndmask_b32_e64 v45, v46, v45, s[16:17]
	s_and_b64 s[16:17], s[18:19], s[16:17]
	v_cndmask_b32_e64 v43, 0, v45, s[18:19]
	v_cndmask_b32_e64 v42, 0, v44, s[16:17]
	v_fma_f64 v[40:41], -v[8:9], v[42:43], v[40:41]
	global_store_dwordx2 v[4:5], v[40:41], off offset:1536
	s_or_b64 exec, exec, s[20:21]
	s_and_saveexec_b64 s[18:19], s[14:15]
	s_cbranch_execz .LBB223_41
.LBB223_58:
	s_mov_b32 s14, 0x652b82fe
	s_mov_b32 s15, 0x3ff71547
	s_waitcnt vmcnt(0)
	v_mul_f64 v[40:41], v[38:39], s[14:15]
	s_mov_b32 s14, 0xfefa39ef
	v_rndne_f64_e32 v[40:41], v[40:41]
	s_mov_b32 s15, 0xbfe62e42
	v_fma_f64 v[42:43], s[14:15], v[40:41], v[38:39]
	s_mov_b32 s14, 0x3b39803f
	s_mov_b32 s15, 0xbc7abc9e
	v_fmac_f64_e32 v[42:43], s[14:15], v[40:41]
	s_mov_b32 s14, 0x6a5dcb37
	v_mov_b32_e32 v44, 0xfca7ab0c
	v_mov_b32_e32 v45, 0x3e928af3
	s_mov_b32 s15, 0x3e5ade15
	v_fmac_f64_e32 v[44:45], s[14:15], v[42:43]
	v_mov_b32_e32 v46, 0x623fde64
	v_mov_b32_e32 v47, 0x3ec71dee
	v_fmac_f64_e32 v[46:47], v[42:43], v[44:45]
	v_mov_b32_e32 v44, 0x7c89e6b0
	v_mov_b32_e32 v45, 0x3efa0199
	;; [unrolled: 3-line block ×8, first 2 shown]
	v_fmac_f64_e32 v[44:45], v[42:43], v[46:47]
	v_fma_f64 v[44:45], v[42:43], v[44:45], 1.0
	s_mov_b32 s14, 0
	s_mov_b32 s16, 0
	v_fma_f64 v[42:43], v[42:43], v[44:45], 1.0
	v_cvt_i32_f64_e32 v40, v[40:41]
	s_mov_b32 s15, 0x40900000
	s_mov_b32 s17, 0xc090cc00
	v_ldexp_f64 v[40:41], v[42:43], v40
	v_mov_b32_e32 v42, 0x7ff00000
	v_cmp_nlt_f64_e64 s[14:15], s[14:15], v[38:39]
	v_cmp_ngt_f64_e64 s[16:17], s[16:17], v[38:39]
	v_cndmask_b32_e64 v41, v42, v41, s[14:15]
	s_and_b64 s[14:15], s[16:17], s[14:15]
	v_cndmask_b32_e64 v39, 0, v41, s[16:17]
	v_cndmask_b32_e64 v38, 0, v40, s[14:15]
	v_fma_f64 v[36:37], -v[8:9], v[38:39], v[36:37]
	global_store_dwordx2 v[4:5], v[36:37], off offset:1792
	s_or_b64 exec, exec, s[18:19]
	s_and_saveexec_b64 s[16:17], s[12:13]
	s_cbranch_execz .LBB223_42
.LBB223_59:
	s_mov_b32 s12, 0x652b82fe
	s_mov_b32 s13, 0x3ff71547
	s_waitcnt vmcnt(0)
	v_mul_f64 v[36:37], v[34:35], s[12:13]
	s_mov_b32 s12, 0xfefa39ef
	v_rndne_f64_e32 v[36:37], v[36:37]
	s_mov_b32 s13, 0xbfe62e42
	v_fma_f64 v[38:39], s[12:13], v[36:37], v[34:35]
	s_mov_b32 s12, 0x3b39803f
	s_mov_b32 s13, 0xbc7abc9e
	v_fmac_f64_e32 v[38:39], s[12:13], v[36:37]
	s_mov_b32 s12, 0x6a5dcb37
	v_mov_b32_e32 v40, 0xfca7ab0c
	v_mov_b32_e32 v41, 0x3e928af3
	s_mov_b32 s13, 0x3e5ade15
	v_fmac_f64_e32 v[40:41], s[12:13], v[38:39]
	v_mov_b32_e32 v42, 0x623fde64
	v_mov_b32_e32 v43, 0x3ec71dee
	v_fmac_f64_e32 v[42:43], v[38:39], v[40:41]
	v_mov_b32_e32 v40, 0x7c89e6b0
	v_mov_b32_e32 v41, 0x3efa0199
	;; [unrolled: 3-line block ×8, first 2 shown]
	v_fmac_f64_e32 v[40:41], v[38:39], v[42:43]
	v_fma_f64 v[40:41], v[38:39], v[40:41], 1.0
	s_mov_b32 s12, 0
	s_mov_b32 s14, 0
	v_fma_f64 v[38:39], v[38:39], v[40:41], 1.0
	v_cvt_i32_f64_e32 v36, v[36:37]
	s_mov_b32 s13, 0x40900000
	s_mov_b32 s15, 0xc090cc00
	v_ldexp_f64 v[36:37], v[38:39], v36
	v_mov_b32_e32 v38, 0x7ff00000
	v_cmp_nlt_f64_e64 s[12:13], s[12:13], v[34:35]
	v_cmp_ngt_f64_e64 s[14:15], s[14:15], v[34:35]
	v_cndmask_b32_e64 v37, v38, v37, s[12:13]
	s_and_b64 s[12:13], s[14:15], s[12:13]
	v_cndmask_b32_e64 v35, 0, v37, s[14:15]
	v_cndmask_b32_e64 v34, 0, v36, s[12:13]
	v_fma_f64 v[32:33], -v[8:9], v[34:35], v[32:33]
	global_store_dwordx2 v[4:5], v[32:33], off offset:2048
	s_or_b64 exec, exec, s[16:17]
	s_and_saveexec_b64 s[14:15], s[10:11]
	s_cbranch_execz .LBB223_43
.LBB223_60:
	s_mov_b32 s10, 0x652b82fe
	s_mov_b32 s11, 0x3ff71547
	s_waitcnt vmcnt(0)
	v_mul_f64 v[32:33], v[30:31], s[10:11]
	s_mov_b32 s10, 0xfefa39ef
	v_rndne_f64_e32 v[32:33], v[32:33]
	s_mov_b32 s11, 0xbfe62e42
	v_fma_f64 v[34:35], s[10:11], v[32:33], v[30:31]
	s_mov_b32 s10, 0x3b39803f
	s_mov_b32 s11, 0xbc7abc9e
	v_fmac_f64_e32 v[34:35], s[10:11], v[32:33]
	s_mov_b32 s10, 0x6a5dcb37
	v_mov_b32_e32 v36, 0xfca7ab0c
	v_mov_b32_e32 v37, 0x3e928af3
	s_mov_b32 s11, 0x3e5ade15
	v_fmac_f64_e32 v[36:37], s[10:11], v[34:35]
	v_mov_b32_e32 v38, 0x623fde64
	v_mov_b32_e32 v39, 0x3ec71dee
	v_fmac_f64_e32 v[38:39], v[34:35], v[36:37]
	v_mov_b32_e32 v36, 0x7c89e6b0
	v_mov_b32_e32 v37, 0x3efa0199
	v_fmac_f64_e32 v[36:37], v[34:35], v[38:39]
	v_mov_b32_e32 v38, 0x14761f6e
	v_mov_b32_e32 v39, 0x3f2a01a0
	v_fmac_f64_e32 v[38:39], v[34:35], v[36:37]
	v_mov_b32_e32 v36, 0x1852b7b0
	v_mov_b32_e32 v37, 0x3f56c16c
	v_fmac_f64_e32 v[36:37], v[34:35], v[38:39]
	v_mov_b32_e32 v38, 0x11122322
	v_mov_b32_e32 v39, 0x3f811111
	v_fmac_f64_e32 v[38:39], v[34:35], v[36:37]
	v_mov_b32_e32 v36, 0x555502a1
	v_mov_b32_e32 v37, 0x3fa55555
	v_fmac_f64_e32 v[36:37], v[34:35], v[38:39]
	v_mov_b32_e32 v38, 0x55555511
	v_mov_b32_e32 v39, 0x3fc55555
	v_fmac_f64_e32 v[38:39], v[34:35], v[36:37]
	v_mov_b32_e32 v36, 11
	v_mov_b32_e32 v37, 0x3fe00000
	v_fmac_f64_e32 v[36:37], v[34:35], v[38:39]
	v_fma_f64 v[36:37], v[34:35], v[36:37], 1.0
	s_mov_b32 s10, 0
	s_mov_b32 s12, 0
	v_fma_f64 v[34:35], v[34:35], v[36:37], 1.0
	v_cvt_i32_f64_e32 v32, v[32:33]
	s_mov_b32 s11, 0x40900000
	s_mov_b32 s13, 0xc090cc00
	v_ldexp_f64 v[32:33], v[34:35], v32
	v_mov_b32_e32 v34, 0x7ff00000
	v_cmp_nlt_f64_e64 s[10:11], s[10:11], v[30:31]
	v_cmp_ngt_f64_e64 s[12:13], s[12:13], v[30:31]
	v_cndmask_b32_e64 v33, v34, v33, s[10:11]
	s_and_b64 s[10:11], s[12:13], s[10:11]
	v_cndmask_b32_e64 v31, 0, v33, s[12:13]
	v_cndmask_b32_e64 v30, 0, v32, s[10:11]
	v_fma_f64 v[28:29], -v[8:9], v[30:31], v[28:29]
	global_store_dwordx2 v[4:5], v[28:29], off offset:2304
	s_or_b64 exec, exec, s[14:15]
	s_and_saveexec_b64 s[12:13], s[8:9]
	s_cbranch_execz .LBB223_44
.LBB223_61:
	s_mov_b32 s8, 0x652b82fe
	s_mov_b32 s9, 0x3ff71547
	s_waitcnt vmcnt(0)
	v_mul_f64 v[28:29], v[26:27], s[8:9]
	s_mov_b32 s8, 0xfefa39ef
	v_rndne_f64_e32 v[28:29], v[28:29]
	s_mov_b32 s9, 0xbfe62e42
	v_fma_f64 v[30:31], s[8:9], v[28:29], v[26:27]
	s_mov_b32 s8, 0x3b39803f
	s_mov_b32 s9, 0xbc7abc9e
	v_fmac_f64_e32 v[30:31], s[8:9], v[28:29]
	s_mov_b32 s8, 0x6a5dcb37
	v_mov_b32_e32 v32, 0xfca7ab0c
	v_mov_b32_e32 v33, 0x3e928af3
	s_mov_b32 s9, 0x3e5ade15
	v_fmac_f64_e32 v[32:33], s[8:9], v[30:31]
	v_mov_b32_e32 v34, 0x623fde64
	v_mov_b32_e32 v35, 0x3ec71dee
	v_fmac_f64_e32 v[34:35], v[30:31], v[32:33]
	v_mov_b32_e32 v32, 0x7c89e6b0
	v_mov_b32_e32 v33, 0x3efa0199
	v_fmac_f64_e32 v[32:33], v[30:31], v[34:35]
	v_mov_b32_e32 v34, 0x14761f6e
	v_mov_b32_e32 v35, 0x3f2a01a0
	v_fmac_f64_e32 v[34:35], v[30:31], v[32:33]
	v_mov_b32_e32 v32, 0x1852b7b0
	v_mov_b32_e32 v33, 0x3f56c16c
	v_fmac_f64_e32 v[32:33], v[30:31], v[34:35]
	v_mov_b32_e32 v34, 0x11122322
	v_mov_b32_e32 v35, 0x3f811111
	v_fmac_f64_e32 v[34:35], v[30:31], v[32:33]
	v_mov_b32_e32 v32, 0x555502a1
	v_mov_b32_e32 v33, 0x3fa55555
	v_fmac_f64_e32 v[32:33], v[30:31], v[34:35]
	v_mov_b32_e32 v34, 0x55555511
	v_mov_b32_e32 v35, 0x3fc55555
	v_fmac_f64_e32 v[34:35], v[30:31], v[32:33]
	v_mov_b32_e32 v32, 11
	v_mov_b32_e32 v33, 0x3fe00000
	v_fmac_f64_e32 v[32:33], v[30:31], v[34:35]
	v_fma_f64 v[32:33], v[30:31], v[32:33], 1.0
	s_mov_b32 s8, 0
	s_mov_b32 s10, 0
	v_fma_f64 v[30:31], v[30:31], v[32:33], 1.0
	v_cvt_i32_f64_e32 v28, v[28:29]
	s_mov_b32 s9, 0x40900000
	s_mov_b32 s11, 0xc090cc00
	v_ldexp_f64 v[28:29], v[30:31], v28
	v_mov_b32_e32 v30, 0x7ff00000
	v_cmp_nlt_f64_e64 s[8:9], s[8:9], v[26:27]
	v_cmp_ngt_f64_e64 s[10:11], s[10:11], v[26:27]
	v_cndmask_b32_e64 v29, v30, v29, s[8:9]
	s_and_b64 s[8:9], s[10:11], s[8:9]
	v_cndmask_b32_e64 v27, 0, v29, s[10:11]
	v_cndmask_b32_e64 v26, 0, v28, s[8:9]
	v_fma_f64 v[24:25], -v[8:9], v[26:27], v[24:25]
	global_store_dwordx2 v[4:5], v[24:25], off offset:2560
	s_or_b64 exec, exec, s[12:13]
	s_and_saveexec_b64 s[10:11], s[6:7]
	s_cbranch_execz .LBB223_45
.LBB223_62:
	s_mov_b32 s6, 0x652b82fe
	s_mov_b32 s7, 0x3ff71547
	s_waitcnt vmcnt(0)
	v_mul_f64 v[24:25], v[22:23], s[6:7]
	s_mov_b32 s6, 0xfefa39ef
	v_rndne_f64_e32 v[24:25], v[24:25]
	s_mov_b32 s7, 0xbfe62e42
	v_fma_f64 v[26:27], s[6:7], v[24:25], v[22:23]
	s_mov_b32 s6, 0x3b39803f
	s_mov_b32 s7, 0xbc7abc9e
	v_fmac_f64_e32 v[26:27], s[6:7], v[24:25]
	s_mov_b32 s6, 0x6a5dcb37
	v_mov_b32_e32 v28, 0xfca7ab0c
	v_mov_b32_e32 v29, 0x3e928af3
	s_mov_b32 s7, 0x3e5ade15
	v_fmac_f64_e32 v[28:29], s[6:7], v[26:27]
	v_mov_b32_e32 v30, 0x623fde64
	v_mov_b32_e32 v31, 0x3ec71dee
	v_fmac_f64_e32 v[30:31], v[26:27], v[28:29]
	v_mov_b32_e32 v28, 0x7c89e6b0
	v_mov_b32_e32 v29, 0x3efa0199
	;; [unrolled: 3-line block ×8, first 2 shown]
	v_fmac_f64_e32 v[28:29], v[26:27], v[30:31]
	v_fma_f64 v[28:29], v[26:27], v[28:29], 1.0
	s_mov_b32 s6, 0
	s_mov_b32 s8, 0
	v_fma_f64 v[26:27], v[26:27], v[28:29], 1.0
	v_cvt_i32_f64_e32 v24, v[24:25]
	s_mov_b32 s7, 0x40900000
	s_mov_b32 s9, 0xc090cc00
	v_ldexp_f64 v[24:25], v[26:27], v24
	v_mov_b32_e32 v26, 0x7ff00000
	v_cmp_nlt_f64_e64 s[6:7], s[6:7], v[22:23]
	v_cmp_ngt_f64_e64 s[8:9], s[8:9], v[22:23]
	v_cndmask_b32_e64 v25, v26, v25, s[6:7]
	s_and_b64 s[6:7], s[8:9], s[6:7]
	v_cndmask_b32_e64 v23, 0, v25, s[8:9]
	v_cndmask_b32_e64 v22, 0, v24, s[6:7]
	v_fma_f64 v[20:21], -v[8:9], v[22:23], v[20:21]
	global_store_dwordx2 v[4:5], v[20:21], off offset:2816
	s_or_b64 exec, exec, s[10:11]
	s_and_saveexec_b64 s[8:9], s[4:5]
	s_cbranch_execz .LBB223_46
.LBB223_63:
	s_mov_b32 s4, 0x652b82fe
	s_mov_b32 s5, 0x3ff71547
	s_waitcnt vmcnt(0)
	v_mul_f64 v[20:21], v[18:19], s[4:5]
	s_mov_b32 s4, 0xfefa39ef
	v_rndne_f64_e32 v[20:21], v[20:21]
	s_mov_b32 s5, 0xbfe62e42
	v_fma_f64 v[22:23], s[4:5], v[20:21], v[18:19]
	s_mov_b32 s4, 0x3b39803f
	s_mov_b32 s5, 0xbc7abc9e
	v_fmac_f64_e32 v[22:23], s[4:5], v[20:21]
	s_mov_b32 s4, 0x6a5dcb37
	v_mov_b32_e32 v24, 0xfca7ab0c
	v_mov_b32_e32 v25, 0x3e928af3
	s_mov_b32 s5, 0x3e5ade15
	v_fmac_f64_e32 v[24:25], s[4:5], v[22:23]
	v_mov_b32_e32 v26, 0x623fde64
	v_mov_b32_e32 v27, 0x3ec71dee
	v_fmac_f64_e32 v[26:27], v[22:23], v[24:25]
	v_mov_b32_e32 v24, 0x7c89e6b0
	v_mov_b32_e32 v25, 0x3efa0199
	;; [unrolled: 3-line block ×8, first 2 shown]
	v_fmac_f64_e32 v[24:25], v[22:23], v[26:27]
	v_fma_f64 v[24:25], v[22:23], v[24:25], 1.0
	s_mov_b32 s4, 0
	s_mov_b32 s6, 0
	v_fma_f64 v[22:23], v[22:23], v[24:25], 1.0
	v_cvt_i32_f64_e32 v20, v[20:21]
	s_mov_b32 s5, 0x40900000
	s_mov_b32 s7, 0xc090cc00
	v_ldexp_f64 v[20:21], v[22:23], v20
	v_mov_b32_e32 v22, 0x7ff00000
	v_cmp_nlt_f64_e64 s[4:5], s[4:5], v[18:19]
	v_cmp_ngt_f64_e64 s[6:7], s[6:7], v[18:19]
	v_cndmask_b32_e64 v21, v22, v21, s[4:5]
	s_and_b64 s[4:5], s[6:7], s[4:5]
	v_cndmask_b32_e64 v19, 0, v21, s[6:7]
	v_cndmask_b32_e64 v18, 0, v20, s[4:5]
	v_fma_f64 v[16:17], -v[8:9], v[18:19], v[16:17]
	global_store_dwordx2 v[4:5], v[16:17], off offset:3072
	s_or_b64 exec, exec, s[8:9]
	s_and_saveexec_b64 s[6:7], s[2:3]
	s_cbranch_execz .LBB223_47
.LBB223_64:
	s_mov_b32 s2, 0x652b82fe
	s_mov_b32 s3, 0x3ff71547
	s_waitcnt vmcnt(0)
	v_mul_f64 v[16:17], v[14:15], s[2:3]
	s_mov_b32 s2, 0xfefa39ef
	v_rndne_f64_e32 v[16:17], v[16:17]
	s_mov_b32 s3, 0xbfe62e42
	v_fma_f64 v[18:19], s[2:3], v[16:17], v[14:15]
	s_mov_b32 s2, 0x3b39803f
	s_mov_b32 s3, 0xbc7abc9e
	v_fmac_f64_e32 v[18:19], s[2:3], v[16:17]
	s_mov_b32 s2, 0x6a5dcb37
	v_mov_b32_e32 v20, 0xfca7ab0c
	v_mov_b32_e32 v21, 0x3e928af3
	s_mov_b32 s3, 0x3e5ade15
	v_fmac_f64_e32 v[20:21], s[2:3], v[18:19]
	v_mov_b32_e32 v22, 0x623fde64
	v_mov_b32_e32 v23, 0x3ec71dee
	v_fmac_f64_e32 v[22:23], v[18:19], v[20:21]
	v_mov_b32_e32 v20, 0x7c89e6b0
	v_mov_b32_e32 v21, 0x3efa0199
	;; [unrolled: 3-line block ×8, first 2 shown]
	v_fmac_f64_e32 v[20:21], v[18:19], v[22:23]
	v_fma_f64 v[20:21], v[18:19], v[20:21], 1.0
	s_mov_b32 s2, 0
	s_mov_b32 s4, 0
	v_fma_f64 v[18:19], v[18:19], v[20:21], 1.0
	v_cvt_i32_f64_e32 v16, v[16:17]
	s_mov_b32 s3, 0x40900000
	s_mov_b32 s5, 0xc090cc00
	v_ldexp_f64 v[16:17], v[18:19], v16
	v_mov_b32_e32 v18, 0x7ff00000
	v_cmp_nlt_f64_e64 s[2:3], s[2:3], v[14:15]
	v_cmp_ngt_f64_e64 s[4:5], s[4:5], v[14:15]
	v_cndmask_b32_e64 v17, v18, v17, s[2:3]
	s_and_b64 s[2:3], s[4:5], s[2:3]
	v_cndmask_b32_e64 v15, 0, v17, s[4:5]
	v_cndmask_b32_e64 v14, 0, v16, s[2:3]
	v_fma_f64 v[12:13], -v[8:9], v[14:15], v[12:13]
	global_store_dwordx2 v[4:5], v[12:13], off offset:3328
	s_or_b64 exec, exec, s[6:7]
	s_and_saveexec_b64 s[4:5], s[0:1]
	s_cbranch_execz .LBB223_48
.LBB223_65:
	s_mov_b32 s0, 0x652b82fe
	s_mov_b32 s1, 0x3ff71547
	s_waitcnt vmcnt(0)
	v_mul_f64 v[12:13], v[10:11], s[0:1]
	s_mov_b32 s0, 0xfefa39ef
	v_rndne_f64_e32 v[12:13], v[12:13]
	s_mov_b32 s1, 0xbfe62e42
	v_fma_f64 v[14:15], s[0:1], v[12:13], v[10:11]
	s_mov_b32 s0, 0x3b39803f
	s_mov_b32 s1, 0xbc7abc9e
	v_fmac_f64_e32 v[14:15], s[0:1], v[12:13]
	s_mov_b32 s0, 0x6a5dcb37
	v_mov_b32_e32 v16, 0xfca7ab0c
	v_mov_b32_e32 v17, 0x3e928af3
	s_mov_b32 s1, 0x3e5ade15
	v_fmac_f64_e32 v[16:17], s[0:1], v[14:15]
	v_mov_b32_e32 v18, 0x623fde64
	v_mov_b32_e32 v19, 0x3ec71dee
	v_fmac_f64_e32 v[18:19], v[14:15], v[16:17]
	v_mov_b32_e32 v16, 0x7c89e6b0
	v_mov_b32_e32 v17, 0x3efa0199
	;; [unrolled: 3-line block ×8, first 2 shown]
	v_fmac_f64_e32 v[16:17], v[14:15], v[18:19]
	v_fma_f64 v[16:17], v[14:15], v[16:17], 1.0
	s_mov_b32 s0, 0
	s_mov_b32 s2, 0
	v_fma_f64 v[14:15], v[14:15], v[16:17], 1.0
	v_cvt_i32_f64_e32 v12, v[12:13]
	s_mov_b32 s1, 0x40900000
	s_mov_b32 s3, 0xc090cc00
	v_ldexp_f64 v[12:13], v[14:15], v12
	v_mov_b32_e32 v14, 0x7ff00000
	v_cmp_nlt_f64_e64 s[0:1], s[0:1], v[10:11]
	v_cmp_ngt_f64_e64 s[2:3], s[2:3], v[10:11]
	v_cndmask_b32_e64 v13, v14, v13, s[0:1]
	s_and_b64 s[0:1], s[2:3], s[0:1]
	v_cndmask_b32_e64 v11, 0, v13, s[2:3]
	v_cndmask_b32_e64 v10, 0, v12, s[0:1]
	v_fma_f64 v[6:7], -v[8:9], v[10:11], v[6:7]
	global_store_dwordx2 v[4:5], v[6:7], off offset:3584
	s_or_b64 exec, exec, s[4:5]
	s_and_b64 exec, exec, vcc
	s_cbranch_execnz .LBB223_49
	s_branch .LBB223_50
	.section	.rodata,"a",@progbits
	.p2align	6, 0x0
	.amdhsa_kernel _ZN12_GLOBAL__N_121softmax_warp_backwardIdddLi9ELb1ELb0ELi32EEEvPT0_PKT_S5_iiiPKb
		.amdhsa_group_segment_fixed_size 0
		.amdhsa_private_segment_fixed_size 0
		.amdhsa_kernarg_size 304
		.amdhsa_user_sgpr_count 6
		.amdhsa_user_sgpr_private_segment_buffer 1
		.amdhsa_user_sgpr_dispatch_ptr 0
		.amdhsa_user_sgpr_queue_ptr 0
		.amdhsa_user_sgpr_kernarg_segment_ptr 1
		.amdhsa_user_sgpr_dispatch_id 0
		.amdhsa_user_sgpr_flat_scratch_init 0
		.amdhsa_user_sgpr_kernarg_preload_length 0
		.amdhsa_user_sgpr_kernarg_preload_offset 0
		.amdhsa_user_sgpr_private_segment_size 0
		.amdhsa_uses_dynamic_stack 0
		.amdhsa_system_sgpr_private_segment_wavefront_offset 0
		.amdhsa_system_sgpr_workgroup_id_x 1
		.amdhsa_system_sgpr_workgroup_id_y 0
		.amdhsa_system_sgpr_workgroup_id_z 0
		.amdhsa_system_sgpr_workgroup_info 0
		.amdhsa_system_vgpr_workitem_id 1
		.amdhsa_next_free_vgpr 76
		.amdhsa_next_free_sgpr 44
		.amdhsa_accum_offset 76
		.amdhsa_reserve_vcc 1
		.amdhsa_reserve_flat_scratch 0
		.amdhsa_float_round_mode_32 0
		.amdhsa_float_round_mode_16_64 0
		.amdhsa_float_denorm_mode_32 3
		.amdhsa_float_denorm_mode_16_64 3
		.amdhsa_dx10_clamp 1
		.amdhsa_ieee_mode 1
		.amdhsa_fp16_overflow 0
		.amdhsa_tg_split 0
		.amdhsa_exception_fp_ieee_invalid_op 0
		.amdhsa_exception_fp_denorm_src 0
		.amdhsa_exception_fp_ieee_div_zero 0
		.amdhsa_exception_fp_ieee_overflow 0
		.amdhsa_exception_fp_ieee_underflow 0
		.amdhsa_exception_fp_ieee_inexact 0
		.amdhsa_exception_int_div_zero 0
	.end_amdhsa_kernel
	.section	.text._ZN12_GLOBAL__N_121softmax_warp_backwardIdddLi9ELb1ELb0ELi32EEEvPT0_PKT_S5_iiiPKb,"axG",@progbits,_ZN12_GLOBAL__N_121softmax_warp_backwardIdddLi9ELb1ELb0ELi32EEEvPT0_PKT_S5_iiiPKb,comdat
.Lfunc_end223:
	.size	_ZN12_GLOBAL__N_121softmax_warp_backwardIdddLi9ELb1ELb0ELi32EEEvPT0_PKT_S5_iiiPKb, .Lfunc_end223-_ZN12_GLOBAL__N_121softmax_warp_backwardIdddLi9ELb1ELb0ELi32EEEvPT0_PKT_S5_iiiPKb
                                        ; -- End function
	.section	.AMDGPU.csdata,"",@progbits
; Kernel info:
; codeLenInByte = 8148
; NumSgprs: 48
; NumVgprs: 76
; NumAgprs: 0
; TotalNumVgprs: 76
; ScratchSize: 0
; MemoryBound: 0
; FloatMode: 240
; IeeeMode: 1
; LDSByteSize: 0 bytes/workgroup (compile time only)
; SGPRBlocks: 5
; VGPRBlocks: 9
; NumSGPRsForWavesPerEU: 48
; NumVGPRsForWavesPerEU: 76
; AccumOffset: 76
; Occupancy: 6
; WaveLimiterHint : 0
; COMPUTE_PGM_RSRC2:SCRATCH_EN: 0
; COMPUTE_PGM_RSRC2:USER_SGPR: 6
; COMPUTE_PGM_RSRC2:TRAP_HANDLER: 0
; COMPUTE_PGM_RSRC2:TGID_X_EN: 1
; COMPUTE_PGM_RSRC2:TGID_Y_EN: 0
; COMPUTE_PGM_RSRC2:TGID_Z_EN: 0
; COMPUTE_PGM_RSRC2:TIDIG_COMP_CNT: 1
; COMPUTE_PGM_RSRC3_GFX90A:ACCUM_OFFSET: 18
; COMPUTE_PGM_RSRC3_GFX90A:TG_SPLIT: 0
	.section	.text._ZN12_GLOBAL__N_121softmax_warp_backwardIdddLi10ELb1ELb0ELi64EEEvPT0_PKT_S5_iiiPKb,"axG",@progbits,_ZN12_GLOBAL__N_121softmax_warp_backwardIdddLi10ELb1ELb0ELi64EEEvPT0_PKT_S5_iiiPKb,comdat
	.globl	_ZN12_GLOBAL__N_121softmax_warp_backwardIdddLi10ELb1ELb0ELi64EEEvPT0_PKT_S5_iiiPKb ; -- Begin function _ZN12_GLOBAL__N_121softmax_warp_backwardIdddLi10ELb1ELb0ELi64EEEvPT0_PKT_S5_iiiPKb
	.p2align	8
	.type	_ZN12_GLOBAL__N_121softmax_warp_backwardIdddLi10ELb1ELb0ELi64EEEvPT0_PKT_S5_iiiPKb,@function
_ZN12_GLOBAL__N_121softmax_warp_backwardIdddLi10ELb1ELb0ELi64EEEvPT0_PKT_S5_iiiPKb: ; @_ZN12_GLOBAL__N_121softmax_warp_backwardIdddLi10ELb1ELb0ELi64EEEvPT0_PKT_S5_iiiPKb
; %bb.0:
	s_load_dword s2, s[4:5], 0x3c
	s_load_dwordx4 s[40:43], s[4:5], 0x18
	s_load_dwordx4 s[36:39], s[4:5], 0x0
	s_load_dwordx2 s[0:1], s[4:5], 0x10
	v_bfe_u32 v1, v0, 10, 10
	s_waitcnt lgkmcnt(0)
	s_lshr_b32 s2, s2, 16
	s_mul_i32 s6, s6, s2
	v_and_b32_e32 v2, 0x3ff, v0
	v_add_u32_e32 v1, s6, v1
	v_and_b32_e32 v0, 63, v2
	v_mad_u64_u32 v[4:5], s[2:3], v1, s41, v[0:1]
	v_ashrrev_i32_e32 v5, 31, v4
	v_lshlrev_b64 v[6:7], 3, v[4:5]
	v_sub_u32_e32 v70, s40, v1
	v_mov_b32_e32 v1, s39
	v_add_co_u32_e32 v68, vcc, s38, v6
	v_addc_co_u32_e32 v69, vcc, v1, v7, vcc
	v_mov_b32_e32 v1, s1
	v_add_co_u32_e32 v10, vcc, s0, v6
	v_cmp_lt_i32_e64 s[34:35], 0, v70
	v_cmp_gt_i32_e64 s[30:31], s42, v0
	v_pk_mov_b32 v[60:61], 0, 0
	v_addc_co_u32_e32 v11, vcc, v1, v7, vcc
	s_and_b64 s[2:3], s[34:35], s[30:31]
	v_pk_mov_b32 v[64:65], v[60:61], v[60:61] op_sel:[0,1]
	v_pk_mov_b32 v[66:67], v[60:61], v[60:61] op_sel:[0,1]
	s_and_saveexec_b64 s[0:1], s[2:3]
	s_cbranch_execz .LBB224_2
; %bb.1:
	global_load_dwordx2 v[64:65], v[68:69], off
	global_load_dwordx2 v[66:67], v[10:11], off
.LBB224_2:
	s_or_b64 exec, exec, s[0:1]
	v_or_b32_e32 v1, 64, v0
	v_cmp_gt_i32_e64 s[28:29], s42, v1
	s_and_b64 s[2:3], s[34:35], s[28:29]
	v_pk_mov_b32 v[62:63], v[60:61], v[60:61] op_sel:[0,1]
	s_and_saveexec_b64 s[0:1], s[2:3]
	s_cbranch_execz .LBB224_4
; %bb.3:
	global_load_dwordx2 v[60:61], v[68:69], off offset:512
	global_load_dwordx2 v[62:63], v[10:11], off offset:512
.LBB224_4:
	s_or_b64 exec, exec, s[0:1]
	v_or_b32_e32 v1, 0x80, v0
	v_cmp_gt_i32_e64 s[26:27], s42, v1
	v_pk_mov_b32 v[52:53], 0, 0
	s_and_b64 s[2:3], s[34:35], s[26:27]
	v_pk_mov_b32 v[56:57], v[52:53], v[52:53] op_sel:[0,1]
	v_pk_mov_b32 v[58:59], v[52:53], v[52:53] op_sel:[0,1]
	s_and_saveexec_b64 s[0:1], s[2:3]
	s_cbranch_execz .LBB224_6
; %bb.5:
	global_load_dwordx2 v[56:57], v[68:69], off offset:1024
	global_load_dwordx2 v[58:59], v[10:11], off offset:1024
.LBB224_6:
	s_or_b64 exec, exec, s[0:1]
	v_or_b32_e32 v1, 0xc0, v0
	v_cmp_gt_i32_e64 s[24:25], s42, v1
	s_and_b64 s[2:3], s[34:35], s[24:25]
	v_pk_mov_b32 v[54:55], v[52:53], v[52:53] op_sel:[0,1]
	s_and_saveexec_b64 s[0:1], s[2:3]
	s_cbranch_execz .LBB224_8
; %bb.7:
	global_load_dwordx2 v[52:53], v[68:69], off offset:1536
	global_load_dwordx2 v[54:55], v[10:11], off offset:1536
.LBB224_8:
	s_or_b64 exec, exec, s[0:1]
	v_or_b32_e32 v1, 0x100, v0
	v_cmp_gt_i32_e64 s[22:23], s42, v1
	v_pk_mov_b32 v[44:45], 0, 0
	s_and_b64 s[2:3], s[34:35], s[22:23]
	v_pk_mov_b32 v[48:49], v[44:45], v[44:45] op_sel:[0,1]
	v_pk_mov_b32 v[50:51], v[44:45], v[44:45] op_sel:[0,1]
	s_and_saveexec_b64 s[0:1], s[2:3]
	s_cbranch_execz .LBB224_10
; %bb.9:
	global_load_dwordx2 v[48:49], v[68:69], off offset:2048
	global_load_dwordx2 v[50:51], v[10:11], off offset:2048
.LBB224_10:
	;; [unrolled: 24-line block ×3, first 2 shown]
	s_or_b64 exec, exec, s[0:1]
	v_or_b32_e32 v1, 0x1c0, v0
	v_cmp_gt_i32_e64 s[16:17], s42, v1
	s_and_b64 s[2:3], s[34:35], s[16:17]
	v_pk_mov_b32 v[38:39], v[36:37], v[36:37] op_sel:[0,1]
	s_and_saveexec_b64 s[0:1], s[2:3]
	s_cbranch_execz .LBB224_16
; %bb.15:
	global_load_dwordx2 v[36:37], v[68:69], off offset:3584
	global_load_dwordx2 v[38:39], v[10:11], off offset:3584
.LBB224_16:
	s_or_b64 exec, exec, s[0:1]
	v_or_b32_e32 v1, 0x200, v0
	v_cmp_gt_i32_e64 s[14:15], s42, v1
	v_pk_mov_b32 v[28:29], 0, 0
	s_and_b64 s[2:3], s[34:35], s[14:15]
	v_pk_mov_b32 v[32:33], v[28:29], v[28:29] op_sel:[0,1]
	v_pk_mov_b32 v[34:35], v[28:29], v[28:29] op_sel:[0,1]
	s_and_saveexec_b64 s[0:1], s[2:3]
	s_cbranch_execz .LBB224_18
; %bb.17:
	v_add_co_u32_e32 v4, vcc, 0x1000, v68
	v_addc_co_u32_e32 v5, vcc, 0, v69, vcc
	global_load_dwordx2 v[32:33], v[4:5], off
	v_add_co_u32_e32 v4, vcc, 0x1000, v10
	v_addc_co_u32_e32 v5, vcc, 0, v11, vcc
	global_load_dwordx2 v[34:35], v[4:5], off
.LBB224_18:
	s_or_b64 exec, exec, s[0:1]
	v_or_b32_e32 v1, 0x240, v0
	v_cmp_gt_i32_e64 s[12:13], s42, v1
	s_and_b64 s[2:3], s[34:35], s[12:13]
	v_pk_mov_b32 v[30:31], v[28:29], v[28:29] op_sel:[0,1]
	s_and_saveexec_b64 s[0:1], s[2:3]
	s_cbranch_execz .LBB224_20
; %bb.19:
	v_add_co_u32_e32 v4, vcc, 0x1000, v68
	v_addc_co_u32_e32 v5, vcc, 0, v69, vcc
	global_load_dwordx2 v[28:29], v[4:5], off offset:512
	v_add_co_u32_e32 v4, vcc, 0x1000, v10
	v_addc_co_u32_e32 v5, vcc, 0, v11, vcc
	global_load_dwordx2 v[30:31], v[4:5], off offset:512
.LBB224_20:
	s_or_b64 exec, exec, s[0:1]
	v_or_b32_e32 v1, 0x280, v0
	v_cmp_gt_i32_e64 s[10:11], s42, v1
	v_pk_mov_b32 v[20:21], 0, 0
	s_and_b64 s[2:3], s[34:35], s[10:11]
	v_pk_mov_b32 v[24:25], v[20:21], v[20:21] op_sel:[0,1]
	v_pk_mov_b32 v[26:27], v[20:21], v[20:21] op_sel:[0,1]
	s_and_saveexec_b64 s[0:1], s[2:3]
	s_cbranch_execz .LBB224_22
; %bb.21:
	v_add_co_u32_e32 v4, vcc, 0x1000, v68
	v_addc_co_u32_e32 v5, vcc, 0, v69, vcc
	global_load_dwordx2 v[24:25], v[4:5], off offset:1024
	v_add_co_u32_e32 v4, vcc, 0x1000, v10
	v_addc_co_u32_e32 v5, vcc, 0, v11, vcc
	global_load_dwordx2 v[26:27], v[4:5], off offset:1024
.LBB224_22:
	s_or_b64 exec, exec, s[0:1]
	v_or_b32_e32 v1, 0x2c0, v0
	v_cmp_gt_i32_e64 s[8:9], s42, v1
	s_and_b64 s[2:3], s[34:35], s[8:9]
	v_pk_mov_b32 v[22:23], v[20:21], v[20:21] op_sel:[0,1]
	s_and_saveexec_b64 s[0:1], s[2:3]
	s_cbranch_execz .LBB224_24
; %bb.23:
	v_add_co_u32_e32 v4, vcc, 0x1000, v68
	v_addc_co_u32_e32 v5, vcc, 0, v69, vcc
	global_load_dwordx2 v[20:21], v[4:5], off offset:1536
	v_add_co_u32_e32 v4, vcc, 0x1000, v10
	v_addc_co_u32_e32 v5, vcc, 0, v11, vcc
	global_load_dwordx2 v[22:23], v[4:5], off offset:1536
.LBB224_24:
	s_or_b64 exec, exec, s[0:1]
	v_or_b32_e32 v1, 0x300, v0
	v_cmp_gt_i32_e64 s[6:7], s42, v1
	v_pk_mov_b32 v[12:13], 0, 0
	s_and_b64 s[2:3], s[34:35], s[6:7]
	v_pk_mov_b32 v[16:17], v[12:13], v[12:13] op_sel:[0,1]
	v_pk_mov_b32 v[18:19], v[12:13], v[12:13] op_sel:[0,1]
	s_and_saveexec_b64 s[0:1], s[2:3]
	s_cbranch_execz .LBB224_26
; %bb.25:
	v_add_co_u32_e32 v4, vcc, 0x1000, v68
	v_addc_co_u32_e32 v5, vcc, 0, v69, vcc
	global_load_dwordx2 v[16:17], v[4:5], off offset:2048
	v_add_co_u32_e32 v4, vcc, 0x1000, v10
	v_addc_co_u32_e32 v5, vcc, 0, v11, vcc
	global_load_dwordx2 v[18:19], v[4:5], off offset:2048
.LBB224_26:
	s_or_b64 exec, exec, s[0:1]
	v_or_b32_e32 v1, 0x340, v0
	v_cmp_gt_i32_e64 s[4:5], s42, v1
	s_and_b64 s[2:3], s[34:35], s[4:5]
	v_pk_mov_b32 v[14:15], v[12:13], v[12:13] op_sel:[0,1]
	s_and_saveexec_b64 s[0:1], s[2:3]
	s_cbranch_execz .LBB224_28
; %bb.27:
	v_add_co_u32_e32 v4, vcc, 0x1000, v68
	v_addc_co_u32_e32 v5, vcc, 0, v69, vcc
	global_load_dwordx2 v[12:13], v[4:5], off offset:2560
	v_add_co_u32_e32 v4, vcc, 0x1000, v10
	v_addc_co_u32_e32 v5, vcc, 0, v11, vcc
	global_load_dwordx2 v[14:15], v[4:5], off offset:2560
.LBB224_28:
	s_or_b64 exec, exec, s[0:1]
	v_or_b32_e32 v0, 0x380, v0
	v_cmp_gt_i32_e64 s[2:3], s42, v0
	v_pk_mov_b32 v[0:1], 0, 0
	s_and_b64 s[38:39], s[34:35], s[2:3]
	v_pk_mov_b32 v[4:5], v[0:1], v[0:1] op_sel:[0,1]
	v_pk_mov_b32 v[8:9], v[0:1], v[0:1] op_sel:[0,1]
	s_and_saveexec_b64 s[0:1], s[38:39]
	s_cbranch_execz .LBB224_30
; %bb.29:
	v_add_co_u32_e32 v4, vcc, 0x1000, v68
	v_addc_co_u32_e32 v5, vcc, 0, v69, vcc
	v_add_co_u32_e32 v8, vcc, 0x1000, v10
	v_addc_co_u32_e32 v9, vcc, 0, v11, vcc
	global_load_dwordx2 v[4:5], v[4:5], off offset:3072
	s_nop 0
	global_load_dwordx2 v[8:9], v[8:9], off offset:3072
.LBB224_30:
	s_or_b64 exec, exec, s[0:1]
	v_or_b32_e32 v2, 0x3c0, v2
	v_cmp_gt_i32_e64 s[0:1], s42, v2
	s_and_b64 s[38:39], s[34:35], s[0:1]
	v_pk_mov_b32 v[2:3], v[0:1], v[0:1] op_sel:[0,1]
	s_and_saveexec_b64 s[34:35], s[38:39]
	s_cbranch_execz .LBB224_32
; %bb.31:
	v_add_co_u32_e32 v0, vcc, 0x1000, v68
	v_addc_co_u32_e32 v1, vcc, 0, v69, vcc
	v_add_co_u32_e32 v2, vcc, 0x1000, v10
	v_addc_co_u32_e32 v3, vcc, 0, v11, vcc
	global_load_dwordx2 v[0:1], v[0:1], off offset:3584
	s_nop 0
	global_load_dwordx2 v[2:3], v[2:3], off offset:3584
.LBB224_32:
	s_or_b64 exec, exec, s[34:35]
	s_waitcnt vmcnt(1)
	v_add_f64 v[10:11], v[64:65], 0
	v_add_f64 v[10:11], v[10:11], v[60:61]
	;; [unrolled: 1-line block ×10, first 2 shown]
	v_mbcnt_lo_u32_b32 v68, -1, 0
	v_add_f64 v[10:11], v[10:11], v[24:25]
	v_mbcnt_hi_u32_b32 v71, -1, v68
	v_add_f64 v[10:11], v[10:11], v[20:21]
	v_and_b32_e32 v68, 64, v71
	v_add_f64 v[10:11], v[10:11], v[16:17]
	v_add_u32_e32 v72, 64, v68
	v_xor_b32_e32 v68, 32, v71
	v_add_f64 v[10:11], v[10:11], v[12:13]
	v_cmp_lt_i32_e32 vcc, v68, v72
	v_add_f64 v[10:11], v[10:11], v[4:5]
	v_cndmask_b32_e32 v68, v71, v68, vcc
	v_add_f64 v[10:11], v[10:11], v[0:1]
	v_lshlrev_b32_e32 v69, 2, v68
	ds_bpermute_b32 v68, v69, v10
	ds_bpermute_b32 v69, v69, v11
	s_waitcnt lgkmcnt(0)
	v_add_f64 v[10:11], v[10:11], v[68:69]
	v_xor_b32_e32 v68, 16, v71
	v_cmp_lt_i32_e32 vcc, v68, v72
	v_cndmask_b32_e32 v68, v71, v68, vcc
	v_lshlrev_b32_e32 v69, 2, v68
	ds_bpermute_b32 v68, v69, v10
	ds_bpermute_b32 v69, v69, v11
	s_waitcnt lgkmcnt(0)
	v_add_f64 v[10:11], v[10:11], v[68:69]
	v_xor_b32_e32 v68, 8, v71
	v_cmp_lt_i32_e32 vcc, v68, v72
	v_cndmask_b32_e32 v68, v71, v68, vcc
	;; [unrolled: 8-line block ×5, first 2 shown]
	v_lshlrev_b32_e32 v69, 2, v68
	ds_bpermute_b32 v68, v69, v10
	ds_bpermute_b32 v69, v69, v11
	v_cmp_lt_i32_e32 vcc, 0, v70
	s_and_saveexec_b64 s[34:35], vcc
	s_cbranch_execz .LBB224_50
; %bb.33:
	v_mov_b32_e32 v70, s37
	v_add_co_u32_e32 v6, vcc, s36, v6
	v_addc_co_u32_e32 v7, vcc, v70, v7, vcc
	s_waitcnt lgkmcnt(0)
	v_add_f64 v[10:11], v[10:11], v[68:69]
	s_and_saveexec_b64 s[34:35], s[30:31]
	s_cbranch_execnz .LBB224_51
; %bb.34:
	s_or_b64 exec, exec, s[34:35]
	s_and_saveexec_b64 s[30:31], s[28:29]
	s_cbranch_execnz .LBB224_52
.LBB224_35:
	s_or_b64 exec, exec, s[30:31]
	s_and_saveexec_b64 s[28:29], s[26:27]
	s_cbranch_execnz .LBB224_53
.LBB224_36:
	s_or_b64 exec, exec, s[28:29]
	s_and_saveexec_b64 s[26:27], s[24:25]
	s_cbranch_execnz .LBB224_54
.LBB224_37:
	s_or_b64 exec, exec, s[26:27]
	s_and_saveexec_b64 s[24:25], s[22:23]
	s_cbranch_execnz .LBB224_55
.LBB224_38:
	s_or_b64 exec, exec, s[24:25]
	s_and_saveexec_b64 s[22:23], s[20:21]
	s_cbranch_execnz .LBB224_56
.LBB224_39:
	s_or_b64 exec, exec, s[22:23]
	s_and_saveexec_b64 s[20:21], s[18:19]
	s_cbranch_execnz .LBB224_57
.LBB224_40:
	s_or_b64 exec, exec, s[20:21]
	s_and_saveexec_b64 s[18:19], s[16:17]
	s_cbranch_execnz .LBB224_58
.LBB224_41:
	s_or_b64 exec, exec, s[18:19]
	s_and_saveexec_b64 s[16:17], s[14:15]
	s_cbranch_execnz .LBB224_59
.LBB224_42:
	s_or_b64 exec, exec, s[16:17]
	s_and_saveexec_b64 s[14:15], s[12:13]
	s_cbranch_execnz .LBB224_60
.LBB224_43:
	s_or_b64 exec, exec, s[14:15]
	s_and_saveexec_b64 s[12:13], s[10:11]
	s_cbranch_execnz .LBB224_61
.LBB224_44:
	s_or_b64 exec, exec, s[12:13]
	s_and_saveexec_b64 s[10:11], s[8:9]
	s_cbranch_execnz .LBB224_62
.LBB224_45:
	s_or_b64 exec, exec, s[10:11]
	s_and_saveexec_b64 s[8:9], s[6:7]
	s_cbranch_execnz .LBB224_63
.LBB224_46:
	s_or_b64 exec, exec, s[8:9]
	s_and_saveexec_b64 s[6:7], s[4:5]
	s_cbranch_execnz .LBB224_64
.LBB224_47:
	s_or_b64 exec, exec, s[6:7]
	s_and_saveexec_b64 s[4:5], s[2:3]
	s_cbranch_execnz .LBB224_65
.LBB224_48:
	s_or_b64 exec, exec, s[4:5]
	s_and_b64 exec, exec, s[0:1]
	s_cbranch_execz .LBB224_50
.LBB224_49:
	s_mov_b32 s0, 0x652b82fe
	s_mov_b32 s1, 0x3ff71547
	s_waitcnt vmcnt(0)
	v_mul_f64 v[4:5], v[2:3], s[0:1]
	s_mov_b32 s0, 0xfefa39ef
	v_rndne_f64_e32 v[4:5], v[4:5]
	s_mov_b32 s1, 0xbfe62e42
	v_fma_f64 v[8:9], s[0:1], v[4:5], v[2:3]
	s_mov_b32 s0, 0x3b39803f
	s_mov_b32 s1, 0xbc7abc9e
	v_fmac_f64_e32 v[8:9], s[0:1], v[4:5]
	s_mov_b32 s0, 0x6a5dcb37
	v_mov_b32_e32 v12, 0xfca7ab0c
	v_mov_b32_e32 v13, 0x3e928af3
	s_mov_b32 s1, 0x3e5ade15
	v_fmac_f64_e32 v[12:13], s[0:1], v[8:9]
	v_mov_b32_e32 v14, 0x623fde64
	v_mov_b32_e32 v15, 0x3ec71dee
	v_fmac_f64_e32 v[14:15], v[8:9], v[12:13]
	v_mov_b32_e32 v12, 0x7c89e6b0
	v_mov_b32_e32 v13, 0x3efa0199
	;; [unrolled: 3-line block ×8, first 2 shown]
	s_mov_b32 s0, 0
	v_fmac_f64_e32 v[12:13], v[8:9], v[14:15]
	s_mov_b32 s1, 0x40900000
	v_fma_f64 v[12:13], v[8:9], v[12:13], 1.0
	v_cmp_nlt_f64_e32 vcc, s[0:1], v[2:3]
	s_mov_b32 s0, 0
	v_fma_f64 v[8:9], v[8:9], v[12:13], 1.0
	v_cvt_i32_f64_e32 v4, v[4:5]
	s_mov_b32 s1, 0xc090cc00
	v_ldexp_f64 v[4:5], v[8:9], v4
	v_mov_b32_e32 v8, 0x7ff00000
	v_cmp_ngt_f64_e64 s[0:1], s[0:1], v[2:3]
	v_cndmask_b32_e32 v5, v8, v5, vcc
	s_and_b64 vcc, s[0:1], vcc
	v_cndmask_b32_e64 v3, 0, v5, s[0:1]
	v_cndmask_b32_e32 v2, 0, v4, vcc
	v_fma_f64 v[0:1], -v[10:11], v[2:3], v[0:1]
	v_add_co_u32_e32 v2, vcc, 0x1000, v6
	v_addc_co_u32_e32 v3, vcc, 0, v7, vcc
	global_store_dwordx2 v[2:3], v[0:1], off offset:3584
.LBB224_50:
	s_endpgm
.LBB224_51:
	s_mov_b32 s30, 0x652b82fe
	s_mov_b32 s31, 0x3ff71547
	s_waitcnt vmcnt(0)
	v_mul_f64 v[68:69], v[66:67], s[30:31]
	s_mov_b32 s30, 0xfefa39ef
	v_rndne_f64_e32 v[68:69], v[68:69]
	s_mov_b32 s31, 0xbfe62e42
	v_fma_f64 v[70:71], s[30:31], v[68:69], v[66:67]
	s_mov_b32 s30, 0x3b39803f
	s_mov_b32 s31, 0xbc7abc9e
	v_fmac_f64_e32 v[70:71], s[30:31], v[68:69]
	s_mov_b32 s30, 0x6a5dcb37
	v_mov_b32_e32 v72, 0xfca7ab0c
	v_mov_b32_e32 v73, 0x3e928af3
	s_mov_b32 s31, 0x3e5ade15
	v_fmac_f64_e32 v[72:73], s[30:31], v[70:71]
	v_mov_b32_e32 v74, 0x623fde64
	v_mov_b32_e32 v75, 0x3ec71dee
	v_fmac_f64_e32 v[74:75], v[70:71], v[72:73]
	v_mov_b32_e32 v72, 0x7c89e6b0
	v_mov_b32_e32 v73, 0x3efa0199
	;; [unrolled: 3-line block ×8, first 2 shown]
	s_mov_b32 s30, 0
	v_fmac_f64_e32 v[72:73], v[70:71], v[74:75]
	s_mov_b32 s31, 0x40900000
	v_fma_f64 v[72:73], v[70:71], v[72:73], 1.0
	v_cmp_nlt_f64_e32 vcc, s[30:31], v[66:67]
	s_mov_b32 s30, 0
	v_fma_f64 v[70:71], v[70:71], v[72:73], 1.0
	v_cvt_i32_f64_e32 v68, v[68:69]
	s_mov_b32 s31, 0xc090cc00
	v_ldexp_f64 v[68:69], v[70:71], v68
	v_mov_b32_e32 v70, 0x7ff00000
	v_cmp_ngt_f64_e64 s[30:31], s[30:31], v[66:67]
	v_cndmask_b32_e32 v69, v70, v69, vcc
	s_and_b64 vcc, s[30:31], vcc
	v_cndmask_b32_e64 v67, 0, v69, s[30:31]
	v_cndmask_b32_e32 v66, 0, v68, vcc
	v_fma_f64 v[64:65], -v[10:11], v[66:67], v[64:65]
	global_store_dwordx2 v[6:7], v[64:65], off
	s_or_b64 exec, exec, s[34:35]
	s_and_saveexec_b64 s[30:31], s[28:29]
	s_cbranch_execz .LBB224_35
.LBB224_52:
	s_mov_b32 s28, 0x652b82fe
	s_mov_b32 s29, 0x3ff71547
	s_waitcnt vmcnt(0)
	v_mul_f64 v[64:65], v[62:63], s[28:29]
	s_mov_b32 s28, 0xfefa39ef
	v_rndne_f64_e32 v[64:65], v[64:65]
	s_mov_b32 s29, 0xbfe62e42
	v_fma_f64 v[66:67], s[28:29], v[64:65], v[62:63]
	s_mov_b32 s28, 0x3b39803f
	s_mov_b32 s29, 0xbc7abc9e
	v_fmac_f64_e32 v[66:67], s[28:29], v[64:65]
	s_mov_b32 s28, 0x6a5dcb37
	v_mov_b32_e32 v68, 0xfca7ab0c
	v_mov_b32_e32 v69, 0x3e928af3
	s_mov_b32 s29, 0x3e5ade15
	v_fmac_f64_e32 v[68:69], s[28:29], v[66:67]
	v_mov_b32_e32 v70, 0x623fde64
	v_mov_b32_e32 v71, 0x3ec71dee
	v_fmac_f64_e32 v[70:71], v[66:67], v[68:69]
	v_mov_b32_e32 v68, 0x7c89e6b0
	v_mov_b32_e32 v69, 0x3efa0199
	;; [unrolled: 3-line block ×8, first 2 shown]
	s_mov_b32 s28, 0
	v_fmac_f64_e32 v[68:69], v[66:67], v[70:71]
	s_mov_b32 s29, 0x40900000
	v_fma_f64 v[68:69], v[66:67], v[68:69], 1.0
	v_cmp_nlt_f64_e32 vcc, s[28:29], v[62:63]
	s_mov_b32 s28, 0
	v_fma_f64 v[66:67], v[66:67], v[68:69], 1.0
	v_cvt_i32_f64_e32 v64, v[64:65]
	s_mov_b32 s29, 0xc090cc00
	v_ldexp_f64 v[64:65], v[66:67], v64
	v_mov_b32_e32 v66, 0x7ff00000
	v_cmp_ngt_f64_e64 s[28:29], s[28:29], v[62:63]
	v_cndmask_b32_e32 v65, v66, v65, vcc
	s_and_b64 vcc, s[28:29], vcc
	v_cndmask_b32_e64 v63, 0, v65, s[28:29]
	v_cndmask_b32_e32 v62, 0, v64, vcc
	v_fma_f64 v[60:61], -v[10:11], v[62:63], v[60:61]
	global_store_dwordx2 v[6:7], v[60:61], off offset:512
	s_or_b64 exec, exec, s[30:31]
	s_and_saveexec_b64 s[28:29], s[26:27]
	s_cbranch_execz .LBB224_36
.LBB224_53:
	s_mov_b32 s26, 0x652b82fe
	s_mov_b32 s27, 0x3ff71547
	s_waitcnt vmcnt(0)
	v_mul_f64 v[60:61], v[58:59], s[26:27]
	s_mov_b32 s26, 0xfefa39ef
	v_rndne_f64_e32 v[60:61], v[60:61]
	s_mov_b32 s27, 0xbfe62e42
	v_fma_f64 v[62:63], s[26:27], v[60:61], v[58:59]
	s_mov_b32 s26, 0x3b39803f
	s_mov_b32 s27, 0xbc7abc9e
	v_fmac_f64_e32 v[62:63], s[26:27], v[60:61]
	s_mov_b32 s26, 0x6a5dcb37
	v_mov_b32_e32 v64, 0xfca7ab0c
	v_mov_b32_e32 v65, 0x3e928af3
	s_mov_b32 s27, 0x3e5ade15
	v_fmac_f64_e32 v[64:65], s[26:27], v[62:63]
	v_mov_b32_e32 v66, 0x623fde64
	v_mov_b32_e32 v67, 0x3ec71dee
	v_fmac_f64_e32 v[66:67], v[62:63], v[64:65]
	v_mov_b32_e32 v64, 0x7c89e6b0
	v_mov_b32_e32 v65, 0x3efa0199
	;; [unrolled: 3-line block ×8, first 2 shown]
	s_mov_b32 s26, 0
	v_fmac_f64_e32 v[64:65], v[62:63], v[66:67]
	s_mov_b32 s27, 0x40900000
	v_fma_f64 v[64:65], v[62:63], v[64:65], 1.0
	v_cmp_nlt_f64_e32 vcc, s[26:27], v[58:59]
	s_mov_b32 s26, 0
	v_fma_f64 v[62:63], v[62:63], v[64:65], 1.0
	v_cvt_i32_f64_e32 v60, v[60:61]
	s_mov_b32 s27, 0xc090cc00
	v_ldexp_f64 v[60:61], v[62:63], v60
	v_mov_b32_e32 v62, 0x7ff00000
	v_cmp_ngt_f64_e64 s[26:27], s[26:27], v[58:59]
	v_cndmask_b32_e32 v61, v62, v61, vcc
	s_and_b64 vcc, s[26:27], vcc
	v_cndmask_b32_e64 v59, 0, v61, s[26:27]
	v_cndmask_b32_e32 v58, 0, v60, vcc
	v_fma_f64 v[56:57], -v[10:11], v[58:59], v[56:57]
	global_store_dwordx2 v[6:7], v[56:57], off offset:1024
	s_or_b64 exec, exec, s[28:29]
	s_and_saveexec_b64 s[26:27], s[24:25]
	s_cbranch_execz .LBB224_37
.LBB224_54:
	s_mov_b32 s24, 0x652b82fe
	s_mov_b32 s25, 0x3ff71547
	s_waitcnt vmcnt(0)
	v_mul_f64 v[56:57], v[54:55], s[24:25]
	s_mov_b32 s24, 0xfefa39ef
	v_rndne_f64_e32 v[56:57], v[56:57]
	s_mov_b32 s25, 0xbfe62e42
	v_fma_f64 v[58:59], s[24:25], v[56:57], v[54:55]
	s_mov_b32 s24, 0x3b39803f
	s_mov_b32 s25, 0xbc7abc9e
	v_fmac_f64_e32 v[58:59], s[24:25], v[56:57]
	s_mov_b32 s24, 0x6a5dcb37
	v_mov_b32_e32 v60, 0xfca7ab0c
	v_mov_b32_e32 v61, 0x3e928af3
	s_mov_b32 s25, 0x3e5ade15
	v_fmac_f64_e32 v[60:61], s[24:25], v[58:59]
	v_mov_b32_e32 v62, 0x623fde64
	v_mov_b32_e32 v63, 0x3ec71dee
	v_fmac_f64_e32 v[62:63], v[58:59], v[60:61]
	v_mov_b32_e32 v60, 0x7c89e6b0
	v_mov_b32_e32 v61, 0x3efa0199
	;; [unrolled: 3-line block ×8, first 2 shown]
	s_mov_b32 s24, 0
	v_fmac_f64_e32 v[60:61], v[58:59], v[62:63]
	s_mov_b32 s25, 0x40900000
	v_fma_f64 v[60:61], v[58:59], v[60:61], 1.0
	v_cmp_nlt_f64_e32 vcc, s[24:25], v[54:55]
	s_mov_b32 s24, 0
	v_fma_f64 v[58:59], v[58:59], v[60:61], 1.0
	v_cvt_i32_f64_e32 v56, v[56:57]
	s_mov_b32 s25, 0xc090cc00
	v_ldexp_f64 v[56:57], v[58:59], v56
	v_mov_b32_e32 v58, 0x7ff00000
	v_cmp_ngt_f64_e64 s[24:25], s[24:25], v[54:55]
	v_cndmask_b32_e32 v57, v58, v57, vcc
	s_and_b64 vcc, s[24:25], vcc
	v_cndmask_b32_e64 v55, 0, v57, s[24:25]
	v_cndmask_b32_e32 v54, 0, v56, vcc
	v_fma_f64 v[52:53], -v[10:11], v[54:55], v[52:53]
	global_store_dwordx2 v[6:7], v[52:53], off offset:1536
	s_or_b64 exec, exec, s[26:27]
	s_and_saveexec_b64 s[24:25], s[22:23]
	s_cbranch_execz .LBB224_38
.LBB224_55:
	s_mov_b32 s22, 0x652b82fe
	s_mov_b32 s23, 0x3ff71547
	s_waitcnt vmcnt(0)
	v_mul_f64 v[52:53], v[50:51], s[22:23]
	s_mov_b32 s22, 0xfefa39ef
	v_rndne_f64_e32 v[52:53], v[52:53]
	s_mov_b32 s23, 0xbfe62e42
	v_fma_f64 v[54:55], s[22:23], v[52:53], v[50:51]
	s_mov_b32 s22, 0x3b39803f
	s_mov_b32 s23, 0xbc7abc9e
	v_fmac_f64_e32 v[54:55], s[22:23], v[52:53]
	s_mov_b32 s22, 0x6a5dcb37
	v_mov_b32_e32 v56, 0xfca7ab0c
	v_mov_b32_e32 v57, 0x3e928af3
	s_mov_b32 s23, 0x3e5ade15
	v_fmac_f64_e32 v[56:57], s[22:23], v[54:55]
	v_mov_b32_e32 v58, 0x623fde64
	v_mov_b32_e32 v59, 0x3ec71dee
	v_fmac_f64_e32 v[58:59], v[54:55], v[56:57]
	v_mov_b32_e32 v56, 0x7c89e6b0
	v_mov_b32_e32 v57, 0x3efa0199
	;; [unrolled: 3-line block ×8, first 2 shown]
	s_mov_b32 s22, 0
	v_fmac_f64_e32 v[56:57], v[54:55], v[58:59]
	s_mov_b32 s23, 0x40900000
	v_fma_f64 v[56:57], v[54:55], v[56:57], 1.0
	v_cmp_nlt_f64_e32 vcc, s[22:23], v[50:51]
	s_mov_b32 s22, 0
	v_fma_f64 v[54:55], v[54:55], v[56:57], 1.0
	v_cvt_i32_f64_e32 v52, v[52:53]
	s_mov_b32 s23, 0xc090cc00
	v_ldexp_f64 v[52:53], v[54:55], v52
	v_mov_b32_e32 v54, 0x7ff00000
	v_cmp_ngt_f64_e64 s[22:23], s[22:23], v[50:51]
	v_cndmask_b32_e32 v53, v54, v53, vcc
	s_and_b64 vcc, s[22:23], vcc
	v_cndmask_b32_e64 v51, 0, v53, s[22:23]
	v_cndmask_b32_e32 v50, 0, v52, vcc
	v_fma_f64 v[48:49], -v[10:11], v[50:51], v[48:49]
	global_store_dwordx2 v[6:7], v[48:49], off offset:2048
	s_or_b64 exec, exec, s[24:25]
	s_and_saveexec_b64 s[22:23], s[20:21]
	s_cbranch_execz .LBB224_39
.LBB224_56:
	s_mov_b32 s20, 0x652b82fe
	s_mov_b32 s21, 0x3ff71547
	s_waitcnt vmcnt(0)
	v_mul_f64 v[48:49], v[46:47], s[20:21]
	s_mov_b32 s20, 0xfefa39ef
	v_rndne_f64_e32 v[48:49], v[48:49]
	s_mov_b32 s21, 0xbfe62e42
	v_fma_f64 v[50:51], s[20:21], v[48:49], v[46:47]
	s_mov_b32 s20, 0x3b39803f
	s_mov_b32 s21, 0xbc7abc9e
	v_fmac_f64_e32 v[50:51], s[20:21], v[48:49]
	s_mov_b32 s20, 0x6a5dcb37
	v_mov_b32_e32 v52, 0xfca7ab0c
	v_mov_b32_e32 v53, 0x3e928af3
	s_mov_b32 s21, 0x3e5ade15
	v_fmac_f64_e32 v[52:53], s[20:21], v[50:51]
	v_mov_b32_e32 v54, 0x623fde64
	v_mov_b32_e32 v55, 0x3ec71dee
	v_fmac_f64_e32 v[54:55], v[50:51], v[52:53]
	v_mov_b32_e32 v52, 0x7c89e6b0
	v_mov_b32_e32 v53, 0x3efa0199
	;; [unrolled: 3-line block ×8, first 2 shown]
	s_mov_b32 s20, 0
	v_fmac_f64_e32 v[52:53], v[50:51], v[54:55]
	s_mov_b32 s21, 0x40900000
	v_fma_f64 v[52:53], v[50:51], v[52:53], 1.0
	v_cmp_nlt_f64_e32 vcc, s[20:21], v[46:47]
	s_mov_b32 s20, 0
	v_fma_f64 v[50:51], v[50:51], v[52:53], 1.0
	v_cvt_i32_f64_e32 v48, v[48:49]
	s_mov_b32 s21, 0xc090cc00
	v_ldexp_f64 v[48:49], v[50:51], v48
	v_mov_b32_e32 v50, 0x7ff00000
	v_cmp_ngt_f64_e64 s[20:21], s[20:21], v[46:47]
	v_cndmask_b32_e32 v49, v50, v49, vcc
	s_and_b64 vcc, s[20:21], vcc
	v_cndmask_b32_e64 v47, 0, v49, s[20:21]
	v_cndmask_b32_e32 v46, 0, v48, vcc
	v_fma_f64 v[44:45], -v[10:11], v[46:47], v[44:45]
	global_store_dwordx2 v[6:7], v[44:45], off offset:2560
	s_or_b64 exec, exec, s[22:23]
	s_and_saveexec_b64 s[20:21], s[18:19]
	s_cbranch_execz .LBB224_40
.LBB224_57:
	s_mov_b32 s18, 0x652b82fe
	s_mov_b32 s19, 0x3ff71547
	s_waitcnt vmcnt(0)
	v_mul_f64 v[44:45], v[42:43], s[18:19]
	s_mov_b32 s18, 0xfefa39ef
	v_rndne_f64_e32 v[44:45], v[44:45]
	s_mov_b32 s19, 0xbfe62e42
	v_fma_f64 v[46:47], s[18:19], v[44:45], v[42:43]
	s_mov_b32 s18, 0x3b39803f
	s_mov_b32 s19, 0xbc7abc9e
	v_fmac_f64_e32 v[46:47], s[18:19], v[44:45]
	s_mov_b32 s18, 0x6a5dcb37
	v_mov_b32_e32 v48, 0xfca7ab0c
	v_mov_b32_e32 v49, 0x3e928af3
	s_mov_b32 s19, 0x3e5ade15
	v_fmac_f64_e32 v[48:49], s[18:19], v[46:47]
	v_mov_b32_e32 v50, 0x623fde64
	v_mov_b32_e32 v51, 0x3ec71dee
	v_fmac_f64_e32 v[50:51], v[46:47], v[48:49]
	v_mov_b32_e32 v48, 0x7c89e6b0
	v_mov_b32_e32 v49, 0x3efa0199
	;; [unrolled: 3-line block ×8, first 2 shown]
	s_mov_b32 s18, 0
	v_fmac_f64_e32 v[48:49], v[46:47], v[50:51]
	s_mov_b32 s19, 0x40900000
	v_fma_f64 v[48:49], v[46:47], v[48:49], 1.0
	v_cmp_nlt_f64_e32 vcc, s[18:19], v[42:43]
	s_mov_b32 s18, 0
	v_fma_f64 v[46:47], v[46:47], v[48:49], 1.0
	v_cvt_i32_f64_e32 v44, v[44:45]
	s_mov_b32 s19, 0xc090cc00
	v_ldexp_f64 v[44:45], v[46:47], v44
	v_mov_b32_e32 v46, 0x7ff00000
	v_cmp_ngt_f64_e64 s[18:19], s[18:19], v[42:43]
	v_cndmask_b32_e32 v45, v46, v45, vcc
	s_and_b64 vcc, s[18:19], vcc
	v_cndmask_b32_e64 v43, 0, v45, s[18:19]
	v_cndmask_b32_e32 v42, 0, v44, vcc
	v_fma_f64 v[40:41], -v[10:11], v[42:43], v[40:41]
	global_store_dwordx2 v[6:7], v[40:41], off offset:3072
	s_or_b64 exec, exec, s[20:21]
	s_and_saveexec_b64 s[18:19], s[16:17]
	s_cbranch_execz .LBB224_41
.LBB224_58:
	s_mov_b32 s16, 0x652b82fe
	s_mov_b32 s17, 0x3ff71547
	s_waitcnt vmcnt(0)
	v_mul_f64 v[40:41], v[38:39], s[16:17]
	s_mov_b32 s16, 0xfefa39ef
	v_rndne_f64_e32 v[40:41], v[40:41]
	s_mov_b32 s17, 0xbfe62e42
	v_fma_f64 v[42:43], s[16:17], v[40:41], v[38:39]
	s_mov_b32 s16, 0x3b39803f
	s_mov_b32 s17, 0xbc7abc9e
	v_fmac_f64_e32 v[42:43], s[16:17], v[40:41]
	s_mov_b32 s16, 0x6a5dcb37
	v_mov_b32_e32 v44, 0xfca7ab0c
	v_mov_b32_e32 v45, 0x3e928af3
	s_mov_b32 s17, 0x3e5ade15
	v_fmac_f64_e32 v[44:45], s[16:17], v[42:43]
	v_mov_b32_e32 v46, 0x623fde64
	v_mov_b32_e32 v47, 0x3ec71dee
	v_fmac_f64_e32 v[46:47], v[42:43], v[44:45]
	v_mov_b32_e32 v44, 0x7c89e6b0
	v_mov_b32_e32 v45, 0x3efa0199
	;; [unrolled: 3-line block ×8, first 2 shown]
	s_mov_b32 s16, 0
	v_fmac_f64_e32 v[44:45], v[42:43], v[46:47]
	s_mov_b32 s17, 0x40900000
	v_fma_f64 v[44:45], v[42:43], v[44:45], 1.0
	v_cmp_nlt_f64_e32 vcc, s[16:17], v[38:39]
	s_mov_b32 s16, 0
	v_fma_f64 v[42:43], v[42:43], v[44:45], 1.0
	v_cvt_i32_f64_e32 v40, v[40:41]
	s_mov_b32 s17, 0xc090cc00
	v_ldexp_f64 v[40:41], v[42:43], v40
	v_mov_b32_e32 v42, 0x7ff00000
	v_cmp_ngt_f64_e64 s[16:17], s[16:17], v[38:39]
	v_cndmask_b32_e32 v41, v42, v41, vcc
	s_and_b64 vcc, s[16:17], vcc
	v_cndmask_b32_e64 v39, 0, v41, s[16:17]
	v_cndmask_b32_e32 v38, 0, v40, vcc
	v_fma_f64 v[36:37], -v[10:11], v[38:39], v[36:37]
	global_store_dwordx2 v[6:7], v[36:37], off offset:3584
	s_or_b64 exec, exec, s[18:19]
	s_and_saveexec_b64 s[16:17], s[14:15]
	s_cbranch_execz .LBB224_42
.LBB224_59:
	s_mov_b32 s14, 0x652b82fe
	s_mov_b32 s15, 0x3ff71547
	s_waitcnt vmcnt(0)
	v_mul_f64 v[36:37], v[34:35], s[14:15]
	s_mov_b32 s14, 0xfefa39ef
	v_rndne_f64_e32 v[36:37], v[36:37]
	s_mov_b32 s15, 0xbfe62e42
	v_fma_f64 v[38:39], s[14:15], v[36:37], v[34:35]
	s_mov_b32 s14, 0x3b39803f
	s_mov_b32 s15, 0xbc7abc9e
	v_fmac_f64_e32 v[38:39], s[14:15], v[36:37]
	s_mov_b32 s14, 0x6a5dcb37
	v_mov_b32_e32 v40, 0xfca7ab0c
	v_mov_b32_e32 v41, 0x3e928af3
	s_mov_b32 s15, 0x3e5ade15
	v_fmac_f64_e32 v[40:41], s[14:15], v[38:39]
	v_mov_b32_e32 v42, 0x623fde64
	v_mov_b32_e32 v43, 0x3ec71dee
	v_fmac_f64_e32 v[42:43], v[38:39], v[40:41]
	v_mov_b32_e32 v40, 0x7c89e6b0
	v_mov_b32_e32 v41, 0x3efa0199
	;; [unrolled: 3-line block ×8, first 2 shown]
	s_mov_b32 s14, 0
	v_fmac_f64_e32 v[40:41], v[38:39], v[42:43]
	s_mov_b32 s15, 0x40900000
	v_fma_f64 v[40:41], v[38:39], v[40:41], 1.0
	v_cmp_nlt_f64_e32 vcc, s[14:15], v[34:35]
	s_mov_b32 s14, 0
	v_fma_f64 v[38:39], v[38:39], v[40:41], 1.0
	v_cvt_i32_f64_e32 v36, v[36:37]
	s_mov_b32 s15, 0xc090cc00
	v_ldexp_f64 v[36:37], v[38:39], v36
	v_mov_b32_e32 v38, 0x7ff00000
	v_cmp_ngt_f64_e64 s[14:15], s[14:15], v[34:35]
	v_cndmask_b32_e32 v37, v38, v37, vcc
	s_and_b64 vcc, s[14:15], vcc
	v_cndmask_b32_e64 v35, 0, v37, s[14:15]
	v_cndmask_b32_e32 v34, 0, v36, vcc
	v_fma_f64 v[32:33], -v[10:11], v[34:35], v[32:33]
	v_add_co_u32_e32 v34, vcc, 0x1000, v6
	v_addc_co_u32_e32 v35, vcc, 0, v7, vcc
	global_store_dwordx2 v[34:35], v[32:33], off
	s_or_b64 exec, exec, s[16:17]
	s_and_saveexec_b64 s[14:15], s[12:13]
	s_cbranch_execz .LBB224_43
.LBB224_60:
	s_mov_b32 s12, 0x652b82fe
	s_mov_b32 s13, 0x3ff71547
	s_waitcnt vmcnt(0)
	v_mul_f64 v[32:33], v[30:31], s[12:13]
	s_mov_b32 s12, 0xfefa39ef
	v_rndne_f64_e32 v[32:33], v[32:33]
	s_mov_b32 s13, 0xbfe62e42
	v_fma_f64 v[34:35], s[12:13], v[32:33], v[30:31]
	s_mov_b32 s12, 0x3b39803f
	s_mov_b32 s13, 0xbc7abc9e
	v_fmac_f64_e32 v[34:35], s[12:13], v[32:33]
	s_mov_b32 s12, 0x6a5dcb37
	v_mov_b32_e32 v36, 0xfca7ab0c
	v_mov_b32_e32 v37, 0x3e928af3
	s_mov_b32 s13, 0x3e5ade15
	v_fmac_f64_e32 v[36:37], s[12:13], v[34:35]
	v_mov_b32_e32 v38, 0x623fde64
	v_mov_b32_e32 v39, 0x3ec71dee
	v_fmac_f64_e32 v[38:39], v[34:35], v[36:37]
	v_mov_b32_e32 v36, 0x7c89e6b0
	v_mov_b32_e32 v37, 0x3efa0199
	;; [unrolled: 3-line block ×8, first 2 shown]
	s_mov_b32 s12, 0
	v_fmac_f64_e32 v[36:37], v[34:35], v[38:39]
	s_mov_b32 s13, 0x40900000
	v_fma_f64 v[36:37], v[34:35], v[36:37], 1.0
	v_cmp_nlt_f64_e32 vcc, s[12:13], v[30:31]
	s_mov_b32 s12, 0
	v_fma_f64 v[34:35], v[34:35], v[36:37], 1.0
	v_cvt_i32_f64_e32 v32, v[32:33]
	s_mov_b32 s13, 0xc090cc00
	v_ldexp_f64 v[32:33], v[34:35], v32
	v_mov_b32_e32 v34, 0x7ff00000
	v_cmp_ngt_f64_e64 s[12:13], s[12:13], v[30:31]
	v_cndmask_b32_e32 v33, v34, v33, vcc
	s_and_b64 vcc, s[12:13], vcc
	v_cndmask_b32_e64 v31, 0, v33, s[12:13]
	v_cndmask_b32_e32 v30, 0, v32, vcc
	v_fma_f64 v[28:29], -v[10:11], v[30:31], v[28:29]
	v_add_co_u32_e32 v30, vcc, 0x1000, v6
	v_addc_co_u32_e32 v31, vcc, 0, v7, vcc
	global_store_dwordx2 v[30:31], v[28:29], off offset:512
	s_or_b64 exec, exec, s[14:15]
	s_and_saveexec_b64 s[12:13], s[10:11]
	s_cbranch_execz .LBB224_44
.LBB224_61:
	s_mov_b32 s10, 0x652b82fe
	s_mov_b32 s11, 0x3ff71547
	s_waitcnt vmcnt(0)
	v_mul_f64 v[28:29], v[26:27], s[10:11]
	s_mov_b32 s10, 0xfefa39ef
	v_rndne_f64_e32 v[28:29], v[28:29]
	s_mov_b32 s11, 0xbfe62e42
	v_fma_f64 v[30:31], s[10:11], v[28:29], v[26:27]
	s_mov_b32 s10, 0x3b39803f
	s_mov_b32 s11, 0xbc7abc9e
	v_fmac_f64_e32 v[30:31], s[10:11], v[28:29]
	s_mov_b32 s10, 0x6a5dcb37
	v_mov_b32_e32 v32, 0xfca7ab0c
	v_mov_b32_e32 v33, 0x3e928af3
	s_mov_b32 s11, 0x3e5ade15
	v_fmac_f64_e32 v[32:33], s[10:11], v[30:31]
	v_mov_b32_e32 v34, 0x623fde64
	v_mov_b32_e32 v35, 0x3ec71dee
	v_fmac_f64_e32 v[34:35], v[30:31], v[32:33]
	v_mov_b32_e32 v32, 0x7c89e6b0
	v_mov_b32_e32 v33, 0x3efa0199
	;; [unrolled: 3-line block ×8, first 2 shown]
	s_mov_b32 s10, 0
	v_fmac_f64_e32 v[32:33], v[30:31], v[34:35]
	s_mov_b32 s11, 0x40900000
	v_fma_f64 v[32:33], v[30:31], v[32:33], 1.0
	v_cmp_nlt_f64_e32 vcc, s[10:11], v[26:27]
	s_mov_b32 s10, 0
	v_fma_f64 v[30:31], v[30:31], v[32:33], 1.0
	v_cvt_i32_f64_e32 v28, v[28:29]
	s_mov_b32 s11, 0xc090cc00
	v_ldexp_f64 v[28:29], v[30:31], v28
	v_mov_b32_e32 v30, 0x7ff00000
	v_cmp_ngt_f64_e64 s[10:11], s[10:11], v[26:27]
	v_cndmask_b32_e32 v29, v30, v29, vcc
	s_and_b64 vcc, s[10:11], vcc
	v_cndmask_b32_e64 v27, 0, v29, s[10:11]
	v_cndmask_b32_e32 v26, 0, v28, vcc
	v_fma_f64 v[24:25], -v[10:11], v[26:27], v[24:25]
	v_add_co_u32_e32 v26, vcc, 0x1000, v6
	v_addc_co_u32_e32 v27, vcc, 0, v7, vcc
	global_store_dwordx2 v[26:27], v[24:25], off offset:1024
	s_or_b64 exec, exec, s[12:13]
	s_and_saveexec_b64 s[10:11], s[8:9]
	s_cbranch_execz .LBB224_45
.LBB224_62:
	s_mov_b32 s8, 0x652b82fe
	s_mov_b32 s9, 0x3ff71547
	s_waitcnt vmcnt(0)
	v_mul_f64 v[24:25], v[22:23], s[8:9]
	s_mov_b32 s8, 0xfefa39ef
	v_rndne_f64_e32 v[24:25], v[24:25]
	s_mov_b32 s9, 0xbfe62e42
	v_fma_f64 v[26:27], s[8:9], v[24:25], v[22:23]
	s_mov_b32 s8, 0x3b39803f
	s_mov_b32 s9, 0xbc7abc9e
	v_fmac_f64_e32 v[26:27], s[8:9], v[24:25]
	s_mov_b32 s8, 0x6a5dcb37
	v_mov_b32_e32 v28, 0xfca7ab0c
	v_mov_b32_e32 v29, 0x3e928af3
	s_mov_b32 s9, 0x3e5ade15
	v_fmac_f64_e32 v[28:29], s[8:9], v[26:27]
	v_mov_b32_e32 v30, 0x623fde64
	v_mov_b32_e32 v31, 0x3ec71dee
	v_fmac_f64_e32 v[30:31], v[26:27], v[28:29]
	v_mov_b32_e32 v28, 0x7c89e6b0
	v_mov_b32_e32 v29, 0x3efa0199
	;; [unrolled: 3-line block ×8, first 2 shown]
	s_mov_b32 s8, 0
	v_fmac_f64_e32 v[28:29], v[26:27], v[30:31]
	s_mov_b32 s9, 0x40900000
	v_fma_f64 v[28:29], v[26:27], v[28:29], 1.0
	v_cmp_nlt_f64_e32 vcc, s[8:9], v[22:23]
	s_mov_b32 s8, 0
	v_fma_f64 v[26:27], v[26:27], v[28:29], 1.0
	v_cvt_i32_f64_e32 v24, v[24:25]
	s_mov_b32 s9, 0xc090cc00
	v_ldexp_f64 v[24:25], v[26:27], v24
	v_mov_b32_e32 v26, 0x7ff00000
	v_cmp_ngt_f64_e64 s[8:9], s[8:9], v[22:23]
	v_cndmask_b32_e32 v25, v26, v25, vcc
	s_and_b64 vcc, s[8:9], vcc
	v_cndmask_b32_e64 v23, 0, v25, s[8:9]
	v_cndmask_b32_e32 v22, 0, v24, vcc
	v_fma_f64 v[20:21], -v[10:11], v[22:23], v[20:21]
	v_add_co_u32_e32 v22, vcc, 0x1000, v6
	v_addc_co_u32_e32 v23, vcc, 0, v7, vcc
	global_store_dwordx2 v[22:23], v[20:21], off offset:1536
	s_or_b64 exec, exec, s[10:11]
	s_and_saveexec_b64 s[8:9], s[6:7]
	s_cbranch_execz .LBB224_46
.LBB224_63:
	s_mov_b32 s6, 0x652b82fe
	s_mov_b32 s7, 0x3ff71547
	s_waitcnt vmcnt(0)
	v_mul_f64 v[20:21], v[18:19], s[6:7]
	s_mov_b32 s6, 0xfefa39ef
	v_rndne_f64_e32 v[20:21], v[20:21]
	s_mov_b32 s7, 0xbfe62e42
	v_fma_f64 v[22:23], s[6:7], v[20:21], v[18:19]
	s_mov_b32 s6, 0x3b39803f
	s_mov_b32 s7, 0xbc7abc9e
	v_fmac_f64_e32 v[22:23], s[6:7], v[20:21]
	s_mov_b32 s6, 0x6a5dcb37
	v_mov_b32_e32 v24, 0xfca7ab0c
	v_mov_b32_e32 v25, 0x3e928af3
	s_mov_b32 s7, 0x3e5ade15
	v_fmac_f64_e32 v[24:25], s[6:7], v[22:23]
	v_mov_b32_e32 v26, 0x623fde64
	v_mov_b32_e32 v27, 0x3ec71dee
	v_fmac_f64_e32 v[26:27], v[22:23], v[24:25]
	v_mov_b32_e32 v24, 0x7c89e6b0
	v_mov_b32_e32 v25, 0x3efa0199
	;; [unrolled: 3-line block ×8, first 2 shown]
	s_mov_b32 s6, 0
	v_fmac_f64_e32 v[24:25], v[22:23], v[26:27]
	s_mov_b32 s7, 0x40900000
	v_fma_f64 v[24:25], v[22:23], v[24:25], 1.0
	v_cmp_nlt_f64_e32 vcc, s[6:7], v[18:19]
	s_mov_b32 s6, 0
	v_fma_f64 v[22:23], v[22:23], v[24:25], 1.0
	v_cvt_i32_f64_e32 v20, v[20:21]
	s_mov_b32 s7, 0xc090cc00
	v_ldexp_f64 v[20:21], v[22:23], v20
	v_mov_b32_e32 v22, 0x7ff00000
	v_cmp_ngt_f64_e64 s[6:7], s[6:7], v[18:19]
	v_cndmask_b32_e32 v21, v22, v21, vcc
	s_and_b64 vcc, s[6:7], vcc
	v_cndmask_b32_e64 v19, 0, v21, s[6:7]
	v_cndmask_b32_e32 v18, 0, v20, vcc
	v_fma_f64 v[16:17], -v[10:11], v[18:19], v[16:17]
	v_add_co_u32_e32 v18, vcc, 0x1000, v6
	v_addc_co_u32_e32 v19, vcc, 0, v7, vcc
	global_store_dwordx2 v[18:19], v[16:17], off offset:2048
	s_or_b64 exec, exec, s[8:9]
	s_and_saveexec_b64 s[6:7], s[4:5]
	s_cbranch_execz .LBB224_47
.LBB224_64:
	s_mov_b32 s4, 0x652b82fe
	s_mov_b32 s5, 0x3ff71547
	s_waitcnt vmcnt(0)
	v_mul_f64 v[16:17], v[14:15], s[4:5]
	s_mov_b32 s4, 0xfefa39ef
	v_rndne_f64_e32 v[16:17], v[16:17]
	s_mov_b32 s5, 0xbfe62e42
	v_fma_f64 v[18:19], s[4:5], v[16:17], v[14:15]
	s_mov_b32 s4, 0x3b39803f
	s_mov_b32 s5, 0xbc7abc9e
	v_fmac_f64_e32 v[18:19], s[4:5], v[16:17]
	s_mov_b32 s4, 0x6a5dcb37
	v_mov_b32_e32 v20, 0xfca7ab0c
	v_mov_b32_e32 v21, 0x3e928af3
	s_mov_b32 s5, 0x3e5ade15
	v_fmac_f64_e32 v[20:21], s[4:5], v[18:19]
	v_mov_b32_e32 v22, 0x623fde64
	v_mov_b32_e32 v23, 0x3ec71dee
	v_fmac_f64_e32 v[22:23], v[18:19], v[20:21]
	v_mov_b32_e32 v20, 0x7c89e6b0
	v_mov_b32_e32 v21, 0x3efa0199
	;; [unrolled: 3-line block ×8, first 2 shown]
	s_mov_b32 s4, 0
	v_fmac_f64_e32 v[20:21], v[18:19], v[22:23]
	s_mov_b32 s5, 0x40900000
	v_fma_f64 v[20:21], v[18:19], v[20:21], 1.0
	v_cmp_nlt_f64_e32 vcc, s[4:5], v[14:15]
	s_mov_b32 s4, 0
	v_fma_f64 v[18:19], v[18:19], v[20:21], 1.0
	v_cvt_i32_f64_e32 v16, v[16:17]
	s_mov_b32 s5, 0xc090cc00
	v_ldexp_f64 v[16:17], v[18:19], v16
	v_mov_b32_e32 v18, 0x7ff00000
	v_cmp_ngt_f64_e64 s[4:5], s[4:5], v[14:15]
	v_cndmask_b32_e32 v17, v18, v17, vcc
	s_and_b64 vcc, s[4:5], vcc
	v_cndmask_b32_e64 v15, 0, v17, s[4:5]
	v_cndmask_b32_e32 v14, 0, v16, vcc
	v_fma_f64 v[12:13], -v[10:11], v[14:15], v[12:13]
	v_add_co_u32_e32 v14, vcc, 0x1000, v6
	v_addc_co_u32_e32 v15, vcc, 0, v7, vcc
	global_store_dwordx2 v[14:15], v[12:13], off offset:2560
	s_or_b64 exec, exec, s[6:7]
	s_and_saveexec_b64 s[4:5], s[2:3]
	s_cbranch_execz .LBB224_48
.LBB224_65:
	s_mov_b32 s2, 0x652b82fe
	s_mov_b32 s3, 0x3ff71547
	s_waitcnt vmcnt(0)
	v_mul_f64 v[12:13], v[8:9], s[2:3]
	s_mov_b32 s2, 0xfefa39ef
	v_rndne_f64_e32 v[12:13], v[12:13]
	s_mov_b32 s3, 0xbfe62e42
	v_fma_f64 v[14:15], s[2:3], v[12:13], v[8:9]
	s_mov_b32 s2, 0x3b39803f
	s_mov_b32 s3, 0xbc7abc9e
	v_fmac_f64_e32 v[14:15], s[2:3], v[12:13]
	s_mov_b32 s2, 0x6a5dcb37
	v_mov_b32_e32 v16, 0xfca7ab0c
	v_mov_b32_e32 v17, 0x3e928af3
	s_mov_b32 s3, 0x3e5ade15
	v_fmac_f64_e32 v[16:17], s[2:3], v[14:15]
	v_mov_b32_e32 v18, 0x623fde64
	v_mov_b32_e32 v19, 0x3ec71dee
	v_fmac_f64_e32 v[18:19], v[14:15], v[16:17]
	v_mov_b32_e32 v16, 0x7c89e6b0
	v_mov_b32_e32 v17, 0x3efa0199
	;; [unrolled: 3-line block ×8, first 2 shown]
	s_mov_b32 s2, 0
	v_fmac_f64_e32 v[16:17], v[14:15], v[18:19]
	s_mov_b32 s3, 0x40900000
	v_fma_f64 v[16:17], v[14:15], v[16:17], 1.0
	v_cmp_nlt_f64_e32 vcc, s[2:3], v[8:9]
	s_mov_b32 s2, 0
	v_fma_f64 v[14:15], v[14:15], v[16:17], 1.0
	v_cvt_i32_f64_e32 v12, v[12:13]
	s_mov_b32 s3, 0xc090cc00
	v_ldexp_f64 v[12:13], v[14:15], v12
	v_mov_b32_e32 v14, 0x7ff00000
	v_cmp_ngt_f64_e64 s[2:3], s[2:3], v[8:9]
	v_cndmask_b32_e32 v13, v14, v13, vcc
	s_and_b64 vcc, s[2:3], vcc
	v_cndmask_b32_e64 v9, 0, v13, s[2:3]
	v_cndmask_b32_e32 v8, 0, v12, vcc
	v_fma_f64 v[4:5], -v[10:11], v[8:9], v[4:5]
	v_add_co_u32_e32 v8, vcc, 0x1000, v6
	v_addc_co_u32_e32 v9, vcc, 0, v7, vcc
	global_store_dwordx2 v[8:9], v[4:5], off offset:3072
	s_or_b64 exec, exec, s[4:5]
	s_and_b64 exec, exec, s[0:1]
	s_cbranch_execnz .LBB224_49
	s_branch .LBB224_50
	.section	.rodata,"a",@progbits
	.p2align	6, 0x0
	.amdhsa_kernel _ZN12_GLOBAL__N_121softmax_warp_backwardIdddLi10ELb1ELb0ELi64EEEvPT0_PKT_S5_iiiPKb
		.amdhsa_group_segment_fixed_size 0
		.amdhsa_private_segment_fixed_size 0
		.amdhsa_kernarg_size 304
		.amdhsa_user_sgpr_count 6
		.amdhsa_user_sgpr_private_segment_buffer 1
		.amdhsa_user_sgpr_dispatch_ptr 0
		.amdhsa_user_sgpr_queue_ptr 0
		.amdhsa_user_sgpr_kernarg_segment_ptr 1
		.amdhsa_user_sgpr_dispatch_id 0
		.amdhsa_user_sgpr_flat_scratch_init 0
		.amdhsa_user_sgpr_kernarg_preload_length 0
		.amdhsa_user_sgpr_kernarg_preload_offset 0
		.amdhsa_user_sgpr_private_segment_size 0
		.amdhsa_uses_dynamic_stack 0
		.amdhsa_system_sgpr_private_segment_wavefront_offset 0
		.amdhsa_system_sgpr_workgroup_id_x 1
		.amdhsa_system_sgpr_workgroup_id_y 0
		.amdhsa_system_sgpr_workgroup_id_z 0
		.amdhsa_system_sgpr_workgroup_info 0
		.amdhsa_system_vgpr_workitem_id 1
		.amdhsa_next_free_vgpr 76
		.amdhsa_next_free_sgpr 44
		.amdhsa_accum_offset 76
		.amdhsa_reserve_vcc 1
		.amdhsa_reserve_flat_scratch 0
		.amdhsa_float_round_mode_32 0
		.amdhsa_float_round_mode_16_64 0
		.amdhsa_float_denorm_mode_32 3
		.amdhsa_float_denorm_mode_16_64 3
		.amdhsa_dx10_clamp 1
		.amdhsa_ieee_mode 1
		.amdhsa_fp16_overflow 0
		.amdhsa_tg_split 0
		.amdhsa_exception_fp_ieee_invalid_op 0
		.amdhsa_exception_fp_denorm_src 0
		.amdhsa_exception_fp_ieee_div_zero 0
		.amdhsa_exception_fp_ieee_overflow 0
		.amdhsa_exception_fp_ieee_underflow 0
		.amdhsa_exception_fp_ieee_inexact 0
		.amdhsa_exception_int_div_zero 0
	.end_amdhsa_kernel
	.section	.text._ZN12_GLOBAL__N_121softmax_warp_backwardIdddLi10ELb1ELb0ELi64EEEvPT0_PKT_S5_iiiPKb,"axG",@progbits,_ZN12_GLOBAL__N_121softmax_warp_backwardIdddLi10ELb1ELb0ELi64EEEvPT0_PKT_S5_iiiPKb,comdat
.Lfunc_end224:
	.size	_ZN12_GLOBAL__N_121softmax_warp_backwardIdddLi10ELb1ELb0ELi64EEEvPT0_PKT_S5_iiiPKb, .Lfunc_end224-_ZN12_GLOBAL__N_121softmax_warp_backwardIdddLi10ELb1ELb0ELi64EEEvPT0_PKT_S5_iiiPKb
                                        ; -- End function
	.section	.AMDGPU.csdata,"",@progbits
; Kernel info:
; codeLenInByte = 8268
; NumSgprs: 48
; NumVgprs: 76
; NumAgprs: 0
; TotalNumVgprs: 76
; ScratchSize: 0
; MemoryBound: 0
; FloatMode: 240
; IeeeMode: 1
; LDSByteSize: 0 bytes/workgroup (compile time only)
; SGPRBlocks: 5
; VGPRBlocks: 9
; NumSGPRsForWavesPerEU: 48
; NumVGPRsForWavesPerEU: 76
; AccumOffset: 76
; Occupancy: 6
; WaveLimiterHint : 0
; COMPUTE_PGM_RSRC2:SCRATCH_EN: 0
; COMPUTE_PGM_RSRC2:USER_SGPR: 6
; COMPUTE_PGM_RSRC2:TRAP_HANDLER: 0
; COMPUTE_PGM_RSRC2:TGID_X_EN: 1
; COMPUTE_PGM_RSRC2:TGID_Y_EN: 0
; COMPUTE_PGM_RSRC2:TGID_Z_EN: 0
; COMPUTE_PGM_RSRC2:TIDIG_COMP_CNT: 1
; COMPUTE_PGM_RSRC3_GFX90A:ACCUM_OFFSET: 18
; COMPUTE_PGM_RSRC3_GFX90A:TG_SPLIT: 0
	.section	.text._ZN12_GLOBAL__N_121softmax_warp_backwardIdddLi10ELb1ELb0ELi32EEEvPT0_PKT_S5_iiiPKb,"axG",@progbits,_ZN12_GLOBAL__N_121softmax_warp_backwardIdddLi10ELb1ELb0ELi32EEEvPT0_PKT_S5_iiiPKb,comdat
	.globl	_ZN12_GLOBAL__N_121softmax_warp_backwardIdddLi10ELb1ELb0ELi32EEEvPT0_PKT_S5_iiiPKb ; -- Begin function _ZN12_GLOBAL__N_121softmax_warp_backwardIdddLi10ELb1ELb0ELi32EEEvPT0_PKT_S5_iiiPKb
	.p2align	8
	.type	_ZN12_GLOBAL__N_121softmax_warp_backwardIdddLi10ELb1ELb0ELi32EEEvPT0_PKT_S5_iiiPKb,@function
_ZN12_GLOBAL__N_121softmax_warp_backwardIdddLi10ELb1ELb0ELi32EEEvPT0_PKT_S5_iiiPKb: ; @_ZN12_GLOBAL__N_121softmax_warp_backwardIdddLi10ELb1ELb0ELi32EEEvPT0_PKT_S5_iiiPKb
; %bb.0:
	s_mov_b64 s[78:79], s[2:3]
	s_mov_b64 s[76:77], s[0:1]
	s_load_dword s2, s[4:5], 0x3c
	s_load_dwordx4 s[72:75], s[4:5], 0x18
	s_load_dwordx4 s[68:71], s[4:5], 0x0
	s_load_dwordx2 s[0:1], s[4:5], 0x10
	s_add_u32 s76, s76, s7
	s_addc_u32 s77, s77, 0
	s_waitcnt lgkmcnt(0)
	s_lshr_b32 s2, s2, 16
	s_mul_i32 s6, s6, s2
	v_bfe_u32 v1, v0, 10, 10
	v_and_b32_e32 v19, 0x3ff, v0
	v_add_u32_e32 v1, s6, v1
	v_and_b32_e32 v0, 31, v19
	v_mad_u64_u32 v[2:3], s[2:3], v1, s73, v[0:1]
	v_ashrrev_i32_e32 v3, 31, v2
	v_lshlrev_b64 v[8:9], 3, v[2:3]
	v_sub_u32_e32 v18, s72, v1
	v_mov_b32_e32 v1, s71
	v_add_co_u32_e32 v14, vcc, s70, v8
	v_addc_co_u32_e32 v15, vcc, v1, v9, vcc
	v_mov_b32_e32 v1, s1
	v_add_co_u32_e32 v10, vcc, s0, v8
	v_cmp_lt_i32_e64 s[66:67], 0, v18
	v_cmp_gt_i32_e64 s[64:65], s74, v0
	v_pk_mov_b32 v[124:125], 0, 0
	v_addc_co_u32_e32 v11, vcc, v1, v9, vcc
	s_and_b64 s[2:3], s[66:67], s[64:65]
	v_pk_mov_b32 v[2:3], v[124:125], v[124:125] op_sel:[0,1]
	v_pk_mov_b32 v[26:27], v[124:125], v[124:125] op_sel:[0,1]
	s_and_saveexec_b64 s[0:1], s[2:3]
	s_cbranch_execz .LBB225_2
; %bb.1:
	global_load_dwordx2 v[2:3], v[14:15], off
	global_load_dwordx2 v[26:27], v[10:11], off
.LBB225_2:
	s_or_b64 exec, exec, s[0:1]
	v_or_b32_e32 v1, 32, v0
	v_cmp_gt_i32_e64 s[62:63], s74, v1
	s_and_b64 s[2:3], s[66:67], s[62:63]
	buffer_store_dword v124, off, s[76:79], 0 offset:24 ; 4-byte Folded Spill
	s_nop 0
	buffer_store_dword v125, off, s[76:79], 0 offset:28 ; 4-byte Folded Spill
	s_and_saveexec_b64 s[0:1], s[2:3]
	s_cbranch_execz .LBB225_4
; %bb.3:
	global_load_dwordx2 v[124:125], v[14:15], off offset:256
	global_load_dwordx2 v[4:5], v[10:11], off offset:256
	s_waitcnt vmcnt(0)
	buffer_store_dword v4, off, s[76:79], 0 offset:24 ; 4-byte Folded Spill
	s_nop 0
	buffer_store_dword v5, off, s[76:79], 0 offset:28 ; 4-byte Folded Spill
.LBB225_4:
	s_or_b64 exec, exec, s[0:1]
	v_or_b32_e32 v1, 64, v0
	v_cmp_gt_i32_e64 s[60:61], s74, v1
	v_pk_mov_b32 v[116:117], 0, 0
	s_and_b64 s[2:3], s[66:67], s[60:61]
	v_pk_mov_b32 v[6:7], v[116:117], v[116:117] op_sel:[0,1]
	buffer_store_dword v116, off, s[76:79], 0 offset:16 ; 4-byte Folded Spill
	s_nop 0
	buffer_store_dword v117, off, s[76:79], 0 offset:20 ; 4-byte Folded Spill
	s_and_saveexec_b64 s[0:1], s[2:3]
	s_cbranch_execz .LBB225_6
; %bb.5:
	global_load_dwordx2 v[6:7], v[14:15], off offset:512
	global_load_dwordx2 v[4:5], v[10:11], off offset:512
	s_waitcnt vmcnt(0)
	buffer_store_dword v4, off, s[76:79], 0 offset:16 ; 4-byte Folded Spill
	s_nop 0
	buffer_store_dword v5, off, s[76:79], 0 offset:20 ; 4-byte Folded Spill
.LBB225_6:
	s_or_b64 exec, exec, s[0:1]
	v_or_b32_e32 v1, 0x60, v0
	v_cmp_gt_i32_e64 s[58:59], s74, v1
	s_and_b64 s[2:3], s[66:67], s[58:59]
	buffer_store_dword v116, off, s[76:79], 0 offset:8 ; 4-byte Folded Spill
	s_nop 0
	buffer_store_dword v117, off, s[76:79], 0 offset:12 ; 4-byte Folded Spill
	s_and_saveexec_b64 s[0:1], s[2:3]
	s_cbranch_execz .LBB225_8
; %bb.7:
	global_load_dwordx2 v[116:117], v[14:15], off offset:768
	global_load_dwordx2 v[4:5], v[10:11], off offset:768
	s_waitcnt vmcnt(0)
	buffer_store_dword v4, off, s[76:79], 0 offset:8 ; 4-byte Folded Spill
	s_nop 0
	buffer_store_dword v5, off, s[76:79], 0 offset:12 ; 4-byte Folded Spill
.LBB225_8:
	s_or_b64 exec, exec, s[0:1]
	v_or_b32_e32 v1, 0x80, v0
	v_cmp_gt_i32_e64 s[56:57], s74, v1
	v_pk_mov_b32 v[108:109], 0, 0
	s_and_b64 s[2:3], s[66:67], s[56:57]
	v_pk_mov_b32 v[120:121], v[108:109], v[108:109] op_sel:[0,1]
	buffer_store_dword v108, off, s[76:79], 0 ; 4-byte Folded Spill
	s_nop 0
	buffer_store_dword v109, off, s[76:79], 0 offset:4 ; 4-byte Folded Spill
	s_and_saveexec_b64 s[0:1], s[2:3]
	s_cbranch_execz .LBB225_10
; %bb.9:
	global_load_dwordx2 v[120:121], v[14:15], off offset:1024
	global_load_dwordx2 v[4:5], v[10:11], off offset:1024
	s_waitcnt vmcnt(0)
	buffer_store_dword v4, off, s[76:79], 0 ; 4-byte Folded Spill
	s_nop 0
	buffer_store_dword v5, off, s[76:79], 0 offset:4 ; 4-byte Folded Spill
.LBB225_10:
	s_or_b64 exec, exec, s[0:1]
	v_or_b32_e32 v1, 0xa0, v0
	v_cmp_gt_i32_e64 s[54:55], s74, v1
	s_and_b64 s[2:3], s[66:67], s[54:55]
	v_pk_mov_b32 v[126:127], v[108:109], v[108:109] op_sel:[0,1]
	s_and_saveexec_b64 s[0:1], s[2:3]
	s_cbranch_execz .LBB225_12
; %bb.11:
	global_load_dwordx2 v[108:109], v[14:15], off offset:1280
	global_load_dwordx2 v[126:127], v[10:11], off offset:1280
.LBB225_12:
	s_or_b64 exec, exec, s[0:1]
	v_or_b32_e32 v1, 0xc0, v0
	v_cmp_gt_i32_e64 s[52:53], s74, v1
	v_pk_mov_b32 v[100:101], 0, 0
	s_and_b64 s[2:3], s[66:67], s[52:53]
	v_pk_mov_b32 v[112:113], v[100:101], v[100:101] op_sel:[0,1]
	v_pk_mov_b32 v[122:123], v[100:101], v[100:101] op_sel:[0,1]
	s_and_saveexec_b64 s[0:1], s[2:3]
	s_cbranch_execz .LBB225_14
; %bb.13:
	global_load_dwordx2 v[112:113], v[14:15], off offset:1536
	global_load_dwordx2 v[122:123], v[10:11], off offset:1536
.LBB225_14:
	s_or_b64 exec, exec, s[0:1]
	v_or_b32_e32 v1, 0xe0, v0
	v_cmp_gt_i32_e64 s[50:51], s74, v1
	s_and_b64 s[2:3], s[66:67], s[50:51]
	v_pk_mov_b32 v[118:119], v[100:101], v[100:101] op_sel:[0,1]
	s_and_saveexec_b64 s[0:1], s[2:3]
	s_cbranch_execz .LBB225_16
; %bb.15:
	global_load_dwordx2 v[100:101], v[14:15], off offset:1792
	global_load_dwordx2 v[118:119], v[10:11], off offset:1792
.LBB225_16:
	s_or_b64 exec, exec, s[0:1]
	v_or_b32_e32 v1, 0x100, v0
	v_cmp_gt_i32_e64 s[48:49], s74, v1
	v_pk_mov_b32 v[92:93], 0, 0
	s_and_b64 s[2:3], s[66:67], s[48:49]
	v_pk_mov_b32 v[104:105], v[92:93], v[92:93] op_sel:[0,1]
	v_pk_mov_b32 v[114:115], v[92:93], v[92:93] op_sel:[0,1]
	s_and_saveexec_b64 s[0:1], s[2:3]
	s_cbranch_execz .LBB225_18
; %bb.17:
	global_load_dwordx2 v[104:105], v[14:15], off offset:2048
	global_load_dwordx2 v[114:115], v[10:11], off offset:2048
.LBB225_18:
	s_or_b64 exec, exec, s[0:1]
	v_or_b32_e32 v1, 0x120, v0
	v_cmp_gt_i32_e64 s[46:47], s74, v1
	s_and_b64 s[2:3], s[66:67], s[46:47]
	v_pk_mov_b32 v[110:111], v[92:93], v[92:93] op_sel:[0,1]
	s_and_saveexec_b64 s[0:1], s[2:3]
	s_cbranch_execz .LBB225_20
; %bb.19:
	global_load_dwordx2 v[92:93], v[14:15], off offset:2304
	global_load_dwordx2 v[110:111], v[10:11], off offset:2304
.LBB225_20:
	s_or_b64 exec, exec, s[0:1]
	v_or_b32_e32 v1, 0x140, v0
	v_cmp_gt_i32_e64 s[44:45], s74, v1
	v_pk_mov_b32 v[84:85], 0, 0
	s_and_b64 s[2:3], s[66:67], s[44:45]
	v_pk_mov_b32 v[96:97], v[84:85], v[84:85] op_sel:[0,1]
	v_pk_mov_b32 v[106:107], v[84:85], v[84:85] op_sel:[0,1]
	s_and_saveexec_b64 s[0:1], s[2:3]
	s_cbranch_execz .LBB225_22
; %bb.21:
	global_load_dwordx2 v[96:97], v[14:15], off offset:2560
	global_load_dwordx2 v[106:107], v[10:11], off offset:2560
.LBB225_22:
	s_or_b64 exec, exec, s[0:1]
	v_or_b32_e32 v1, 0x160, v0
	v_cmp_gt_i32_e64 s[42:43], s74, v1
	s_and_b64 s[2:3], s[66:67], s[42:43]
	v_pk_mov_b32 v[102:103], v[84:85], v[84:85] op_sel:[0,1]
	s_and_saveexec_b64 s[0:1], s[2:3]
	s_cbranch_execz .LBB225_24
; %bb.23:
	global_load_dwordx2 v[84:85], v[14:15], off offset:2816
	global_load_dwordx2 v[102:103], v[10:11], off offset:2816
.LBB225_24:
	s_or_b64 exec, exec, s[0:1]
	v_or_b32_e32 v1, 0x180, v0
	v_cmp_gt_i32_e64 s[40:41], s74, v1
	v_pk_mov_b32 v[76:77], 0, 0
	s_and_b64 s[2:3], s[66:67], s[40:41]
	v_pk_mov_b32 v[88:89], v[76:77], v[76:77] op_sel:[0,1]
	v_pk_mov_b32 v[98:99], v[76:77], v[76:77] op_sel:[0,1]
	s_and_saveexec_b64 s[0:1], s[2:3]
	s_cbranch_execz .LBB225_26
; %bb.25:
	global_load_dwordx2 v[88:89], v[14:15], off offset:3072
	global_load_dwordx2 v[98:99], v[10:11], off offset:3072
.LBB225_26:
	s_or_b64 exec, exec, s[0:1]
	v_or_b32_e32 v1, 0x1a0, v0
	v_cmp_gt_i32_e64 s[38:39], s74, v1
	s_and_b64 s[2:3], s[66:67], s[38:39]
	v_pk_mov_b32 v[94:95], v[76:77], v[76:77] op_sel:[0,1]
	s_and_saveexec_b64 s[0:1], s[2:3]
	s_cbranch_execz .LBB225_28
; %bb.27:
	global_load_dwordx2 v[76:77], v[14:15], off offset:3328
	global_load_dwordx2 v[94:95], v[10:11], off offset:3328
.LBB225_28:
	s_or_b64 exec, exec, s[0:1]
	v_or_b32_e32 v1, 0x1c0, v0
	v_cmp_gt_i32_e64 s[36:37], s74, v1
	v_pk_mov_b32 v[68:69], 0, 0
	s_and_b64 s[2:3], s[66:67], s[36:37]
	v_pk_mov_b32 v[90:91], v[68:69], v[68:69] op_sel:[0,1]
	v_pk_mov_b32 v[80:81], v[68:69], v[68:69] op_sel:[0,1]
	s_and_saveexec_b64 s[0:1], s[2:3]
	s_cbranch_execz .LBB225_30
; %bb.29:
	global_load_dwordx2 v[90:91], v[14:15], off offset:3584
	global_load_dwordx2 v[80:81], v[10:11], off offset:3584
.LBB225_30:
	s_or_b64 exec, exec, s[0:1]
	v_or_b32_e32 v1, 0x1e0, v0
	v_cmp_gt_i32_e64 s[34:35], s74, v1
	s_and_b64 s[2:3], s[66:67], s[34:35]
	v_pk_mov_b32 v[86:87], v[68:69], v[68:69] op_sel:[0,1]
	s_and_saveexec_b64 s[0:1], s[2:3]
	s_cbranch_execz .LBB225_32
; %bb.31:
	global_load_dwordx2 v[68:69], v[14:15], off offset:3840
	global_load_dwordx2 v[86:87], v[10:11], off offset:3840
.LBB225_32:
	s_or_b64 exec, exec, s[0:1]
	v_or_b32_e32 v1, 0x200, v0
	v_cmp_gt_i32_e64 s[30:31], s74, v1
	v_pk_mov_b32 v[60:61], 0, 0
	s_and_b64 s[2:3], s[66:67], s[30:31]
	v_pk_mov_b32 v[82:83], v[60:61], v[60:61] op_sel:[0,1]
	v_pk_mov_b32 v[72:73], v[60:61], v[60:61] op_sel:[0,1]
	s_and_saveexec_b64 s[0:1], s[2:3]
	s_cbranch_execz .LBB225_34
; %bb.33:
	v_add_co_u32_e32 v4, vcc, 0x1000, v14
	v_addc_co_u32_e32 v5, vcc, 0, v15, vcc
	global_load_dwordx2 v[82:83], v[4:5], off
	v_add_co_u32_e32 v4, vcc, 0x1000, v10
	v_addc_co_u32_e32 v5, vcc, 0, v11, vcc
	global_load_dwordx2 v[72:73], v[4:5], off
.LBB225_34:
	s_or_b64 exec, exec, s[0:1]
	v_or_b32_e32 v1, 0x220, v0
	v_cmp_gt_i32_e64 s[28:29], s74, v1
	s_and_b64 s[2:3], s[66:67], s[28:29]
	v_pk_mov_b32 v[78:79], v[60:61], v[60:61] op_sel:[0,1]
	s_and_saveexec_b64 s[0:1], s[2:3]
	s_cbranch_execz .LBB225_36
; %bb.35:
	v_add_co_u32_e32 v4, vcc, 0x1000, v14
	v_addc_co_u32_e32 v5, vcc, 0, v15, vcc
	global_load_dwordx2 v[60:61], v[4:5], off offset:256
	v_add_co_u32_e32 v4, vcc, 0x1000, v10
	v_addc_co_u32_e32 v5, vcc, 0, v11, vcc
	global_load_dwordx2 v[78:79], v[4:5], off offset:256
.LBB225_36:
	s_or_b64 exec, exec, s[0:1]
	v_or_b32_e32 v1, 0x240, v0
	v_cmp_gt_i32_e64 s[26:27], s74, v1
	v_pk_mov_b32 v[52:53], 0, 0
	s_and_b64 s[2:3], s[66:67], s[26:27]
	v_pk_mov_b32 v[74:75], v[52:53], v[52:53] op_sel:[0,1]
	v_pk_mov_b32 v[64:65], v[52:53], v[52:53] op_sel:[0,1]
	s_and_saveexec_b64 s[0:1], s[2:3]
	s_cbranch_execz .LBB225_38
; %bb.37:
	v_add_co_u32_e32 v4, vcc, 0x1000, v14
	v_addc_co_u32_e32 v5, vcc, 0, v15, vcc
	global_load_dwordx2 v[74:75], v[4:5], off offset:512
	v_add_co_u32_e32 v4, vcc, 0x1000, v10
	v_addc_co_u32_e32 v5, vcc, 0, v11, vcc
	global_load_dwordx2 v[64:65], v[4:5], off offset:512
.LBB225_38:
	s_or_b64 exec, exec, s[0:1]
	v_or_b32_e32 v1, 0x260, v0
	v_cmp_gt_i32_e64 s[24:25], s74, v1
	s_and_b64 s[2:3], s[66:67], s[24:25]
	v_pk_mov_b32 v[70:71], v[52:53], v[52:53] op_sel:[0,1]
	s_and_saveexec_b64 s[0:1], s[2:3]
	s_cbranch_execz .LBB225_40
; %bb.39:
	v_add_co_u32_e32 v4, vcc, 0x1000, v14
	v_addc_co_u32_e32 v5, vcc, 0, v15, vcc
	global_load_dwordx2 v[52:53], v[4:5], off offset:768
	v_add_co_u32_e32 v4, vcc, 0x1000, v10
	v_addc_co_u32_e32 v5, vcc, 0, v11, vcc
	global_load_dwordx2 v[70:71], v[4:5], off offset:768
.LBB225_40:
	s_or_b64 exec, exec, s[0:1]
	v_or_b32_e32 v1, 0x280, v0
	v_cmp_gt_i32_e64 s[22:23], s74, v1
	v_pk_mov_b32 v[44:45], 0, 0
	s_and_b64 s[2:3], s[66:67], s[22:23]
	v_pk_mov_b32 v[66:67], v[44:45], v[44:45] op_sel:[0,1]
	v_pk_mov_b32 v[56:57], v[44:45], v[44:45] op_sel:[0,1]
	s_and_saveexec_b64 s[0:1], s[2:3]
	s_cbranch_execz .LBB225_42
; %bb.41:
	v_add_co_u32_e32 v4, vcc, 0x1000, v14
	v_addc_co_u32_e32 v5, vcc, 0, v15, vcc
	global_load_dwordx2 v[66:67], v[4:5], off offset:1024
	v_add_co_u32_e32 v4, vcc, 0x1000, v10
	v_addc_co_u32_e32 v5, vcc, 0, v11, vcc
	global_load_dwordx2 v[56:57], v[4:5], off offset:1024
.LBB225_42:
	s_or_b64 exec, exec, s[0:1]
	v_or_b32_e32 v1, 0x2a0, v0
	v_cmp_gt_i32_e64 s[20:21], s74, v1
	s_and_b64 s[2:3], s[66:67], s[20:21]
	v_pk_mov_b32 v[62:63], v[44:45], v[44:45] op_sel:[0,1]
	s_and_saveexec_b64 s[0:1], s[2:3]
	s_cbranch_execz .LBB225_44
; %bb.43:
	v_add_co_u32_e32 v4, vcc, 0x1000, v14
	v_addc_co_u32_e32 v5, vcc, 0, v15, vcc
	global_load_dwordx2 v[44:45], v[4:5], off offset:1280
	v_add_co_u32_e32 v4, vcc, 0x1000, v10
	v_addc_co_u32_e32 v5, vcc, 0, v11, vcc
	global_load_dwordx2 v[62:63], v[4:5], off offset:1280
.LBB225_44:
	s_or_b64 exec, exec, s[0:1]
	v_or_b32_e32 v1, 0x2c0, v0
	v_cmp_gt_i32_e64 s[18:19], s74, v1
	v_pk_mov_b32 v[36:37], 0, 0
	s_and_b64 s[2:3], s[66:67], s[18:19]
	v_pk_mov_b32 v[58:59], v[36:37], v[36:37] op_sel:[0,1]
	v_pk_mov_b32 v[48:49], v[36:37], v[36:37] op_sel:[0,1]
	s_and_saveexec_b64 s[0:1], s[2:3]
	s_cbranch_execz .LBB225_46
; %bb.45:
	v_add_co_u32_e32 v4, vcc, 0x1000, v14
	v_addc_co_u32_e32 v5, vcc, 0, v15, vcc
	global_load_dwordx2 v[58:59], v[4:5], off offset:1536
	v_add_co_u32_e32 v4, vcc, 0x1000, v10
	v_addc_co_u32_e32 v5, vcc, 0, v11, vcc
	global_load_dwordx2 v[48:49], v[4:5], off offset:1536
.LBB225_46:
	s_or_b64 exec, exec, s[0:1]
	v_or_b32_e32 v1, 0x2e0, v0
	v_cmp_gt_i32_e64 s[16:17], s74, v1
	s_and_b64 s[2:3], s[66:67], s[16:17]
	v_pk_mov_b32 v[40:41], v[36:37], v[36:37] op_sel:[0,1]
	s_and_saveexec_b64 s[0:1], s[2:3]
	s_cbranch_execz .LBB225_48
; %bb.47:
	v_add_co_u32_e32 v4, vcc, 0x1000, v14
	v_addc_co_u32_e32 v5, vcc, 0, v15, vcc
	global_load_dwordx2 v[36:37], v[4:5], off offset:1792
	v_add_co_u32_e32 v4, vcc, 0x1000, v10
	v_addc_co_u32_e32 v5, vcc, 0, v11, vcc
	global_load_dwordx2 v[40:41], v[4:5], off offset:1792
.LBB225_48:
	s_or_b64 exec, exec, s[0:1]
	v_or_b32_e32 v1, 0x300, v0
	v_cmp_gt_i32_e64 s[14:15], s74, v1
	v_pk_mov_b32 v[28:29], 0, 0
	s_and_b64 s[2:3], s[66:67], s[14:15]
	v_pk_mov_b32 v[50:51], v[28:29], v[28:29] op_sel:[0,1]
	v_pk_mov_b32 v[54:55], v[28:29], v[28:29] op_sel:[0,1]
	s_and_saveexec_b64 s[0:1], s[2:3]
	s_cbranch_execz .LBB225_50
; %bb.49:
	v_add_co_u32_e32 v4, vcc, 0x1000, v14
	v_addc_co_u32_e32 v5, vcc, 0, v15, vcc
	global_load_dwordx2 v[50:51], v[4:5], off offset:2048
	v_add_co_u32_e32 v4, vcc, 0x1000, v10
	v_addc_co_u32_e32 v5, vcc, 0, v11, vcc
	global_load_dwordx2 v[54:55], v[4:5], off offset:2048
.LBB225_50:
	s_or_b64 exec, exec, s[0:1]
	v_or_b32_e32 v1, 0x320, v0
	v_cmp_gt_i32_e64 s[12:13], s74, v1
	s_and_b64 s[2:3], s[66:67], s[12:13]
	v_pk_mov_b32 v[32:33], v[28:29], v[28:29] op_sel:[0,1]
	s_and_saveexec_b64 s[0:1], s[2:3]
	s_cbranch_execz .LBB225_52
; %bb.51:
	v_add_co_u32_e32 v4, vcc, 0x1000, v14
	v_addc_co_u32_e32 v5, vcc, 0, v15, vcc
	global_load_dwordx2 v[28:29], v[4:5], off offset:2304
	v_add_co_u32_e32 v4, vcc, 0x1000, v10
	v_addc_co_u32_e32 v5, vcc, 0, v11, vcc
	global_load_dwordx2 v[32:33], v[4:5], off offset:2304
.LBB225_52:
	s_or_b64 exec, exec, s[0:1]
	v_or_b32_e32 v1, 0x340, v0
	v_cmp_gt_i32_e64 s[10:11], s74, v1
	v_pk_mov_b32 v[20:21], 0, 0
	s_and_b64 s[2:3], s[66:67], s[10:11]
	v_pk_mov_b32 v[42:43], v[20:21], v[20:21] op_sel:[0,1]
	v_pk_mov_b32 v[46:47], v[20:21], v[20:21] op_sel:[0,1]
	s_and_saveexec_b64 s[0:1], s[2:3]
	s_cbranch_execz .LBB225_54
; %bb.53:
	v_add_co_u32_e32 v4, vcc, 0x1000, v14
	v_addc_co_u32_e32 v5, vcc, 0, v15, vcc
	global_load_dwordx2 v[42:43], v[4:5], off offset:2560
	v_add_co_u32_e32 v4, vcc, 0x1000, v10
	v_addc_co_u32_e32 v5, vcc, 0, v11, vcc
	global_load_dwordx2 v[46:47], v[4:5], off offset:2560
.LBB225_54:
	s_or_b64 exec, exec, s[0:1]
	v_or_b32_e32 v1, 0x360, v0
	v_cmp_gt_i32_e64 s[8:9], s74, v1
	s_and_b64 s[2:3], s[66:67], s[8:9]
	v_pk_mov_b32 v[24:25], v[20:21], v[20:21] op_sel:[0,1]
	s_and_saveexec_b64 s[0:1], s[2:3]
	s_cbranch_execz .LBB225_56
; %bb.55:
	v_add_co_u32_e32 v4, vcc, 0x1000, v14
	v_addc_co_u32_e32 v5, vcc, 0, v15, vcc
	global_load_dwordx2 v[20:21], v[4:5], off offset:2816
	v_add_co_u32_e32 v4, vcc, 0x1000, v10
	v_addc_co_u32_e32 v5, vcc, 0, v11, vcc
	global_load_dwordx2 v[24:25], v[4:5], off offset:2816
.LBB225_56:
	s_or_b64 exec, exec, s[0:1]
	v_or_b32_e32 v1, 0x380, v0
	v_cmp_gt_i32_e64 s[6:7], s74, v1
	v_pk_mov_b32 v[12:13], 0, 0
	s_and_b64 s[2:3], s[66:67], s[6:7]
	v_pk_mov_b32 v[34:35], v[12:13], v[12:13] op_sel:[0,1]
	v_pk_mov_b32 v[38:39], v[12:13], v[12:13] op_sel:[0,1]
	s_and_saveexec_b64 s[0:1], s[2:3]
	s_cbranch_execz .LBB225_58
; %bb.57:
	v_add_co_u32_e32 v4, vcc, 0x1000, v14
	v_addc_co_u32_e32 v5, vcc, 0, v15, vcc
	global_load_dwordx2 v[34:35], v[4:5], off offset:3072
	v_add_co_u32_e32 v4, vcc, 0x1000, v10
	v_addc_co_u32_e32 v5, vcc, 0, v11, vcc
	global_load_dwordx2 v[38:39], v[4:5], off offset:3072
.LBB225_58:
	s_or_b64 exec, exec, s[0:1]
	v_or_b32_e32 v1, 0x3a0, v0
	v_cmp_gt_i32_e64 s[4:5], s74, v1
	s_and_b64 s[2:3], s[66:67], s[4:5]
	v_pk_mov_b32 v[16:17], v[12:13], v[12:13] op_sel:[0,1]
	s_and_saveexec_b64 s[0:1], s[2:3]
	s_cbranch_execz .LBB225_60
; %bb.59:
	v_add_co_u32_e32 v4, vcc, 0x1000, v14
	v_addc_co_u32_e32 v5, vcc, 0, v15, vcc
	global_load_dwordx2 v[12:13], v[4:5], off offset:3328
	v_add_co_u32_e32 v4, vcc, 0x1000, v10
	v_addc_co_u32_e32 v5, vcc, 0, v11, vcc
	global_load_dwordx2 v[16:17], v[4:5], off offset:3328
.LBB225_60:
	s_or_b64 exec, exec, s[0:1]
	v_or_b32_e32 v0, 0x3c0, v0
	v_cmp_gt_i32_e64 s[2:3], s74, v0
	v_pk_mov_b32 v[0:1], 0, 0
	s_and_b64 s[70:71], s[66:67], s[2:3]
	v_pk_mov_b32 v[30:31], v[0:1], v[0:1] op_sel:[0,1]
	buffer_store_dword v0, off, s[76:79], 0 offset:40 ; 4-byte Folded Spill
	s_nop 0
	buffer_store_dword v1, off, s[76:79], 0 offset:44 ; 4-byte Folded Spill
	s_and_saveexec_b64 s[0:1], s[70:71]
	s_cbranch_execz .LBB225_62
; %bb.61:
	v_add_co_u32_e32 v4, vcc, 0x1000, v14
	v_addc_co_u32_e32 v5, vcc, 0, v15, vcc
	v_add_co_u32_e32 v22, vcc, 0x1000, v10
	v_addc_co_u32_e32 v23, vcc, 0, v11, vcc
	global_load_dwordx2 v[30:31], v[4:5], off offset:3584
	s_nop 0
	global_load_dwordx2 v[22:23], v[22:23], off offset:3584
	s_waitcnt vmcnt(0)
	buffer_store_dword v22, off, s[76:79], 0 offset:40 ; 4-byte Folded Spill
	s_nop 0
	buffer_store_dword v23, off, s[76:79], 0 offset:44 ; 4-byte Folded Spill
.LBB225_62:
	s_or_b64 exec, exec, s[0:1]
	v_or_b32_e32 v4, 0x3e0, v19
	v_cmp_gt_i32_e64 s[0:1], s74, v4
	s_and_b64 s[70:71], s[66:67], s[0:1]
	buffer_store_dword v0, off, s[76:79], 0 offset:32 ; 4-byte Folded Spill
	s_nop 0
	buffer_store_dword v1, off, s[76:79], 0 offset:36 ; 4-byte Folded Spill
	s_and_saveexec_b64 s[66:67], s[70:71]
	s_cbranch_execz .LBB225_64
; %bb.63:
	v_add_co_u32_e32 v0, vcc, 0x1000, v14
	v_addc_co_u32_e32 v1, vcc, 0, v15, vcc
	v_add_co_u32_e32 v10, vcc, 0x1000, v10
	v_addc_co_u32_e32 v11, vcc, 0, v11, vcc
	global_load_dwordx2 v[0:1], v[0:1], off offset:3840
	s_nop 0
	global_load_dwordx2 v[4:5], v[10:11], off offset:3840
	s_waitcnt vmcnt(0)
	buffer_store_dword v4, off, s[76:79], 0 offset:32 ; 4-byte Folded Spill
	s_nop 0
	buffer_store_dword v5, off, s[76:79], 0 offset:36 ; 4-byte Folded Spill
.LBB225_64:
	s_or_b64 exec, exec, s[66:67]
	s_waitcnt vmcnt(13)
	v_add_f64 v[10:11], v[2:3], 0
	v_add_f64 v[10:11], v[10:11], v[124:125]
	;; [unrolled: 1-line block ×5, first 2 shown]
	s_waitcnt vmcnt(5)
	v_add_f64 v[10:11], v[10:11], v[108:109]
	v_add_f64 v[10:11], v[10:11], v[112:113]
	;; [unrolled: 1-line block ×21, first 2 shown]
	v_mbcnt_lo_u32_b32 v4, -1, 0
	v_add_f64 v[10:11], v[10:11], v[42:43]
	v_mbcnt_hi_u32_b32 v4, -1, v4
	v_add_f64 v[10:11], v[10:11], v[20:21]
	v_and_b32_e32 v5, 0x60, v4
	v_add_f64 v[10:11], v[10:11], v[34:35]
	v_add_u32_e32 v5, 32, v5
	v_xor_b32_e32 v14, 16, v4
	v_add_f64 v[10:11], v[10:11], v[12:13]
	v_cmp_lt_i32_e32 vcc, v14, v5
	v_add_f64 v[10:11], v[10:11], v[30:31]
	v_cndmask_b32_e32 v14, v4, v14, vcc
	v_add_f64 v[10:11], v[10:11], v[0:1]
	v_lshlrev_b32_e32 v15, 2, v14
	ds_bpermute_b32 v14, v15, v10
	ds_bpermute_b32 v15, v15, v11
	s_waitcnt lgkmcnt(0)
	v_add_f64 v[10:11], v[10:11], v[14:15]
	v_xor_b32_e32 v14, 8, v4
	v_cmp_lt_i32_e32 vcc, v14, v5
	v_cndmask_b32_e32 v14, v4, v14, vcc
	v_lshlrev_b32_e32 v15, 2, v14
	ds_bpermute_b32 v14, v15, v10
	ds_bpermute_b32 v15, v15, v11
	s_waitcnt lgkmcnt(0)
	v_add_f64 v[10:11], v[10:11], v[14:15]
	v_xor_b32_e32 v14, 4, v4
	v_cmp_lt_i32_e32 vcc, v14, v5
	v_cndmask_b32_e32 v14, v4, v14, vcc
	;; [unrolled: 8-line block ×4, first 2 shown]
	v_lshlrev_b32_e32 v4, 2, v4
	ds_bpermute_b32 v14, v4, v10
	ds_bpermute_b32 v15, v4, v11
	v_cmp_lt_i32_e32 vcc, 0, v18
	s_and_saveexec_b64 s[66:67], vcc
	s_cbranch_execz .LBB225_98
; %bb.65:
	v_mov_b32_e32 v4, s69
	v_add_co_u32_e32 v8, vcc, s68, v8
	v_addc_co_u32_e32 v9, vcc, v4, v9, vcc
	s_waitcnt lgkmcnt(0)
	v_add_f64 v[10:11], v[10:11], v[14:15]
	s_and_saveexec_b64 s[66:67], s[64:65]
	s_cbranch_execnz .LBB225_99
; %bb.66:
	s_or_b64 exec, exec, s[66:67]
	s_and_saveexec_b64 s[64:65], s[62:63]
	s_cbranch_execnz .LBB225_100
.LBB225_67:
	s_or_b64 exec, exec, s[64:65]
	s_and_saveexec_b64 s[62:63], s[60:61]
	s_cbranch_execnz .LBB225_101
.LBB225_68:
	s_or_b64 exec, exec, s[62:63]
	s_and_saveexec_b64 s[60:61], s[58:59]
	s_cbranch_execnz .LBB225_102
.LBB225_69:
	s_or_b64 exec, exec, s[60:61]
	s_and_saveexec_b64 s[58:59], s[56:57]
	s_cbranch_execnz .LBB225_103
.LBB225_70:
	s_or_b64 exec, exec, s[58:59]
	s_and_saveexec_b64 s[56:57], s[54:55]
	s_cbranch_execnz .LBB225_104
.LBB225_71:
	s_or_b64 exec, exec, s[56:57]
	s_and_saveexec_b64 s[54:55], s[52:53]
	s_cbranch_execnz .LBB225_105
.LBB225_72:
	s_or_b64 exec, exec, s[54:55]
	s_and_saveexec_b64 s[52:53], s[50:51]
	s_cbranch_execnz .LBB225_106
.LBB225_73:
	s_or_b64 exec, exec, s[52:53]
	s_and_saveexec_b64 s[50:51], s[48:49]
	s_cbranch_execnz .LBB225_107
.LBB225_74:
	s_or_b64 exec, exec, s[50:51]
	s_and_saveexec_b64 s[48:49], s[46:47]
	s_cbranch_execnz .LBB225_108
.LBB225_75:
	s_or_b64 exec, exec, s[48:49]
	s_and_saveexec_b64 s[46:47], s[44:45]
	s_cbranch_execnz .LBB225_109
.LBB225_76:
	s_or_b64 exec, exec, s[46:47]
	s_and_saveexec_b64 s[44:45], s[42:43]
	s_cbranch_execnz .LBB225_110
.LBB225_77:
	s_or_b64 exec, exec, s[44:45]
	s_and_saveexec_b64 s[42:43], s[40:41]
	s_cbranch_execnz .LBB225_111
.LBB225_78:
	s_or_b64 exec, exec, s[42:43]
	s_and_saveexec_b64 s[40:41], s[38:39]
	s_cbranch_execnz .LBB225_112
.LBB225_79:
	s_or_b64 exec, exec, s[40:41]
	s_and_saveexec_b64 s[38:39], s[36:37]
	s_cbranch_execnz .LBB225_113
.LBB225_80:
	s_or_b64 exec, exec, s[38:39]
	s_and_saveexec_b64 s[36:37], s[34:35]
	s_cbranch_execnz .LBB225_114
.LBB225_81:
	s_or_b64 exec, exec, s[36:37]
	s_and_saveexec_b64 s[34:35], s[30:31]
	s_cbranch_execnz .LBB225_115
.LBB225_82:
	s_or_b64 exec, exec, s[34:35]
	s_and_saveexec_b64 s[30:31], s[28:29]
	s_cbranch_execnz .LBB225_116
.LBB225_83:
	s_or_b64 exec, exec, s[30:31]
	s_and_saveexec_b64 s[28:29], s[26:27]
	s_cbranch_execnz .LBB225_117
.LBB225_84:
	s_or_b64 exec, exec, s[28:29]
	s_and_saveexec_b64 s[26:27], s[24:25]
	s_cbranch_execnz .LBB225_118
.LBB225_85:
	s_or_b64 exec, exec, s[26:27]
	s_and_saveexec_b64 s[24:25], s[22:23]
	s_cbranch_execnz .LBB225_119
.LBB225_86:
	s_or_b64 exec, exec, s[24:25]
	s_and_saveexec_b64 s[22:23], s[20:21]
	s_cbranch_execnz .LBB225_120
.LBB225_87:
	s_or_b64 exec, exec, s[22:23]
	s_and_saveexec_b64 s[20:21], s[18:19]
	s_cbranch_execnz .LBB225_121
.LBB225_88:
	s_or_b64 exec, exec, s[20:21]
	s_and_saveexec_b64 s[18:19], s[16:17]
	s_cbranch_execnz .LBB225_122
.LBB225_89:
	s_or_b64 exec, exec, s[18:19]
	s_and_saveexec_b64 s[16:17], s[14:15]
	s_cbranch_execnz .LBB225_123
.LBB225_90:
	s_or_b64 exec, exec, s[16:17]
	s_and_saveexec_b64 s[14:15], s[12:13]
	s_cbranch_execnz .LBB225_124
.LBB225_91:
	s_or_b64 exec, exec, s[14:15]
	s_and_saveexec_b64 s[12:13], s[10:11]
	s_cbranch_execnz .LBB225_125
.LBB225_92:
	s_or_b64 exec, exec, s[12:13]
	s_and_saveexec_b64 s[10:11], s[8:9]
	s_cbranch_execnz .LBB225_126
.LBB225_93:
	s_or_b64 exec, exec, s[10:11]
	s_and_saveexec_b64 s[8:9], s[6:7]
	s_cbranch_execnz .LBB225_127
.LBB225_94:
	s_or_b64 exec, exec, s[8:9]
	s_and_saveexec_b64 s[6:7], s[4:5]
	s_cbranch_execnz .LBB225_128
.LBB225_95:
	s_or_b64 exec, exec, s[6:7]
	s_and_saveexec_b64 s[4:5], s[2:3]
	s_cbranch_execnz .LBB225_129
.LBB225_96:
	s_or_b64 exec, exec, s[4:5]
	s_and_b64 exec, exec, s[0:1]
	s_cbranch_execz .LBB225_98
.LBB225_97:
	buffer_load_dword v14, off, s[76:79], 0 offset:32 ; 4-byte Folded Reload
	buffer_load_dword v15, off, s[76:79], 0 offset:36 ; 4-byte Folded Reload
	s_mov_b32 s0, 0x652b82fe
	s_mov_b32 s1, 0x3ff71547
	v_mov_b32_e32 v6, 0xfca7ab0c
	v_mov_b32_e32 v7, 0x3e928af3
	;; [unrolled: 1-line block ×4, first 2 shown]
	s_waitcnt vmcnt(0)
	v_mul_f64 v[2:3], v[14:15], s[0:1]
	s_mov_b32 s0, 0xfefa39ef
	v_rndne_f64_e32 v[2:3], v[2:3]
	s_mov_b32 s1, 0xbfe62e42
	v_fma_f64 v[4:5], s[0:1], v[2:3], v[14:15]
	s_mov_b32 s0, 0x3b39803f
	s_mov_b32 s1, 0xbc7abc9e
	v_fmac_f64_e32 v[4:5], s[0:1], v[2:3]
	s_mov_b32 s0, 0x6a5dcb37
	s_mov_b32 s1, 0x3e5ade15
	v_fmac_f64_e32 v[6:7], s[0:1], v[4:5]
	v_fmac_f64_e32 v[12:13], v[4:5], v[6:7]
	v_mov_b32_e32 v6, 0x7c89e6b0
	v_mov_b32_e32 v7, 0x3efa0199
	v_fmac_f64_e32 v[6:7], v[4:5], v[12:13]
	v_mov_b32_e32 v12, 0x14761f6e
	v_mov_b32_e32 v13, 0x3f2a01a0
	;; [unrolled: 3-line block ×7, first 2 shown]
	s_mov_b32 s0, 0
	v_fmac_f64_e32 v[6:7], v[4:5], v[12:13]
	s_mov_b32 s1, 0x40900000
	v_fma_f64 v[6:7], v[4:5], v[6:7], 1.0
	v_cmp_nlt_f64_e32 vcc, s[0:1], v[14:15]
	s_mov_b32 s0, 0
	v_fma_f64 v[4:5], v[4:5], v[6:7], 1.0
	v_cvt_i32_f64_e32 v2, v[2:3]
	s_mov_b32 s1, 0xc090cc00
	v_ldexp_f64 v[2:3], v[4:5], v2
	v_mov_b32_e32 v4, 0x7ff00000
	v_cmp_ngt_f64_e64 s[0:1], s[0:1], v[14:15]
	v_cndmask_b32_e32 v3, v4, v3, vcc
	s_and_b64 vcc, s[0:1], vcc
	v_cndmask_b32_e64 v3, 0, v3, s[0:1]
	v_cndmask_b32_e32 v2, 0, v2, vcc
	v_fma_f64 v[0:1], -v[10:11], v[2:3], v[0:1]
	v_add_co_u32_e32 v2, vcc, 0x1000, v8
	v_addc_co_u32_e32 v3, vcc, 0, v9, vcc
	global_store_dwordx2 v[2:3], v[0:1], off offset:3840
.LBB225_98:
	s_endpgm
.LBB225_99:
	buffer_store_dword v10, off, s[76:79], 0 offset:48 ; 4-byte Folded Spill
	s_nop 0
	buffer_store_dword v11, off, s[76:79], 0 offset:52 ; 4-byte Folded Spill
	s_waitcnt vmcnt(6)
	v_pk_mov_b32 v[10:11], v[78:79], v[78:79] op_sel:[0,1]
	v_pk_mov_b32 v[78:79], v[64:65], v[64:65] op_sel:[0,1]
	;; [unrolled: 1-line block ×34, first 2 shown]
	buffer_load_dword v10, off, s[76:79], 0 offset:48 ; 4-byte Folded Reload
	buffer_load_dword v11, off, s[76:79], 0 offset:52 ; 4-byte Folded Reload
	s_mov_b32 s64, 0x652b82fe
	s_mov_b32 s65, 0x3ff71547
	v_mul_f64 v[14:15], v[26:27], s[64:65]
	s_mov_b32 s64, 0xfefa39ef
	v_rndne_f64_e32 v[14:15], v[14:15]
	s_mov_b32 s65, 0xbfe62e42
	v_fma_f64 v[18:19], s[64:65], v[14:15], v[26:27]
	s_mov_b32 s64, 0x3b39803f
	s_mov_b32 s65, 0xbc7abc9e
	v_fmac_f64_e32 v[18:19], s[64:65], v[14:15]
	s_mov_b32 s64, 0x6a5dcb37
	v_mov_b32_e32 v22, 0xfca7ab0c
	v_mov_b32_e32 v23, 0x3e928af3
	s_mov_b32 s65, 0x3e5ade15
	v_fmac_f64_e32 v[22:23], s[64:65], v[18:19]
	v_mov_b32_e32 v4, 0x623fde64
	v_mov_b32_e32 v5, 0x3ec71dee
	v_fmac_f64_e32 v[4:5], v[18:19], v[22:23]
	v_mov_b32_e32 v22, 0x7c89e6b0
	v_mov_b32_e32 v23, 0x3efa0199
	;; [unrolled: 3-line block ×8, first 2 shown]
	s_mov_b32 s64, 0
	v_fmac_f64_e32 v[22:23], v[18:19], v[4:5]
	s_mov_b32 s65, 0x40900000
	v_fma_f64 v[4:5], v[18:19], v[22:23], 1.0
	v_cmp_nlt_f64_e32 vcc, s[64:65], v[26:27]
	s_mov_b32 s64, 0
	v_fma_f64 v[4:5], v[18:19], v[4:5], 1.0
	v_cvt_i32_f64_e32 v14, v[14:15]
	s_mov_b32 s65, 0xc090cc00
	v_ldexp_f64 v[4:5], v[4:5], v14
	v_mov_b32_e32 v14, 0x7ff00000
	v_cmp_ngt_f64_e64 s[64:65], s[64:65], v[26:27]
	v_cndmask_b32_e32 v5, v14, v5, vcc
	s_and_b64 vcc, s[64:65], vcc
	v_cndmask_b32_e64 v5, 0, v5, s[64:65]
	v_cndmask_b32_e32 v4, 0, v4, vcc
	s_waitcnt vmcnt(0)
	v_fma_f64 v[2:3], -v[10:11], v[4:5], v[2:3]
	global_store_dwordx2 v[8:9], v[2:3], off
	s_or_b64 exec, exec, s[66:67]
	s_and_saveexec_b64 s[64:65], s[62:63]
	s_cbranch_execz .LBB225_67
.LBB225_100:
	buffer_load_dword v22, off, s[76:79], 0 offset:24 ; 4-byte Folded Reload
	buffer_load_dword v23, off, s[76:79], 0 offset:28 ; 4-byte Folded Reload
	s_mov_b32 s62, 0x652b82fe
	s_mov_b32 s63, 0x3ff71547
	v_pk_mov_b32 v[18:19], v[6:7], v[6:7] op_sel:[0,1]
	v_mov_b32_e32 v6, 0xfca7ab0c
	v_mov_b32_e32 v7, 0x3e928af3
	;; [unrolled: 1-line block ×4, first 2 shown]
	s_waitcnt vmcnt(0)
	v_mul_f64 v[2:3], v[22:23], s[62:63]
	s_mov_b32 s62, 0xfefa39ef
	v_rndne_f64_e32 v[2:3], v[2:3]
	s_mov_b32 s63, 0xbfe62e42
	v_fma_f64 v[4:5], s[62:63], v[2:3], v[22:23]
	s_mov_b32 s62, 0x3b39803f
	s_mov_b32 s63, 0xbc7abc9e
	v_fmac_f64_e32 v[4:5], s[62:63], v[2:3]
	s_mov_b32 s62, 0x6a5dcb37
	s_mov_b32 s63, 0x3e5ade15
	v_fmac_f64_e32 v[6:7], s[62:63], v[4:5]
	v_fmac_f64_e32 v[14:15], v[4:5], v[6:7]
	v_mov_b32_e32 v6, 0x7c89e6b0
	v_mov_b32_e32 v7, 0x3efa0199
	v_fmac_f64_e32 v[6:7], v[4:5], v[14:15]
	v_mov_b32_e32 v14, 0x14761f6e
	v_mov_b32_e32 v15, 0x3f2a01a0
	;; [unrolled: 3-line block ×7, first 2 shown]
	s_mov_b32 s62, 0
	v_fmac_f64_e32 v[6:7], v[4:5], v[14:15]
	s_mov_b32 s63, 0x40900000
	v_fma_f64 v[6:7], v[4:5], v[6:7], 1.0
	v_cmp_nlt_f64_e32 vcc, s[62:63], v[22:23]
	s_mov_b32 s62, 0
	v_fma_f64 v[4:5], v[4:5], v[6:7], 1.0
	v_cvt_i32_f64_e32 v2, v[2:3]
	s_mov_b32 s63, 0xc090cc00
	v_ldexp_f64 v[2:3], v[4:5], v2
	v_mov_b32_e32 v4, 0x7ff00000
	v_cmp_ngt_f64_e64 s[62:63], s[62:63], v[22:23]
	v_cndmask_b32_e32 v3, v4, v3, vcc
	s_and_b64 vcc, s[62:63], vcc
	v_cndmask_b32_e64 v3, 0, v3, s[62:63]
	v_cndmask_b32_e32 v2, 0, v2, vcc
	v_pk_mov_b32 v[6:7], v[18:19], v[18:19] op_sel:[0,1]
	v_fma_f64 v[2:3], -v[10:11], v[2:3], v[124:125]
	global_store_dwordx2 v[8:9], v[2:3], off offset:256
	s_or_b64 exec, exec, s[64:65]
	s_and_saveexec_b64 s[62:63], s[60:61]
	s_cbranch_execz .LBB225_68
.LBB225_101:
	buffer_load_dword v124, off, s[76:79], 0 offset:16 ; 4-byte Folded Reload
	buffer_load_dword v125, off, s[76:79], 0 offset:20 ; 4-byte Folded Reload
	s_mov_b32 s60, 0x652b82fe
	s_mov_b32 s61, 0x3ff71547
	v_pk_mov_b32 v[18:19], v[6:7], v[6:7] op_sel:[0,1]
	v_mov_b32_e32 v6, 0xfca7ab0c
	v_mov_b32_e32 v7, 0x3e928af3
	;; [unrolled: 1-line block ×4, first 2 shown]
	s_waitcnt vmcnt(0)
	v_mul_f64 v[2:3], v[124:125], s[60:61]
	s_mov_b32 s60, 0xfefa39ef
	v_rndne_f64_e32 v[2:3], v[2:3]
	s_mov_b32 s61, 0xbfe62e42
	v_fma_f64 v[4:5], s[60:61], v[2:3], v[124:125]
	s_mov_b32 s60, 0x3b39803f
	s_mov_b32 s61, 0xbc7abc9e
	v_fmac_f64_e32 v[4:5], s[60:61], v[2:3]
	s_mov_b32 s60, 0x6a5dcb37
	s_mov_b32 s61, 0x3e5ade15
	v_fmac_f64_e32 v[6:7], s[60:61], v[4:5]
	v_fmac_f64_e32 v[14:15], v[4:5], v[6:7]
	v_mov_b32_e32 v6, 0x7c89e6b0
	v_mov_b32_e32 v7, 0x3efa0199
	v_fmac_f64_e32 v[6:7], v[4:5], v[14:15]
	v_mov_b32_e32 v14, 0x14761f6e
	v_mov_b32_e32 v15, 0x3f2a01a0
	;; [unrolled: 3-line block ×7, first 2 shown]
	s_mov_b32 s60, 0
	v_fmac_f64_e32 v[6:7], v[4:5], v[14:15]
	s_mov_b32 s61, 0x40900000
	v_fma_f64 v[6:7], v[4:5], v[6:7], 1.0
	v_cmp_nlt_f64_e32 vcc, s[60:61], v[124:125]
	s_mov_b32 s60, 0
	v_fma_f64 v[4:5], v[4:5], v[6:7], 1.0
	v_cvt_i32_f64_e32 v2, v[2:3]
	s_mov_b32 s61, 0xc090cc00
	v_ldexp_f64 v[2:3], v[4:5], v2
	v_mov_b32_e32 v4, 0x7ff00000
	v_cmp_ngt_f64_e64 s[60:61], s[60:61], v[124:125]
	v_cndmask_b32_e32 v3, v4, v3, vcc
	s_and_b64 vcc, s[60:61], vcc
	v_cndmask_b32_e64 v3, 0, v3, s[60:61]
	v_cndmask_b32_e32 v2, 0, v2, vcc
	v_fma_f64 v[2:3], -v[10:11], v[2:3], v[18:19]
	global_store_dwordx2 v[8:9], v[2:3], off offset:512
	s_or_b64 exec, exec, s[62:63]
	s_and_saveexec_b64 s[60:61], s[58:59]
	s_cbranch_execz .LBB225_69
.LBB225_102:
	buffer_load_dword v18, off, s[76:79], 0 offset:8 ; 4-byte Folded Reload
	buffer_load_dword v19, off, s[76:79], 0 offset:12 ; 4-byte Folded Reload
	s_mov_b32 s58, 0x652b82fe
	s_mov_b32 s59, 0x3ff71547
	v_mov_b32_e32 v6, 0xfca7ab0c
	v_mov_b32_e32 v7, 0x3e928af3
	;; [unrolled: 1-line block ×4, first 2 shown]
	s_waitcnt vmcnt(0)
	v_mul_f64 v[2:3], v[18:19], s[58:59]
	s_mov_b32 s58, 0xfefa39ef
	v_rndne_f64_e32 v[2:3], v[2:3]
	s_mov_b32 s59, 0xbfe62e42
	v_fma_f64 v[4:5], s[58:59], v[2:3], v[18:19]
	s_mov_b32 s58, 0x3b39803f
	s_mov_b32 s59, 0xbc7abc9e
	v_fmac_f64_e32 v[4:5], s[58:59], v[2:3]
	s_mov_b32 s58, 0x6a5dcb37
	s_mov_b32 s59, 0x3e5ade15
	v_fmac_f64_e32 v[6:7], s[58:59], v[4:5]
	v_fmac_f64_e32 v[14:15], v[4:5], v[6:7]
	v_mov_b32_e32 v6, 0x7c89e6b0
	v_mov_b32_e32 v7, 0x3efa0199
	v_fmac_f64_e32 v[6:7], v[4:5], v[14:15]
	v_mov_b32_e32 v14, 0x14761f6e
	v_mov_b32_e32 v15, 0x3f2a01a0
	;; [unrolled: 3-line block ×7, first 2 shown]
	s_mov_b32 s58, 0
	v_fmac_f64_e32 v[6:7], v[4:5], v[14:15]
	s_mov_b32 s59, 0x40900000
	v_fma_f64 v[6:7], v[4:5], v[6:7], 1.0
	v_cmp_nlt_f64_e32 vcc, s[58:59], v[18:19]
	s_mov_b32 s58, 0
	v_fma_f64 v[4:5], v[4:5], v[6:7], 1.0
	v_cvt_i32_f64_e32 v2, v[2:3]
	s_mov_b32 s59, 0xc090cc00
	v_ldexp_f64 v[2:3], v[4:5], v2
	v_mov_b32_e32 v4, 0x7ff00000
	v_cmp_ngt_f64_e64 s[58:59], s[58:59], v[18:19]
	v_cndmask_b32_e32 v3, v4, v3, vcc
	s_and_b64 vcc, s[58:59], vcc
	v_cndmask_b32_e64 v3, 0, v3, s[58:59]
	v_cndmask_b32_e32 v2, 0, v2, vcc
	v_fma_f64 v[2:3], -v[10:11], v[2:3], v[116:117]
	global_store_dwordx2 v[8:9], v[2:3], off offset:768
	s_or_b64 exec, exec, s[60:61]
	s_and_saveexec_b64 s[58:59], s[56:57]
	s_cbranch_execz .LBB225_70
.LBB225_103:
	buffer_load_dword v18, off, s[76:79], 0 ; 4-byte Folded Reload
	buffer_load_dword v19, off, s[76:79], 0 offset:4 ; 4-byte Folded Reload
	s_mov_b32 s56, 0x652b82fe
	s_mov_b32 s57, 0x3ff71547
	v_mov_b32_e32 v6, 0xfca7ab0c
	v_mov_b32_e32 v7, 0x3e928af3
	;; [unrolled: 1-line block ×4, first 2 shown]
	s_waitcnt vmcnt(0)
	v_mul_f64 v[2:3], v[18:19], s[56:57]
	s_mov_b32 s56, 0xfefa39ef
	v_rndne_f64_e32 v[2:3], v[2:3]
	s_mov_b32 s57, 0xbfe62e42
	v_fma_f64 v[4:5], s[56:57], v[2:3], v[18:19]
	s_mov_b32 s56, 0x3b39803f
	s_mov_b32 s57, 0xbc7abc9e
	v_fmac_f64_e32 v[4:5], s[56:57], v[2:3]
	s_mov_b32 s56, 0x6a5dcb37
	s_mov_b32 s57, 0x3e5ade15
	v_fmac_f64_e32 v[6:7], s[56:57], v[4:5]
	v_fmac_f64_e32 v[14:15], v[4:5], v[6:7]
	v_mov_b32_e32 v6, 0x7c89e6b0
	v_mov_b32_e32 v7, 0x3efa0199
	v_fmac_f64_e32 v[6:7], v[4:5], v[14:15]
	v_mov_b32_e32 v14, 0x14761f6e
	v_mov_b32_e32 v15, 0x3f2a01a0
	;; [unrolled: 3-line block ×7, first 2 shown]
	s_mov_b32 s56, 0
	v_fmac_f64_e32 v[6:7], v[4:5], v[14:15]
	s_mov_b32 s57, 0x40900000
	v_fma_f64 v[6:7], v[4:5], v[6:7], 1.0
	v_cmp_nlt_f64_e32 vcc, s[56:57], v[18:19]
	s_mov_b32 s56, 0
	v_fma_f64 v[4:5], v[4:5], v[6:7], 1.0
	v_cvt_i32_f64_e32 v2, v[2:3]
	s_mov_b32 s57, 0xc090cc00
	v_ldexp_f64 v[2:3], v[4:5], v2
	v_mov_b32_e32 v4, 0x7ff00000
	v_cmp_ngt_f64_e64 s[56:57], s[56:57], v[18:19]
	v_cndmask_b32_e32 v3, v4, v3, vcc
	s_and_b64 vcc, s[56:57], vcc
	v_cndmask_b32_e64 v3, 0, v3, s[56:57]
	v_cndmask_b32_e32 v2, 0, v2, vcc
	v_fma_f64 v[2:3], -v[10:11], v[2:3], v[120:121]
	global_store_dwordx2 v[8:9], v[2:3], off offset:1024
	s_or_b64 exec, exec, s[58:59]
	s_and_saveexec_b64 s[56:57], s[54:55]
	s_cbranch_execz .LBB225_71
.LBB225_104:
	s_mov_b32 s54, 0x652b82fe
	s_mov_b32 s55, 0x3ff71547
	s_waitcnt vmcnt(4)
	v_mul_f64 v[2:3], v[126:127], s[54:55]
	s_mov_b32 s54, 0xfefa39ef
	v_rndne_f64_e32 v[2:3], v[2:3]
	s_mov_b32 s55, 0xbfe62e42
	v_fma_f64 v[4:5], s[54:55], v[2:3], v[126:127]
	s_mov_b32 s54, 0x3b39803f
	s_mov_b32 s55, 0xbc7abc9e
	v_fmac_f64_e32 v[4:5], s[54:55], v[2:3]
	s_mov_b32 s54, 0x6a5dcb37
	v_mov_b32_e32 v6, 0xfca7ab0c
	v_mov_b32_e32 v7, 0x3e928af3
	s_mov_b32 s55, 0x3e5ade15
	v_fmac_f64_e32 v[6:7], s[54:55], v[4:5]
	v_mov_b32_e32 v14, 0x623fde64
	v_mov_b32_e32 v15, 0x3ec71dee
	v_fmac_f64_e32 v[14:15], v[4:5], v[6:7]
	v_mov_b32_e32 v6, 0x7c89e6b0
	v_mov_b32_e32 v7, 0x3efa0199
	;; [unrolled: 3-line block ×8, first 2 shown]
	s_mov_b32 s54, 0
	v_fmac_f64_e32 v[6:7], v[4:5], v[14:15]
	s_mov_b32 s55, 0x40900000
	v_fma_f64 v[6:7], v[4:5], v[6:7], 1.0
	v_cmp_nlt_f64_e32 vcc, s[54:55], v[126:127]
	s_mov_b32 s54, 0
	v_fma_f64 v[4:5], v[4:5], v[6:7], 1.0
	v_cvt_i32_f64_e32 v2, v[2:3]
	s_mov_b32 s55, 0xc090cc00
	v_ldexp_f64 v[2:3], v[4:5], v2
	v_mov_b32_e32 v4, 0x7ff00000
	v_cmp_ngt_f64_e64 s[54:55], s[54:55], v[126:127]
	v_cndmask_b32_e32 v3, v4, v3, vcc
	s_and_b64 vcc, s[54:55], vcc
	v_cndmask_b32_e64 v3, 0, v3, s[54:55]
	v_cndmask_b32_e32 v2, 0, v2, vcc
	v_fma_f64 v[2:3], -v[10:11], v[2:3], v[108:109]
	global_store_dwordx2 v[8:9], v[2:3], off offset:1280
	s_or_b64 exec, exec, s[56:57]
	s_and_saveexec_b64 s[54:55], s[52:53]
	s_cbranch_execz .LBB225_72
.LBB225_105:
	s_mov_b32 s52, 0x652b82fe
	s_mov_b32 s53, 0x3ff71547
	s_waitcnt vmcnt(4)
	v_mul_f64 v[2:3], v[122:123], s[52:53]
	s_mov_b32 s52, 0xfefa39ef
	v_rndne_f64_e32 v[2:3], v[2:3]
	s_mov_b32 s53, 0xbfe62e42
	v_fma_f64 v[4:5], s[52:53], v[2:3], v[122:123]
	s_mov_b32 s52, 0x3b39803f
	s_mov_b32 s53, 0xbc7abc9e
	v_fmac_f64_e32 v[4:5], s[52:53], v[2:3]
	s_mov_b32 s52, 0x6a5dcb37
	v_mov_b32_e32 v6, 0xfca7ab0c
	v_mov_b32_e32 v7, 0x3e928af3
	s_mov_b32 s53, 0x3e5ade15
	v_fmac_f64_e32 v[6:7], s[52:53], v[4:5]
	v_mov_b32_e32 v14, 0x623fde64
	v_mov_b32_e32 v15, 0x3ec71dee
	v_fmac_f64_e32 v[14:15], v[4:5], v[6:7]
	v_mov_b32_e32 v6, 0x7c89e6b0
	v_mov_b32_e32 v7, 0x3efa0199
	;; [unrolled: 3-line block ×8, first 2 shown]
	s_mov_b32 s52, 0
	v_fmac_f64_e32 v[6:7], v[4:5], v[14:15]
	s_mov_b32 s53, 0x40900000
	v_fma_f64 v[6:7], v[4:5], v[6:7], 1.0
	v_cmp_nlt_f64_e32 vcc, s[52:53], v[122:123]
	s_mov_b32 s52, 0
	v_fma_f64 v[4:5], v[4:5], v[6:7], 1.0
	v_cvt_i32_f64_e32 v2, v[2:3]
	s_mov_b32 s53, 0xc090cc00
	v_ldexp_f64 v[2:3], v[4:5], v2
	v_mov_b32_e32 v4, 0x7ff00000
	v_cmp_ngt_f64_e64 s[52:53], s[52:53], v[122:123]
	v_cndmask_b32_e32 v3, v4, v3, vcc
	s_and_b64 vcc, s[52:53], vcc
	v_cndmask_b32_e64 v3, 0, v3, s[52:53]
	v_cndmask_b32_e32 v2, 0, v2, vcc
	v_fma_f64 v[2:3], -v[10:11], v[2:3], v[112:113]
	global_store_dwordx2 v[8:9], v[2:3], off offset:1536
	s_or_b64 exec, exec, s[54:55]
	s_and_saveexec_b64 s[52:53], s[50:51]
	s_cbranch_execz .LBB225_73
.LBB225_106:
	s_mov_b32 s50, 0x652b82fe
	s_mov_b32 s51, 0x3ff71547
	s_waitcnt vmcnt(4)
	v_mul_f64 v[2:3], v[118:119], s[50:51]
	s_mov_b32 s50, 0xfefa39ef
	v_rndne_f64_e32 v[2:3], v[2:3]
	s_mov_b32 s51, 0xbfe62e42
	v_fma_f64 v[4:5], s[50:51], v[2:3], v[118:119]
	s_mov_b32 s50, 0x3b39803f
	s_mov_b32 s51, 0xbc7abc9e
	v_fmac_f64_e32 v[4:5], s[50:51], v[2:3]
	s_mov_b32 s50, 0x6a5dcb37
	v_mov_b32_e32 v6, 0xfca7ab0c
	v_mov_b32_e32 v7, 0x3e928af3
	s_mov_b32 s51, 0x3e5ade15
	v_fmac_f64_e32 v[6:7], s[50:51], v[4:5]
	v_mov_b32_e32 v14, 0x623fde64
	v_mov_b32_e32 v15, 0x3ec71dee
	v_fmac_f64_e32 v[14:15], v[4:5], v[6:7]
	v_mov_b32_e32 v6, 0x7c89e6b0
	v_mov_b32_e32 v7, 0x3efa0199
	;; [unrolled: 3-line block ×8, first 2 shown]
	s_mov_b32 s50, 0
	v_fmac_f64_e32 v[6:7], v[4:5], v[14:15]
	s_mov_b32 s51, 0x40900000
	v_fma_f64 v[6:7], v[4:5], v[6:7], 1.0
	v_cmp_nlt_f64_e32 vcc, s[50:51], v[118:119]
	s_mov_b32 s50, 0
	v_fma_f64 v[4:5], v[4:5], v[6:7], 1.0
	v_cvt_i32_f64_e32 v2, v[2:3]
	s_mov_b32 s51, 0xc090cc00
	v_ldexp_f64 v[2:3], v[4:5], v2
	v_mov_b32_e32 v4, 0x7ff00000
	v_cmp_ngt_f64_e64 s[50:51], s[50:51], v[118:119]
	v_cndmask_b32_e32 v3, v4, v3, vcc
	s_and_b64 vcc, s[50:51], vcc
	v_cndmask_b32_e64 v3, 0, v3, s[50:51]
	v_cndmask_b32_e32 v2, 0, v2, vcc
	v_fma_f64 v[2:3], -v[10:11], v[2:3], v[100:101]
	global_store_dwordx2 v[8:9], v[2:3], off offset:1792
	s_or_b64 exec, exec, s[52:53]
	s_and_saveexec_b64 s[50:51], s[48:49]
	s_cbranch_execz .LBB225_74
.LBB225_107:
	s_mov_b32 s48, 0x652b82fe
	s_mov_b32 s49, 0x3ff71547
	s_waitcnt vmcnt(4)
	v_mul_f64 v[2:3], v[114:115], s[48:49]
	s_mov_b32 s48, 0xfefa39ef
	v_rndne_f64_e32 v[2:3], v[2:3]
	s_mov_b32 s49, 0xbfe62e42
	v_fma_f64 v[4:5], s[48:49], v[2:3], v[114:115]
	s_mov_b32 s48, 0x3b39803f
	s_mov_b32 s49, 0xbc7abc9e
	v_fmac_f64_e32 v[4:5], s[48:49], v[2:3]
	s_mov_b32 s48, 0x6a5dcb37
	v_mov_b32_e32 v6, 0xfca7ab0c
	v_mov_b32_e32 v7, 0x3e928af3
	s_mov_b32 s49, 0x3e5ade15
	v_fmac_f64_e32 v[6:7], s[48:49], v[4:5]
	v_mov_b32_e32 v14, 0x623fde64
	v_mov_b32_e32 v15, 0x3ec71dee
	v_fmac_f64_e32 v[14:15], v[4:5], v[6:7]
	v_mov_b32_e32 v6, 0x7c89e6b0
	v_mov_b32_e32 v7, 0x3efa0199
	;; [unrolled: 3-line block ×8, first 2 shown]
	s_mov_b32 s48, 0
	v_fmac_f64_e32 v[6:7], v[4:5], v[14:15]
	s_mov_b32 s49, 0x40900000
	v_fma_f64 v[6:7], v[4:5], v[6:7], 1.0
	v_cmp_nlt_f64_e32 vcc, s[48:49], v[114:115]
	s_mov_b32 s48, 0
	v_fma_f64 v[4:5], v[4:5], v[6:7], 1.0
	v_cvt_i32_f64_e32 v2, v[2:3]
	s_mov_b32 s49, 0xc090cc00
	v_ldexp_f64 v[2:3], v[4:5], v2
	v_mov_b32_e32 v4, 0x7ff00000
	v_cmp_ngt_f64_e64 s[48:49], s[48:49], v[114:115]
	v_cndmask_b32_e32 v3, v4, v3, vcc
	s_and_b64 vcc, s[48:49], vcc
	v_cndmask_b32_e64 v3, 0, v3, s[48:49]
	v_cndmask_b32_e32 v2, 0, v2, vcc
	v_fma_f64 v[2:3], -v[10:11], v[2:3], v[104:105]
	global_store_dwordx2 v[8:9], v[2:3], off offset:2048
	s_or_b64 exec, exec, s[50:51]
	s_and_saveexec_b64 s[48:49], s[46:47]
	s_cbranch_execz .LBB225_75
.LBB225_108:
	s_mov_b32 s46, 0x652b82fe
	s_mov_b32 s47, 0x3ff71547
	s_waitcnt vmcnt(4)
	v_mul_f64 v[2:3], v[110:111], s[46:47]
	s_mov_b32 s46, 0xfefa39ef
	v_rndne_f64_e32 v[2:3], v[2:3]
	s_mov_b32 s47, 0xbfe62e42
	v_fma_f64 v[4:5], s[46:47], v[2:3], v[110:111]
	s_mov_b32 s46, 0x3b39803f
	s_mov_b32 s47, 0xbc7abc9e
	v_fmac_f64_e32 v[4:5], s[46:47], v[2:3]
	s_mov_b32 s46, 0x6a5dcb37
	v_mov_b32_e32 v6, 0xfca7ab0c
	v_mov_b32_e32 v7, 0x3e928af3
	s_mov_b32 s47, 0x3e5ade15
	v_fmac_f64_e32 v[6:7], s[46:47], v[4:5]
	v_mov_b32_e32 v14, 0x623fde64
	v_mov_b32_e32 v15, 0x3ec71dee
	v_fmac_f64_e32 v[14:15], v[4:5], v[6:7]
	v_mov_b32_e32 v6, 0x7c89e6b0
	v_mov_b32_e32 v7, 0x3efa0199
	;; [unrolled: 3-line block ×8, first 2 shown]
	s_mov_b32 s46, 0
	v_fmac_f64_e32 v[6:7], v[4:5], v[14:15]
	s_mov_b32 s47, 0x40900000
	v_fma_f64 v[6:7], v[4:5], v[6:7], 1.0
	v_cmp_nlt_f64_e32 vcc, s[46:47], v[110:111]
	s_mov_b32 s46, 0
	v_fma_f64 v[4:5], v[4:5], v[6:7], 1.0
	v_cvt_i32_f64_e32 v2, v[2:3]
	s_mov_b32 s47, 0xc090cc00
	v_ldexp_f64 v[2:3], v[4:5], v2
	v_mov_b32_e32 v4, 0x7ff00000
	v_cmp_ngt_f64_e64 s[46:47], s[46:47], v[110:111]
	v_cndmask_b32_e32 v3, v4, v3, vcc
	s_and_b64 vcc, s[46:47], vcc
	v_cndmask_b32_e64 v3, 0, v3, s[46:47]
	v_cndmask_b32_e32 v2, 0, v2, vcc
	v_fma_f64 v[2:3], -v[10:11], v[2:3], v[92:93]
	global_store_dwordx2 v[8:9], v[2:3], off offset:2304
	s_or_b64 exec, exec, s[48:49]
	s_and_saveexec_b64 s[46:47], s[44:45]
	s_cbranch_execz .LBB225_76
.LBB225_109:
	s_mov_b32 s44, 0x652b82fe
	s_mov_b32 s45, 0x3ff71547
	s_waitcnt vmcnt(4)
	v_mul_f64 v[2:3], v[106:107], s[44:45]
	s_mov_b32 s44, 0xfefa39ef
	v_rndne_f64_e32 v[2:3], v[2:3]
	s_mov_b32 s45, 0xbfe62e42
	v_fma_f64 v[4:5], s[44:45], v[2:3], v[106:107]
	s_mov_b32 s44, 0x3b39803f
	s_mov_b32 s45, 0xbc7abc9e
	v_fmac_f64_e32 v[4:5], s[44:45], v[2:3]
	s_mov_b32 s44, 0x6a5dcb37
	v_mov_b32_e32 v6, 0xfca7ab0c
	v_mov_b32_e32 v7, 0x3e928af3
	s_mov_b32 s45, 0x3e5ade15
	v_fmac_f64_e32 v[6:7], s[44:45], v[4:5]
	v_mov_b32_e32 v14, 0x623fde64
	v_mov_b32_e32 v15, 0x3ec71dee
	v_fmac_f64_e32 v[14:15], v[4:5], v[6:7]
	v_mov_b32_e32 v6, 0x7c89e6b0
	v_mov_b32_e32 v7, 0x3efa0199
	;; [unrolled: 3-line block ×8, first 2 shown]
	s_mov_b32 s44, 0
	v_fmac_f64_e32 v[6:7], v[4:5], v[14:15]
	s_mov_b32 s45, 0x40900000
	v_fma_f64 v[6:7], v[4:5], v[6:7], 1.0
	v_cmp_nlt_f64_e32 vcc, s[44:45], v[106:107]
	s_mov_b32 s44, 0
	v_fma_f64 v[4:5], v[4:5], v[6:7], 1.0
	v_cvt_i32_f64_e32 v2, v[2:3]
	s_mov_b32 s45, 0xc090cc00
	v_ldexp_f64 v[2:3], v[4:5], v2
	v_mov_b32_e32 v4, 0x7ff00000
	v_cmp_ngt_f64_e64 s[44:45], s[44:45], v[106:107]
	v_cndmask_b32_e32 v3, v4, v3, vcc
	s_and_b64 vcc, s[44:45], vcc
	v_cndmask_b32_e64 v3, 0, v3, s[44:45]
	v_cndmask_b32_e32 v2, 0, v2, vcc
	v_fma_f64 v[2:3], -v[10:11], v[2:3], v[96:97]
	global_store_dwordx2 v[8:9], v[2:3], off offset:2560
	s_or_b64 exec, exec, s[46:47]
	s_and_saveexec_b64 s[44:45], s[42:43]
	s_cbranch_execz .LBB225_77
.LBB225_110:
	s_mov_b32 s42, 0x652b82fe
	s_mov_b32 s43, 0x3ff71547
	s_waitcnt vmcnt(4)
	v_mul_f64 v[2:3], v[102:103], s[42:43]
	s_mov_b32 s42, 0xfefa39ef
	v_rndne_f64_e32 v[2:3], v[2:3]
	s_mov_b32 s43, 0xbfe62e42
	v_fma_f64 v[4:5], s[42:43], v[2:3], v[102:103]
	s_mov_b32 s42, 0x3b39803f
	s_mov_b32 s43, 0xbc7abc9e
	v_fmac_f64_e32 v[4:5], s[42:43], v[2:3]
	s_mov_b32 s42, 0x6a5dcb37
	v_mov_b32_e32 v6, 0xfca7ab0c
	v_mov_b32_e32 v7, 0x3e928af3
	s_mov_b32 s43, 0x3e5ade15
	v_fmac_f64_e32 v[6:7], s[42:43], v[4:5]
	v_mov_b32_e32 v14, 0x623fde64
	v_mov_b32_e32 v15, 0x3ec71dee
	v_fmac_f64_e32 v[14:15], v[4:5], v[6:7]
	v_mov_b32_e32 v6, 0x7c89e6b0
	v_mov_b32_e32 v7, 0x3efa0199
	;; [unrolled: 3-line block ×8, first 2 shown]
	s_mov_b32 s42, 0
	v_fmac_f64_e32 v[6:7], v[4:5], v[14:15]
	s_mov_b32 s43, 0x40900000
	v_fma_f64 v[6:7], v[4:5], v[6:7], 1.0
	v_cmp_nlt_f64_e32 vcc, s[42:43], v[102:103]
	s_mov_b32 s42, 0
	v_fma_f64 v[4:5], v[4:5], v[6:7], 1.0
	v_cvt_i32_f64_e32 v2, v[2:3]
	s_mov_b32 s43, 0xc090cc00
	v_ldexp_f64 v[2:3], v[4:5], v2
	v_mov_b32_e32 v4, 0x7ff00000
	v_cmp_ngt_f64_e64 s[42:43], s[42:43], v[102:103]
	v_cndmask_b32_e32 v3, v4, v3, vcc
	s_and_b64 vcc, s[42:43], vcc
	v_cndmask_b32_e64 v3, 0, v3, s[42:43]
	v_cndmask_b32_e32 v2, 0, v2, vcc
	v_fma_f64 v[2:3], -v[10:11], v[2:3], v[84:85]
	global_store_dwordx2 v[8:9], v[2:3], off offset:2816
	s_or_b64 exec, exec, s[44:45]
	s_and_saveexec_b64 s[42:43], s[40:41]
	s_cbranch_execz .LBB225_78
.LBB225_111:
	s_mov_b32 s40, 0x652b82fe
	s_mov_b32 s41, 0x3ff71547
	s_waitcnt vmcnt(4)
	v_mul_f64 v[2:3], v[98:99], s[40:41]
	s_mov_b32 s40, 0xfefa39ef
	v_rndne_f64_e32 v[2:3], v[2:3]
	s_mov_b32 s41, 0xbfe62e42
	v_fma_f64 v[4:5], s[40:41], v[2:3], v[98:99]
	s_mov_b32 s40, 0x3b39803f
	s_mov_b32 s41, 0xbc7abc9e
	v_fmac_f64_e32 v[4:5], s[40:41], v[2:3]
	s_mov_b32 s40, 0x6a5dcb37
	v_mov_b32_e32 v6, 0xfca7ab0c
	v_mov_b32_e32 v7, 0x3e928af3
	s_mov_b32 s41, 0x3e5ade15
	v_fmac_f64_e32 v[6:7], s[40:41], v[4:5]
	v_mov_b32_e32 v14, 0x623fde64
	v_mov_b32_e32 v15, 0x3ec71dee
	v_fmac_f64_e32 v[14:15], v[4:5], v[6:7]
	v_mov_b32_e32 v6, 0x7c89e6b0
	v_mov_b32_e32 v7, 0x3efa0199
	;; [unrolled: 3-line block ×8, first 2 shown]
	s_mov_b32 s40, 0
	v_fmac_f64_e32 v[6:7], v[4:5], v[14:15]
	s_mov_b32 s41, 0x40900000
	v_fma_f64 v[6:7], v[4:5], v[6:7], 1.0
	v_cmp_nlt_f64_e32 vcc, s[40:41], v[98:99]
	s_mov_b32 s40, 0
	v_fma_f64 v[4:5], v[4:5], v[6:7], 1.0
	v_cvt_i32_f64_e32 v2, v[2:3]
	s_mov_b32 s41, 0xc090cc00
	v_ldexp_f64 v[2:3], v[4:5], v2
	v_mov_b32_e32 v4, 0x7ff00000
	v_cmp_ngt_f64_e64 s[40:41], s[40:41], v[98:99]
	v_cndmask_b32_e32 v3, v4, v3, vcc
	s_and_b64 vcc, s[40:41], vcc
	v_cndmask_b32_e64 v3, 0, v3, s[40:41]
	v_cndmask_b32_e32 v2, 0, v2, vcc
	v_fma_f64 v[2:3], -v[10:11], v[2:3], v[88:89]
	global_store_dwordx2 v[8:9], v[2:3], off offset:3072
	s_or_b64 exec, exec, s[42:43]
	s_and_saveexec_b64 s[40:41], s[38:39]
	s_cbranch_execz .LBB225_79
.LBB225_112:
	s_mov_b32 s38, 0x652b82fe
	s_mov_b32 s39, 0x3ff71547
	s_waitcnt vmcnt(4)
	v_mul_f64 v[2:3], v[94:95], s[38:39]
	s_mov_b32 s38, 0xfefa39ef
	v_rndne_f64_e32 v[2:3], v[2:3]
	s_mov_b32 s39, 0xbfe62e42
	v_fma_f64 v[4:5], s[38:39], v[2:3], v[94:95]
	s_mov_b32 s38, 0x3b39803f
	s_mov_b32 s39, 0xbc7abc9e
	v_fmac_f64_e32 v[4:5], s[38:39], v[2:3]
	s_mov_b32 s38, 0x6a5dcb37
	v_mov_b32_e32 v6, 0xfca7ab0c
	v_mov_b32_e32 v7, 0x3e928af3
	s_mov_b32 s39, 0x3e5ade15
	v_fmac_f64_e32 v[6:7], s[38:39], v[4:5]
	v_mov_b32_e32 v14, 0x623fde64
	v_mov_b32_e32 v15, 0x3ec71dee
	v_fmac_f64_e32 v[14:15], v[4:5], v[6:7]
	v_mov_b32_e32 v6, 0x7c89e6b0
	v_mov_b32_e32 v7, 0x3efa0199
	;; [unrolled: 3-line block ×8, first 2 shown]
	s_mov_b32 s38, 0
	v_fmac_f64_e32 v[6:7], v[4:5], v[14:15]
	s_mov_b32 s39, 0x40900000
	v_fma_f64 v[6:7], v[4:5], v[6:7], 1.0
	v_cmp_nlt_f64_e32 vcc, s[38:39], v[94:95]
	s_mov_b32 s38, 0
	v_fma_f64 v[4:5], v[4:5], v[6:7], 1.0
	v_cvt_i32_f64_e32 v2, v[2:3]
	s_mov_b32 s39, 0xc090cc00
	v_ldexp_f64 v[2:3], v[4:5], v2
	v_mov_b32_e32 v4, 0x7ff00000
	v_cmp_ngt_f64_e64 s[38:39], s[38:39], v[94:95]
	v_cndmask_b32_e32 v3, v4, v3, vcc
	s_and_b64 vcc, s[38:39], vcc
	v_cndmask_b32_e64 v3, 0, v3, s[38:39]
	v_cndmask_b32_e32 v2, 0, v2, vcc
	v_fma_f64 v[2:3], -v[10:11], v[2:3], v[76:77]
	global_store_dwordx2 v[8:9], v[2:3], off offset:3328
	s_or_b64 exec, exec, s[40:41]
	s_and_saveexec_b64 s[38:39], s[36:37]
	s_cbranch_execz .LBB225_80
.LBB225_113:
	s_mov_b32 s36, 0x652b82fe
	s_mov_b32 s37, 0x3ff71547
	s_waitcnt vmcnt(4)
	v_mul_f64 v[2:3], v[80:81], s[36:37]
	s_mov_b32 s36, 0xfefa39ef
	v_rndne_f64_e32 v[2:3], v[2:3]
	s_mov_b32 s37, 0xbfe62e42
	v_fma_f64 v[4:5], s[36:37], v[2:3], v[80:81]
	s_mov_b32 s36, 0x3b39803f
	s_mov_b32 s37, 0xbc7abc9e
	v_fmac_f64_e32 v[4:5], s[36:37], v[2:3]
	s_mov_b32 s36, 0x6a5dcb37
	v_mov_b32_e32 v6, 0xfca7ab0c
	v_mov_b32_e32 v7, 0x3e928af3
	s_mov_b32 s37, 0x3e5ade15
	v_fmac_f64_e32 v[6:7], s[36:37], v[4:5]
	v_mov_b32_e32 v14, 0x623fde64
	v_mov_b32_e32 v15, 0x3ec71dee
	v_fmac_f64_e32 v[14:15], v[4:5], v[6:7]
	v_mov_b32_e32 v6, 0x7c89e6b0
	v_mov_b32_e32 v7, 0x3efa0199
	;; [unrolled: 3-line block ×8, first 2 shown]
	s_mov_b32 s36, 0
	v_fmac_f64_e32 v[6:7], v[4:5], v[14:15]
	s_mov_b32 s37, 0x40900000
	v_fma_f64 v[6:7], v[4:5], v[6:7], 1.0
	v_cmp_nlt_f64_e32 vcc, s[36:37], v[80:81]
	s_mov_b32 s36, 0
	v_fma_f64 v[4:5], v[4:5], v[6:7], 1.0
	v_cvt_i32_f64_e32 v2, v[2:3]
	s_mov_b32 s37, 0xc090cc00
	v_ldexp_f64 v[2:3], v[4:5], v2
	v_mov_b32_e32 v4, 0x7ff00000
	v_cmp_ngt_f64_e64 s[36:37], s[36:37], v[80:81]
	v_cndmask_b32_e32 v3, v4, v3, vcc
	s_and_b64 vcc, s[36:37], vcc
	v_cndmask_b32_e64 v3, 0, v3, s[36:37]
	v_cndmask_b32_e32 v2, 0, v2, vcc
	v_fma_f64 v[2:3], -v[10:11], v[2:3], v[90:91]
	global_store_dwordx2 v[8:9], v[2:3], off offset:3584
	s_or_b64 exec, exec, s[38:39]
	s_and_saveexec_b64 s[36:37], s[34:35]
	s_cbranch_execz .LBB225_81
.LBB225_114:
	s_mov_b32 s34, 0x652b82fe
	s_mov_b32 s35, 0x3ff71547
	s_waitcnt vmcnt(4)
	v_mul_f64 v[2:3], v[86:87], s[34:35]
	s_mov_b32 s34, 0xfefa39ef
	v_rndne_f64_e32 v[2:3], v[2:3]
	s_mov_b32 s35, 0xbfe62e42
	v_fma_f64 v[4:5], s[34:35], v[2:3], v[86:87]
	s_mov_b32 s34, 0x3b39803f
	s_mov_b32 s35, 0xbc7abc9e
	v_fmac_f64_e32 v[4:5], s[34:35], v[2:3]
	s_mov_b32 s34, 0x6a5dcb37
	v_mov_b32_e32 v6, 0xfca7ab0c
	v_mov_b32_e32 v7, 0x3e928af3
	s_mov_b32 s35, 0x3e5ade15
	v_fmac_f64_e32 v[6:7], s[34:35], v[4:5]
	v_mov_b32_e32 v14, 0x623fde64
	v_mov_b32_e32 v15, 0x3ec71dee
	v_fmac_f64_e32 v[14:15], v[4:5], v[6:7]
	v_mov_b32_e32 v6, 0x7c89e6b0
	v_mov_b32_e32 v7, 0x3efa0199
	v_fmac_f64_e32 v[6:7], v[4:5], v[14:15]
	v_mov_b32_e32 v14, 0x14761f6e
	v_mov_b32_e32 v15, 0x3f2a01a0
	v_fmac_f64_e32 v[14:15], v[4:5], v[6:7]
	v_mov_b32_e32 v6, 0x1852b7b0
	v_mov_b32_e32 v7, 0x3f56c16c
	v_fmac_f64_e32 v[6:7], v[4:5], v[14:15]
	v_mov_b32_e32 v14, 0x11122322
	v_mov_b32_e32 v15, 0x3f811111
	v_fmac_f64_e32 v[14:15], v[4:5], v[6:7]
	v_mov_b32_e32 v6, 0x555502a1
	v_mov_b32_e32 v7, 0x3fa55555
	v_fmac_f64_e32 v[6:7], v[4:5], v[14:15]
	v_mov_b32_e32 v14, 0x55555511
	v_mov_b32_e32 v15, 0x3fc55555
	v_fmac_f64_e32 v[14:15], v[4:5], v[6:7]
	v_mov_b32_e32 v6, 11
	v_mov_b32_e32 v7, 0x3fe00000
	s_mov_b32 s34, 0
	v_fmac_f64_e32 v[6:7], v[4:5], v[14:15]
	s_mov_b32 s35, 0x40900000
	v_fma_f64 v[6:7], v[4:5], v[6:7], 1.0
	v_cmp_nlt_f64_e32 vcc, s[34:35], v[86:87]
	s_mov_b32 s34, 0
	v_fma_f64 v[4:5], v[4:5], v[6:7], 1.0
	v_cvt_i32_f64_e32 v2, v[2:3]
	s_mov_b32 s35, 0xc090cc00
	v_ldexp_f64 v[2:3], v[4:5], v2
	v_mov_b32_e32 v4, 0x7ff00000
	v_cmp_ngt_f64_e64 s[34:35], s[34:35], v[86:87]
	v_cndmask_b32_e32 v3, v4, v3, vcc
	s_and_b64 vcc, s[34:35], vcc
	v_cndmask_b32_e64 v3, 0, v3, s[34:35]
	v_cndmask_b32_e32 v2, 0, v2, vcc
	v_fma_f64 v[2:3], -v[10:11], v[2:3], v[68:69]
	global_store_dwordx2 v[8:9], v[2:3], off offset:3840
	s_or_b64 exec, exec, s[36:37]
	s_and_saveexec_b64 s[34:35], s[30:31]
	s_cbranch_execz .LBB225_82
.LBB225_115:
	s_mov_b32 s30, 0x652b82fe
	s_mov_b32 s31, 0x3ff71547
	s_waitcnt vmcnt(4)
	v_mul_f64 v[2:3], v[72:73], s[30:31]
	s_mov_b32 s30, 0xfefa39ef
	v_rndne_f64_e32 v[2:3], v[2:3]
	s_mov_b32 s31, 0xbfe62e42
	v_fma_f64 v[4:5], s[30:31], v[2:3], v[72:73]
	s_mov_b32 s30, 0x3b39803f
	s_mov_b32 s31, 0xbc7abc9e
	v_fmac_f64_e32 v[4:5], s[30:31], v[2:3]
	s_mov_b32 s30, 0x6a5dcb37
	v_mov_b32_e32 v6, 0xfca7ab0c
	v_mov_b32_e32 v7, 0x3e928af3
	s_mov_b32 s31, 0x3e5ade15
	v_fmac_f64_e32 v[6:7], s[30:31], v[4:5]
	v_mov_b32_e32 v14, 0x623fde64
	v_mov_b32_e32 v15, 0x3ec71dee
	v_fmac_f64_e32 v[14:15], v[4:5], v[6:7]
	v_mov_b32_e32 v6, 0x7c89e6b0
	v_mov_b32_e32 v7, 0x3efa0199
	;; [unrolled: 3-line block ×8, first 2 shown]
	s_mov_b32 s30, 0
	v_fmac_f64_e32 v[6:7], v[4:5], v[14:15]
	s_mov_b32 s31, 0x40900000
	v_fma_f64 v[6:7], v[4:5], v[6:7], 1.0
	v_cmp_nlt_f64_e32 vcc, s[30:31], v[72:73]
	s_mov_b32 s30, 0
	v_fma_f64 v[4:5], v[4:5], v[6:7], 1.0
	v_cvt_i32_f64_e32 v2, v[2:3]
	s_mov_b32 s31, 0xc090cc00
	v_ldexp_f64 v[2:3], v[4:5], v2
	v_mov_b32_e32 v4, 0x7ff00000
	v_cmp_ngt_f64_e64 s[30:31], s[30:31], v[72:73]
	v_cndmask_b32_e32 v3, v4, v3, vcc
	s_and_b64 vcc, s[30:31], vcc
	v_cndmask_b32_e64 v3, 0, v3, s[30:31]
	v_cndmask_b32_e32 v2, 0, v2, vcc
	v_add_co_u32_e32 v4, vcc, 0x1000, v8
	v_fma_f64 v[2:3], -v[10:11], v[2:3], v[82:83]
	v_addc_co_u32_e32 v5, vcc, 0, v9, vcc
	global_store_dwordx2 v[4:5], v[2:3], off
	s_or_b64 exec, exec, s[34:35]
	s_and_saveexec_b64 s[30:31], s[28:29]
	s_cbranch_execz .LBB225_83
.LBB225_116:
	s_mov_b32 s28, 0x652b82fe
	s_mov_b32 s29, 0x3ff71547
	s_waitcnt vmcnt(4)
	v_mul_f64 v[2:3], v[78:79], s[28:29]
	s_mov_b32 s28, 0xfefa39ef
	v_rndne_f64_e32 v[2:3], v[2:3]
	s_mov_b32 s29, 0xbfe62e42
	v_fma_f64 v[4:5], s[28:29], v[2:3], v[78:79]
	s_mov_b32 s28, 0x3b39803f
	s_mov_b32 s29, 0xbc7abc9e
	v_fmac_f64_e32 v[4:5], s[28:29], v[2:3]
	s_mov_b32 s28, 0x6a5dcb37
	v_mov_b32_e32 v6, 0xfca7ab0c
	v_mov_b32_e32 v7, 0x3e928af3
	s_mov_b32 s29, 0x3e5ade15
	v_fmac_f64_e32 v[6:7], s[28:29], v[4:5]
	v_mov_b32_e32 v14, 0x623fde64
	v_mov_b32_e32 v15, 0x3ec71dee
	v_fmac_f64_e32 v[14:15], v[4:5], v[6:7]
	v_mov_b32_e32 v6, 0x7c89e6b0
	v_mov_b32_e32 v7, 0x3efa0199
	;; [unrolled: 3-line block ×8, first 2 shown]
	s_mov_b32 s28, 0
	v_fmac_f64_e32 v[6:7], v[4:5], v[14:15]
	s_mov_b32 s29, 0x40900000
	v_fma_f64 v[6:7], v[4:5], v[6:7], 1.0
	v_cmp_nlt_f64_e32 vcc, s[28:29], v[78:79]
	s_mov_b32 s28, 0
	v_fma_f64 v[4:5], v[4:5], v[6:7], 1.0
	v_cvt_i32_f64_e32 v2, v[2:3]
	s_mov_b32 s29, 0xc090cc00
	v_ldexp_f64 v[2:3], v[4:5], v2
	v_mov_b32_e32 v4, 0x7ff00000
	v_cmp_ngt_f64_e64 s[28:29], s[28:29], v[78:79]
	v_cndmask_b32_e32 v3, v4, v3, vcc
	s_and_b64 vcc, s[28:29], vcc
	v_cndmask_b32_e64 v3, 0, v3, s[28:29]
	v_cndmask_b32_e32 v2, 0, v2, vcc
	v_add_co_u32_e32 v4, vcc, 0x1000, v8
	v_fma_f64 v[2:3], -v[10:11], v[2:3], v[60:61]
	v_addc_co_u32_e32 v5, vcc, 0, v9, vcc
	global_store_dwordx2 v[4:5], v[2:3], off offset:256
	s_or_b64 exec, exec, s[30:31]
	s_and_saveexec_b64 s[28:29], s[26:27]
	s_cbranch_execz .LBB225_84
.LBB225_117:
	s_mov_b32 s26, 0x652b82fe
	s_mov_b32 s27, 0x3ff71547
	s_waitcnt vmcnt(4)
	v_mul_f64 v[2:3], v[64:65], s[26:27]
	s_mov_b32 s26, 0xfefa39ef
	v_rndne_f64_e32 v[2:3], v[2:3]
	s_mov_b32 s27, 0xbfe62e42
	v_fma_f64 v[4:5], s[26:27], v[2:3], v[64:65]
	s_mov_b32 s26, 0x3b39803f
	s_mov_b32 s27, 0xbc7abc9e
	v_fmac_f64_e32 v[4:5], s[26:27], v[2:3]
	s_mov_b32 s26, 0x6a5dcb37
	v_mov_b32_e32 v6, 0xfca7ab0c
	v_mov_b32_e32 v7, 0x3e928af3
	s_mov_b32 s27, 0x3e5ade15
	v_fmac_f64_e32 v[6:7], s[26:27], v[4:5]
	v_mov_b32_e32 v14, 0x623fde64
	v_mov_b32_e32 v15, 0x3ec71dee
	v_fmac_f64_e32 v[14:15], v[4:5], v[6:7]
	v_mov_b32_e32 v6, 0x7c89e6b0
	v_mov_b32_e32 v7, 0x3efa0199
	;; [unrolled: 3-line block ×8, first 2 shown]
	s_mov_b32 s26, 0
	v_fmac_f64_e32 v[6:7], v[4:5], v[14:15]
	s_mov_b32 s27, 0x40900000
	v_fma_f64 v[6:7], v[4:5], v[6:7], 1.0
	v_cmp_nlt_f64_e32 vcc, s[26:27], v[64:65]
	s_mov_b32 s26, 0
	v_fma_f64 v[4:5], v[4:5], v[6:7], 1.0
	v_cvt_i32_f64_e32 v2, v[2:3]
	s_mov_b32 s27, 0xc090cc00
	v_ldexp_f64 v[2:3], v[4:5], v2
	v_mov_b32_e32 v4, 0x7ff00000
	v_cmp_ngt_f64_e64 s[26:27], s[26:27], v[64:65]
	v_cndmask_b32_e32 v3, v4, v3, vcc
	s_and_b64 vcc, s[26:27], vcc
	v_cndmask_b32_e64 v3, 0, v3, s[26:27]
	v_cndmask_b32_e32 v2, 0, v2, vcc
	v_add_co_u32_e32 v4, vcc, 0x1000, v8
	v_fma_f64 v[2:3], -v[10:11], v[2:3], v[74:75]
	v_addc_co_u32_e32 v5, vcc, 0, v9, vcc
	global_store_dwordx2 v[4:5], v[2:3], off offset:512
	s_or_b64 exec, exec, s[28:29]
	s_and_saveexec_b64 s[26:27], s[24:25]
	s_cbranch_execz .LBB225_85
.LBB225_118:
	s_mov_b32 s24, 0x652b82fe
	s_mov_b32 s25, 0x3ff71547
	s_waitcnt vmcnt(4)
	v_mul_f64 v[2:3], v[70:71], s[24:25]
	s_mov_b32 s24, 0xfefa39ef
	v_rndne_f64_e32 v[2:3], v[2:3]
	s_mov_b32 s25, 0xbfe62e42
	v_fma_f64 v[4:5], s[24:25], v[2:3], v[70:71]
	s_mov_b32 s24, 0x3b39803f
	s_mov_b32 s25, 0xbc7abc9e
	v_fmac_f64_e32 v[4:5], s[24:25], v[2:3]
	s_mov_b32 s24, 0x6a5dcb37
	v_mov_b32_e32 v6, 0xfca7ab0c
	v_mov_b32_e32 v7, 0x3e928af3
	s_mov_b32 s25, 0x3e5ade15
	v_fmac_f64_e32 v[6:7], s[24:25], v[4:5]
	v_mov_b32_e32 v14, 0x623fde64
	v_mov_b32_e32 v15, 0x3ec71dee
	v_fmac_f64_e32 v[14:15], v[4:5], v[6:7]
	v_mov_b32_e32 v6, 0x7c89e6b0
	v_mov_b32_e32 v7, 0x3efa0199
	;; [unrolled: 3-line block ×8, first 2 shown]
	s_mov_b32 s24, 0
	v_fmac_f64_e32 v[6:7], v[4:5], v[14:15]
	s_mov_b32 s25, 0x40900000
	v_fma_f64 v[6:7], v[4:5], v[6:7], 1.0
	v_cmp_nlt_f64_e32 vcc, s[24:25], v[70:71]
	s_mov_b32 s24, 0
	v_fma_f64 v[4:5], v[4:5], v[6:7], 1.0
	v_cvt_i32_f64_e32 v2, v[2:3]
	s_mov_b32 s25, 0xc090cc00
	v_ldexp_f64 v[2:3], v[4:5], v2
	v_mov_b32_e32 v4, 0x7ff00000
	v_cmp_ngt_f64_e64 s[24:25], s[24:25], v[70:71]
	v_cndmask_b32_e32 v3, v4, v3, vcc
	s_and_b64 vcc, s[24:25], vcc
	v_cndmask_b32_e64 v3, 0, v3, s[24:25]
	v_cndmask_b32_e32 v2, 0, v2, vcc
	v_add_co_u32_e32 v4, vcc, 0x1000, v8
	v_fma_f64 v[2:3], -v[10:11], v[2:3], v[52:53]
	v_addc_co_u32_e32 v5, vcc, 0, v9, vcc
	global_store_dwordx2 v[4:5], v[2:3], off offset:768
	s_or_b64 exec, exec, s[26:27]
	s_and_saveexec_b64 s[24:25], s[22:23]
	s_cbranch_execz .LBB225_86
.LBB225_119:
	s_mov_b32 s22, 0x652b82fe
	s_mov_b32 s23, 0x3ff71547
	s_waitcnt vmcnt(4)
	v_mul_f64 v[2:3], v[56:57], s[22:23]
	s_mov_b32 s22, 0xfefa39ef
	v_rndne_f64_e32 v[2:3], v[2:3]
	s_mov_b32 s23, 0xbfe62e42
	v_fma_f64 v[4:5], s[22:23], v[2:3], v[56:57]
	s_mov_b32 s22, 0x3b39803f
	s_mov_b32 s23, 0xbc7abc9e
	v_fmac_f64_e32 v[4:5], s[22:23], v[2:3]
	s_mov_b32 s22, 0x6a5dcb37
	v_mov_b32_e32 v6, 0xfca7ab0c
	v_mov_b32_e32 v7, 0x3e928af3
	s_mov_b32 s23, 0x3e5ade15
	v_fmac_f64_e32 v[6:7], s[22:23], v[4:5]
	v_mov_b32_e32 v14, 0x623fde64
	v_mov_b32_e32 v15, 0x3ec71dee
	v_fmac_f64_e32 v[14:15], v[4:5], v[6:7]
	v_mov_b32_e32 v6, 0x7c89e6b0
	v_mov_b32_e32 v7, 0x3efa0199
	;; [unrolled: 3-line block ×8, first 2 shown]
	s_mov_b32 s22, 0
	v_fmac_f64_e32 v[6:7], v[4:5], v[14:15]
	s_mov_b32 s23, 0x40900000
	v_fma_f64 v[6:7], v[4:5], v[6:7], 1.0
	v_cmp_nlt_f64_e32 vcc, s[22:23], v[56:57]
	s_mov_b32 s22, 0
	v_fma_f64 v[4:5], v[4:5], v[6:7], 1.0
	v_cvt_i32_f64_e32 v2, v[2:3]
	s_mov_b32 s23, 0xc090cc00
	v_ldexp_f64 v[2:3], v[4:5], v2
	v_mov_b32_e32 v4, 0x7ff00000
	v_cmp_ngt_f64_e64 s[22:23], s[22:23], v[56:57]
	v_cndmask_b32_e32 v3, v4, v3, vcc
	s_and_b64 vcc, s[22:23], vcc
	v_cndmask_b32_e64 v3, 0, v3, s[22:23]
	v_cndmask_b32_e32 v2, 0, v2, vcc
	v_add_co_u32_e32 v4, vcc, 0x1000, v8
	v_fma_f64 v[2:3], -v[10:11], v[2:3], v[66:67]
	v_addc_co_u32_e32 v5, vcc, 0, v9, vcc
	global_store_dwordx2 v[4:5], v[2:3], off offset:1024
	s_or_b64 exec, exec, s[24:25]
	s_and_saveexec_b64 s[22:23], s[20:21]
	s_cbranch_execz .LBB225_87
.LBB225_120:
	s_mov_b32 s20, 0x652b82fe
	s_mov_b32 s21, 0x3ff71547
	s_waitcnt vmcnt(4)
	v_mul_f64 v[2:3], v[62:63], s[20:21]
	s_mov_b32 s20, 0xfefa39ef
	v_rndne_f64_e32 v[2:3], v[2:3]
	s_mov_b32 s21, 0xbfe62e42
	v_fma_f64 v[4:5], s[20:21], v[2:3], v[62:63]
	s_mov_b32 s20, 0x3b39803f
	s_mov_b32 s21, 0xbc7abc9e
	v_fmac_f64_e32 v[4:5], s[20:21], v[2:3]
	s_mov_b32 s20, 0x6a5dcb37
	v_mov_b32_e32 v6, 0xfca7ab0c
	v_mov_b32_e32 v7, 0x3e928af3
	s_mov_b32 s21, 0x3e5ade15
	v_fmac_f64_e32 v[6:7], s[20:21], v[4:5]
	v_mov_b32_e32 v14, 0x623fde64
	v_mov_b32_e32 v15, 0x3ec71dee
	v_fmac_f64_e32 v[14:15], v[4:5], v[6:7]
	v_mov_b32_e32 v6, 0x7c89e6b0
	v_mov_b32_e32 v7, 0x3efa0199
	;; [unrolled: 3-line block ×8, first 2 shown]
	s_mov_b32 s20, 0
	v_fmac_f64_e32 v[6:7], v[4:5], v[14:15]
	s_mov_b32 s21, 0x40900000
	v_fma_f64 v[6:7], v[4:5], v[6:7], 1.0
	v_cmp_nlt_f64_e32 vcc, s[20:21], v[62:63]
	s_mov_b32 s20, 0
	v_fma_f64 v[4:5], v[4:5], v[6:7], 1.0
	v_cvt_i32_f64_e32 v2, v[2:3]
	s_mov_b32 s21, 0xc090cc00
	v_ldexp_f64 v[2:3], v[4:5], v2
	v_mov_b32_e32 v4, 0x7ff00000
	v_cmp_ngt_f64_e64 s[20:21], s[20:21], v[62:63]
	v_cndmask_b32_e32 v3, v4, v3, vcc
	s_and_b64 vcc, s[20:21], vcc
	v_cndmask_b32_e64 v3, 0, v3, s[20:21]
	v_cndmask_b32_e32 v2, 0, v2, vcc
	v_add_co_u32_e32 v4, vcc, 0x1000, v8
	v_fma_f64 v[2:3], -v[10:11], v[2:3], v[44:45]
	v_addc_co_u32_e32 v5, vcc, 0, v9, vcc
	global_store_dwordx2 v[4:5], v[2:3], off offset:1280
	s_or_b64 exec, exec, s[22:23]
	s_and_saveexec_b64 s[20:21], s[18:19]
	s_cbranch_execz .LBB225_88
.LBB225_121:
	s_mov_b32 s18, 0x652b82fe
	s_mov_b32 s19, 0x3ff71547
	s_waitcnt vmcnt(4)
	v_mul_f64 v[2:3], v[48:49], s[18:19]
	s_mov_b32 s18, 0xfefa39ef
	v_rndne_f64_e32 v[2:3], v[2:3]
	s_mov_b32 s19, 0xbfe62e42
	v_fma_f64 v[4:5], s[18:19], v[2:3], v[48:49]
	s_mov_b32 s18, 0x3b39803f
	s_mov_b32 s19, 0xbc7abc9e
	v_fmac_f64_e32 v[4:5], s[18:19], v[2:3]
	s_mov_b32 s18, 0x6a5dcb37
	v_mov_b32_e32 v6, 0xfca7ab0c
	v_mov_b32_e32 v7, 0x3e928af3
	s_mov_b32 s19, 0x3e5ade15
	v_fmac_f64_e32 v[6:7], s[18:19], v[4:5]
	v_mov_b32_e32 v14, 0x623fde64
	v_mov_b32_e32 v15, 0x3ec71dee
	v_fmac_f64_e32 v[14:15], v[4:5], v[6:7]
	v_mov_b32_e32 v6, 0x7c89e6b0
	v_mov_b32_e32 v7, 0x3efa0199
	v_fmac_f64_e32 v[6:7], v[4:5], v[14:15]
	v_mov_b32_e32 v14, 0x14761f6e
	v_mov_b32_e32 v15, 0x3f2a01a0
	v_fmac_f64_e32 v[14:15], v[4:5], v[6:7]
	v_mov_b32_e32 v6, 0x1852b7b0
	v_mov_b32_e32 v7, 0x3f56c16c
	v_fmac_f64_e32 v[6:7], v[4:5], v[14:15]
	v_mov_b32_e32 v14, 0x11122322
	v_mov_b32_e32 v15, 0x3f811111
	v_fmac_f64_e32 v[14:15], v[4:5], v[6:7]
	v_mov_b32_e32 v6, 0x555502a1
	v_mov_b32_e32 v7, 0x3fa55555
	v_fmac_f64_e32 v[6:7], v[4:5], v[14:15]
	v_mov_b32_e32 v14, 0x55555511
	v_mov_b32_e32 v15, 0x3fc55555
	v_fmac_f64_e32 v[14:15], v[4:5], v[6:7]
	v_mov_b32_e32 v6, 11
	v_mov_b32_e32 v7, 0x3fe00000
	s_mov_b32 s18, 0
	v_fmac_f64_e32 v[6:7], v[4:5], v[14:15]
	s_mov_b32 s19, 0x40900000
	v_fma_f64 v[6:7], v[4:5], v[6:7], 1.0
	v_cmp_nlt_f64_e32 vcc, s[18:19], v[48:49]
	s_mov_b32 s18, 0
	v_fma_f64 v[4:5], v[4:5], v[6:7], 1.0
	v_cvt_i32_f64_e32 v2, v[2:3]
	s_mov_b32 s19, 0xc090cc00
	v_ldexp_f64 v[2:3], v[4:5], v2
	v_mov_b32_e32 v4, 0x7ff00000
	v_cmp_ngt_f64_e64 s[18:19], s[18:19], v[48:49]
	v_cndmask_b32_e32 v3, v4, v3, vcc
	s_and_b64 vcc, s[18:19], vcc
	v_cndmask_b32_e64 v3, 0, v3, s[18:19]
	v_cndmask_b32_e32 v2, 0, v2, vcc
	v_add_co_u32_e32 v4, vcc, 0x1000, v8
	v_fma_f64 v[2:3], -v[10:11], v[2:3], v[58:59]
	v_addc_co_u32_e32 v5, vcc, 0, v9, vcc
	global_store_dwordx2 v[4:5], v[2:3], off offset:1536
	s_or_b64 exec, exec, s[20:21]
	s_and_saveexec_b64 s[18:19], s[16:17]
	s_cbranch_execz .LBB225_89
.LBB225_122:
	s_mov_b32 s16, 0x652b82fe
	s_mov_b32 s17, 0x3ff71547
	s_waitcnt vmcnt(4)
	v_mul_f64 v[2:3], v[40:41], s[16:17]
	s_mov_b32 s16, 0xfefa39ef
	v_rndne_f64_e32 v[2:3], v[2:3]
	s_mov_b32 s17, 0xbfe62e42
	v_fma_f64 v[4:5], s[16:17], v[2:3], v[40:41]
	s_mov_b32 s16, 0x3b39803f
	s_mov_b32 s17, 0xbc7abc9e
	v_fmac_f64_e32 v[4:5], s[16:17], v[2:3]
	s_mov_b32 s16, 0x6a5dcb37
	v_mov_b32_e32 v6, 0xfca7ab0c
	v_mov_b32_e32 v7, 0x3e928af3
	s_mov_b32 s17, 0x3e5ade15
	v_fmac_f64_e32 v[6:7], s[16:17], v[4:5]
	v_mov_b32_e32 v14, 0x623fde64
	v_mov_b32_e32 v15, 0x3ec71dee
	v_fmac_f64_e32 v[14:15], v[4:5], v[6:7]
	v_mov_b32_e32 v6, 0x7c89e6b0
	v_mov_b32_e32 v7, 0x3efa0199
	;; [unrolled: 3-line block ×8, first 2 shown]
	s_mov_b32 s16, 0
	v_fmac_f64_e32 v[6:7], v[4:5], v[14:15]
	s_mov_b32 s17, 0x40900000
	v_fma_f64 v[6:7], v[4:5], v[6:7], 1.0
	v_cmp_nlt_f64_e32 vcc, s[16:17], v[40:41]
	s_mov_b32 s16, 0
	v_fma_f64 v[4:5], v[4:5], v[6:7], 1.0
	v_cvt_i32_f64_e32 v2, v[2:3]
	s_mov_b32 s17, 0xc090cc00
	v_ldexp_f64 v[2:3], v[4:5], v2
	v_mov_b32_e32 v4, 0x7ff00000
	v_cmp_ngt_f64_e64 s[16:17], s[16:17], v[40:41]
	v_cndmask_b32_e32 v3, v4, v3, vcc
	s_and_b64 vcc, s[16:17], vcc
	v_cndmask_b32_e64 v3, 0, v3, s[16:17]
	v_cndmask_b32_e32 v2, 0, v2, vcc
	v_add_co_u32_e32 v4, vcc, 0x1000, v8
	v_fma_f64 v[2:3], -v[10:11], v[2:3], v[36:37]
	v_addc_co_u32_e32 v5, vcc, 0, v9, vcc
	global_store_dwordx2 v[4:5], v[2:3], off offset:1792
	s_or_b64 exec, exec, s[18:19]
	s_and_saveexec_b64 s[16:17], s[14:15]
	s_cbranch_execz .LBB225_90
.LBB225_123:
	s_mov_b32 s14, 0x652b82fe
	s_mov_b32 s15, 0x3ff71547
	s_waitcnt vmcnt(4)
	v_mul_f64 v[2:3], v[54:55], s[14:15]
	s_mov_b32 s14, 0xfefa39ef
	v_rndne_f64_e32 v[2:3], v[2:3]
	s_mov_b32 s15, 0xbfe62e42
	v_fma_f64 v[4:5], s[14:15], v[2:3], v[54:55]
	s_mov_b32 s14, 0x3b39803f
	s_mov_b32 s15, 0xbc7abc9e
	v_fmac_f64_e32 v[4:5], s[14:15], v[2:3]
	s_mov_b32 s14, 0x6a5dcb37
	v_mov_b32_e32 v6, 0xfca7ab0c
	v_mov_b32_e32 v7, 0x3e928af3
	s_mov_b32 s15, 0x3e5ade15
	v_fmac_f64_e32 v[6:7], s[14:15], v[4:5]
	v_mov_b32_e32 v14, 0x623fde64
	v_mov_b32_e32 v15, 0x3ec71dee
	v_fmac_f64_e32 v[14:15], v[4:5], v[6:7]
	v_mov_b32_e32 v6, 0x7c89e6b0
	v_mov_b32_e32 v7, 0x3efa0199
	v_fmac_f64_e32 v[6:7], v[4:5], v[14:15]
	v_mov_b32_e32 v14, 0x14761f6e
	v_mov_b32_e32 v15, 0x3f2a01a0
	v_fmac_f64_e32 v[14:15], v[4:5], v[6:7]
	v_mov_b32_e32 v6, 0x1852b7b0
	v_mov_b32_e32 v7, 0x3f56c16c
	v_fmac_f64_e32 v[6:7], v[4:5], v[14:15]
	v_mov_b32_e32 v14, 0x11122322
	v_mov_b32_e32 v15, 0x3f811111
	v_fmac_f64_e32 v[14:15], v[4:5], v[6:7]
	v_mov_b32_e32 v6, 0x555502a1
	v_mov_b32_e32 v7, 0x3fa55555
	v_fmac_f64_e32 v[6:7], v[4:5], v[14:15]
	v_mov_b32_e32 v14, 0x55555511
	v_mov_b32_e32 v15, 0x3fc55555
	v_fmac_f64_e32 v[14:15], v[4:5], v[6:7]
	v_mov_b32_e32 v6, 11
	v_mov_b32_e32 v7, 0x3fe00000
	s_mov_b32 s14, 0
	v_fmac_f64_e32 v[6:7], v[4:5], v[14:15]
	s_mov_b32 s15, 0x40900000
	v_fma_f64 v[6:7], v[4:5], v[6:7], 1.0
	v_cmp_nlt_f64_e32 vcc, s[14:15], v[54:55]
	s_mov_b32 s14, 0
	v_fma_f64 v[4:5], v[4:5], v[6:7], 1.0
	v_cvt_i32_f64_e32 v2, v[2:3]
	s_mov_b32 s15, 0xc090cc00
	v_ldexp_f64 v[2:3], v[4:5], v2
	v_mov_b32_e32 v4, 0x7ff00000
	v_cmp_ngt_f64_e64 s[14:15], s[14:15], v[54:55]
	v_cndmask_b32_e32 v3, v4, v3, vcc
	s_and_b64 vcc, s[14:15], vcc
	v_cndmask_b32_e64 v3, 0, v3, s[14:15]
	v_cndmask_b32_e32 v2, 0, v2, vcc
	v_add_co_u32_e32 v4, vcc, 0x1000, v8
	v_fma_f64 v[2:3], -v[10:11], v[2:3], v[50:51]
	v_addc_co_u32_e32 v5, vcc, 0, v9, vcc
	global_store_dwordx2 v[4:5], v[2:3], off offset:2048
	s_or_b64 exec, exec, s[16:17]
	s_and_saveexec_b64 s[14:15], s[12:13]
	s_cbranch_execz .LBB225_91
.LBB225_124:
	s_mov_b32 s12, 0x652b82fe
	s_mov_b32 s13, 0x3ff71547
	s_waitcnt vmcnt(4)
	v_mul_f64 v[2:3], v[32:33], s[12:13]
	s_mov_b32 s12, 0xfefa39ef
	v_rndne_f64_e32 v[2:3], v[2:3]
	s_mov_b32 s13, 0xbfe62e42
	v_fma_f64 v[4:5], s[12:13], v[2:3], v[32:33]
	s_mov_b32 s12, 0x3b39803f
	s_mov_b32 s13, 0xbc7abc9e
	v_fmac_f64_e32 v[4:5], s[12:13], v[2:3]
	s_mov_b32 s12, 0x6a5dcb37
	v_mov_b32_e32 v6, 0xfca7ab0c
	v_mov_b32_e32 v7, 0x3e928af3
	s_mov_b32 s13, 0x3e5ade15
	v_fmac_f64_e32 v[6:7], s[12:13], v[4:5]
	v_mov_b32_e32 v14, 0x623fde64
	v_mov_b32_e32 v15, 0x3ec71dee
	v_fmac_f64_e32 v[14:15], v[4:5], v[6:7]
	v_mov_b32_e32 v6, 0x7c89e6b0
	v_mov_b32_e32 v7, 0x3efa0199
	;; [unrolled: 3-line block ×8, first 2 shown]
	s_mov_b32 s12, 0
	v_fmac_f64_e32 v[6:7], v[4:5], v[14:15]
	s_mov_b32 s13, 0x40900000
	v_fma_f64 v[6:7], v[4:5], v[6:7], 1.0
	v_cmp_nlt_f64_e32 vcc, s[12:13], v[32:33]
	s_mov_b32 s12, 0
	v_fma_f64 v[4:5], v[4:5], v[6:7], 1.0
	v_cvt_i32_f64_e32 v2, v[2:3]
	s_mov_b32 s13, 0xc090cc00
	v_ldexp_f64 v[2:3], v[4:5], v2
	v_mov_b32_e32 v4, 0x7ff00000
	v_cmp_ngt_f64_e64 s[12:13], s[12:13], v[32:33]
	v_cndmask_b32_e32 v3, v4, v3, vcc
	s_and_b64 vcc, s[12:13], vcc
	v_cndmask_b32_e64 v3, 0, v3, s[12:13]
	v_cndmask_b32_e32 v2, 0, v2, vcc
	v_add_co_u32_e32 v4, vcc, 0x1000, v8
	v_fma_f64 v[2:3], -v[10:11], v[2:3], v[28:29]
	v_addc_co_u32_e32 v5, vcc, 0, v9, vcc
	global_store_dwordx2 v[4:5], v[2:3], off offset:2304
	s_or_b64 exec, exec, s[14:15]
	s_and_saveexec_b64 s[12:13], s[10:11]
	s_cbranch_execz .LBB225_92
.LBB225_125:
	s_mov_b32 s10, 0x652b82fe
	s_mov_b32 s11, 0x3ff71547
	s_waitcnt vmcnt(4)
	v_mul_f64 v[2:3], v[46:47], s[10:11]
	s_mov_b32 s10, 0xfefa39ef
	v_rndne_f64_e32 v[2:3], v[2:3]
	s_mov_b32 s11, 0xbfe62e42
	v_fma_f64 v[4:5], s[10:11], v[2:3], v[46:47]
	s_mov_b32 s10, 0x3b39803f
	s_mov_b32 s11, 0xbc7abc9e
	v_fmac_f64_e32 v[4:5], s[10:11], v[2:3]
	s_mov_b32 s10, 0x6a5dcb37
	v_mov_b32_e32 v6, 0xfca7ab0c
	v_mov_b32_e32 v7, 0x3e928af3
	s_mov_b32 s11, 0x3e5ade15
	v_fmac_f64_e32 v[6:7], s[10:11], v[4:5]
	v_mov_b32_e32 v14, 0x623fde64
	v_mov_b32_e32 v15, 0x3ec71dee
	v_fmac_f64_e32 v[14:15], v[4:5], v[6:7]
	v_mov_b32_e32 v6, 0x7c89e6b0
	v_mov_b32_e32 v7, 0x3efa0199
	;; [unrolled: 3-line block ×8, first 2 shown]
	s_mov_b32 s10, 0
	v_fmac_f64_e32 v[6:7], v[4:5], v[14:15]
	s_mov_b32 s11, 0x40900000
	v_fma_f64 v[6:7], v[4:5], v[6:7], 1.0
	v_cmp_nlt_f64_e32 vcc, s[10:11], v[46:47]
	s_mov_b32 s10, 0
	v_fma_f64 v[4:5], v[4:5], v[6:7], 1.0
	v_cvt_i32_f64_e32 v2, v[2:3]
	s_mov_b32 s11, 0xc090cc00
	v_ldexp_f64 v[2:3], v[4:5], v2
	v_mov_b32_e32 v4, 0x7ff00000
	v_cmp_ngt_f64_e64 s[10:11], s[10:11], v[46:47]
	v_cndmask_b32_e32 v3, v4, v3, vcc
	s_and_b64 vcc, s[10:11], vcc
	v_cndmask_b32_e64 v3, 0, v3, s[10:11]
	v_cndmask_b32_e32 v2, 0, v2, vcc
	v_add_co_u32_e32 v4, vcc, 0x1000, v8
	v_fma_f64 v[2:3], -v[10:11], v[2:3], v[42:43]
	v_addc_co_u32_e32 v5, vcc, 0, v9, vcc
	global_store_dwordx2 v[4:5], v[2:3], off offset:2560
	s_or_b64 exec, exec, s[12:13]
	s_and_saveexec_b64 s[10:11], s[8:9]
	s_cbranch_execz .LBB225_93
.LBB225_126:
	s_mov_b32 s8, 0x652b82fe
	s_mov_b32 s9, 0x3ff71547
	s_waitcnt vmcnt(4)
	v_mul_f64 v[2:3], v[24:25], s[8:9]
	s_mov_b32 s8, 0xfefa39ef
	v_rndne_f64_e32 v[2:3], v[2:3]
	s_mov_b32 s9, 0xbfe62e42
	v_fma_f64 v[4:5], s[8:9], v[2:3], v[24:25]
	s_mov_b32 s8, 0x3b39803f
	s_mov_b32 s9, 0xbc7abc9e
	v_fmac_f64_e32 v[4:5], s[8:9], v[2:3]
	s_mov_b32 s8, 0x6a5dcb37
	v_mov_b32_e32 v6, 0xfca7ab0c
	v_mov_b32_e32 v7, 0x3e928af3
	s_mov_b32 s9, 0x3e5ade15
	v_fmac_f64_e32 v[6:7], s[8:9], v[4:5]
	v_mov_b32_e32 v14, 0x623fde64
	v_mov_b32_e32 v15, 0x3ec71dee
	v_fmac_f64_e32 v[14:15], v[4:5], v[6:7]
	v_mov_b32_e32 v6, 0x7c89e6b0
	v_mov_b32_e32 v7, 0x3efa0199
	;; [unrolled: 3-line block ×8, first 2 shown]
	s_mov_b32 s8, 0
	v_fmac_f64_e32 v[6:7], v[4:5], v[14:15]
	s_mov_b32 s9, 0x40900000
	v_fma_f64 v[6:7], v[4:5], v[6:7], 1.0
	v_cmp_nlt_f64_e32 vcc, s[8:9], v[24:25]
	s_mov_b32 s8, 0
	v_fma_f64 v[4:5], v[4:5], v[6:7], 1.0
	v_cvt_i32_f64_e32 v2, v[2:3]
	s_mov_b32 s9, 0xc090cc00
	v_ldexp_f64 v[2:3], v[4:5], v2
	v_mov_b32_e32 v4, 0x7ff00000
	v_cmp_ngt_f64_e64 s[8:9], s[8:9], v[24:25]
	v_cndmask_b32_e32 v3, v4, v3, vcc
	s_and_b64 vcc, s[8:9], vcc
	v_cndmask_b32_e64 v3, 0, v3, s[8:9]
	v_cndmask_b32_e32 v2, 0, v2, vcc
	v_add_co_u32_e32 v4, vcc, 0x1000, v8
	v_fma_f64 v[2:3], -v[10:11], v[2:3], v[20:21]
	v_addc_co_u32_e32 v5, vcc, 0, v9, vcc
	global_store_dwordx2 v[4:5], v[2:3], off offset:2816
	s_or_b64 exec, exec, s[10:11]
	s_and_saveexec_b64 s[8:9], s[6:7]
	s_cbranch_execz .LBB225_94
.LBB225_127:
	s_mov_b32 s6, 0x652b82fe
	s_mov_b32 s7, 0x3ff71547
	s_waitcnt vmcnt(4)
	v_mul_f64 v[2:3], v[38:39], s[6:7]
	s_mov_b32 s6, 0xfefa39ef
	v_rndne_f64_e32 v[2:3], v[2:3]
	s_mov_b32 s7, 0xbfe62e42
	v_fma_f64 v[4:5], s[6:7], v[2:3], v[38:39]
	s_mov_b32 s6, 0x3b39803f
	s_mov_b32 s7, 0xbc7abc9e
	v_fmac_f64_e32 v[4:5], s[6:7], v[2:3]
	s_mov_b32 s6, 0x6a5dcb37
	v_mov_b32_e32 v6, 0xfca7ab0c
	v_mov_b32_e32 v7, 0x3e928af3
	s_mov_b32 s7, 0x3e5ade15
	v_fmac_f64_e32 v[6:7], s[6:7], v[4:5]
	v_mov_b32_e32 v14, 0x623fde64
	v_mov_b32_e32 v15, 0x3ec71dee
	v_fmac_f64_e32 v[14:15], v[4:5], v[6:7]
	v_mov_b32_e32 v6, 0x7c89e6b0
	v_mov_b32_e32 v7, 0x3efa0199
	;; [unrolled: 3-line block ×8, first 2 shown]
	s_mov_b32 s6, 0
	v_fmac_f64_e32 v[6:7], v[4:5], v[14:15]
	s_mov_b32 s7, 0x40900000
	v_fma_f64 v[6:7], v[4:5], v[6:7], 1.0
	v_cmp_nlt_f64_e32 vcc, s[6:7], v[38:39]
	s_mov_b32 s6, 0
	v_fma_f64 v[4:5], v[4:5], v[6:7], 1.0
	v_cvt_i32_f64_e32 v2, v[2:3]
	s_mov_b32 s7, 0xc090cc00
	v_ldexp_f64 v[2:3], v[4:5], v2
	v_mov_b32_e32 v4, 0x7ff00000
	v_cmp_ngt_f64_e64 s[6:7], s[6:7], v[38:39]
	v_cndmask_b32_e32 v3, v4, v3, vcc
	s_and_b64 vcc, s[6:7], vcc
	v_cndmask_b32_e64 v3, 0, v3, s[6:7]
	v_cndmask_b32_e32 v2, 0, v2, vcc
	v_add_co_u32_e32 v4, vcc, 0x1000, v8
	v_fma_f64 v[2:3], -v[10:11], v[2:3], v[34:35]
	v_addc_co_u32_e32 v5, vcc, 0, v9, vcc
	global_store_dwordx2 v[4:5], v[2:3], off offset:3072
	s_or_b64 exec, exec, s[8:9]
	s_and_saveexec_b64 s[6:7], s[4:5]
	s_cbranch_execz .LBB225_95
.LBB225_128:
	s_mov_b32 s4, 0x652b82fe
	s_mov_b32 s5, 0x3ff71547
	s_waitcnt vmcnt(4)
	v_mul_f64 v[2:3], v[16:17], s[4:5]
	s_mov_b32 s4, 0xfefa39ef
	v_rndne_f64_e32 v[2:3], v[2:3]
	s_mov_b32 s5, 0xbfe62e42
	v_fma_f64 v[4:5], s[4:5], v[2:3], v[16:17]
	s_mov_b32 s4, 0x3b39803f
	s_mov_b32 s5, 0xbc7abc9e
	v_fmac_f64_e32 v[4:5], s[4:5], v[2:3]
	s_mov_b32 s4, 0x6a5dcb37
	v_mov_b32_e32 v6, 0xfca7ab0c
	v_mov_b32_e32 v7, 0x3e928af3
	s_mov_b32 s5, 0x3e5ade15
	v_fmac_f64_e32 v[6:7], s[4:5], v[4:5]
	v_mov_b32_e32 v14, 0x623fde64
	v_mov_b32_e32 v15, 0x3ec71dee
	v_fmac_f64_e32 v[14:15], v[4:5], v[6:7]
	v_mov_b32_e32 v6, 0x7c89e6b0
	v_mov_b32_e32 v7, 0x3efa0199
	;; [unrolled: 3-line block ×8, first 2 shown]
	s_mov_b32 s4, 0
	v_fmac_f64_e32 v[6:7], v[4:5], v[14:15]
	s_mov_b32 s5, 0x40900000
	v_fma_f64 v[6:7], v[4:5], v[6:7], 1.0
	v_cmp_nlt_f64_e32 vcc, s[4:5], v[16:17]
	s_mov_b32 s4, 0
	v_fma_f64 v[4:5], v[4:5], v[6:7], 1.0
	v_cvt_i32_f64_e32 v2, v[2:3]
	s_mov_b32 s5, 0xc090cc00
	v_ldexp_f64 v[2:3], v[4:5], v2
	v_mov_b32_e32 v4, 0x7ff00000
	v_cmp_ngt_f64_e64 s[4:5], s[4:5], v[16:17]
	v_cndmask_b32_e32 v3, v4, v3, vcc
	s_and_b64 vcc, s[4:5], vcc
	v_cndmask_b32_e64 v3, 0, v3, s[4:5]
	v_cndmask_b32_e32 v2, 0, v2, vcc
	v_add_co_u32_e32 v4, vcc, 0x1000, v8
	v_fma_f64 v[2:3], -v[10:11], v[2:3], v[12:13]
	v_addc_co_u32_e32 v5, vcc, 0, v9, vcc
	global_store_dwordx2 v[4:5], v[2:3], off offset:3328
	s_or_b64 exec, exec, s[6:7]
	s_and_saveexec_b64 s[4:5], s[2:3]
	s_cbranch_execz .LBB225_96
.LBB225_129:
	buffer_load_dword v14, off, s[76:79], 0 offset:40 ; 4-byte Folded Reload
	buffer_load_dword v15, off, s[76:79], 0 offset:44 ; 4-byte Folded Reload
	s_mov_b32 s2, 0x652b82fe
	s_mov_b32 s3, 0x3ff71547
	v_mov_b32_e32 v6, 0xfca7ab0c
	v_mov_b32_e32 v7, 0x3e928af3
	;; [unrolled: 1-line block ×4, first 2 shown]
	s_waitcnt vmcnt(0)
	v_mul_f64 v[2:3], v[14:15], s[2:3]
	s_mov_b32 s2, 0xfefa39ef
	v_rndne_f64_e32 v[2:3], v[2:3]
	s_mov_b32 s3, 0xbfe62e42
	v_fma_f64 v[4:5], s[2:3], v[2:3], v[14:15]
	s_mov_b32 s2, 0x3b39803f
	s_mov_b32 s3, 0xbc7abc9e
	v_fmac_f64_e32 v[4:5], s[2:3], v[2:3]
	s_mov_b32 s2, 0x6a5dcb37
	s_mov_b32 s3, 0x3e5ade15
	v_fmac_f64_e32 v[6:7], s[2:3], v[4:5]
	v_fmac_f64_e32 v[12:13], v[4:5], v[6:7]
	v_mov_b32_e32 v6, 0x7c89e6b0
	v_mov_b32_e32 v7, 0x3efa0199
	v_fmac_f64_e32 v[6:7], v[4:5], v[12:13]
	v_mov_b32_e32 v12, 0x14761f6e
	v_mov_b32_e32 v13, 0x3f2a01a0
	;; [unrolled: 3-line block ×7, first 2 shown]
	s_mov_b32 s2, 0
	v_fmac_f64_e32 v[6:7], v[4:5], v[12:13]
	s_mov_b32 s3, 0x40900000
	v_fma_f64 v[6:7], v[4:5], v[6:7], 1.0
	v_cmp_nlt_f64_e32 vcc, s[2:3], v[14:15]
	s_mov_b32 s2, 0
	v_fma_f64 v[4:5], v[4:5], v[6:7], 1.0
	v_cvt_i32_f64_e32 v2, v[2:3]
	s_mov_b32 s3, 0xc090cc00
	v_ldexp_f64 v[2:3], v[4:5], v2
	v_mov_b32_e32 v4, 0x7ff00000
	v_cmp_ngt_f64_e64 s[2:3], s[2:3], v[14:15]
	v_cndmask_b32_e32 v3, v4, v3, vcc
	s_and_b64 vcc, s[2:3], vcc
	v_cndmask_b32_e64 v3, 0, v3, s[2:3]
	v_cndmask_b32_e32 v2, 0, v2, vcc
	v_add_co_u32_e32 v4, vcc, 0x1000, v8
	v_fma_f64 v[2:3], -v[10:11], v[2:3], v[30:31]
	v_addc_co_u32_e32 v5, vcc, 0, v9, vcc
	global_store_dwordx2 v[4:5], v[2:3], off offset:3584
	s_or_b64 exec, exec, s[4:5]
	s_and_b64 exec, exec, s[0:1]
	s_cbranch_execnz .LBB225_97
	s_branch .LBB225_98
	.section	.rodata,"a",@progbits
	.p2align	6, 0x0
	.amdhsa_kernel _ZN12_GLOBAL__N_121softmax_warp_backwardIdddLi10ELb1ELb0ELi32EEEvPT0_PKT_S5_iiiPKb
		.amdhsa_group_segment_fixed_size 0
		.amdhsa_private_segment_fixed_size 60
		.amdhsa_kernarg_size 304
		.amdhsa_user_sgpr_count 6
		.amdhsa_user_sgpr_private_segment_buffer 1
		.amdhsa_user_sgpr_dispatch_ptr 0
		.amdhsa_user_sgpr_queue_ptr 0
		.amdhsa_user_sgpr_kernarg_segment_ptr 1
		.amdhsa_user_sgpr_dispatch_id 0
		.amdhsa_user_sgpr_flat_scratch_init 0
		.amdhsa_user_sgpr_kernarg_preload_length 0
		.amdhsa_user_sgpr_kernarg_preload_offset 0
		.amdhsa_user_sgpr_private_segment_size 0
		.amdhsa_uses_dynamic_stack 0
		.amdhsa_system_sgpr_private_segment_wavefront_offset 1
		.amdhsa_system_sgpr_workgroup_id_x 1
		.amdhsa_system_sgpr_workgroup_id_y 0
		.amdhsa_system_sgpr_workgroup_id_z 0
		.amdhsa_system_sgpr_workgroup_info 0
		.amdhsa_system_vgpr_workitem_id 1
		.amdhsa_next_free_vgpr 128
		.amdhsa_next_free_sgpr 80
		.amdhsa_accum_offset 128
		.amdhsa_reserve_vcc 1
		.amdhsa_reserve_flat_scratch 0
		.amdhsa_float_round_mode_32 0
		.amdhsa_float_round_mode_16_64 0
		.amdhsa_float_denorm_mode_32 3
		.amdhsa_float_denorm_mode_16_64 3
		.amdhsa_dx10_clamp 1
		.amdhsa_ieee_mode 1
		.amdhsa_fp16_overflow 0
		.amdhsa_tg_split 0
		.amdhsa_exception_fp_ieee_invalid_op 0
		.amdhsa_exception_fp_denorm_src 0
		.amdhsa_exception_fp_ieee_div_zero 0
		.amdhsa_exception_fp_ieee_overflow 0
		.amdhsa_exception_fp_ieee_underflow 0
		.amdhsa_exception_fp_ieee_inexact 0
		.amdhsa_exception_int_div_zero 0
	.end_amdhsa_kernel
	.section	.text._ZN12_GLOBAL__N_121softmax_warp_backwardIdddLi10ELb1ELb0ELi32EEEvPT0_PKT_S5_iiiPKb,"axG",@progbits,_ZN12_GLOBAL__N_121softmax_warp_backwardIdddLi10ELb1ELb0ELi32EEEvPT0_PKT_S5_iiiPKb,comdat
.Lfunc_end225:
	.size	_ZN12_GLOBAL__N_121softmax_warp_backwardIdddLi10ELb1ELb0ELi32EEEvPT0_PKT_S5_iiiPKb, .Lfunc_end225-_ZN12_GLOBAL__N_121softmax_warp_backwardIdddLi10ELb1ELb0ELi32EEEvPT0_PKT_S5_iiiPKb
                                        ; -- End function
	.section	.AMDGPU.csdata,"",@progbits
; Kernel info:
; codeLenInByte = 16732
; NumSgprs: 84
; NumVgprs: 128
; NumAgprs: 0
; TotalNumVgprs: 128
; ScratchSize: 60
; MemoryBound: 0
; FloatMode: 240
; IeeeMode: 1
; LDSByteSize: 0 bytes/workgroup (compile time only)
; SGPRBlocks: 10
; VGPRBlocks: 15
; NumSGPRsForWavesPerEU: 84
; NumVGPRsForWavesPerEU: 128
; AccumOffset: 128
; Occupancy: 4
; WaveLimiterHint : 0
; COMPUTE_PGM_RSRC2:SCRATCH_EN: 1
; COMPUTE_PGM_RSRC2:USER_SGPR: 6
; COMPUTE_PGM_RSRC2:TRAP_HANDLER: 0
; COMPUTE_PGM_RSRC2:TGID_X_EN: 1
; COMPUTE_PGM_RSRC2:TGID_Y_EN: 0
; COMPUTE_PGM_RSRC2:TGID_Z_EN: 0
; COMPUTE_PGM_RSRC2:TIDIG_COMP_CNT: 1
; COMPUTE_PGM_RSRC3_GFX90A:ACCUM_OFFSET: 31
; COMPUTE_PGM_RSRC3_GFX90A:TG_SPLIT: 0
	.section	.text._ZN2at6native12_GLOBAL__N_124cunn_SoftMaxBackwardSmemILi2EdddNS1_26LogSoftMaxBackwardEpilogueEEEvPT0_PKT2_S8_l,"axG",@progbits,_ZN2at6native12_GLOBAL__N_124cunn_SoftMaxBackwardSmemILi2EdddNS1_26LogSoftMaxBackwardEpilogueEEEvPT0_PKT2_S8_l,comdat
	.globl	_ZN2at6native12_GLOBAL__N_124cunn_SoftMaxBackwardSmemILi2EdddNS1_26LogSoftMaxBackwardEpilogueEEEvPT0_PKT2_S8_l ; -- Begin function _ZN2at6native12_GLOBAL__N_124cunn_SoftMaxBackwardSmemILi2EdddNS1_26LogSoftMaxBackwardEpilogueEEEvPT0_PKT2_S8_l
	.p2align	8
	.type	_ZN2at6native12_GLOBAL__N_124cunn_SoftMaxBackwardSmemILi2EdddNS1_26LogSoftMaxBackwardEpilogueEEEvPT0_PKT2_S8_l,@function
_ZN2at6native12_GLOBAL__N_124cunn_SoftMaxBackwardSmemILi2EdddNS1_26LogSoftMaxBackwardEpilogueEEEvPT0_PKT2_S8_l: ; @_ZN2at6native12_GLOBAL__N_124cunn_SoftMaxBackwardSmemILi2EdddNS1_26LogSoftMaxBackwardEpilogueEEEvPT0_PKT2_S8_l
; %bb.0:
	s_load_dwordx8 s[8:15], s[4:5], 0x0
	v_lshlrev_b32_e32 v2, 1, v0
	v_mov_b32_e32 v3, 0
	v_lshl_add_u32 v16, v0, 4, 0
	s_waitcnt lgkmcnt(0)
	s_mul_i32 s0, s6, s15
	s_mul_hi_u32 s1, s6, s14
	s_mul_i32 s2, s6, s14
	s_add_i32 s3, s1, s0
	v_cmp_gt_i64_e32 vcc, s[14:15], v[2:3]
	v_pk_mov_b32 v[2:3], 0, 0
	s_and_saveexec_b64 s[6:7], vcc
	s_cbranch_execz .LBB226_4
; %bb.1:
	s_load_dword s17, s[4:5], 0x2c
	s_lshl_b64 s[0:1], s[2:3], 3
	s_add_u32 s16, s12, s0
	s_addc_u32 s0, s13, s1
	v_lshl_add_u32 v1, v0, 4, 0
	s_waitcnt lgkmcnt(0)
	s_and_b32 s17, s17, 0xffff
	v_add_lshl_u32 v4, v0, s17, 1
	s_lshl_b32 s18, s17, 1
	s_lshl_b32 s19, s17, 4
	s_mov_b64 s[12:13], 0
	v_pk_mov_b32 v[2:3], 0, 0
	v_mov_b32_e32 v8, s0
	v_mov_b32_e32 v6, v0
.LBB226_2:                              ; =>This Inner Loop Header: Depth=1
	v_ashrrev_i32_e32 v7, 31, v6
	v_lshlrev_b64 v[10:11], 4, v[6:7]
	v_add_co_u32_e64 v10, s[0:1], s16, v10
	v_addc_co_u32_e64 v11, s[0:1], v8, v11, s[0:1]
	global_load_dwordx4 v[10:13], v[10:11], off
	v_ashrrev_i32_e32 v5, 31, v4
	v_cmp_le_i64_e64 s[0:1], s[14:15], v[4:5]
	v_add_u32_e32 v6, s17, v6
	v_add_u32_e32 v4, s18, v4
	s_or_b64 s[12:13], s[0:1], s[12:13]
	s_waitcnt vmcnt(0)
	v_add_f64 v[2:3], v[2:3], v[10:11]
	ds_write_b128 v1, v[10:13]
	v_add_u32_e32 v1, s19, v1
	v_add_f64 v[2:3], v[2:3], v[12:13]
	s_andn2_b64 exec, exec, s[12:13]
	s_cbranch_execnz .LBB226_2
; %bb.3:
	s_or_b64 exec, exec, s[12:13]
.LBB226_4:
	s_or_b64 exec, exec, s[6:7]
	v_mbcnt_lo_u32_b32 v1, -1, 0
	v_mbcnt_hi_u32_b32 v10, -1, v1
	v_and_b32_e32 v12, 63, v10
	v_cmp_gt_u32_e64 s[0:1], 32, v12
	v_cndmask_b32_e64 v1, 0, 1, s[0:1]
	v_lshlrev_b32_e32 v1, 5, v1
	v_add_lshl_u32 v1, v1, v10, 2
	ds_bpermute_b32 v4, v1, v2
	ds_bpermute_b32 v5, v1, v3
	v_cmp_gt_u32_e64 s[0:1], 48, v12
	v_cndmask_b32_e64 v6, 0, 1, s[0:1]
	v_cmp_gt_u32_e64 s[0:1], 56, v12
	v_and_b32_e32 v11, 63, v0
	s_waitcnt lgkmcnt(0)
	v_add_f64 v[2:3], v[2:3], v[4:5]
	v_lshlrev_b32_e32 v4, 4, v6
	v_add_lshl_u32 v6, v4, v10, 2
	ds_bpermute_b32 v4, v6, v2
	ds_bpermute_b32 v5, v6, v3
	s_waitcnt lgkmcnt(0)
	s_barrier
	v_add_f64 v[2:3], v[2:3], v[4:5]
	v_cndmask_b32_e64 v4, 0, 1, s[0:1]
	v_lshlrev_b32_e32 v4, 3, v4
	v_add_lshl_u32 v7, v4, v10, 2
	ds_bpermute_b32 v4, v7, v2
	ds_bpermute_b32 v5, v7, v3
	v_cmp_gt_u32_e64 s[0:1], 60, v12
	s_waitcnt lgkmcnt(0)
	v_add_f64 v[2:3], v[2:3], v[4:5]
	v_cndmask_b32_e64 v4, 0, 1, s[0:1]
	v_lshlrev_b32_e32 v4, 2, v4
	v_add_lshl_u32 v8, v4, v10, 2
	ds_bpermute_b32 v4, v8, v2
	ds_bpermute_b32 v5, v8, v3
	v_cmp_gt_u32_e64 s[0:1], 62, v12
	s_waitcnt lgkmcnt(0)
	v_add_f64 v[2:3], v[2:3], v[4:5]
	v_cndmask_b32_e64 v4, 0, 1, s[0:1]
	v_lshlrev_b32_e32 v4, 1, v4
	v_add_lshl_u32 v9, v4, v10, 2
	ds_bpermute_b32 v4, v9, v2
	ds_bpermute_b32 v5, v9, v3
	s_lshl_b32 s0, s14, 3
	s_add_i32 s12, s0, 0
	v_cmp_ne_u32_e64 s[0:1], 63, v12
	s_waitcnt lgkmcnt(0)
	v_add_f64 v[2:3], v[2:3], v[4:5]
	v_addc_co_u32_e64 v4, s[0:1], 0, v10, s[0:1]
	v_lshlrev_b32_e32 v10, 2, v4
	ds_bpermute_b32 v4, v10, v2
	ds_bpermute_b32 v5, v10, v3
	v_cmp_eq_u32_e64 s[0:1], 0, v11
	s_and_saveexec_b64 s[6:7], s[0:1]
	s_cbranch_execz .LBB226_6
; %bb.5:
	v_lshrrev_b32_e32 v12, 3, v0
	v_add_u32_e32 v12, s12, v12
	s_waitcnt lgkmcnt(0)
	v_add_f64 v[2:3], v[2:3], v[4:5]
	ds_write_b64 v12, v[2:3]
.LBB226_6:
	s_or_b64 exec, exec, s[6:7]
	s_waitcnt lgkmcnt(0)
	s_barrier
	s_load_dword s6, s[4:5], 0x2c
	v_pk_mov_b32 v[2:3], 0, 0
	s_waitcnt lgkmcnt(0)
	s_bfe_u32 s0, s6, 0xa0006
	v_cmp_gt_u32_e64 s[0:1], s0, v0
	s_and_saveexec_b64 s[4:5], s[0:1]
	s_cbranch_execnz .LBB226_14
; %bb.7:
	s_or_b64 exec, exec, s[4:5]
	v_cmp_gt_u32_e64 s[0:1], 64, v0
	s_and_saveexec_b64 s[4:5], s[0:1]
	s_cbranch_execnz .LBB226_15
.LBB226_8:
	s_or_b64 exec, exec, s[4:5]
	v_cmp_eq_u32_e64 s[0:1], 0, v0
	s_and_saveexec_b64 s[4:5], s[0:1]
	s_cbranch_execz .LBB226_10
.LBB226_9:
	v_mov_b32_e32 v1, s12
	s_waitcnt lgkmcnt(0)
	ds_write_b64 v1, v[2:3]
.LBB226_10:
	s_or_b64 exec, exec, s[4:5]
	s_waitcnt lgkmcnt(0)
	s_barrier
	s_and_saveexec_b64 s[0:1], vcc
	s_cbranch_execz .LBB226_13
; %bb.11:
	s_and_b32 s33, s6, 0xffff
	s_lshl_b64 s[0:1], s[2:3], 3
	s_add_u32 s42, s8, s0
	v_mov_b32_e32 v1, s12
	s_addc_u32 s2, s9, s1
	ds_read_b64 v[10:11], v1
	s_add_u32 s43, s10, s0
	s_addc_u32 s0, s11, s1
	v_mov_b32_e32 v17, s0
	s_mov_b32 s0, 0xfca7ab0c
	s_mov_b32 s10, 0x652b82fe
	;; [unrolled: 1-line block ×16, first 2 shown]
	v_add_lshl_u32 v12, v0, s33, 1
	s_lshl_b32 s44, s33, 1
	s_lshl_b32 s45, s33, 4
	s_mov_b64 s[8:9], 0
	s_mov_b32 s11, 0x3ff71547
	s_mov_b32 s13, 0xbfe62e42
	;; [unrolled: 1-line block ×4, first 2 shown]
	v_pk_mov_b32 v[14:15], s[0:1], s[0:1] op_sel:[0,1]
	s_mov_b32 s21, 0x3ec71dee
	s_mov_b32 s23, 0x3efa0199
	;; [unrolled: 1-line block ×9, first 2 shown]
	v_mov_b32_e32 v18, 0x7ff00000
	s_mov_b32 s41, 0xc090cc00
	v_mov_b32_e32 v19, s2
.LBB226_12:                             ; =>This Inner Loop Header: Depth=1
	v_ashrrev_i32_e32 v1, 31, v0
	v_lshlrev_b64 v[20:21], 4, v[0:1]
	v_add_co_u32_e32 v2, vcc, s43, v20
	v_addc_co_u32_e32 v3, vcc, v17, v21, vcc
	global_load_dwordx4 v[6:9], v[2:3], off
	v_ashrrev_i32_e32 v13, 31, v12
	v_cmp_le_i64_e32 vcc, s[14:15], v[12:13]
	ds_read_b128 v[2:5], v16
	v_add_co_u32_e64 v20, s[0:1], s42, v20
	v_addc_co_u32_e64 v21, s[0:1], v19, v21, s[0:1]
	v_add_u32_e32 v16, s45, v16
	v_add_u32_e32 v0, s33, v0
	;; [unrolled: 1-line block ×3, first 2 shown]
	s_waitcnt vmcnt(0)
	v_mul_f64 v[22:23], v[6:7], s[10:11]
	v_mul_f64 v[24:25], v[8:9], s[10:11]
	v_rndne_f64_e32 v[22:23], v[22:23]
	v_rndne_f64_e32 v[24:25], v[24:25]
	v_fma_f64 v[26:27], s[12:13], v[22:23], v[6:7]
	v_fma_f64 v[28:29], s[12:13], v[24:25], v[8:9]
	v_fmac_f64_e32 v[26:27], s[16:17], v[22:23]
	v_fmac_f64_e32 v[28:29], s[16:17], v[24:25]
	v_cvt_i32_f64_e32 v1, v[22:23]
	v_cvt_i32_f64_e32 v13, v[24:25]
	v_fma_f64 v[22:23], s[18:19], v[26:27], v[14:15]
	v_fma_f64 v[24:25], s[18:19], v[28:29], v[14:15]
	;; [unrolled: 1-line block ×18, first 2 shown]
	v_fma_f64 v[22:23], v[26:27], v[22:23], 1.0
	v_fma_f64 v[24:25], v[28:29], v[24:25], 1.0
	;; [unrolled: 1-line block ×4, first 2 shown]
	v_ldexp_f64 v[22:23], v[22:23], v1
	v_ldexp_f64 v[24:25], v[24:25], v13
	v_cmp_nlt_f64_e64 s[0:1], s[38:39], v[8:9]
	v_cmp_nlt_f64_e64 s[2:3], s[38:39], v[6:7]
	v_cmp_ngt_f64_e64 s[4:5], s[40:41], v[8:9]
	v_cmp_ngt_f64_e64 s[6:7], s[40:41], v[6:7]
	v_cndmask_b32_e64 v1, v18, v23, s[2:3]
	v_cndmask_b32_e64 v13, v18, v25, s[0:1]
	s_and_b64 s[2:3], s[6:7], s[2:3]
	s_and_b64 s[0:1], s[4:5], s[0:1]
	v_cndmask_b32_e64 v7, 0, v1, s[6:7]
	v_cndmask_b32_e64 v6, 0, v22, s[2:3]
	;; [unrolled: 1-line block ×4, first 2 shown]
	s_waitcnt lgkmcnt(0)
	v_fma_f64 v[2:3], -v[10:11], v[6:7], v[2:3]
	v_fma_f64 v[4:5], -v[10:11], v[8:9], v[4:5]
	s_or_b64 s[8:9], vcc, s[8:9]
	global_store_dwordx4 v[20:21], v[2:5], off
	s_andn2_b64 exec, exec, s[8:9]
	s_cbranch_execnz .LBB226_12
.LBB226_13:
	s_endpgm
.LBB226_14:
	v_lshl_add_u32 v2, v11, 3, s12
	ds_read_b64 v[2:3], v2
	s_or_b64 exec, exec, s[4:5]
	v_cmp_gt_u32_e64 s[0:1], 64, v0
	s_and_saveexec_b64 s[4:5], s[0:1]
	s_cbranch_execz .LBB226_8
.LBB226_15:
	s_waitcnt lgkmcnt(0)
	ds_bpermute_b32 v4, v1, v2
	ds_bpermute_b32 v5, v1, v3
	s_waitcnt lgkmcnt(0)
	v_add_f64 v[2:3], v[2:3], v[4:5]
	ds_bpermute_b32 v4, v6, v2
	ds_bpermute_b32 v5, v6, v3
	s_waitcnt lgkmcnt(0)
	v_add_f64 v[2:3], v[2:3], v[4:5]
	;; [unrolled: 4-line block ×6, first 2 shown]
	s_or_b64 exec, exec, s[4:5]
	v_cmp_eq_u32_e64 s[0:1], 0, v0
	s_and_saveexec_b64 s[4:5], s[0:1]
	s_cbranch_execnz .LBB226_9
	s_branch .LBB226_10
	.section	.rodata,"a",@progbits
	.p2align	6, 0x0
	.amdhsa_kernel _ZN2at6native12_GLOBAL__N_124cunn_SoftMaxBackwardSmemILi2EdddNS1_26LogSoftMaxBackwardEpilogueEEEvPT0_PKT2_S8_l
		.amdhsa_group_segment_fixed_size 0
		.amdhsa_private_segment_fixed_size 0
		.amdhsa_kernarg_size 288
		.amdhsa_user_sgpr_count 6
		.amdhsa_user_sgpr_private_segment_buffer 1
		.amdhsa_user_sgpr_dispatch_ptr 0
		.amdhsa_user_sgpr_queue_ptr 0
		.amdhsa_user_sgpr_kernarg_segment_ptr 1
		.amdhsa_user_sgpr_dispatch_id 0
		.amdhsa_user_sgpr_flat_scratch_init 0
		.amdhsa_user_sgpr_kernarg_preload_length 0
		.amdhsa_user_sgpr_kernarg_preload_offset 0
		.amdhsa_user_sgpr_private_segment_size 0
		.amdhsa_uses_dynamic_stack 0
		.amdhsa_system_sgpr_private_segment_wavefront_offset 0
		.amdhsa_system_sgpr_workgroup_id_x 1
		.amdhsa_system_sgpr_workgroup_id_y 0
		.amdhsa_system_sgpr_workgroup_id_z 0
		.amdhsa_system_sgpr_workgroup_info 0
		.amdhsa_system_vgpr_workitem_id 0
		.amdhsa_next_free_vgpr 30
		.amdhsa_next_free_sgpr 46
		.amdhsa_accum_offset 32
		.amdhsa_reserve_vcc 1
		.amdhsa_reserve_flat_scratch 0
		.amdhsa_float_round_mode_32 0
		.amdhsa_float_round_mode_16_64 0
		.amdhsa_float_denorm_mode_32 3
		.amdhsa_float_denorm_mode_16_64 3
		.amdhsa_dx10_clamp 1
		.amdhsa_ieee_mode 1
		.amdhsa_fp16_overflow 0
		.amdhsa_tg_split 0
		.amdhsa_exception_fp_ieee_invalid_op 0
		.amdhsa_exception_fp_denorm_src 0
		.amdhsa_exception_fp_ieee_div_zero 0
		.amdhsa_exception_fp_ieee_overflow 0
		.amdhsa_exception_fp_ieee_underflow 0
		.amdhsa_exception_fp_ieee_inexact 0
		.amdhsa_exception_int_div_zero 0
	.end_amdhsa_kernel
	.section	.text._ZN2at6native12_GLOBAL__N_124cunn_SoftMaxBackwardSmemILi2EdddNS1_26LogSoftMaxBackwardEpilogueEEEvPT0_PKT2_S8_l,"axG",@progbits,_ZN2at6native12_GLOBAL__N_124cunn_SoftMaxBackwardSmemILi2EdddNS1_26LogSoftMaxBackwardEpilogueEEEvPT0_PKT2_S8_l,comdat
.Lfunc_end226:
	.size	_ZN2at6native12_GLOBAL__N_124cunn_SoftMaxBackwardSmemILi2EdddNS1_26LogSoftMaxBackwardEpilogueEEEvPT0_PKT2_S8_l, .Lfunc_end226-_ZN2at6native12_GLOBAL__N_124cunn_SoftMaxBackwardSmemILi2EdddNS1_26LogSoftMaxBackwardEpilogueEEEvPT0_PKT2_S8_l
                                        ; -- End function
	.section	.AMDGPU.csdata,"",@progbits
; Kernel info:
; codeLenInByte = 1776
; NumSgprs: 50
; NumVgprs: 30
; NumAgprs: 0
; TotalNumVgprs: 30
; ScratchSize: 0
; MemoryBound: 0
; FloatMode: 240
; IeeeMode: 1
; LDSByteSize: 0 bytes/workgroup (compile time only)
; SGPRBlocks: 6
; VGPRBlocks: 3
; NumSGPRsForWavesPerEU: 50
; NumVGPRsForWavesPerEU: 30
; AccumOffset: 32
; Occupancy: 8
; WaveLimiterHint : 0
; COMPUTE_PGM_RSRC2:SCRATCH_EN: 0
; COMPUTE_PGM_RSRC2:USER_SGPR: 6
; COMPUTE_PGM_RSRC2:TRAP_HANDLER: 0
; COMPUTE_PGM_RSRC2:TGID_X_EN: 1
; COMPUTE_PGM_RSRC2:TGID_Y_EN: 0
; COMPUTE_PGM_RSRC2:TGID_Z_EN: 0
; COMPUTE_PGM_RSRC2:TIDIG_COMP_CNT: 0
; COMPUTE_PGM_RSRC3_GFX90A:ACCUM_OFFSET: 7
; COMPUTE_PGM_RSRC3_GFX90A:TG_SPLIT: 0
	.section	.text._ZN2at6native12_GLOBAL__N_120cunn_SoftMaxBackwardILi2EdddNS1_26LogSoftMaxBackwardEpilogueEEEvPT0_PKT2_S8_l,"axG",@progbits,_ZN2at6native12_GLOBAL__N_120cunn_SoftMaxBackwardILi2EdddNS1_26LogSoftMaxBackwardEpilogueEEEvPT0_PKT2_S8_l,comdat
	.globl	_ZN2at6native12_GLOBAL__N_120cunn_SoftMaxBackwardILi2EdddNS1_26LogSoftMaxBackwardEpilogueEEEvPT0_PKT2_S8_l ; -- Begin function _ZN2at6native12_GLOBAL__N_120cunn_SoftMaxBackwardILi2EdddNS1_26LogSoftMaxBackwardEpilogueEEEvPT0_PKT2_S8_l
	.p2align	8
	.type	_ZN2at6native12_GLOBAL__N_120cunn_SoftMaxBackwardILi2EdddNS1_26LogSoftMaxBackwardEpilogueEEEvPT0_PKT2_S8_l,@function
_ZN2at6native12_GLOBAL__N_120cunn_SoftMaxBackwardILi2EdddNS1_26LogSoftMaxBackwardEpilogueEEEvPT0_PKT2_S8_l: ; @_ZN2at6native12_GLOBAL__N_120cunn_SoftMaxBackwardILi2EdddNS1_26LogSoftMaxBackwardEpilogueEEEvPT0_PKT2_S8_l
; %bb.0:
	s_load_dwordx8 s[16:23], s[4:5], 0x0
	v_mov_b32_e32 v2, 0x7ffffffe
	v_mov_b32_e32 v3, 0
	s_waitcnt lgkmcnt(0)
	s_mul_i32 s1, s6, s23
	s_mul_hi_u32 s2, s6, s22
	s_mul_i32 s0, s6, s22
	s_add_i32 s1, s2, s1
	s_lshl_b64 s[30:31], s[0:1], 3
	s_add_u32 s14, s20, s30
	s_addc_u32 s15, s21, s31
	v_cmp_gt_i64_e64 s[0:1], s[22:23], v[2:3]
	s_bitcmp1_b32 s14, 3
	s_cselect_b64 s[2:3], -1, 0
	s_and_b64 vcc, exec, s[0:1]
	s_cbranch_vccz .LBB227_5
; %bb.1:
	v_mov_b32_e32 v1, 0
	s_and_b64 vcc, exec, s[2:3]
	s_cbranch_vccz .LBB227_6
; %bb.2:
	v_cmp_ne_u32_e32 vcc, 0, v0
	v_pk_mov_b32 v[2:3], 0, 0
	s_and_saveexec_b64 s[8:9], vcc
	s_cbranch_execz .LBB227_4
; %bb.3:
	v_lshlrev_b32_e32 v2, 3, v0
	global_load_dwordx2 v[2:3], v2, s[14:15] offset:-8
	s_waitcnt vmcnt(0)
	v_add_f64 v[2:3], v[2:3], 0
.LBB227_4:
	s_or_b64 exec, exec, s[8:9]
	s_load_dword s7, s[4:5], 0x2c
	s_add_u32 s12, s4, 32
	s_addc_u32 s13, s5, 0
	s_waitcnt lgkmcnt(0)
	s_and_b32 s7, s7, 0xffff
	s_sub_u32 s8, s22, s7
	s_subb_u32 s9, s23, 0
	s_add_u32 s8, s8, 1
	s_addc_u32 s9, s9, 0
	s_lshl_b32 s7, s7, 3
	s_add_u32 s7, s14, s7
	s_addc_u32 s11, s15, 0
	s_add_u32 s10, s7, -8
	s_addc_u32 s11, s11, -1
	s_branch .LBB227_8
.LBB227_5:
                                        ; implicit-def: $vgpr2_vgpr3
	s_bfe_u32 s8, s14, 0x10003
	s_mov_b32 s9, 0
	s_cbranch_execnz .LBB227_18
	s_branch .LBB227_33
.LBB227_6:
                                        ; implicit-def: $sgpr10_sgpr11
                                        ; implicit-def: $sgpr8_sgpr9
                                        ; implicit-def: $vgpr2_vgpr3
                                        ; implicit-def: $sgpr12_sgpr13
	s_cbranch_execz .LBB227_8
; %bb.7:
	s_add_u32 s12, s4, 32
	s_addc_u32 s13, s5, 0
	v_pk_mov_b32 v[2:3], 0, 0
	s_mov_b64 s[8:9], s[22:23]
	s_mov_b64 s[10:11], s[14:15]
.LBB227_8:
	s_load_dword s7, s[12:13], 0x0
	v_mov_b32_e32 v4, 0
	s_waitcnt lgkmcnt(0)
	s_cmp_lt_u32 s6, s7
	s_cselect_b32 s7, 12, 18
	s_add_u32 s12, s12, s7
	s_addc_u32 s13, s13, 0
	global_load_ushort v4, v4, s[12:13]
	s_mov_b32 s12, 0
	s_mov_b32 s13, s9
	s_waitcnt vmcnt(0)
	v_readfirstlane_b32 s7, v4
	s_and_b32 s7, 0xffff, s7
	s_lshl_b32 s7, s7, 1
	s_cmp_lg_u64 s[12:13], 0
	v_and_b32_e32 v10, 0xffff, v4
	s_cbranch_scc0 .LBB227_41
; %bb.9:
	v_cvt_f32_u32_e32 v4, s7
	v_mov_b32_e32 v5, 0x4f800000
	s_sub_u32 s24, 0, s7
	s_subb_u32 s25, 0, 0
	v_mac_f32_e32 v4, 0, v5
	v_rcp_f32_e32 v4, v4
	v_mul_f32_e32 v4, 0x5f7ffffc, v4
	v_mul_f32_e32 v5, 0x2f800000, v4
	v_trunc_f32_e32 v5, v5
	v_madmk_f32 v4, v5, 0xcf800000, v4
	v_cvt_u32_f32_e32 v5, v5
	v_cvt_u32_f32_e32 v4, v4
	v_readfirstlane_b32 s26, v5
	v_readfirstlane_b32 s27, v4
	s_mul_i32 s28, s24, s26
	s_mul_hi_u32 s33, s24, s27
	s_mul_i32 s29, s25, s27
	s_add_i32 s28, s33, s28
	s_add_i32 s28, s28, s29
	s_mul_i32 s34, s24, s27
	s_mul_hi_u32 s29, s27, s28
	s_mul_i32 s33, s27, s28
	s_mul_hi_u32 s27, s27, s34
	s_add_u32 s27, s27, s33
	s_addc_u32 s29, 0, s29
	s_mul_hi_u32 s35, s26, s34
	s_mul_i32 s34, s26, s34
	s_add_u32 s27, s27, s34
	s_mul_hi_u32 s33, s26, s28
	s_addc_u32 s27, s29, s35
	s_addc_u32 s29, s33, 0
	s_mul_i32 s28, s26, s28
	s_add_u32 s27, s27, s28
	s_addc_u32 s28, 0, s29
	v_add_co_u32_e32 v4, vcc, s27, v4
	s_cmp_lg_u64 vcc, 0
	s_addc_u32 s26, s26, s28
	v_readfirstlane_b32 s28, v4
	s_mul_i32 s27, s24, s26
	s_mul_hi_u32 s29, s24, s28
	s_add_i32 s27, s29, s27
	s_mul_i32 s25, s25, s28
	s_add_i32 s27, s27, s25
	s_mul_i32 s24, s24, s28
	s_mul_hi_u32 s29, s26, s24
	s_mul_i32 s33, s26, s24
	s_mul_i32 s35, s28, s27
	s_mul_hi_u32 s24, s28, s24
	s_mul_hi_u32 s34, s28, s27
	s_add_u32 s24, s24, s35
	s_addc_u32 s28, 0, s34
	s_add_u32 s24, s24, s33
	s_mul_hi_u32 s25, s26, s27
	s_addc_u32 s24, s28, s29
	s_addc_u32 s25, s25, 0
	s_mul_i32 s27, s26, s27
	s_add_u32 s24, s24, s27
	s_addc_u32 s25, 0, s25
	v_add_co_u32_e32 v4, vcc, s24, v4
	s_cmp_lg_u64 vcc, 0
	s_addc_u32 s24, s26, s25
	v_readfirstlane_b32 s27, v4
	s_mul_i32 s26, s8, s24
	s_mul_hi_u32 s28, s8, s27
	s_mul_hi_u32 s25, s8, s24
	s_add_u32 s26, s28, s26
	s_addc_u32 s25, 0, s25
	s_mul_hi_u32 s29, s9, s27
	s_mul_i32 s27, s9, s27
	s_add_u32 s26, s26, s27
	s_mul_hi_u32 s28, s9, s24
	s_addc_u32 s25, s25, s29
	s_addc_u32 s26, s28, 0
	s_mul_i32 s24, s9, s24
	s_add_u32 s24, s25, s24
	s_addc_u32 s25, 0, s26
	s_mul_hi_u32 s26, s7, s24
	s_mul_i32 s24, s7, s24
	s_mul_i32 s25, s7, s25
	v_mov_b32_e32 v4, s24
	s_add_i32 s26, s26, s25
	v_sub_co_u32_e32 v4, vcc, s8, v4
	s_cmp_lg_u64 vcc, 0
	s_subb_u32 s24, s9, s26
	v_subrev_co_u32_e32 v5, vcc, s7, v4
	s_cmp_lg_u64 vcc, 0
	s_subb_u32 s25, s24, 0
	v_subrev_co_u32_e32 v6, vcc, s7, v5
	s_cmp_lg_u64 vcc, 0
	s_subb_u32 s26, s25, 0
	v_cmp_le_u32_e32 vcc, s7, v5
	s_cmp_eq_u32 s25, 0
	v_cndmask_b32_e64 v7, 0, -1, vcc
	s_cselect_b64 vcc, -1, 0
	v_cndmask_b32_e32 v7, -1, v7, vcc
	v_mov_b32_e32 v8, s25
	v_mov_b32_e32 v9, s26
	v_cmp_ne_u32_e32 vcc, 0, v7
	v_cndmask_b32_e32 v7, v8, v9, vcc
	v_cndmask_b32_e32 v6, v5, v6, vcc
	v_cmp_le_u32_e32 vcc, s7, v4
	s_cmp_eq_u32 s24, 0
	v_cndmask_b32_e64 v5, 0, -1, vcc
	s_cselect_b64 vcc, -1, 0
	v_cndmask_b32_e32 v5, -1, v5, vcc
	v_mov_b32_e32 v8, s24
	v_cmp_ne_u32_e32 vcc, 0, v5
	v_cndmask_b32_e32 v5, v8, v7, vcc
	v_cndmask_b32_e32 v4, v4, v6, vcc
	s_cbranch_execnz .LBB227_11
.LBB227_10:
	v_cvt_f32_u32_e32 v4, s7
	s_sub_i32 s12, 0, s7
	v_rcp_iflag_f32_e32 v4, v4
	v_mul_f32_e32 v4, 0x4f7ffffe, v4
	v_cvt_u32_f32_e32 v4, v4
	v_mul_lo_u32 v5, s12, v4
	v_mul_hi_u32 v5, v4, v5
	v_add_u32_e32 v4, v4, v5
	v_mul_hi_u32 v4, s8, v4
	v_mul_lo_u32 v4, v4, s7
	v_sub_u32_e32 v4, s8, v4
	v_subrev_u32_e32 v5, s7, v4
	v_cmp_le_u32_e32 vcc, s7, v4
	v_cndmask_b32_e32 v4, v4, v5, vcc
	v_subrev_u32_e32 v5, s7, v4
	v_cmp_le_u32_e32 vcc, s7, v4
	v_cndmask_b32_e32 v4, v4, v5, vcc
	v_mov_b32_e32 v5, 0
.LBB227_11:
	v_mov_b32_e32 v6, s9
	v_sub_co_u32_e32 v4, vcc, s8, v4
	v_subb_co_u32_e32 v5, vcc, v6, v5, vcc
	v_lshlrev_b32_e32 v6, 4, v0
	v_mov_b32_e32 v7, s11
	v_add_co_u32_e32 v6, vcc, s10, v6
	v_addc_co_u32_e32 v7, vcc, 0, v7, vcc
	v_add_co_u32_e32 v6, vcc, 8, v6
	v_addc_co_u32_e32 v7, vcc, 0, v7, vcc
	v_lshlrev_b32_e32 v11, 4, v10
	s_mov_b64 s[12:13], 0
	v_pk_mov_b32 v[8:9], v[0:1], v[0:1] op_sel:[0,1]
.LBB227_12:                             ; =>This Inner Loop Header: Depth=1
	global_load_dwordx4 v[12:15], v[6:7], off offset:-8
	v_add_co_u32_e32 v8, vcc, v8, v10
	v_addc_co_u32_e32 v9, vcc, 0, v9, vcc
	v_add_co_u32_e32 v6, vcc, v6, v11
	v_addc_co_u32_e32 v7, vcc, 0, v7, vcc
	v_lshlrev_b64 v[16:17], 1, v[8:9]
	v_cmp_ge_i64_e32 vcc, v[16:17], v[4:5]
	s_or_b64 s[12:13], vcc, s[12:13]
	s_waitcnt vmcnt(0)
	v_add_f64 v[2:3], v[2:3], v[12:13]
	v_add_f64 v[2:3], v[2:3], v[14:15]
	s_andn2_b64 exec, exec, s[12:13]
	s_cbranch_execnz .LBB227_12
; %bb.13:
	s_or_b64 exec, exec, s[12:13]
	v_add_co_u32_e32 v4, vcc, v4, v0
	v_addc_co_u32_e32 v5, vcc, 0, v5, vcc
	v_cmp_gt_i64_e32 vcc, s[8:9], v[4:5]
	s_and_saveexec_b64 s[12:13], vcc
	s_cbranch_execz .LBB227_17
; %bb.14:
	s_mov_b64 s[24:25], 0
	v_mov_b32_e32 v1, s11
.LBB227_15:                             ; =>This Inner Loop Header: Depth=1
	v_lshlrev_b64 v[6:7], 3, v[4:5]
	v_add_co_u32_e32 v6, vcc, s10, v6
	v_addc_co_u32_e32 v7, vcc, v1, v7, vcc
	global_load_dwordx2 v[6:7], v[6:7], off
	v_add_co_u32_e32 v4, vcc, v4, v10
	v_addc_co_u32_e32 v5, vcc, 0, v5, vcc
	v_cmp_le_i64_e32 vcc, s[8:9], v[4:5]
	s_or_b64 s[24:25], vcc, s[24:25]
	s_waitcnt vmcnt(0)
	v_add_f64 v[2:3], v[2:3], v[6:7]
	s_andn2_b64 exec, exec, s[24:25]
	s_cbranch_execnz .LBB227_15
; %bb.16:
	s_or_b64 exec, exec, s[24:25]
.LBB227_17:
	s_or_b64 exec, exec, s[12:13]
	s_bfe_u32 s8, s14, 0x10003
	s_mov_b32 s9, 0
	s_branch .LBB227_33
.LBB227_18:
	s_and_b64 vcc, exec, s[2:3]
	s_cbranch_vccz .LBB227_22
; %bb.19:
	v_cmp_ne_u32_e32 vcc, 0, v0
	v_cmp_ge_i32_e64 s[2:3], s22, v0
	s_and_b64 s[10:11], vcc, s[2:3]
	v_pk_mov_b32 v[2:3], 0, 0
	s_and_saveexec_b64 s[2:3], s[10:11]
	s_cbranch_execz .LBB227_21
; %bb.20:
	v_lshlrev_b32_e32 v1, 3, v0
	global_load_dwordx2 v[2:3], v1, s[14:15] offset:-8
	s_waitcnt vmcnt(0)
	v_add_f64 v[2:3], v[2:3], 0
.LBB227_21:
	s_or_b64 exec, exec, s[2:3]
	s_load_dword s2, s[4:5], 0x2c
	s_add_i32 s3, s22, 1
	s_add_u32 s10, s4, 32
	s_addc_u32 s11, s5, 0
	s_waitcnt lgkmcnt(0)
	s_and_b32 s2, s2, 0xffff
	v_mov_b32_e32 v1, s2
	s_lshl_b32 s2, s2, 3
	s_add_u32 s2, s14, s2
	v_sub_u32_e64 v1, s3, v1 clamp
	s_addc_u32 s3, s15, 0
	s_add_u32 s2, s2, -8
	v_readfirstlane_b32 s7, v1
	s_addc_u32 s3, s3, -1
	s_branch .LBB227_24
.LBB227_22:
                                        ; implicit-def: $sgpr2_sgpr3
                                        ; implicit-def: $sgpr7
                                        ; implicit-def: $vgpr2_vgpr3
                                        ; implicit-def: $sgpr10_sgpr11
	s_cbranch_execz .LBB227_24
; %bb.23:
	s_add_u32 s10, s4, 32
	s_addc_u32 s11, s5, 0
	v_pk_mov_b32 v[2:3], 0, 0
	s_mov_b32 s7, s22
	s_mov_b64 s[2:3], s[14:15]
.LBB227_24:
	s_load_dword s12, s[10:11], 0x0
	v_mov_b32_e32 v1, 0
	s_waitcnt lgkmcnt(0)
	s_cmp_lt_u32 s6, s12
	s_cselect_b32 s12, 12, 18
	s_add_u32 s10, s10, s12
	s_addc_u32 s11, s11, 0
	global_load_ushort v1, v1, s[10:11]
	s_waitcnt vmcnt(0)
	v_readfirstlane_b32 s10, v1
	s_lshl_b32 s10, s10, 1
	v_cvt_f32_u32_e32 v4, s10
	s_sub_i32 s11, 0, s10
	v_rcp_iflag_f32_e32 v4, v4
	v_mul_f32_e32 v4, 0x4f7ffffe, v4
	v_cvt_u32_f32_e32 v4, v4
	v_readfirstlane_b32 s12, v4
	s_mul_i32 s11, s11, s12
	s_mul_hi_u32 s11, s12, s11
	s_add_i32 s12, s12, s11
	s_mul_hi_u32 s11, s7, s12
	s_mul_i32 s11, s11, s10
	s_sub_i32 s11, s7, s11
	s_sub_i32 s12, s11, s10
	s_cmp_ge_u32 s11, s10
	s_cselect_b32 s11, s12, s11
	s_sub_i32 s12, s11, s10
	s_cmp_ge_u32 s11, s10
	s_cselect_b32 s10, s12, s11
	s_sub_i32 s24, s7, s10
	v_lshlrev_b32_e32 v4, 1, v0
	v_cmp_gt_i32_e32 vcc, s24, v4
	s_and_saveexec_b64 s[10:11], vcc
	s_cbranch_execz .LBB227_28
; %bb.25:
	s_mov_b64 s[12:13], 0
	v_mov_b32_e32 v6, s3
	v_mov_b32_e32 v4, v0
.LBB227_26:                             ; =>This Inner Loop Header: Depth=1
	v_ashrrev_i32_e32 v5, 31, v4
	v_lshlrev_b64 v[8:9], 4, v[4:5]
	v_add_co_u32_e32 v8, vcc, s2, v8
	v_addc_co_u32_e32 v9, vcc, v6, v9, vcc
	global_load_dwordx4 v[8:11], v[8:9], off
	v_add_u32_e32 v4, v4, v1
	v_lshlrev_b32_e32 v5, 1, v4
	v_cmp_le_i32_e32 vcc, s24, v5
	s_or_b64 s[12:13], vcc, s[12:13]
	s_waitcnt vmcnt(0)
	v_add_f64 v[2:3], v[2:3], v[8:9]
	v_add_f64 v[2:3], v[2:3], v[10:11]
	s_andn2_b64 exec, exec, s[12:13]
	s_cbranch_execnz .LBB227_26
; %bb.27:
	s_or_b64 exec, exec, s[12:13]
.LBB227_28:
	s_or_b64 exec, exec, s[10:11]
	v_add_u32_e32 v4, s24, v0
	v_cmp_gt_i32_e32 vcc, s7, v4
	s_and_saveexec_b64 s[10:11], vcc
	s_cbranch_execz .LBB227_32
; %bb.29:
	s_mov_b64 s[12:13], 0
	v_mov_b32_e32 v6, s3
.LBB227_30:                             ; =>This Inner Loop Header: Depth=1
	v_ashrrev_i32_e32 v5, 31, v4
	v_lshlrev_b64 v[8:9], 3, v[4:5]
	v_add_co_u32_e32 v8, vcc, s2, v8
	v_addc_co_u32_e32 v9, vcc, v6, v9, vcc
	global_load_dwordx2 v[8:9], v[8:9], off
	v_add_u32_e32 v4, v4, v1
	v_cmp_le_i32_e32 vcc, s7, v4
	s_or_b64 s[12:13], vcc, s[12:13]
	s_waitcnt vmcnt(0)
	v_add_f64 v[2:3], v[2:3], v[8:9]
	s_andn2_b64 exec, exec, s[12:13]
	s_cbranch_execnz .LBB227_30
; %bb.31:
	s_or_b64 exec, exec, s[12:13]
.LBB227_32:
	s_or_b64 exec, exec, s[10:11]
.LBB227_33:
	v_lshl_add_u32 v1, v0, 3, 0
	s_barrier
	ds_write_b64 v1, v[2:3]
	s_waitcnt lgkmcnt(0)
	s_barrier
	s_load_dword s7, s[4:5], 0x2c
	s_add_u32 s24, s4, 32
	s_addc_u32 s25, s5, 0
	s_waitcnt lgkmcnt(0)
	s_bfe_u32 s10, s7, 0xa0006
	s_min_u32 s2, s10, 64
	v_cmp_gt_u32_e32 vcc, s2, v0
	s_and_saveexec_b64 s[2:3], vcc
	s_cbranch_execz .LBB227_35
; %bb.34:
	s_movk_i32 s4, 0x1f8
	v_mad_u32_u24 v2, v0, s4, v1
	ds_read2_b64 v[4:7], v2 offset1:1
	ds_read2_b64 v[8:11], v2 offset0:2 offset1:3
	ds_read2_b64 v[12:15], v2 offset0:4 offset1:5
	ds_read2_b64 v[16:19], v2 offset0:6 offset1:7
	s_waitcnt lgkmcnt(3)
	v_add_f64 v[4:5], v[4:5], 0
	v_add_f64 v[4:5], v[4:5], v[6:7]
	s_waitcnt lgkmcnt(2)
	v_add_f64 v[4:5], v[4:5], v[8:9]
	v_add_f64 v[4:5], v[4:5], v[10:11]
	s_waitcnt lgkmcnt(1)
	v_add_f64 v[8:9], v[4:5], v[12:13]
	ds_read2_b64 v[4:7], v2 offset0:8 offset1:9
	v_add_f64 v[8:9], v[8:9], v[14:15]
	s_waitcnt lgkmcnt(1)
	v_add_f64 v[12:13], v[8:9], v[16:17]
	ds_read2_b64 v[8:11], v2 offset0:10 offset1:11
	;; [unrolled: 4-line block ×25, first 2 shown]
	v_add_f64 v[8:9], v[8:9], v[10:11]
	s_waitcnt lgkmcnt(1)
	v_add_f64 v[8:9], v[8:9], v[12:13]
	v_add_f64 v[12:13], v[8:9], v[14:15]
	ds_read2_b64 v[8:11], v2 offset0:58 offset1:59
	s_waitcnt lgkmcnt(1)
	v_add_f64 v[4:5], v[12:13], v[4:5]
	ds_read2_b64 v[12:15], v2 offset0:60 offset1:61
	v_add_f64 v[6:7], v[4:5], v[6:7]
	ds_read2_b64 v[2:5], v2 offset0:62 offset1:63
	s_waitcnt lgkmcnt(2)
	v_add_f64 v[6:7], v[6:7], v[8:9]
	v_add_f64 v[6:7], v[6:7], v[10:11]
	s_waitcnt lgkmcnt(1)
	v_add_f64 v[6:7], v[6:7], v[12:13]
	v_add_f64 v[6:7], v[6:7], v[14:15]
	;; [unrolled: 3-line block ×3, first 2 shown]
	ds_write_b64 v1, v[2:3]
.LBB227_35:
	s_or_b64 exec, exec, s[2:3]
	s_and_b32 s7, s7, 0xffff
	v_cmp_ne_u32_e64 s[2:3], 0, v0
	v_cmp_eq_u32_e32 vcc, 0, v0
	s_waitcnt lgkmcnt(0)
	s_barrier
	s_and_saveexec_b64 s[4:5], vcc
	s_cbranch_execz .LBB227_46
; %bb.36:
	s_cmp_lt_u32 s7, 64
	v_pk_mov_b32 v[2:3], 0, 0
	s_cbranch_scc1 .LBB227_45
; %bb.37:
	s_add_i32 s11, s10, -1
	s_cmp_lt_u32 s11, 7
	s_cbranch_scc1 .LBB227_42
; %bb.38:
	s_and_b32 s11, s10, 0x3f8
	s_mov_b32 s12, 0
	s_mov_b32 s13, 0
	v_pk_mov_b32 v[2:3], 0, 0
.LBB227_39:                             ; =>This Inner Loop Header: Depth=1
	v_mov_b32_e32 v1, s13
	ds_read2_b64 v[4:7], v1 offset1:1
	ds_read2_b64 v[8:11], v1 offset0:2 offset1:3
	ds_read2_b64 v[12:15], v1 offset0:4 offset1:5
	;; [unrolled: 1-line block ×3, first 2 shown]
	s_add_i32 s12, s12, 8
	s_waitcnt lgkmcnt(3)
	v_add_f64 v[2:3], v[2:3], v[4:5]
	v_add_f64 v[2:3], v[2:3], v[6:7]
	s_waitcnt lgkmcnt(2)
	v_add_f64 v[2:3], v[2:3], v[8:9]
	v_add_f64 v[2:3], v[2:3], v[10:11]
	;; [unrolled: 3-line block ×3, first 2 shown]
	s_add_i32 s13, s13, 64
	s_waitcnt lgkmcnt(0)
	v_add_f64 v[2:3], v[2:3], v[16:17]
	s_cmp_eq_u32 s11, s12
	v_add_f64 v[2:3], v[2:3], v[18:19]
	s_cbranch_scc0 .LBB227_39
; %bb.40:
	s_and_b32 s10, s10, 7
	s_cmp_eq_u32 s10, 0
	s_cbranch_scc0 .LBB227_43
	s_branch .LBB227_45
.LBB227_41:
                                        ; implicit-def: $vgpr4_vgpr5
	s_branch .LBB227_10
.LBB227_42:
	s_mov_b32 s11, 0
	v_pk_mov_b32 v[2:3], 0, 0
	s_and_b32 s10, s10, 7
	s_cmp_eq_u32 s10, 0
	s_cbranch_scc1 .LBB227_45
.LBB227_43:
	s_lshl_b32 s11, s11, 3
	s_add_i32 s11, s11, 0
.LBB227_44:                             ; =>This Inner Loop Header: Depth=1
	v_mov_b32_e32 v1, s11
	ds_read_b64 v[4:5], v1
	s_add_i32 s11, s11, 8
	s_add_i32 s10, s10, -1
	s_cmp_lg_u32 s10, 0
	s_waitcnt lgkmcnt(0)
	v_add_f64 v[2:3], v[2:3], v[4:5]
	s_cbranch_scc1 .LBB227_44
.LBB227_45:
	v_mov_b32_e32 v1, 0
	ds_write_b64 v1, v[2:3]
.LBB227_46:
	s_or_b64 exec, exec, s[4:5]
	s_add_u32 s26, s16, s30
	s_addc_u32 s27, s17, s31
	s_add_u32 s28, s18, s30
	s_mov_b32 s35, 0
	s_addc_u32 s29, s19, s31
	s_bfe_u32 s34, s26, 0x10003
	s_bfe_u32 s4, s28, 0x10003
	s_mov_b32 s5, s35
	v_mov_b32_e32 v1, 0
	s_waitcnt lgkmcnt(0)
	s_barrier
	ds_read_b64 v[10:11], v1
	s_cmp_eq_u64 s[34:35], s[4:5]
	s_cselect_b64 s[4:5], -1, 0
	s_cmp_eq_u64 s[34:35], s[8:9]
	s_cselect_b64 s[8:9], -1, 0
	s_and_b64 s[4:5], s[4:5], s[8:9]
	s_andn2_b64 vcc, exec, s[4:5]
	s_mov_b64 s[4:5], -1
	s_cbranch_vccz .LBB227_65
; %bb.47:
	s_and_b64 vcc, exec, s[0:1]
	s_cbranch_vccz .LBB227_56
; %bb.48:
	s_lshl_b32 s33, s7, 1
	v_cvt_f32_u32_e32 v1, s33
	s_sub_i32 s5, 0, s33
	s_mov_b32 s4, 0
	v_rcp_iflag_f32_e32 v1, v1
	v_mul_f32_e32 v1, 0x4f7ffffe, v1
	v_cvt_u32_f32_e32 v2, v1
	v_mov_b32_e32 v1, 0
	v_readfirstlane_b32 s8, v2
	s_mul_i32 s5, s5, s8
	s_mul_hi_u32 s5, s8, s5
	s_add_i32 s8, s8, s5
	s_mul_hi_u32 s5, s22, s8
	s_mul_i32 s5, s5, s33
	s_sub_i32 s5, s22, s5
	s_sub_i32 s8, s5, s33
	s_cmp_ge_u32 s5, s33
	s_cselect_b32 s5, s8, s5
	s_sub_i32 s8, s5, s33
	s_cmp_ge_u32 s5, s33
	s_cselect_b32 s5, s8, s5
	s_bfe_i64 s[36:37], s[22:23], 0x200000
	s_sub_u32 s38, s36, s5
	s_subb_u32 s39, s37, 0
	v_cmp_gt_i64_e32 vcc, s[38:39], v[0:1]
	v_pk_mov_b32 v[2:3], v[0:1], v[0:1] op_sel:[0,1]
	s_and_saveexec_b64 s[40:41], vcc
	s_cbranch_execz .LBB227_52
; %bb.49:
	s_lshl_b32 s78, s7, 4
	s_lshl_b32 s5, s7, 3
	s_add_u32 s5, s30, s5
	s_addc_u32 s8, s31, 0
	s_add_u32 s79, s18, s5
	s_addc_u32 s80, s19, s8
	;; [unrolled: 2-line block ×4, first 2 shown]
	s_mov_b32 s8, 0xfca7ab0c
	s_mov_b32 s44, 0x652b82fe
	;; [unrolled: 1-line block ×16, first 2 shown]
	v_lshlrev_b64 v[4:5], 3, v[0:1]
	s_mov_b64 s[42:43], 0
	s_mov_b32 s45, 0x3ff71547
	s_mov_b32 s47, 0xbfe62e42
	;; [unrolled: 1-line block ×4, first 2 shown]
	v_pk_mov_b32 v[6:7], s[8:9], s[8:9] op_sel:[0,1]
	s_mov_b32 s53, 0x3ec71dee
	s_mov_b32 s55, 0x3efa0199
	;; [unrolled: 1-line block ×9, first 2 shown]
	v_mov_b32_e32 v18, 0x7ff00000
	s_mov_b32 s71, 0xc090cc00
	v_mov_b32_e32 v19, s4
	s_mov_b64 s[72:73], s[26:27]
	s_mov_b64 s[74:75], s[14:15]
	;; [unrolled: 1-line block ×3, first 2 shown]
	v_pk_mov_b32 v[2:3], v[0:1], v[0:1] op_sel:[0,1]
.LBB227_50:                             ; =>This Inner Loop Header: Depth=1
	v_mov_b32_e32 v1, s77
	v_add_co_u32_e64 v8, s[4:5], s76, v4
	v_mov_b32_e32 v13, s80
	v_add_co_u32_e32 v12, vcc, s79, v4
	v_addc_co_u32_e64 v9, s[4:5], v1, v5, s[4:5]
	v_addc_co_u32_e32 v13, vcc, v13, v5, vcc
	global_load_dwordx2 v[8:9], v[8:9], off
	s_nop 0
	global_load_dwordx2 v[14:15], v[12:13], off
	v_mov_b32_e32 v1, s75
	v_mov_b32_e32 v17, s82
	v_add_co_u32_e32 v16, vcc, s81, v4
	v_add_co_u32_e64 v12, s[4:5], s74, v4
	v_addc_co_u32_e64 v13, s[4:5], v1, v5, s[4:5]
	v_addc_co_u32_e32 v17, vcc, v17, v5, vcc
	global_load_dwordx2 v[12:13], v[12:13], off
	s_nop 0
	global_load_dwordx2 v[16:17], v[16:17], off
	v_add_co_u32_e64 v2, s[4:5], s33, v2
	v_addc_co_u32_e64 v3, s[4:5], v3, v19, s[4:5]
	v_mov_b32_e32 v1, s73
	v_add_co_u32_e64 v22, s[4:5], s72, v4
	v_addc_co_u32_e64 v23, s[4:5], v1, v5, s[4:5]
	v_mov_b32_e32 v21, s84
	v_add_co_u32_e32 v20, vcc, s83, v4
	v_addc_co_u32_e32 v21, vcc, v21, v5, vcc
	v_cmp_le_i64_e32 vcc, s[38:39], v[2:3]
	s_waitcnt vmcnt(3)
	v_mul_f64 v[24:25], v[8:9], s[44:45]
	s_waitcnt vmcnt(2)
	v_mul_f64 v[26:27], v[14:15], s[44:45]
	v_rndne_f64_e32 v[24:25], v[24:25]
	v_rndne_f64_e32 v[26:27], v[26:27]
	v_fma_f64 v[28:29], s[46:47], v[24:25], v[8:9]
	v_fma_f64 v[30:31], s[46:47], v[26:27], v[14:15]
	v_fmac_f64_e32 v[28:29], s[48:49], v[24:25]
	v_fmac_f64_e32 v[30:31], s[48:49], v[26:27]
	v_cvt_i32_f64_e32 v1, v[24:25]
	v_cvt_i32_f64_e32 v32, v[26:27]
	v_fma_f64 v[24:25], s[50:51], v[28:29], v[6:7]
	v_fma_f64 v[26:27], s[50:51], v[30:31], v[6:7]
	;; [unrolled: 1-line block ×18, first 2 shown]
	v_fma_f64 v[24:25], v[28:29], v[24:25], 1.0
	v_fma_f64 v[26:27], v[30:31], v[26:27], 1.0
	;; [unrolled: 1-line block ×4, first 2 shown]
	v_ldexp_f64 v[24:25], v[24:25], v1
	v_ldexp_f64 v[26:27], v[26:27], v32
	v_cmp_nlt_f64_e64 s[4:5], s[68:69], v[14:15]
	v_cmp_nlt_f64_e64 s[8:9], s[68:69], v[8:9]
	v_cmp_ngt_f64_e64 s[10:11], s[70:71], v[14:15]
	v_cmp_ngt_f64_e64 s[12:13], s[70:71], v[8:9]
	v_cndmask_b32_e64 v1, v18, v25, s[8:9]
	v_cndmask_b32_e64 v25, v18, v27, s[4:5]
	s_and_b64 s[8:9], s[12:13], s[8:9]
	s_and_b64 s[4:5], s[10:11], s[4:5]
	s_add_u32 s76, s76, s78
	s_addc_u32 s77, s77, 0
	s_add_u32 s79, s79, s78
	s_addc_u32 s80, s80, 0
	;; [unrolled: 2-line block ×5, first 2 shown]
	s_add_u32 s83, s83, s78
	v_cndmask_b32_e64 v9, 0, v1, s[12:13]
	v_cndmask_b32_e64 v8, 0, v24, s[8:9]
	;; [unrolled: 1-line block ×4, first 2 shown]
	s_addc_u32 s84, s84, 0
	s_waitcnt vmcnt(1) lgkmcnt(0)
	v_fma_f64 v[8:9], -v[10:11], v[8:9], v[12:13]
	s_waitcnt vmcnt(0)
	v_fma_f64 v[12:13], -v[10:11], v[14:15], v[16:17]
	s_or_b64 s[42:43], vcc, s[42:43]
	global_store_dwordx2 v[22:23], v[8:9], off
	global_store_dwordx2 v[20:21], v[12:13], off
	s_andn2_b64 exec, exec, s[42:43]
	s_cbranch_execnz .LBB227_50
; %bb.51:
	s_or_b64 exec, exec, s[42:43]
.LBB227_52:
	s_or_b64 exec, exec, s[40:41]
	v_cmp_gt_i64_e32 vcc, s[36:37], v[2:3]
	s_and_saveexec_b64 s[10:11], vcc
	s_cbranch_execz .LBB227_55
; %bb.53:
	v_lshlrev_b64 v[4:5], 3, v[2:3]
	s_mov_b32 s4, 0
	v_mov_b32_e32 v1, s31
	v_add_co_u32_e32 v4, vcc, s30, v4
	s_mov_b32 s30, 0x652b82fe
	s_mov_b32 s38, 0xfefa39ef
	;; [unrolled: 1-line block ×6, first 2 shown]
	v_addc_co_u32_e32 v1, vcc, v1, v5, vcc
	s_lshl_b32 s33, s7, 3
	s_mov_b64 s[12:13], 0
	v_mov_b32_e32 v5, s21
	v_mov_b32_e32 v26, s19
	s_mov_b32 s31, 0x3ff71547
	s_mov_b32 s39, 0xbfe62e42
	;; [unrolled: 1-line block ×3, first 2 shown]
	v_mov_b32_e32 v6, 0xfca7ab0c
	v_mov_b32_e32 v7, 0x3e928af3
	s_mov_b32 s43, 0x3e5ade15
	v_mov_b32_e32 v8, 0x623fde64
	v_mov_b32_e32 v9, 0x3ec71dee
	v_mov_b32_e32 v12, 0x7c89e6b0
	v_mov_b32_e32 v13, 0x3efa0199
	v_mov_b32_e32 v14, 0x14761f6e
	v_mov_b32_e32 v15, 0x3f2a01a0
	v_mov_b32_e32 v16, 0x1852b7b0
	v_mov_b32_e32 v17, 0x3f56c16c
	v_mov_b32_e32 v18, 0x11122322
	v_mov_b32_e32 v19, 0x3f811111
	v_mov_b32_e32 v20, 0x555502a1
	v_mov_b32_e32 v21, 0x3fa55555
	v_mov_b32_e32 v22, 0x55555511
	v_mov_b32_e32 v23, 0x3fc55555
	v_mov_b32_e32 v24, 11
	v_mov_b32_e32 v25, 0x3fe00000
	s_mov_b32 s45, 0x40900000
	v_mov_b32_e32 v27, 0x7ff00000
	s_mov_b32 s47, 0xc090cc00
	v_mov_b32_e32 v28, s17
	v_mov_b32_e32 v29, s4
	;; [unrolled: 1-line block ×3, first 2 shown]
.LBB227_54:                             ; =>This Inner Loop Header: Depth=1
	v_add_co_u32_e32 v32, vcc, s18, v4
	v_addc_co_u32_e32 v33, vcc, v26, v1, vcc
	global_load_dwordx2 v[32:33], v[32:33], off
	v_add_co_u32_e32 v34, vcc, s20, v4
	v_addc_co_u32_e32 v35, vcc, v5, v1, vcc
	global_load_dwordx2 v[34:35], v[34:35], off
	v_add_co_u32_e32 v36, vcc, s16, v4
	v_addc_co_u32_e32 v37, vcc, v28, v1, vcc
	v_add_co_u32_e32 v2, vcc, s7, v2
	v_addc_co_u32_e32 v3, vcc, v3, v29, vcc
	;; [unrolled: 2-line block ×3, first 2 shown]
	v_cmp_le_i64_e32 vcc, s[36:37], v[2:3]
	s_waitcnt vmcnt(1)
	v_mul_f64 v[38:39], v[32:33], s[30:31]
	v_rndne_f64_e32 v[38:39], v[38:39]
	v_fma_f64 v[40:41], s[38:39], v[38:39], v[32:33]
	v_fmac_f64_e32 v[40:41], s[40:41], v[38:39]
	v_cvt_i32_f64_e32 v31, v[38:39]
	v_fma_f64 v[38:39], s[42:43], v[40:41], v[6:7]
	v_fma_f64 v[38:39], v[40:41], v[38:39], v[8:9]
	;; [unrolled: 1-line block ×9, first 2 shown]
	v_fma_f64 v[38:39], v[40:41], v[38:39], 1.0
	v_fma_f64 v[38:39], v[40:41], v[38:39], 1.0
	v_ldexp_f64 v[38:39], v[38:39], v31
	v_cmp_nlt_f64_e64 s[4:5], s[44:45], v[32:33]
	v_cmp_ngt_f64_e64 s[8:9], s[46:47], v[32:33]
	v_cndmask_b32_e64 v31, v27, v39, s[4:5]
	s_and_b64 s[4:5], s[8:9], s[4:5]
	v_cndmask_b32_e64 v33, 0, v31, s[8:9]
	v_cndmask_b32_e64 v32, 0, v38, s[4:5]
	s_waitcnt vmcnt(0) lgkmcnt(0)
	v_fma_f64 v[32:33], -v[10:11], v[32:33], v[34:35]
	s_or_b64 s[12:13], vcc, s[12:13]
	global_store_dwordx2 v[36:37], v[32:33], off
	s_andn2_b64 exec, exec, s[12:13]
	s_cbranch_execnz .LBB227_54
.LBB227_55:
	s_or_b64 exec, exec, s[10:11]
	s_mov_b64 s[4:5], 0
.LBB227_56:
	s_and_b64 vcc, exec, s[4:5]
	s_cbranch_vccz .LBB227_92
; %bb.57:
	s_lshl_b32 s4, s7, 1
	v_cvt_f32_u32_e32 v1, s4
	s_sub_i32 s5, 0, s4
	v_mov_b32_e32 v2, v0
	v_rcp_iflag_f32_e32 v1, v1
	v_mul_f32_e32 v1, 0x4f7ffffe, v1
	v_cvt_u32_f32_e32 v1, v1
	v_readfirstlane_b32 s8, v1
	s_mul_i32 s5, s5, s8
	s_mul_hi_u32 s5, s8, s5
	s_add_i32 s8, s8, s5
	s_mul_hi_u32 s5, s22, s8
	s_mul_i32 s5, s5, s4
	s_sub_i32 s5, s22, s5
	s_sub_i32 s8, s5, s4
	s_cmp_ge_u32 s5, s4
	s_cselect_b32 s5, s8, s5
	s_sub_i32 s8, s5, s4
	s_cmp_ge_u32 s5, s4
	s_cselect_b32 s4, s8, s5
	s_sub_i32 s33, s22, s4
	v_cmp_gt_i32_e32 vcc, s33, v0
	s_and_saveexec_b64 s[12:13], vcc
	s_cbranch_execz .LBB227_61
; %bb.58:
	s_mov_b32 s4, 0xfca7ab0c
	s_mov_b32 s18, 0x652b82fe
	s_mov_b32 s20, 0xfefa39ef
	s_mov_b32 s30, 0x3b39803f
	s_mov_b32 s5, 0x3e928af3
	s_mov_b32 s36, 0x6a5dcb37
	s_mov_b32 s38, 0x623fde64
	s_mov_b32 s40, 0x7c89e6b0
	s_mov_b32 s42, 0x14761f6e
	s_mov_b32 s44, 0x1852b7b0
	s_mov_b32 s46, 0x11122322
	s_mov_b32 s48, 0x555502a1
	s_mov_b32 s50, 0x55555511
	s_mov_b32 s52, 11
	s_mov_b32 s54, 0
	s_mov_b32 s56, 0
	s_mov_b64 s[16:17], 0
	v_mov_b32_e32 v1, s29
	v_mov_b32_e32 v6, s15
	s_mov_b32 s19, 0x3ff71547
	s_mov_b32 s21, 0xbfe62e42
	;; [unrolled: 1-line block ×4, first 2 shown]
	v_pk_mov_b32 v[4:5], s[4:5], s[4:5] op_sel:[0,1]
	s_mov_b32 s39, 0x3ec71dee
	s_mov_b32 s41, 0x3efa0199
	;; [unrolled: 1-line block ×9, first 2 shown]
	v_mov_b32_e32 v7, 0x7ff00000
	s_mov_b32 s57, 0xc090cc00
	v_mov_b32_e32 v8, s27
	v_mov_b32_e32 v3, 0
	;; [unrolled: 1-line block ×3, first 2 shown]
.LBB227_59:                             ; =>This Inner Loop Header: Depth=1
	v_lshlrev_b64 v[12:13], 3, v[2:3]
	v_add_u32_e32 v2, s7, v2
	v_add_co_u32_e32 v14, vcc, s28, v12
	v_addc_co_u32_e32 v15, vcc, v1, v13, vcc
	v_lshlrev_b64 v[16:17], 3, v[2:3]
	v_add_co_u32_e32 v18, vcc, s28, v16
	global_load_dwordx2 v[14:15], v[14:15], off
	v_addc_co_u32_e32 v19, vcc, v1, v17, vcc
	global_load_dwordx2 v[18:19], v[18:19], off
	v_add_co_u32_e32 v20, vcc, s14, v12
	v_addc_co_u32_e32 v21, vcc, v6, v13, vcc
	v_add_co_u32_e32 v22, vcc, s14, v16
	global_load_dwordx2 v[20:21], v[20:21], off
	v_addc_co_u32_e32 v23, vcc, v6, v17, vcc
	global_load_dwordx2 v[22:23], v[22:23], off
	v_add_co_u32_e32 v12, vcc, s26, v12
	v_addc_co_u32_e32 v13, vcc, v8, v13, vcc
	v_add_co_u32_e32 v16, vcc, s26, v16
	v_add_u32_e32 v2, s7, v2
	v_addc_co_u32_e32 v17, vcc, v8, v17, vcc
	v_cmp_le_i32_e32 vcc, s33, v2
	s_waitcnt vmcnt(3)
	v_mul_f64 v[24:25], v[14:15], s[18:19]
	v_rndne_f64_e32 v[24:25], v[24:25]
	v_fma_f64 v[28:29], s[20:21], v[24:25], v[14:15]
	s_waitcnt vmcnt(2)
	v_mul_f64 v[26:27], v[18:19], s[18:19]
	v_rndne_f64_e32 v[26:27], v[26:27]
	v_cvt_i32_f64_e32 v9, v[24:25]
	v_fmac_f64_e32 v[28:29], s[30:31], v[24:25]
	v_fma_f64 v[24:25], s[20:21], v[26:27], v[18:19]
	v_fma_f64 v[30:31], s[36:37], v[28:29], v[4:5]
	v_fmac_f64_e32 v[24:25], s[30:31], v[26:27]
	v_cvt_i32_f64_e32 v32, v[26:27]
	v_fma_f64 v[26:27], v[28:29], v[30:31], s[38:39]
	v_fma_f64 v[30:31], s[36:37], v[24:25], v[4:5]
	;; [unrolled: 1-line block ×16, first 2 shown]
	v_fma_f64 v[26:27], v[28:29], v[26:27], 1.0
	v_fma_f64 v[30:31], v[24:25], v[30:31], s[52:53]
	v_fma_f64 v[26:27], v[28:29], v[26:27], 1.0
	v_fma_f64 v[28:29], v[24:25], v[30:31], 1.0
	v_ldexp_f64 v[26:27], v[26:27], v9
	v_fma_f64 v[24:25], v[24:25], v[28:29], 1.0
	v_cmp_nlt_f64_e64 s[4:5], s[54:55], v[14:15]
	v_cmp_ngt_f64_e64 s[10:11], s[56:57], v[14:15]
	v_cndmask_b32_e64 v9, v7, v27, s[4:5]
	v_ldexp_f64 v[24:25], v[24:25], v32
	v_cmp_nlt_f64_e64 s[8:9], s[54:55], v[18:19]
	s_and_b64 s[4:5], s[10:11], s[4:5]
	v_cndmask_b32_e64 v15, 0, v9, s[10:11]
	v_cndmask_b32_e64 v14, 0, v26, s[4:5]
	;; [unrolled: 1-line block ×3, first 2 shown]
	v_cmp_ngt_f64_e64 s[4:5], s[56:57], v[18:19]
	v_cndmask_b32_e64 v19, 0, v9, s[4:5]
	s_and_b64 s[4:5], s[4:5], s[8:9]
	s_waitcnt vmcnt(1) lgkmcnt(0)
	v_fma_f64 v[14:15], -v[10:11], v[14:15], v[20:21]
	v_cndmask_b32_e64 v18, 0, v24, s[4:5]
	global_store_dwordx2 v[12:13], v[14:15], off
	s_waitcnt vmcnt(1)
	v_fma_f64 v[12:13], -v[10:11], v[18:19], v[22:23]
	s_or_b64 s[16:17], vcc, s[16:17]
	global_store_dwordx2 v[16:17], v[12:13], off
	s_andn2_b64 exec, exec, s[16:17]
	s_cbranch_execnz .LBB227_59
; %bb.60:
	s_or_b64 exec, exec, s[16:17]
.LBB227_61:
	s_or_b64 exec, exec, s[12:13]
	v_cmp_gt_i32_e32 vcc, s22, v2
	s_and_saveexec_b64 s[10:11], vcc
	s_cbranch_execz .LBB227_64
; %bb.62:
	s_mov_b32 s16, 0x652b82fe
	s_mov_b32 s18, 0xfefa39ef
	;; [unrolled: 1-line block ×6, first 2 shown]
	s_mov_b64 s[12:13], 0
	v_mov_b32_e32 v1, s15
	v_mov_b32_e32 v24, s29
	s_mov_b32 s17, 0x3ff71547
	s_mov_b32 s19, 0xbfe62e42
	;; [unrolled: 1-line block ×3, first 2 shown]
	v_mov_b32_e32 v4, 0xfca7ab0c
	v_mov_b32_e32 v5, 0x3e928af3
	s_mov_b32 s31, 0x3e5ade15
	v_mov_b32_e32 v6, 0x623fde64
	v_mov_b32_e32 v7, 0x3ec71dee
	;; [unrolled: 1-line block ×16, first 2 shown]
	s_mov_b32 s37, 0x40900000
	v_mov_b32_e32 v25, 0x7ff00000
	s_mov_b32 s39, 0xc090cc00
	v_mov_b32_e32 v26, s27
.LBB227_63:                             ; =>This Inner Loop Header: Depth=1
	v_ashrrev_i32_e32 v3, 31, v2
	v_lshlrev_b64 v[28:29], 3, v[2:3]
	v_add_co_u32_e32 v30, vcc, s28, v28
	v_addc_co_u32_e32 v31, vcc, v24, v29, vcc
	global_load_dwordx2 v[30:31], v[30:31], off
	v_add_co_u32_e32 v32, vcc, s14, v28
	v_addc_co_u32_e32 v33, vcc, v1, v29, vcc
	global_load_dwordx2 v[32:33], v[32:33], off
	v_add_co_u32_e32 v28, vcc, s26, v28
	v_add_u32_e32 v2, s7, v2
	v_addc_co_u32_e32 v29, vcc, v26, v29, vcc
	v_cmp_le_i32_e32 vcc, s22, v2
	s_waitcnt vmcnt(1)
	v_mul_f64 v[34:35], v[30:31], s[16:17]
	v_rndne_f64_e32 v[34:35], v[34:35]
	v_fma_f64 v[36:37], s[18:19], v[34:35], v[30:31]
	v_fmac_f64_e32 v[36:37], s[20:21], v[34:35]
	v_cvt_i32_f64_e32 v3, v[34:35]
	v_fma_f64 v[34:35], s[30:31], v[36:37], v[4:5]
	v_fma_f64 v[34:35], v[36:37], v[34:35], v[6:7]
	;; [unrolled: 1-line block ×9, first 2 shown]
	v_fma_f64 v[34:35], v[36:37], v[34:35], 1.0
	v_fma_f64 v[34:35], v[36:37], v[34:35], 1.0
	v_ldexp_f64 v[34:35], v[34:35], v3
	v_cmp_nlt_f64_e64 s[4:5], s[36:37], v[30:31]
	v_cmp_ngt_f64_e64 s[8:9], s[38:39], v[30:31]
	v_cndmask_b32_e64 v3, v25, v35, s[4:5]
	s_and_b64 s[4:5], s[8:9], s[4:5]
	v_cndmask_b32_e64 v31, 0, v3, s[8:9]
	v_cndmask_b32_e64 v30, 0, v34, s[4:5]
	s_waitcnt vmcnt(0) lgkmcnt(0)
	v_fma_f64 v[30:31], -v[10:11], v[30:31], v[32:33]
	s_or_b64 s[12:13], vcc, s[12:13]
	global_store_dwordx2 v[28:29], v[30:31], off
	s_andn2_b64 exec, exec, s[12:13]
	s_cbranch_execnz .LBB227_63
.LBB227_64:
	s_or_b64 exec, exec, s[10:11]
	s_mov_b64 s[4:5], 0
.LBB227_65:
	s_andn2_b64 vcc, exec, s[4:5]
	s_cbranch_vccnz .LBB227_93
.LBB227_66:
	s_cmp_lg_u64 s[34:35], 0
	s_cselect_b64 s[8:9], -1, 0
	v_cndmask_b32_e64 v1, 0, 1, s[8:9]
	s_mov_b64 s[4:5], -1
	s_and_b64 vcc, exec, s[0:1]
	v_cmp_ne_u32_e64 s[0:1], 1, v1
	s_cbranch_vccz .LBB227_81
; %bb.67:
	v_mov_b32_e32 v1, 0
	s_and_b64 vcc, exec, s[0:1]
	s_mov_b64 s[16:17], s[22:23]
	s_mov_b64 s[18:19], s[26:27]
	;; [unrolled: 1-line block ×4, first 2 shown]
	s_cbranch_vccnz .LBB227_71
; %bb.68:
	s_and_saveexec_b64 s[8:9], s[2:3]
	s_cbranch_execz .LBB227_70
; %bb.69:
	v_lshlrev_b64 v[2:3], 3, v[0:1]
	v_mov_b32_e32 v5, s29
	v_add_co_u32_e32 v4, vcc, s28, v2
	v_addc_co_u32_e32 v5, vcc, v5, v3, vcc
	global_load_dwordx2 v[4:5], v[4:5], off offset:-8
	v_mov_b32_e32 v7, s15
	v_add_co_u32_e32 v6, vcc, s14, v2
	v_addc_co_u32_e32 v7, vcc, v7, v3, vcc
	global_load_dwordx2 v[6:7], v[6:7], off offset:-8
	s_mov_b32 s4, 0x652b82fe
	s_mov_b32 s5, 0x3ff71547
	;; [unrolled: 1-line block ×7, first 2 shown]
	v_mov_b32_e32 v8, 0xfca7ab0c
	v_mov_b32_e32 v9, 0x3e928af3
	s_mov_b32 s17, 0x3e5ade15
	v_mov_b32_e32 v12, 0x623fde64
	v_mov_b32_e32 v13, 0x3ec71dee
	;; [unrolled: 1-line block ×16, first 2 shown]
	s_mov_b32 s18, 0
	s_mov_b32 s20, 0
	;; [unrolled: 1-line block ×4, first 2 shown]
	v_mov_b32_e32 v32, 0x7ff00000
	v_mov_b32_e32 v33, s27
	s_waitcnt vmcnt(1)
	v_mul_f64 v[28:29], v[4:5], s[4:5]
	v_rndne_f64_e32 v[28:29], v[28:29]
	v_fma_f64 v[30:31], s[10:11], v[28:29], v[4:5]
	v_fmac_f64_e32 v[30:31], s[12:13], v[28:29]
	v_fmac_f64_e32 v[8:9], s[16:17], v[30:31]
	;; [unrolled: 1-line block ×10, first 2 shown]
	v_fma_f64 v[8:9], v[30:31], v[26:27], 1.0
	v_cvt_i32_f64_e32 v34, v[28:29]
	v_fma_f64 v[8:9], v[30:31], v[8:9], 1.0
	v_ldexp_f64 v[8:9], v[8:9], v34
	v_cmp_nlt_f64_e32 vcc, s[18:19], v[4:5]
	v_cmp_ngt_f64_e64 s[4:5], s[20:21], v[4:5]
	v_cndmask_b32_e32 v9, v32, v9, vcc
	s_and_b64 vcc, s[4:5], vcc
	v_cndmask_b32_e64 v5, 0, v9, s[4:5]
	v_cndmask_b32_e32 v4, 0, v8, vcc
	v_add_co_u32_e32 v2, vcc, s26, v2
	s_waitcnt vmcnt(0) lgkmcnt(0)
	v_fma_f64 v[4:5], -v[10:11], v[4:5], v[6:7]
	v_addc_co_u32_e32 v3, vcc, v33, v3, vcc
	global_store_dwordx2 v[2:3], v[4:5], off offset:-8
.LBB227_70:
	s_or_b64 exec, exec, s[8:9]
	s_sub_u32 s4, s22, s7
	s_subb_u32 s5, s23, 0
	s_add_u32 s16, s4, 1
	s_addc_u32 s17, s5, 0
	s_lshl_b32 s4, s7, 3
	s_add_u32 s5, s26, s4
	s_addc_u32 s8, s27, 0
	s_add_u32 s18, s5, -8
	s_addc_u32 s19, s8, -1
	s_add_u32 s5, s28, s4
	s_addc_u32 s8, s29, 0
	s_add_u32 s20, s5, -8
	s_addc_u32 s21, s8, -1
	;; [unrolled: 4-line block ×3, first 2 shown]
.LBB227_71:
	s_load_dword s4, s[24:25], 0x0
	v_mov_b32_e32 v2, 0
	s_waitcnt lgkmcnt(0)
	s_cmp_lt_u32 s6, s4
	s_cselect_b32 s4, 12, 18
	s_add_u32 s4, s24, s4
	s_addc_u32 s5, s25, 0
	global_load_ushort v4, v2, s[4:5]
	s_mov_b32 s4, 0
	s_waitcnt vmcnt(0)
	v_readfirstlane_b32 s5, v4
	s_and_b32 s5, 0xffff, s5
	s_lshl_b32 s8, s5, 1
	s_mov_b32 s5, s17
	s_cmp_lg_u64 s[4:5], 0
	s_cbranch_scc0 .LBB227_94
; %bb.72:
	v_cvt_f32_u32_e32 v2, s8
	v_mov_b32_e32 v3, 0x4f800000
	s_sub_u32 s9, 0, s8
	s_subb_u32 s10, 0, 0
	v_mac_f32_e32 v2, 0, v3
	v_rcp_f32_e32 v2, v2
	v_mul_f32_e32 v2, 0x5f7ffffc, v2
	v_mul_f32_e32 v3, 0x2f800000, v2
	v_trunc_f32_e32 v3, v3
	v_madmk_f32 v2, v3, 0xcf800000, v2
	v_cvt_u32_f32_e32 v3, v3
	v_cvt_u32_f32_e32 v2, v2
	v_readfirstlane_b32 s11, v3
	v_readfirstlane_b32 s12, v2
	s_mul_i32 s13, s9, s11
	s_mul_hi_u32 s33, s9, s12
	s_mul_i32 s23, s10, s12
	s_add_i32 s13, s33, s13
	s_add_i32 s13, s13, s23
	s_mul_i32 s34, s9, s12
	s_mul_hi_u32 s23, s12, s13
	s_mul_i32 s33, s12, s13
	s_mul_hi_u32 s12, s12, s34
	s_add_u32 s12, s12, s33
	s_addc_u32 s23, 0, s23
	s_mul_hi_u32 s35, s11, s34
	s_mul_i32 s34, s11, s34
	s_add_u32 s12, s12, s34
	s_mul_hi_u32 s33, s11, s13
	s_addc_u32 s12, s23, s35
	s_addc_u32 s23, s33, 0
	s_mul_i32 s13, s11, s13
	s_add_u32 s12, s12, s13
	s_addc_u32 s13, 0, s23
	v_add_co_u32_e32 v2, vcc, s12, v2
	s_cmp_lg_u64 vcc, 0
	s_addc_u32 s11, s11, s13
	v_readfirstlane_b32 s13, v2
	s_mul_i32 s12, s9, s11
	s_mul_hi_u32 s23, s9, s13
	s_add_i32 s12, s23, s12
	s_mul_i32 s10, s10, s13
	s_add_i32 s12, s12, s10
	s_mul_i32 s9, s9, s13
	s_mul_hi_u32 s23, s11, s9
	s_mul_i32 s33, s11, s9
	s_mul_i32 s35, s13, s12
	s_mul_hi_u32 s9, s13, s9
	s_mul_hi_u32 s34, s13, s12
	s_add_u32 s9, s9, s35
	s_addc_u32 s13, 0, s34
	s_add_u32 s9, s9, s33
	s_mul_hi_u32 s10, s11, s12
	s_addc_u32 s9, s13, s23
	s_addc_u32 s10, s10, 0
	s_mul_i32 s12, s11, s12
	s_add_u32 s9, s9, s12
	s_addc_u32 s10, 0, s10
	v_add_co_u32_e32 v2, vcc, s9, v2
	s_cmp_lg_u64 vcc, 0
	s_addc_u32 s9, s11, s10
	v_readfirstlane_b32 s12, v2
	s_mul_i32 s11, s16, s9
	s_mul_hi_u32 s13, s16, s12
	s_mul_hi_u32 s10, s16, s9
	s_add_u32 s11, s13, s11
	s_addc_u32 s10, 0, s10
	s_mul_hi_u32 s23, s17, s12
	s_mul_i32 s12, s17, s12
	s_add_u32 s11, s11, s12
	s_mul_hi_u32 s13, s17, s9
	s_addc_u32 s10, s10, s23
	s_addc_u32 s11, s13, 0
	s_mul_i32 s9, s17, s9
	s_add_u32 s9, s10, s9
	s_addc_u32 s10, 0, s11
	s_mul_hi_u32 s11, s8, s9
	s_mul_i32 s9, s8, s9
	s_mul_i32 s10, s8, s10
	v_mov_b32_e32 v2, s9
	s_add_i32 s11, s11, s10
	v_sub_co_u32_e32 v2, vcc, s16, v2
	s_cmp_lg_u64 vcc, 0
	s_subb_u32 s9, s17, s11
	v_subrev_co_u32_e32 v3, vcc, s8, v2
	s_cmp_lg_u64 vcc, 0
	s_subb_u32 s10, s9, 0
	v_subrev_co_u32_e32 v5, vcc, s8, v3
	s_cmp_lg_u64 vcc, 0
	s_subb_u32 s11, s10, 0
	v_cmp_le_u32_e32 vcc, s8, v3
	s_cmp_eq_u32 s10, 0
	v_cndmask_b32_e64 v6, 0, -1, vcc
	s_cselect_b64 vcc, -1, 0
	v_cndmask_b32_e32 v6, -1, v6, vcc
	v_mov_b32_e32 v7, s10
	v_mov_b32_e32 v8, s11
	v_cmp_ne_u32_e32 vcc, 0, v6
	v_cndmask_b32_e32 v6, v7, v8, vcc
	v_cndmask_b32_e32 v5, v3, v5, vcc
	v_cmp_le_u32_e32 vcc, s8, v2
	s_cmp_eq_u32 s9, 0
	v_cndmask_b32_e64 v3, 0, -1, vcc
	s_cselect_b64 vcc, -1, 0
	v_cndmask_b32_e32 v3, -1, v3, vcc
	v_mov_b32_e32 v7, s9
	v_cmp_ne_u32_e32 vcc, 0, v3
	v_cndmask_b32_e32 v3, v7, v6, vcc
	v_cndmask_b32_e32 v2, v2, v5, vcc
	v_and_b32_e32 v24, 0xffff, v4
	s_cbranch_execnz .LBB227_74
.LBB227_73:
	v_cvt_f32_u32_e32 v2, s8
	s_sub_i32 s4, 0, s8
	v_rcp_iflag_f32_e32 v2, v2
	v_mul_f32_e32 v2, 0x4f7ffffe, v2
	v_cvt_u32_f32_e32 v2, v2
	v_mul_lo_u32 v3, s4, v2
	v_mul_hi_u32 v3, v2, v3
	v_add_u32_e32 v2, v2, v3
	v_mul_hi_u32 v2, s16, v2
	v_mul_lo_u32 v2, v2, s8
	v_sub_u32_e32 v2, s16, v2
	v_subrev_u32_e32 v3, s8, v2
	v_cmp_le_u32_e32 vcc, s8, v2
	v_cndmask_b32_e32 v2, v2, v3, vcc
	v_subrev_u32_e32 v3, s8, v2
	v_cmp_le_u32_e32 vcc, s8, v2
	v_cndmask_b32_e32 v2, v2, v3, vcc
	v_mov_b32_e32 v3, 0
.LBB227_74:
	v_mov_b32_e32 v4, s17
	v_sub_co_u32_e32 v12, vcc, s16, v2
	v_subb_co_u32_e32 v13, vcc, v4, v3, vcc
	v_lshlrev_b64 v[2:3], 1, v[0:1]
	v_cmp_lt_u64_e32 vcc, v[2:3], v[12:13]
	s_and_saveexec_b64 s[34:35], vcc
	s_cbranch_execz .LBB227_77
; %bb.75:
	s_mov_b32 s4, 0xfca7ab0c
	v_lshlrev_b64 v[14:15], 4, v[0:1]
	s_mov_b32 s38, 0x652b82fe
	s_mov_b32 s40, 0xfefa39ef
	;; [unrolled: 1-line block ×15, first 2 shown]
	v_or_b32_e32 v14, 8, v14
	v_lshlrev_b32_e32 v20, 4, v24
	s_mov_b64 s[36:37], 0
	v_mov_b32_e32 v21, s21
	v_mov_b32_e32 v22, s31
	s_mov_b32 s39, 0x3ff71547
	s_mov_b32 s41, 0xbfe62e42
	;; [unrolled: 1-line block ×4, first 2 shown]
	v_pk_mov_b32 v[16:17], s[4:5], s[4:5] op_sel:[0,1]
	s_mov_b32 s47, 0x3ec71dee
	s_mov_b32 s49, 0x3efa0199
	;; [unrolled: 1-line block ×9, first 2 shown]
	v_mov_b32_e32 v23, 0x7ff00000
	s_mov_b32 s65, 0xc090cc00
	v_mov_b32_e32 v25, s19
	v_pk_mov_b32 v[18:19], v[0:1], v[0:1] op_sel:[0,1]
.LBB227_76:                             ; =>This Inner Loop Header: Depth=1
	v_add_co_u32_e32 v2, vcc, s20, v14
	v_addc_co_u32_e32 v3, vcc, v21, v15, vcc
	global_load_dwordx4 v[2:5], v[2:3], off offset:-8
	v_add_co_u32_e32 v6, vcc, s30, v14
	v_addc_co_u32_e32 v7, vcc, v22, v15, vcc
	global_load_dwordx4 v[6:9], v[6:7], off offset:-8
	v_add_co_u32_e32 v26, vcc, s18, v14
	v_addc_co_u32_e32 v27, vcc, v25, v15, vcc
	v_add_co_u32_e32 v18, vcc, v18, v24
	v_addc_co_u32_e32 v19, vcc, 0, v19, vcc
	;; [unrolled: 2-line block ×3, first 2 shown]
	v_lshlrev_b64 v[28:29], 1, v[18:19]
	v_cmp_ge_i64_e32 vcc, v[28:29], v[12:13]
	s_waitcnt vmcnt(1)
	v_mul_f64 v[28:29], v[2:3], s[38:39]
	v_mul_f64 v[30:31], v[4:5], s[38:39]
	v_rndne_f64_e32 v[28:29], v[28:29]
	v_rndne_f64_e32 v[30:31], v[30:31]
	v_fma_f64 v[32:33], s[40:41], v[28:29], v[2:3]
	v_fma_f64 v[34:35], s[40:41], v[30:31], v[4:5]
	v_fmac_f64_e32 v[32:33], s[42:43], v[28:29]
	v_fmac_f64_e32 v[34:35], s[42:43], v[30:31]
	v_cvt_i32_f64_e32 v1, v[28:29]
	v_cvt_i32_f64_e32 v36, v[30:31]
	v_fma_f64 v[28:29], s[44:45], v[32:33], v[16:17]
	v_fma_f64 v[30:31], s[44:45], v[34:35], v[16:17]
	;; [unrolled: 1-line block ×18, first 2 shown]
	v_fma_f64 v[28:29], v[32:33], v[28:29], 1.0
	v_fma_f64 v[30:31], v[34:35], v[30:31], 1.0
	;; [unrolled: 1-line block ×4, first 2 shown]
	v_ldexp_f64 v[28:29], v[28:29], v1
	v_ldexp_f64 v[30:31], v[30:31], v36
	v_cmp_nlt_f64_e64 s[4:5], s[62:63], v[4:5]
	v_cmp_nlt_f64_e64 s[8:9], s[62:63], v[2:3]
	v_cmp_ngt_f64_e64 s[10:11], s[64:65], v[4:5]
	v_cmp_ngt_f64_e64 s[12:13], s[64:65], v[2:3]
	v_cndmask_b32_e64 v1, v23, v29, s[8:9]
	v_cndmask_b32_e64 v29, v23, v31, s[4:5]
	s_and_b64 s[8:9], s[12:13], s[8:9]
	s_and_b64 s[4:5], s[10:11], s[4:5]
	v_cndmask_b32_e64 v3, 0, v1, s[12:13]
	v_cndmask_b32_e64 v2, 0, v28, s[8:9]
	;; [unrolled: 1-line block ×4, first 2 shown]
	s_waitcnt vmcnt(0)
	v_fma_f64 v[2:3], -v[10:11], v[2:3], v[6:7]
	v_fma_f64 v[4:5], -v[10:11], v[4:5], v[8:9]
	s_or_b64 s[36:37], vcc, s[36:37]
	global_store_dwordx4 v[26:27], v[2:5], off offset:-8
	s_andn2_b64 exec, exec, s[36:37]
	s_cbranch_execnz .LBB227_76
.LBB227_77:
	s_or_b64 exec, exec, s[34:35]
	v_add_co_u32_e32 v2, vcc, v12, v0
	v_addc_co_u32_e32 v3, vcc, 0, v13, vcc
	v_cmp_gt_i64_e32 vcc, s[16:17], v[2:3]
	s_and_saveexec_b64 s[10:11], vcc
	s_cbranch_execz .LBB227_80
; %bb.78:
	s_mov_b32 s34, 0x652b82fe
	s_mov_b32 s36, 0xfefa39ef
	;; [unrolled: 1-line block ×6, first 2 shown]
	s_mov_b64 s[12:13], 0
	v_mov_b32_e32 v1, s31
	v_mov_b32_e32 v25, s21
	s_mov_b32 s35, 0x3ff71547
	s_mov_b32 s37, 0xbfe62e42
	s_mov_b32 s39, 0xbc7abc9e
	v_mov_b32_e32 v4, 0xfca7ab0c
	v_mov_b32_e32 v5, 0x3e928af3
	s_mov_b32 s41, 0x3e5ade15
	v_mov_b32_e32 v6, 0x623fde64
	v_mov_b32_e32 v7, 0x3ec71dee
	;; [unrolled: 1-line block ×16, first 2 shown]
	s_mov_b32 s43, 0x40900000
	v_mov_b32_e32 v26, 0x7ff00000
	s_mov_b32 s45, 0xc090cc00
	v_mov_b32_e32 v27, s19
.LBB227_79:                             ; =>This Inner Loop Header: Depth=1
	v_lshlrev_b64 v[28:29], 3, v[2:3]
	v_add_co_u32_e32 v30, vcc, s20, v28
	v_addc_co_u32_e32 v31, vcc, v25, v29, vcc
	global_load_dwordx2 v[30:31], v[30:31], off
	v_add_co_u32_e32 v32, vcc, s30, v28
	v_addc_co_u32_e32 v33, vcc, v1, v29, vcc
	global_load_dwordx2 v[32:33], v[32:33], off
	v_add_co_u32_e32 v2, vcc, v2, v24
	v_addc_co_u32_e32 v3, vcc, 0, v3, vcc
	v_add_co_u32_e32 v28, vcc, s18, v28
	v_addc_co_u32_e32 v29, vcc, v27, v29, vcc
	v_cmp_le_i64_e32 vcc, s[16:17], v[2:3]
	s_waitcnt vmcnt(1)
	v_mul_f64 v[34:35], v[30:31], s[34:35]
	v_rndne_f64_e32 v[34:35], v[34:35]
	v_fma_f64 v[36:37], s[36:37], v[34:35], v[30:31]
	v_fmac_f64_e32 v[36:37], s[38:39], v[34:35]
	v_cvt_i32_f64_e32 v38, v[34:35]
	v_fma_f64 v[34:35], s[40:41], v[36:37], v[4:5]
	v_fma_f64 v[34:35], v[36:37], v[34:35], v[6:7]
	;; [unrolled: 1-line block ×9, first 2 shown]
	v_fma_f64 v[34:35], v[36:37], v[34:35], 1.0
	v_fma_f64 v[34:35], v[36:37], v[34:35], 1.0
	v_ldexp_f64 v[34:35], v[34:35], v38
	v_cmp_nlt_f64_e64 s[4:5], s[42:43], v[30:31]
	v_cmp_ngt_f64_e64 s[8:9], s[44:45], v[30:31]
	v_cndmask_b32_e64 v35, v26, v35, s[4:5]
	s_and_b64 s[4:5], s[8:9], s[4:5]
	v_cndmask_b32_e64 v31, 0, v35, s[8:9]
	v_cndmask_b32_e64 v30, 0, v34, s[4:5]
	s_waitcnt vmcnt(0)
	v_fma_f64 v[30:31], -v[10:11], v[30:31], v[32:33]
	s_or_b64 s[12:13], vcc, s[12:13]
	global_store_dwordx2 v[28:29], v[30:31], off
	s_andn2_b64 exec, exec, s[12:13]
	s_cbranch_execnz .LBB227_79
.LBB227_80:
	s_or_b64 exec, exec, s[10:11]
	s_mov_b64 s[4:5], 0
.LBB227_81:
	s_and_b64 vcc, exec, s[4:5]
	s_cbranch_vccz .LBB227_93
; %bb.82:
	s_and_b64 vcc, exec, s[0:1]
	s_cbranch_vccnz .LBB227_86
; %bb.83:
	s_and_saveexec_b64 s[4:5], s[2:3]
	s_cbranch_execz .LBB227_85
; %bb.84:
	v_mov_b32_e32 v1, 0
	v_lshlrev_b64 v[2:3], 3, v[0:1]
	v_mov_b32_e32 v1, s29
	v_add_co_u32_e32 v4, vcc, s28, v2
	v_addc_co_u32_e32 v5, vcc, v1, v3, vcc
	global_load_dwordx2 v[4:5], v[4:5], off offset:-8
	v_mov_b32_e32 v1, s15
	v_add_co_u32_e32 v6, vcc, s14, v2
	v_addc_co_u32_e32 v7, vcc, v1, v3, vcc
	global_load_dwordx2 v[6:7], v[6:7], off offset:-8
	s_mov_b32 s0, 0x652b82fe
	s_mov_b32 s1, 0x3ff71547
	s_mov_b32 s2, 0xfefa39ef
	s_mov_b32 s3, 0xbfe62e42
	s_mov_b32 s8, 0x3b39803f
	s_mov_b32 s9, 0xbc7abc9e
	s_mov_b32 s10, 0x6a5dcb37
	v_mov_b32_e32 v8, 0xfca7ab0c
	v_mov_b32_e32 v9, 0x3e928af3
	s_mov_b32 s11, 0x3e5ade15
	v_mov_b32_e32 v12, 0x623fde64
	v_mov_b32_e32 v13, 0x3ec71dee
	;; [unrolled: 1-line block ×16, first 2 shown]
	s_mov_b32 s12, 0
	s_mov_b32 s16, 0
	;; [unrolled: 1-line block ×4, first 2 shown]
	v_mov_b32_e32 v1, 0x7ff00000
	v_mov_b32_e32 v32, s27
	s_waitcnt vmcnt(1)
	v_mul_f64 v[28:29], v[4:5], s[0:1]
	v_rndne_f64_e32 v[28:29], v[28:29]
	v_fma_f64 v[30:31], s[2:3], v[28:29], v[4:5]
	v_fmac_f64_e32 v[30:31], s[8:9], v[28:29]
	v_fmac_f64_e32 v[8:9], s[10:11], v[30:31]
	;; [unrolled: 1-line block ×10, first 2 shown]
	v_fma_f64 v[8:9], v[30:31], v[26:27], 1.0
	v_cvt_i32_f64_e32 v33, v[28:29]
	v_fma_f64 v[8:9], v[30:31], v[8:9], 1.0
	v_ldexp_f64 v[8:9], v[8:9], v33
	v_cmp_nlt_f64_e32 vcc, s[12:13], v[4:5]
	v_cmp_ngt_f64_e64 s[0:1], s[16:17], v[4:5]
	v_cndmask_b32_e32 v1, v1, v9, vcc
	s_and_b64 vcc, s[0:1], vcc
	v_cndmask_b32_e64 v5, 0, v1, s[0:1]
	v_cndmask_b32_e32 v4, 0, v8, vcc
	v_add_co_u32_e32 v2, vcc, s26, v2
	s_waitcnt vmcnt(0) lgkmcnt(0)
	v_fma_f64 v[4:5], -v[10:11], v[4:5], v[6:7]
	v_addc_co_u32_e32 v3, vcc, v32, v3, vcc
	global_store_dwordx2 v[2:3], v[4:5], off offset:-8
.LBB227_85:
	s_or_b64 exec, exec, s[4:5]
	s_add_i32 s0, s22, 1
	v_mov_b32_e32 v1, s7
	v_sub_u32_e64 v1, s0, v1 clamp
	s_lshl_b32 s0, s7, 3
	s_add_u32 s1, s26, s0
	s_addc_u32 s2, s27, 0
	s_add_u32 s26, s1, -8
	s_addc_u32 s27, s2, -1
	s_add_u32 s1, s28, s0
	s_addc_u32 s2, s29, 0
	s_add_u32 s28, s1, -8
	s_addc_u32 s29, s2, -1
	s_add_u32 s0, s14, s0
	s_addc_u32 s1, s15, 0
	s_add_u32 s14, s0, -8
	v_readfirstlane_b32 s22, v1
	s_addc_u32 s15, s1, -1
.LBB227_86:
	s_load_dword s0, s[24:25], 0x0
	v_mov_b32_e32 v1, 0
	s_waitcnt lgkmcnt(0)
	s_cmp_lt_u32 s6, s0
	s_cselect_b32 s0, 12, 18
	s_add_u32 s0, s24, s0
	s_addc_u32 s1, s25, 0
	global_load_ushort v22, v1, s[0:1]
	s_waitcnt vmcnt(0)
	v_readfirstlane_b32 s0, v22
	s_lshl_b32 s0, s0, 1
	v_cvt_f32_u32_e32 v1, s0
	s_sub_i32 s1, 0, s0
	v_rcp_iflag_f32_e32 v1, v1
	v_mul_f32_e32 v1, 0x4f7ffffe, v1
	v_cvt_u32_f32_e32 v1, v1
	v_readfirstlane_b32 s2, v1
	s_mul_i32 s1, s1, s2
	s_mul_hi_u32 s1, s2, s1
	s_add_i32 s2, s2, s1
	s_mul_hi_u32 s1, s22, s2
	s_mul_i32 s1, s1, s0
	s_sub_i32 s1, s22, s1
	s_sub_i32 s2, s1, s0
	s_cmp_ge_u32 s1, s0
	s_cselect_b32 s1, s2, s1
	s_sub_i32 s2, s1, s0
	s_cmp_ge_u32 s1, s0
	s_cselect_b32 s0, s2, s1
	s_sub_i32 s23, s22, s0
	v_lshlrev_b32_e32 v1, 1, v0
	v_cmp_gt_i32_e32 vcc, s23, v1
	s_and_saveexec_b64 s[6:7], vcc
	s_cbranch_execz .LBB227_89
; %bb.87:
	s_mov_b32 s0, 0xfca7ab0c
	s_mov_b32 s10, 0x652b82fe
	;; [unrolled: 1-line block ×16, first 2 shown]
	s_mov_b64 s[8:9], 0
	v_mov_b32_e32 v1, s29
	v_mov_b32_e32 v16, s15
	s_mov_b32 s11, 0x3ff71547
	s_mov_b32 s13, 0xbfe62e42
	;; [unrolled: 1-line block ×4, first 2 shown]
	v_pk_mov_b32 v[12:13], s[0:1], s[0:1] op_sel:[0,1]
	s_mov_b32 s21, 0x3ec71dee
	s_mov_b32 s25, 0x3efa0199
	;; [unrolled: 1-line block ×9, first 2 shown]
	v_mov_b32_e32 v17, 0x7ff00000
	s_mov_b32 s47, 0xc090cc00
	v_mov_b32_e32 v18, s27
	v_mov_b32_e32 v14, v0
.LBB227_88:                             ; =>This Inner Loop Header: Depth=1
	v_ashrrev_i32_e32 v15, 31, v14
	v_lshlrev_b64 v[20:21], 4, v[14:15]
	v_add_co_u32_e32 v2, vcc, s28, v20
	v_addc_co_u32_e32 v3, vcc, v1, v21, vcc
	global_load_dwordx4 v[2:5], v[2:3], off
	v_add_co_u32_e32 v6, vcc, s14, v20
	v_addc_co_u32_e32 v7, vcc, v16, v21, vcc
	global_load_dwordx4 v[6:9], v[6:7], off
	v_add_u32_e32 v14, v14, v22
	v_add_co_u32_e32 v20, vcc, s26, v20
	v_addc_co_u32_e32 v21, vcc, v18, v21, vcc
	v_lshlrev_b32_e32 v15, 1, v14
	v_cmp_le_i32_e32 vcc, s23, v15
	s_waitcnt vmcnt(1)
	v_mul_f64 v[24:25], v[2:3], s[10:11]
	v_mul_f64 v[26:27], v[4:5], s[10:11]
	v_rndne_f64_e32 v[24:25], v[24:25]
	v_rndne_f64_e32 v[26:27], v[26:27]
	v_fma_f64 v[28:29], s[12:13], v[24:25], v[2:3]
	v_fma_f64 v[30:31], s[12:13], v[26:27], v[4:5]
	v_fmac_f64_e32 v[28:29], s[16:17], v[24:25]
	v_cvt_i32_f64_e32 v15, v[24:25]
	v_fmac_f64_e32 v[30:31], s[16:17], v[26:27]
	v_fma_f64 v[24:25], s[18:19], v[28:29], v[12:13]
	v_cvt_i32_f64_e32 v19, v[26:27]
	v_fma_f64 v[26:27], s[18:19], v[30:31], v[12:13]
	v_fma_f64 v[24:25], v[28:29], v[24:25], s[20:21]
	;; [unrolled: 1-line block ×17, first 2 shown]
	v_fma_f64 v[24:25], v[28:29], v[24:25], 1.0
	v_fma_f64 v[26:27], v[30:31], v[26:27], 1.0
	;; [unrolled: 1-line block ×4, first 2 shown]
	v_ldexp_f64 v[24:25], v[24:25], v15
	v_cmp_nlt_f64_e64 s[0:1], s[44:45], v[2:3]
	v_cmp_ngt_f64_e64 s[4:5], s[46:47], v[2:3]
	v_ldexp_f64 v[26:27], v[26:27], v19
	v_cndmask_b32_e64 v15, v17, v25, s[0:1]
	v_cmp_nlt_f64_e64 s[2:3], s[44:45], v[4:5]
	s_and_b64 s[0:1], s[4:5], s[0:1]
	v_cndmask_b32_e64 v19, v17, v27, s[2:3]
	v_cndmask_b32_e64 v2, 0, v24, s[0:1]
	v_cmp_ngt_f64_e64 s[0:1], s[46:47], v[4:5]
	v_cndmask_b32_e64 v5, 0, v19, s[0:1]
	s_and_b64 s[0:1], s[0:1], s[2:3]
	v_cndmask_b32_e64 v3, 0, v15, s[4:5]
	v_cndmask_b32_e64 v4, 0, v26, s[0:1]
	s_waitcnt vmcnt(0)
	v_fma_f64 v[2:3], -v[10:11], v[2:3], v[6:7]
	v_fma_f64 v[4:5], -v[10:11], v[4:5], v[8:9]
	s_or_b64 s[8:9], vcc, s[8:9]
	global_store_dwordx4 v[20:21], v[2:5], off
	s_andn2_b64 exec, exec, s[8:9]
	s_cbranch_execnz .LBB227_88
.LBB227_89:
	s_or_b64 exec, exec, s[6:7]
	v_add_u32_e32 v0, s23, v0
	v_cmp_gt_i32_e32 vcc, s22, v0
	s_and_saveexec_b64 s[0:1], vcc
	s_cbranch_execz .LBB227_93
; %bb.90:
	s_mov_b32 s6, 0x652b82fe
	s_mov_b32 s8, 0xfefa39ef
	;; [unrolled: 1-line block ×6, first 2 shown]
	s_mov_b64 s[4:5], 0
	v_mov_b32_e32 v23, s15
	v_mov_b32_e32 v24, s29
	s_mov_b32 s7, 0x3ff71547
	s_mov_b32 s9, 0xbfe62e42
	;; [unrolled: 1-line block ×3, first 2 shown]
	v_mov_b32_e32 v2, 0xfca7ab0c
	v_mov_b32_e32 v3, 0x3e928af3
	s_mov_b32 s13, 0x3e5ade15
	v_mov_b32_e32 v4, 0x623fde64
	v_mov_b32_e32 v5, 0x3ec71dee
	;; [unrolled: 1-line block ×16, first 2 shown]
	s_mov_b32 s17, 0x40900000
	v_mov_b32_e32 v25, 0x7ff00000
	s_mov_b32 s19, 0xc090cc00
	v_mov_b32_e32 v26, s27
.LBB227_91:                             ; =>This Inner Loop Header: Depth=1
	v_ashrrev_i32_e32 v1, 31, v0
	v_lshlrev_b64 v[28:29], 3, v[0:1]
	v_add_co_u32_e32 v30, vcc, s28, v28
	v_addc_co_u32_e32 v31, vcc, v24, v29, vcc
	global_load_dwordx2 v[30:31], v[30:31], off
	v_add_co_u32_e32 v32, vcc, s14, v28
	v_addc_co_u32_e32 v33, vcc, v23, v29, vcc
	global_load_dwordx2 v[32:33], v[32:33], off
	v_add_co_u32_e32 v28, vcc, s26, v28
	v_add_u32_e32 v0, v0, v22
	v_addc_co_u32_e32 v29, vcc, v26, v29, vcc
	v_cmp_le_i32_e32 vcc, s22, v0
	s_waitcnt vmcnt(1)
	v_mul_f64 v[34:35], v[30:31], s[6:7]
	v_rndne_f64_e32 v[34:35], v[34:35]
	v_fma_f64 v[36:37], s[8:9], v[34:35], v[30:31]
	v_fmac_f64_e32 v[36:37], s[10:11], v[34:35]
	v_cvt_i32_f64_e32 v1, v[34:35]
	v_fma_f64 v[34:35], s[12:13], v[36:37], v[2:3]
	v_fma_f64 v[34:35], v[36:37], v[34:35], v[4:5]
	;; [unrolled: 1-line block ×9, first 2 shown]
	v_fma_f64 v[34:35], v[36:37], v[34:35], 1.0
	v_fma_f64 v[34:35], v[36:37], v[34:35], 1.0
	v_ldexp_f64 v[34:35], v[34:35], v1
	v_cmp_nlt_f64_e64 s[0:1], s[16:17], v[30:31]
	v_cmp_ngt_f64_e64 s[2:3], s[18:19], v[30:31]
	v_cndmask_b32_e64 v1, v25, v35, s[0:1]
	s_and_b64 s[0:1], s[2:3], s[0:1]
	v_cndmask_b32_e64 v31, 0, v1, s[2:3]
	v_cndmask_b32_e64 v30, 0, v34, s[0:1]
	s_waitcnt vmcnt(0)
	v_fma_f64 v[30:31], -v[10:11], v[30:31], v[32:33]
	s_or_b64 s[4:5], vcc, s[4:5]
	global_store_dwordx2 v[28:29], v[30:31], off
	s_andn2_b64 exec, exec, s[4:5]
	s_cbranch_execnz .LBB227_91
	s_branch .LBB227_93
.LBB227_92:
	s_cbranch_execz .LBB227_66
.LBB227_93:
	s_endpgm
.LBB227_94:
                                        ; implicit-def: $vgpr2_vgpr3
	v_and_b32_e32 v24, 0xffff, v4
	s_branch .LBB227_73
	.section	.rodata,"a",@progbits
	.p2align	6, 0x0
	.amdhsa_kernel _ZN2at6native12_GLOBAL__N_120cunn_SoftMaxBackwardILi2EdddNS1_26LogSoftMaxBackwardEpilogueEEEvPT0_PKT2_S8_l
		.amdhsa_group_segment_fixed_size 0
		.amdhsa_private_segment_fixed_size 0
		.amdhsa_kernarg_size 288
		.amdhsa_user_sgpr_count 6
		.amdhsa_user_sgpr_private_segment_buffer 1
		.amdhsa_user_sgpr_dispatch_ptr 0
		.amdhsa_user_sgpr_queue_ptr 0
		.amdhsa_user_sgpr_kernarg_segment_ptr 1
		.amdhsa_user_sgpr_dispatch_id 0
		.amdhsa_user_sgpr_flat_scratch_init 0
		.amdhsa_user_sgpr_kernarg_preload_length 0
		.amdhsa_user_sgpr_kernarg_preload_offset 0
		.amdhsa_user_sgpr_private_segment_size 0
		.amdhsa_uses_dynamic_stack 0
		.amdhsa_system_sgpr_private_segment_wavefront_offset 0
		.amdhsa_system_sgpr_workgroup_id_x 1
		.amdhsa_system_sgpr_workgroup_id_y 0
		.amdhsa_system_sgpr_workgroup_id_z 0
		.amdhsa_system_sgpr_workgroup_info 0
		.amdhsa_system_vgpr_workitem_id 0
		.amdhsa_next_free_vgpr 42
		.amdhsa_next_free_sgpr 85
		.amdhsa_accum_offset 44
		.amdhsa_reserve_vcc 1
		.amdhsa_reserve_flat_scratch 0
		.amdhsa_float_round_mode_32 0
		.amdhsa_float_round_mode_16_64 0
		.amdhsa_float_denorm_mode_32 3
		.amdhsa_float_denorm_mode_16_64 3
		.amdhsa_dx10_clamp 1
		.amdhsa_ieee_mode 1
		.amdhsa_fp16_overflow 0
		.amdhsa_tg_split 0
		.amdhsa_exception_fp_ieee_invalid_op 0
		.amdhsa_exception_fp_denorm_src 0
		.amdhsa_exception_fp_ieee_div_zero 0
		.amdhsa_exception_fp_ieee_overflow 0
		.amdhsa_exception_fp_ieee_underflow 0
		.amdhsa_exception_fp_ieee_inexact 0
		.amdhsa_exception_int_div_zero 0
	.end_amdhsa_kernel
	.section	.text._ZN2at6native12_GLOBAL__N_120cunn_SoftMaxBackwardILi2EdddNS1_26LogSoftMaxBackwardEpilogueEEEvPT0_PKT2_S8_l,"axG",@progbits,_ZN2at6native12_GLOBAL__N_120cunn_SoftMaxBackwardILi2EdddNS1_26LogSoftMaxBackwardEpilogueEEEvPT0_PKT2_S8_l,comdat
.Lfunc_end227:
	.size	_ZN2at6native12_GLOBAL__N_120cunn_SoftMaxBackwardILi2EdddNS1_26LogSoftMaxBackwardEpilogueEEEvPT0_PKT2_S8_l, .Lfunc_end227-_ZN2at6native12_GLOBAL__N_120cunn_SoftMaxBackwardILi2EdddNS1_26LogSoftMaxBackwardEpilogueEEEvPT0_PKT2_S8_l
                                        ; -- End function
	.section	.AMDGPU.csdata,"",@progbits
; Kernel info:
; codeLenInByte = 10608
; NumSgprs: 89
; NumVgprs: 42
; NumAgprs: 0
; TotalNumVgprs: 42
; ScratchSize: 0
; MemoryBound: 0
; FloatMode: 240
; IeeeMode: 1
; LDSByteSize: 0 bytes/workgroup (compile time only)
; SGPRBlocks: 11
; VGPRBlocks: 5
; NumSGPRsForWavesPerEU: 89
; NumVGPRsForWavesPerEU: 42
; AccumOffset: 44
; Occupancy: 8
; WaveLimiterHint : 0
; COMPUTE_PGM_RSRC2:SCRATCH_EN: 0
; COMPUTE_PGM_RSRC2:USER_SGPR: 6
; COMPUTE_PGM_RSRC2:TRAP_HANDLER: 0
; COMPUTE_PGM_RSRC2:TGID_X_EN: 1
; COMPUTE_PGM_RSRC2:TGID_Y_EN: 0
; COMPUTE_PGM_RSRC2:TGID_Z_EN: 0
; COMPUTE_PGM_RSRC2:TIDIG_COMP_CNT: 0
; COMPUTE_PGM_RSRC3_GFX90A:ACCUM_OFFSET: 10
; COMPUTE_PGM_RSRC3_GFX90A:TG_SPLIT: 0
	.section	.text._ZN12_GLOBAL__N_121softmax_warp_backwardIfffLi0ELb1ELb0ELi64EEEvPT0_PKT_S5_iiiPKb,"axG",@progbits,_ZN12_GLOBAL__N_121softmax_warp_backwardIfffLi0ELb1ELb0ELi64EEEvPT0_PKT_S5_iiiPKb,comdat
	.globl	_ZN12_GLOBAL__N_121softmax_warp_backwardIfffLi0ELb1ELb0ELi64EEEvPT0_PKT_S5_iiiPKb ; -- Begin function _ZN12_GLOBAL__N_121softmax_warp_backwardIfffLi0ELb1ELb0ELi64EEEvPT0_PKT_S5_iiiPKb
	.p2align	8
	.type	_ZN12_GLOBAL__N_121softmax_warp_backwardIfffLi0ELb1ELb0ELi64EEEvPT0_PKT_S5_iiiPKb,@function
_ZN12_GLOBAL__N_121softmax_warp_backwardIfffLi0ELb1ELb0ELi64EEEvPT0_PKT_S5_iiiPKb: ; @_ZN12_GLOBAL__N_121softmax_warp_backwardIfffLi0ELb1ELb0ELi64EEEvPT0_PKT_S5_iiiPKb
; %bb.0:
	s_load_dword s2, s[4:5], 0x3c
	s_load_dwordx4 s[8:11], s[4:5], 0x18
	s_load_dwordx4 s[12:15], s[4:5], 0x0
	s_load_dwordx2 s[0:1], s[4:5], 0x10
	v_bfe_u32 v0, v0, 10, 10
	s_waitcnt lgkmcnt(0)
	s_lshr_b32 s2, s2, 16
	s_mul_i32 s6, s6, s2
	v_add_lshl_u32 v0, s6, v0, 1
	v_sub_u32_e32 v7, s8, v0
	v_mul_lo_u32 v0, v0, s9
	v_ashrrev_i32_e32 v1, 31, v0
	v_lshlrev_b64 v[0:1], 2, v[0:1]
	v_mov_b32_e32 v3, s15
	v_add_co_u32_e32 v2, vcc, s14, v0
	v_addc_co_u32_e32 v3, vcc, v3, v1, vcc
	v_mov_b32_e32 v5, s1
	v_add_co_u32_e32 v4, vcc, s0, v0
	v_addc_co_u32_e32 v5, vcc, v5, v1, vcc
	s_cmp_gt_i32 s10, 0
	s_cselect_b64 s[2:3], -1, 0
	v_cmp_lt_i32_e32 vcc, 0, v7
	s_and_b64 s[4:5], s[2:3], vcc
	v_mov_b32_e32 v6, 0
	v_mov_b32_e32 v8, 0
	;; [unrolled: 1-line block ×3, first 2 shown]
	s_and_saveexec_b64 s[0:1], s[4:5]
	s_cbranch_execz .LBB228_2
; %bb.1:
	global_load_dword v8, v[2:3], off
	global_load_dword v10, v[4:5], off
.LBB228_2:
	s_or_b64 exec, exec, s[0:1]
	v_cmp_lt_i32_e64 s[0:1], 1, v7
	s_and_b64 s[0:1], s[2:3], s[0:1]
	s_mov_b32 s11, 0
	v_mov_b32_e32 v9, 0
	s_and_saveexec_b64 s[4:5], s[0:1]
	s_cbranch_execz .LBB228_4
; %bb.3:
	s_lshl_b64 s[6:7], s[10:11], 2
	v_mov_b32_e32 v9, s7
	v_add_co_u32_e64 v2, s[0:1], s6, v2
	v_addc_co_u32_e64 v3, s[0:1], v3, v9, s[0:1]
	global_load_dword v6, v[2:3], off
	v_add_co_u32_e64 v2, s[0:1], s6, v4
	v_addc_co_u32_e64 v3, s[0:1], v5, v9, s[0:1]
	global_load_dword v9, v[2:3], off
.LBB228_4:
	s_or_b64 exec, exec, s[4:5]
	s_and_saveexec_b64 s[0:1], vcc
	s_cbranch_execz .LBB228_10
; %bb.5:
	v_mov_b32_e32 v2, s13
	v_cndmask_b32_e64 v3, 0, 1, s[2:3]
	s_andn2_b64 vcc, exec, s[2:3]
	v_add_co_u32_e64 v0, s[2:3], s12, v0
	v_cmp_ne_u32_e64 s[0:1], 1, v3
	v_addc_co_u32_e64 v1, s[2:3], v2, v1, s[2:3]
	s_cbranch_vccnz .LBB228_7
; %bb.6:
	s_waitcnt vmcnt(0)
	v_mul_f32_e32 v2, 0x3fb8aa3b, v10
	s_mov_b32 s2, 0x3fb8aa3b
	v_rndne_f32_e32 v3, v2
	v_sub_f32_e32 v4, v2, v3
	v_fma_f32 v2, v10, s2, -v2
	v_fmac_f32_e32 v2, 0x32a5705f, v10
	v_add_f32_e32 v2, v4, v2
	v_exp_f32_e32 v2, v2
	v_cvt_i32_f32_e32 v3, v3
	s_mov_b32 s2, 0xc2ce8ed0
	v_cmp_ngt_f32_e32 vcc, s2, v10
	s_mov_b32 s2, 0x42b17218
	v_ldexp_f32 v2, v2, v3
	v_cndmask_b32_e32 v2, 0, v2, vcc
	v_mov_b32_e32 v3, 0x7f800000
	v_cmp_nlt_f32_e32 vcc, s2, v10
	v_cndmask_b32_e32 v2, v3, v2, vcc
	v_add_f32_e32 v3, 0, v8
	v_fma_f32 v2, -v3, v2, v8
	global_store_dword v[0:1], v2, off
.LBB228_7:
	v_cmp_ne_u32_e32 vcc, 1, v7
	s_and_b64 exec, exec, vcc
	s_cbranch_execz .LBB228_10
; %bb.8:
	s_and_b64 vcc, exec, s[0:1]
	s_cbranch_vccnz .LBB228_10
; %bb.9:
	s_waitcnt vmcnt(0)
	v_mul_f32_e32 v2, 0x3fb8aa3b, v9
	s_mov_b32 s0, 0x3fb8aa3b
	v_rndne_f32_e32 v3, v2
	v_sub_f32_e32 v4, v2, v3
	v_fma_f32 v2, v9, s0, -v2
	v_fmac_f32_e32 v2, 0x32a5705f, v9
	v_add_f32_e32 v2, v4, v2
	v_exp_f32_e32 v2, v2
	v_cvt_i32_f32_e32 v3, v3
	s_mov_b32 s0, 0xc2ce8ed0
	v_cmp_ngt_f32_e32 vcc, s0, v9
	s_mov_b32 s0, 0x42b17218
	v_ldexp_f32 v2, v2, v3
	v_cndmask_b32_e32 v2, 0, v2, vcc
	v_mov_b32_e32 v3, 0x7f800000
	v_cmp_nlt_f32_e32 vcc, s0, v9
	v_cndmask_b32_e32 v2, v3, v2, vcc
	v_add_f32_e32 v3, 0, v6
	s_lshl_b64 s[0:1], s[10:11], 2
	v_fma_f32 v2, -v3, v2, v6
	v_mov_b32_e32 v3, s1
	v_add_co_u32_e32 v0, vcc, s0, v0
	v_addc_co_u32_e32 v1, vcc, v1, v3, vcc
	global_store_dword v[0:1], v2, off
.LBB228_10:
	s_endpgm
	.section	.rodata,"a",@progbits
	.p2align	6, 0x0
	.amdhsa_kernel _ZN12_GLOBAL__N_121softmax_warp_backwardIfffLi0ELb1ELb0ELi64EEEvPT0_PKT_S5_iiiPKb
		.amdhsa_group_segment_fixed_size 0
		.amdhsa_private_segment_fixed_size 0
		.amdhsa_kernarg_size 304
		.amdhsa_user_sgpr_count 6
		.amdhsa_user_sgpr_private_segment_buffer 1
		.amdhsa_user_sgpr_dispatch_ptr 0
		.amdhsa_user_sgpr_queue_ptr 0
		.amdhsa_user_sgpr_kernarg_segment_ptr 1
		.amdhsa_user_sgpr_dispatch_id 0
		.amdhsa_user_sgpr_flat_scratch_init 0
		.amdhsa_user_sgpr_kernarg_preload_length 0
		.amdhsa_user_sgpr_kernarg_preload_offset 0
		.amdhsa_user_sgpr_private_segment_size 0
		.amdhsa_uses_dynamic_stack 0
		.amdhsa_system_sgpr_private_segment_wavefront_offset 0
		.amdhsa_system_sgpr_workgroup_id_x 1
		.amdhsa_system_sgpr_workgroup_id_y 0
		.amdhsa_system_sgpr_workgroup_id_z 0
		.amdhsa_system_sgpr_workgroup_info 0
		.amdhsa_system_vgpr_workitem_id 1
		.amdhsa_next_free_vgpr 11
		.amdhsa_next_free_sgpr 16
		.amdhsa_accum_offset 12
		.amdhsa_reserve_vcc 1
		.amdhsa_reserve_flat_scratch 0
		.amdhsa_float_round_mode_32 0
		.amdhsa_float_round_mode_16_64 0
		.amdhsa_float_denorm_mode_32 3
		.amdhsa_float_denorm_mode_16_64 3
		.amdhsa_dx10_clamp 1
		.amdhsa_ieee_mode 1
		.amdhsa_fp16_overflow 0
		.amdhsa_tg_split 0
		.amdhsa_exception_fp_ieee_invalid_op 0
		.amdhsa_exception_fp_denorm_src 0
		.amdhsa_exception_fp_ieee_div_zero 0
		.amdhsa_exception_fp_ieee_overflow 0
		.amdhsa_exception_fp_ieee_underflow 0
		.amdhsa_exception_fp_ieee_inexact 0
		.amdhsa_exception_int_div_zero 0
	.end_amdhsa_kernel
	.section	.text._ZN12_GLOBAL__N_121softmax_warp_backwardIfffLi0ELb1ELb0ELi64EEEvPT0_PKT_S5_iiiPKb,"axG",@progbits,_ZN12_GLOBAL__N_121softmax_warp_backwardIfffLi0ELb1ELb0ELi64EEEvPT0_PKT_S5_iiiPKb,comdat
.Lfunc_end228:
	.size	_ZN12_GLOBAL__N_121softmax_warp_backwardIfffLi0ELb1ELb0ELi64EEEvPT0_PKT_S5_iiiPKb, .Lfunc_end228-_ZN12_GLOBAL__N_121softmax_warp_backwardIfffLi0ELb1ELb0ELi64EEEvPT0_PKT_S5_iiiPKb
                                        ; -- End function
	.section	.AMDGPU.csdata,"",@progbits
; Kernel info:
; codeLenInByte = 592
; NumSgprs: 20
; NumVgprs: 11
; NumAgprs: 0
; TotalNumVgprs: 11
; ScratchSize: 0
; MemoryBound: 0
; FloatMode: 240
; IeeeMode: 1
; LDSByteSize: 0 bytes/workgroup (compile time only)
; SGPRBlocks: 2
; VGPRBlocks: 1
; NumSGPRsForWavesPerEU: 20
; NumVGPRsForWavesPerEU: 11
; AccumOffset: 12
; Occupancy: 8
; WaveLimiterHint : 0
; COMPUTE_PGM_RSRC2:SCRATCH_EN: 0
; COMPUTE_PGM_RSRC2:USER_SGPR: 6
; COMPUTE_PGM_RSRC2:TRAP_HANDLER: 0
; COMPUTE_PGM_RSRC2:TGID_X_EN: 1
; COMPUTE_PGM_RSRC2:TGID_Y_EN: 0
; COMPUTE_PGM_RSRC2:TGID_Z_EN: 0
; COMPUTE_PGM_RSRC2:TIDIG_COMP_CNT: 1
; COMPUTE_PGM_RSRC3_GFX90A:ACCUM_OFFSET: 2
; COMPUTE_PGM_RSRC3_GFX90A:TG_SPLIT: 0
	.section	.text._ZN12_GLOBAL__N_121softmax_warp_backwardIfffLi0ELb1ELb0ELi32EEEvPT0_PKT_S5_iiiPKb,"axG",@progbits,_ZN12_GLOBAL__N_121softmax_warp_backwardIfffLi0ELb1ELb0ELi32EEEvPT0_PKT_S5_iiiPKb,comdat
	.globl	_ZN12_GLOBAL__N_121softmax_warp_backwardIfffLi0ELb1ELb0ELi32EEEvPT0_PKT_S5_iiiPKb ; -- Begin function _ZN12_GLOBAL__N_121softmax_warp_backwardIfffLi0ELb1ELb0ELi32EEEvPT0_PKT_S5_iiiPKb
	.p2align	8
	.type	_ZN12_GLOBAL__N_121softmax_warp_backwardIfffLi0ELb1ELb0ELi32EEEvPT0_PKT_S5_iiiPKb,@function
_ZN12_GLOBAL__N_121softmax_warp_backwardIfffLi0ELb1ELb0ELi32EEEvPT0_PKT_S5_iiiPKb: ; @_ZN12_GLOBAL__N_121softmax_warp_backwardIfffLi0ELb1ELb0ELi32EEEvPT0_PKT_S5_iiiPKb
; %bb.0:
	s_load_dword s2, s[4:5], 0x3c
	s_load_dwordx4 s[8:11], s[4:5], 0x18
	s_load_dwordx4 s[12:15], s[4:5], 0x0
	s_load_dwordx2 s[0:1], s[4:5], 0x10
	v_bfe_u32 v0, v0, 10, 10
	s_waitcnt lgkmcnt(0)
	s_lshr_b32 s2, s2, 16
	s_mul_i32 s6, s6, s2
	v_add_lshl_u32 v0, s6, v0, 1
	v_sub_u32_e32 v7, s8, v0
	v_mul_lo_u32 v0, v0, s9
	v_ashrrev_i32_e32 v1, 31, v0
	v_lshlrev_b64 v[0:1], 2, v[0:1]
	v_mov_b32_e32 v3, s15
	v_add_co_u32_e32 v2, vcc, s14, v0
	v_addc_co_u32_e32 v3, vcc, v3, v1, vcc
	v_mov_b32_e32 v5, s1
	v_add_co_u32_e32 v4, vcc, s0, v0
	v_addc_co_u32_e32 v5, vcc, v5, v1, vcc
	s_cmp_gt_i32 s10, 0
	s_cselect_b64 s[2:3], -1, 0
	v_cmp_lt_i32_e32 vcc, 0, v7
	s_and_b64 s[4:5], s[2:3], vcc
	v_mov_b32_e32 v6, 0
	v_mov_b32_e32 v8, 0
	v_mov_b32_e32 v10, 0
	s_and_saveexec_b64 s[0:1], s[4:5]
	s_cbranch_execz .LBB229_2
; %bb.1:
	global_load_dword v8, v[2:3], off
	global_load_dword v10, v[4:5], off
.LBB229_2:
	s_or_b64 exec, exec, s[0:1]
	v_cmp_lt_i32_e64 s[0:1], 1, v7
	s_and_b64 s[0:1], s[2:3], s[0:1]
	s_mov_b32 s11, 0
	v_mov_b32_e32 v9, 0
	s_and_saveexec_b64 s[4:5], s[0:1]
	s_cbranch_execz .LBB229_4
; %bb.3:
	s_lshl_b64 s[6:7], s[10:11], 2
	v_mov_b32_e32 v9, s7
	v_add_co_u32_e64 v2, s[0:1], s6, v2
	v_addc_co_u32_e64 v3, s[0:1], v3, v9, s[0:1]
	global_load_dword v6, v[2:3], off
	v_add_co_u32_e64 v2, s[0:1], s6, v4
	v_addc_co_u32_e64 v3, s[0:1], v5, v9, s[0:1]
	global_load_dword v9, v[2:3], off
.LBB229_4:
	s_or_b64 exec, exec, s[4:5]
	s_and_saveexec_b64 s[0:1], vcc
	s_cbranch_execz .LBB229_10
; %bb.5:
	v_mov_b32_e32 v2, s13
	v_cndmask_b32_e64 v3, 0, 1, s[2:3]
	s_andn2_b64 vcc, exec, s[2:3]
	v_add_co_u32_e64 v0, s[2:3], s12, v0
	v_cmp_ne_u32_e64 s[0:1], 1, v3
	v_addc_co_u32_e64 v1, s[2:3], v2, v1, s[2:3]
	s_cbranch_vccnz .LBB229_7
; %bb.6:
	s_waitcnt vmcnt(0)
	v_mul_f32_e32 v2, 0x3fb8aa3b, v10
	s_mov_b32 s2, 0x3fb8aa3b
	v_rndne_f32_e32 v3, v2
	v_sub_f32_e32 v4, v2, v3
	v_fma_f32 v2, v10, s2, -v2
	v_fmac_f32_e32 v2, 0x32a5705f, v10
	v_add_f32_e32 v2, v4, v2
	v_exp_f32_e32 v2, v2
	v_cvt_i32_f32_e32 v3, v3
	s_mov_b32 s2, 0xc2ce8ed0
	v_cmp_ngt_f32_e32 vcc, s2, v10
	s_mov_b32 s2, 0x42b17218
	v_ldexp_f32 v2, v2, v3
	v_cndmask_b32_e32 v2, 0, v2, vcc
	v_mov_b32_e32 v3, 0x7f800000
	v_cmp_nlt_f32_e32 vcc, s2, v10
	v_cndmask_b32_e32 v2, v3, v2, vcc
	v_add_f32_e32 v3, 0, v8
	v_fma_f32 v2, -v3, v2, v8
	global_store_dword v[0:1], v2, off
.LBB229_7:
	v_cmp_ne_u32_e32 vcc, 1, v7
	s_and_b64 exec, exec, vcc
	s_cbranch_execz .LBB229_10
; %bb.8:
	s_and_b64 vcc, exec, s[0:1]
	s_cbranch_vccnz .LBB229_10
; %bb.9:
	s_waitcnt vmcnt(0)
	v_mul_f32_e32 v2, 0x3fb8aa3b, v9
	s_mov_b32 s0, 0x3fb8aa3b
	v_rndne_f32_e32 v3, v2
	v_sub_f32_e32 v4, v2, v3
	v_fma_f32 v2, v9, s0, -v2
	v_fmac_f32_e32 v2, 0x32a5705f, v9
	v_add_f32_e32 v2, v4, v2
	v_exp_f32_e32 v2, v2
	v_cvt_i32_f32_e32 v3, v3
	s_mov_b32 s0, 0xc2ce8ed0
	v_cmp_ngt_f32_e32 vcc, s0, v9
	s_mov_b32 s0, 0x42b17218
	v_ldexp_f32 v2, v2, v3
	v_cndmask_b32_e32 v2, 0, v2, vcc
	v_mov_b32_e32 v3, 0x7f800000
	v_cmp_nlt_f32_e32 vcc, s0, v9
	v_cndmask_b32_e32 v2, v3, v2, vcc
	v_add_f32_e32 v3, 0, v6
	s_lshl_b64 s[0:1], s[10:11], 2
	v_fma_f32 v2, -v3, v2, v6
	v_mov_b32_e32 v3, s1
	v_add_co_u32_e32 v0, vcc, s0, v0
	v_addc_co_u32_e32 v1, vcc, v1, v3, vcc
	global_store_dword v[0:1], v2, off
.LBB229_10:
	s_endpgm
	.section	.rodata,"a",@progbits
	.p2align	6, 0x0
	.amdhsa_kernel _ZN12_GLOBAL__N_121softmax_warp_backwardIfffLi0ELb1ELb0ELi32EEEvPT0_PKT_S5_iiiPKb
		.amdhsa_group_segment_fixed_size 0
		.amdhsa_private_segment_fixed_size 0
		.amdhsa_kernarg_size 304
		.amdhsa_user_sgpr_count 6
		.amdhsa_user_sgpr_private_segment_buffer 1
		.amdhsa_user_sgpr_dispatch_ptr 0
		.amdhsa_user_sgpr_queue_ptr 0
		.amdhsa_user_sgpr_kernarg_segment_ptr 1
		.amdhsa_user_sgpr_dispatch_id 0
		.amdhsa_user_sgpr_flat_scratch_init 0
		.amdhsa_user_sgpr_kernarg_preload_length 0
		.amdhsa_user_sgpr_kernarg_preload_offset 0
		.amdhsa_user_sgpr_private_segment_size 0
		.amdhsa_uses_dynamic_stack 0
		.amdhsa_system_sgpr_private_segment_wavefront_offset 0
		.amdhsa_system_sgpr_workgroup_id_x 1
		.amdhsa_system_sgpr_workgroup_id_y 0
		.amdhsa_system_sgpr_workgroup_id_z 0
		.amdhsa_system_sgpr_workgroup_info 0
		.amdhsa_system_vgpr_workitem_id 1
		.amdhsa_next_free_vgpr 11
		.amdhsa_next_free_sgpr 16
		.amdhsa_accum_offset 12
		.amdhsa_reserve_vcc 1
		.amdhsa_reserve_flat_scratch 0
		.amdhsa_float_round_mode_32 0
		.amdhsa_float_round_mode_16_64 0
		.amdhsa_float_denorm_mode_32 3
		.amdhsa_float_denorm_mode_16_64 3
		.amdhsa_dx10_clamp 1
		.amdhsa_ieee_mode 1
		.amdhsa_fp16_overflow 0
		.amdhsa_tg_split 0
		.amdhsa_exception_fp_ieee_invalid_op 0
		.amdhsa_exception_fp_denorm_src 0
		.amdhsa_exception_fp_ieee_div_zero 0
		.amdhsa_exception_fp_ieee_overflow 0
		.amdhsa_exception_fp_ieee_underflow 0
		.amdhsa_exception_fp_ieee_inexact 0
		.amdhsa_exception_int_div_zero 0
	.end_amdhsa_kernel
	.section	.text._ZN12_GLOBAL__N_121softmax_warp_backwardIfffLi0ELb1ELb0ELi32EEEvPT0_PKT_S5_iiiPKb,"axG",@progbits,_ZN12_GLOBAL__N_121softmax_warp_backwardIfffLi0ELb1ELb0ELi32EEEvPT0_PKT_S5_iiiPKb,comdat
.Lfunc_end229:
	.size	_ZN12_GLOBAL__N_121softmax_warp_backwardIfffLi0ELb1ELb0ELi32EEEvPT0_PKT_S5_iiiPKb, .Lfunc_end229-_ZN12_GLOBAL__N_121softmax_warp_backwardIfffLi0ELb1ELb0ELi32EEEvPT0_PKT_S5_iiiPKb
                                        ; -- End function
	.section	.AMDGPU.csdata,"",@progbits
; Kernel info:
; codeLenInByte = 592
; NumSgprs: 20
; NumVgprs: 11
; NumAgprs: 0
; TotalNumVgprs: 11
; ScratchSize: 0
; MemoryBound: 0
; FloatMode: 240
; IeeeMode: 1
; LDSByteSize: 0 bytes/workgroup (compile time only)
; SGPRBlocks: 2
; VGPRBlocks: 1
; NumSGPRsForWavesPerEU: 20
; NumVGPRsForWavesPerEU: 11
; AccumOffset: 12
; Occupancy: 8
; WaveLimiterHint : 0
; COMPUTE_PGM_RSRC2:SCRATCH_EN: 0
; COMPUTE_PGM_RSRC2:USER_SGPR: 6
; COMPUTE_PGM_RSRC2:TRAP_HANDLER: 0
; COMPUTE_PGM_RSRC2:TGID_X_EN: 1
; COMPUTE_PGM_RSRC2:TGID_Y_EN: 0
; COMPUTE_PGM_RSRC2:TGID_Z_EN: 0
; COMPUTE_PGM_RSRC2:TIDIG_COMP_CNT: 1
; COMPUTE_PGM_RSRC3_GFX90A:ACCUM_OFFSET: 2
; COMPUTE_PGM_RSRC3_GFX90A:TG_SPLIT: 0
	.section	.text._ZN12_GLOBAL__N_121softmax_warp_backwardIfffLi1ELb1ELb0ELi64EEEvPT0_PKT_S5_iiiPKb,"axG",@progbits,_ZN12_GLOBAL__N_121softmax_warp_backwardIfffLi1ELb1ELb0ELi64EEEvPT0_PKT_S5_iiiPKb,comdat
	.globl	_ZN12_GLOBAL__N_121softmax_warp_backwardIfffLi1ELb1ELb0ELi64EEEvPT0_PKT_S5_iiiPKb ; -- Begin function _ZN12_GLOBAL__N_121softmax_warp_backwardIfffLi1ELb1ELb0ELi64EEEvPT0_PKT_S5_iiiPKb
	.p2align	8
	.type	_ZN12_GLOBAL__N_121softmax_warp_backwardIfffLi1ELb1ELb0ELi64EEEvPT0_PKT_S5_iiiPKb,@function
_ZN12_GLOBAL__N_121softmax_warp_backwardIfffLi1ELb1ELb0ELi64EEEvPT0_PKT_S5_iiiPKb: ; @_ZN12_GLOBAL__N_121softmax_warp_backwardIfffLi1ELb1ELb0ELi64EEEvPT0_PKT_S5_iiiPKb
; %bb.0:
	s_load_dword s2, s[4:5], 0x3c
	s_load_dwordx4 s[8:11], s[4:5], 0x18
	s_load_dwordx4 s[12:15], s[4:5], 0x0
	s_load_dwordx2 s[0:1], s[4:5], 0x10
	v_bfe_u32 v1, v0, 10, 10
	s_waitcnt lgkmcnt(0)
	s_lshr_b32 s2, s2, 16
	s_mul_i32 s6, s6, s2
	v_add_lshl_u32 v1, s6, v1, 1
	v_sub_u32_e32 v8, s8, v1
	v_mul_lo_u32 v1, v1, s9
	v_and_b32_e32 v9, 1, v0
	v_or_b32_e32 v0, v1, v9
	v_ashrrev_i32_e32 v1, 31, v0
	v_lshlrev_b64 v[2:3], 2, v[0:1]
	v_mov_b32_e32 v0, s15
	v_add_co_u32_e32 v4, vcc, s14, v2
	v_addc_co_u32_e32 v5, vcc, v0, v3, vcc
	v_mov_b32_e32 v0, s1
	v_add_co_u32_e32 v6, vcc, s0, v2
	v_addc_co_u32_e32 v7, vcc, v0, v3, vcc
	v_cmp_gt_i32_e32 vcc, s10, v9
	v_cmp_lt_i32_e64 s[0:1], 0, v8
	s_and_b64 s[4:5], vcc, s[0:1]
	v_mov_b32_e32 v1, 0
	v_mov_b32_e32 v0, 0
	;; [unrolled: 1-line block ×3, first 2 shown]
	s_and_saveexec_b64 s[2:3], s[4:5]
	s_cbranch_execz .LBB230_2
; %bb.1:
	global_load_dword v0, v[4:5], off
	global_load_dword v10, v[6:7], off
.LBB230_2:
	s_or_b64 exec, exec, s[2:3]
	v_cmp_lt_i32_e64 s[2:3], 1, v8
	s_and_b64 s[2:3], vcc, s[2:3]
	s_mov_b32 s11, 0
	v_mov_b32_e32 v9, 0
	s_and_saveexec_b64 s[4:5], s[2:3]
	s_cbranch_execz .LBB230_4
; %bb.3:
	s_lshl_b64 s[6:7], s[10:11], 2
	v_mov_b32_e32 v9, s7
	v_add_co_u32_e64 v4, s[2:3], s6, v4
	v_addc_co_u32_e64 v5, s[2:3], v5, v9, s[2:3]
	global_load_dword v1, v[4:5], off
	v_add_co_u32_e64 v4, s[2:3], s6, v6
	v_addc_co_u32_e64 v5, s[2:3], v7, v9, s[2:3]
	global_load_dword v9, v[4:5], off
.LBB230_4:
	s_or_b64 exec, exec, s[4:5]
	v_mbcnt_lo_u32_b32 v6, -1, 0
	v_mbcnt_hi_u32_b32 v6, -1, v6
	v_and_b32_e32 v11, 0x7e, v6
	v_xor_b32_e32 v7, 1, v6
	v_add_u32_e32 v11, 2, v11
	v_cmp_lt_i32_e64 s[2:3], v7, v11
	v_cndmask_b32_e64 v6, v6, v7, s[2:3]
	s_waitcnt vmcnt(1)
	v_pk_add_f32 v[4:5], v[0:1], 0 op_sel_hi:[1,0]
	v_lshlrev_b32_e32 v7, 2, v6
	ds_bpermute_b32 v6, v7, v4
	ds_bpermute_b32 v7, v7, v5
	s_and_saveexec_b64 s[2:3], s[0:1]
	s_cbranch_execz .LBB230_10
; %bb.5:
	v_mov_b32_e32 v11, s13
	v_add_co_u32_e64 v2, s[0:1], s12, v2
	v_addc_co_u32_e64 v3, s[0:1], v11, v3, s[0:1]
	s_waitcnt lgkmcnt(0)
	v_pk_add_f32 v[4:5], v[4:5], v[6:7]
	s_and_saveexec_b64 s[2:3], vcc
	s_cbranch_execz .LBB230_7
; %bb.6:
	s_waitcnt vmcnt(0)
	v_mul_f32_e32 v6, 0x3fb8aa3b, v10
	s_mov_b32 s0, 0x3fb8aa3b
	v_rndne_f32_e32 v7, v6
	v_sub_f32_e32 v11, v6, v7
	v_fma_f32 v6, v10, s0, -v6
	v_fmac_f32_e32 v6, 0x32a5705f, v10
	v_add_f32_e32 v6, v11, v6
	v_exp_f32_e32 v6, v6
	v_cvt_i32_f32_e32 v7, v7
	s_mov_b32 s0, 0xc2ce8ed0
	v_cmp_ngt_f32_e64 s[0:1], s0, v10
	v_ldexp_f32 v6, v6, v7
	v_cndmask_b32_e64 v6, 0, v6, s[0:1]
	s_mov_b32 s0, 0x42b17218
	v_mov_b32_e32 v7, 0x7f800000
	v_cmp_nlt_f32_e64 s[0:1], s0, v10
	v_cndmask_b32_e64 v6, v7, v6, s[0:1]
	v_fma_f32 v0, -v4, v6, v0
	global_store_dword v[2:3], v0, off
.LBB230_7:
	s_or_b64 exec, exec, s[2:3]
	v_cmp_ne_u32_e64 s[0:1], 1, v8
	s_and_b64 exec, exec, s[0:1]
	s_cbranch_execz .LBB230_10
; %bb.8:
	s_and_b64 exec, exec, vcc
	s_cbranch_execz .LBB230_10
; %bb.9:
	s_waitcnt vmcnt(0)
	v_mul_f32_e32 v0, 0x3fb8aa3b, v9
	s_mov_b32 s0, 0x3fb8aa3b
	v_rndne_f32_e32 v4, v0
	v_sub_f32_e32 v6, v0, v4
	v_fma_f32 v0, v9, s0, -v0
	v_fmac_f32_e32 v0, 0x32a5705f, v9
	v_add_f32_e32 v0, v6, v0
	v_exp_f32_e32 v0, v0
	v_cvt_i32_f32_e32 v4, v4
	s_mov_b32 s0, 0xc2ce8ed0
	v_cmp_ngt_f32_e32 vcc, s0, v9
	s_mov_b32 s0, 0x42b17218
	v_ldexp_f32 v0, v0, v4
	v_cndmask_b32_e32 v0, 0, v0, vcc
	v_mov_b32_e32 v4, 0x7f800000
	v_cmp_nlt_f32_e32 vcc, s0, v9
	v_cndmask_b32_e32 v0, v4, v0, vcc
	s_lshl_b64 s[0:1], s[10:11], 2
	v_fma_f32 v4, -v5, v0, v1
	v_mov_b32_e32 v1, s1
	v_add_co_u32_e32 v0, vcc, s0, v2
	v_addc_co_u32_e32 v1, vcc, v3, v1, vcc
	global_store_dword v[0:1], v4, off
.LBB230_10:
	s_endpgm
	.section	.rodata,"a",@progbits
	.p2align	6, 0x0
	.amdhsa_kernel _ZN12_GLOBAL__N_121softmax_warp_backwardIfffLi1ELb1ELb0ELi64EEEvPT0_PKT_S5_iiiPKb
		.amdhsa_group_segment_fixed_size 0
		.amdhsa_private_segment_fixed_size 0
		.amdhsa_kernarg_size 304
		.amdhsa_user_sgpr_count 6
		.amdhsa_user_sgpr_private_segment_buffer 1
		.amdhsa_user_sgpr_dispatch_ptr 0
		.amdhsa_user_sgpr_queue_ptr 0
		.amdhsa_user_sgpr_kernarg_segment_ptr 1
		.amdhsa_user_sgpr_dispatch_id 0
		.amdhsa_user_sgpr_flat_scratch_init 0
		.amdhsa_user_sgpr_kernarg_preload_length 0
		.amdhsa_user_sgpr_kernarg_preload_offset 0
		.amdhsa_user_sgpr_private_segment_size 0
		.amdhsa_uses_dynamic_stack 0
		.amdhsa_system_sgpr_private_segment_wavefront_offset 0
		.amdhsa_system_sgpr_workgroup_id_x 1
		.amdhsa_system_sgpr_workgroup_id_y 0
		.amdhsa_system_sgpr_workgroup_id_z 0
		.amdhsa_system_sgpr_workgroup_info 0
		.amdhsa_system_vgpr_workitem_id 1
		.amdhsa_next_free_vgpr 12
		.amdhsa_next_free_sgpr 16
		.amdhsa_accum_offset 12
		.amdhsa_reserve_vcc 1
		.amdhsa_reserve_flat_scratch 0
		.amdhsa_float_round_mode_32 0
		.amdhsa_float_round_mode_16_64 0
		.amdhsa_float_denorm_mode_32 3
		.amdhsa_float_denorm_mode_16_64 3
		.amdhsa_dx10_clamp 1
		.amdhsa_ieee_mode 1
		.amdhsa_fp16_overflow 0
		.amdhsa_tg_split 0
		.amdhsa_exception_fp_ieee_invalid_op 0
		.amdhsa_exception_fp_denorm_src 0
		.amdhsa_exception_fp_ieee_div_zero 0
		.amdhsa_exception_fp_ieee_overflow 0
		.amdhsa_exception_fp_ieee_underflow 0
		.amdhsa_exception_fp_ieee_inexact 0
		.amdhsa_exception_int_div_zero 0
	.end_amdhsa_kernel
	.section	.text._ZN12_GLOBAL__N_121softmax_warp_backwardIfffLi1ELb1ELb0ELi64EEEvPT0_PKT_S5_iiiPKb,"axG",@progbits,_ZN12_GLOBAL__N_121softmax_warp_backwardIfffLi1ELb1ELb0ELi64EEEvPT0_PKT_S5_iiiPKb,comdat
.Lfunc_end230:
	.size	_ZN12_GLOBAL__N_121softmax_warp_backwardIfffLi1ELb1ELb0ELi64EEEvPT0_PKT_S5_iiiPKb, .Lfunc_end230-_ZN12_GLOBAL__N_121softmax_warp_backwardIfffLi1ELb1ELb0ELi64EEEvPT0_PKT_S5_iiiPKb
                                        ; -- End function
	.section	.AMDGPU.csdata,"",@progbits
; Kernel info:
; codeLenInByte = 692
; NumSgprs: 20
; NumVgprs: 12
; NumAgprs: 0
; TotalNumVgprs: 12
; ScratchSize: 0
; MemoryBound: 0
; FloatMode: 240
; IeeeMode: 1
; LDSByteSize: 0 bytes/workgroup (compile time only)
; SGPRBlocks: 2
; VGPRBlocks: 1
; NumSGPRsForWavesPerEU: 20
; NumVGPRsForWavesPerEU: 12
; AccumOffset: 12
; Occupancy: 8
; WaveLimiterHint : 0
; COMPUTE_PGM_RSRC2:SCRATCH_EN: 0
; COMPUTE_PGM_RSRC2:USER_SGPR: 6
; COMPUTE_PGM_RSRC2:TRAP_HANDLER: 0
; COMPUTE_PGM_RSRC2:TGID_X_EN: 1
; COMPUTE_PGM_RSRC2:TGID_Y_EN: 0
; COMPUTE_PGM_RSRC2:TGID_Z_EN: 0
; COMPUTE_PGM_RSRC2:TIDIG_COMP_CNT: 1
; COMPUTE_PGM_RSRC3_GFX90A:ACCUM_OFFSET: 2
; COMPUTE_PGM_RSRC3_GFX90A:TG_SPLIT: 0
	.section	.text._ZN12_GLOBAL__N_121softmax_warp_backwardIfffLi1ELb1ELb0ELi32EEEvPT0_PKT_S5_iiiPKb,"axG",@progbits,_ZN12_GLOBAL__N_121softmax_warp_backwardIfffLi1ELb1ELb0ELi32EEEvPT0_PKT_S5_iiiPKb,comdat
	.globl	_ZN12_GLOBAL__N_121softmax_warp_backwardIfffLi1ELb1ELb0ELi32EEEvPT0_PKT_S5_iiiPKb ; -- Begin function _ZN12_GLOBAL__N_121softmax_warp_backwardIfffLi1ELb1ELb0ELi32EEEvPT0_PKT_S5_iiiPKb
	.p2align	8
	.type	_ZN12_GLOBAL__N_121softmax_warp_backwardIfffLi1ELb1ELb0ELi32EEEvPT0_PKT_S5_iiiPKb,@function
_ZN12_GLOBAL__N_121softmax_warp_backwardIfffLi1ELb1ELb0ELi32EEEvPT0_PKT_S5_iiiPKb: ; @_ZN12_GLOBAL__N_121softmax_warp_backwardIfffLi1ELb1ELb0ELi32EEEvPT0_PKT_S5_iiiPKb
; %bb.0:
	s_load_dword s2, s[4:5], 0x3c
	s_load_dwordx4 s[8:11], s[4:5], 0x18
	s_load_dwordx4 s[12:15], s[4:5], 0x0
	s_load_dwordx2 s[0:1], s[4:5], 0x10
	v_bfe_u32 v1, v0, 10, 10
	s_waitcnt lgkmcnt(0)
	s_lshr_b32 s2, s2, 16
	s_mul_i32 s6, s6, s2
	v_add_lshl_u32 v1, s6, v1, 1
	v_sub_u32_e32 v8, s8, v1
	v_mul_lo_u32 v1, v1, s9
	v_and_b32_e32 v9, 1, v0
	v_or_b32_e32 v0, v1, v9
	v_ashrrev_i32_e32 v1, 31, v0
	v_lshlrev_b64 v[2:3], 2, v[0:1]
	v_mov_b32_e32 v0, s15
	v_add_co_u32_e32 v4, vcc, s14, v2
	v_addc_co_u32_e32 v5, vcc, v0, v3, vcc
	v_mov_b32_e32 v0, s1
	v_add_co_u32_e32 v6, vcc, s0, v2
	v_addc_co_u32_e32 v7, vcc, v0, v3, vcc
	v_cmp_gt_i32_e32 vcc, s10, v9
	v_cmp_lt_i32_e64 s[0:1], 0, v8
	s_and_b64 s[4:5], vcc, s[0:1]
	v_mov_b32_e32 v1, 0
	v_mov_b32_e32 v0, 0
	;; [unrolled: 1-line block ×3, first 2 shown]
	s_and_saveexec_b64 s[2:3], s[4:5]
	s_cbranch_execz .LBB231_2
; %bb.1:
	global_load_dword v0, v[4:5], off
	global_load_dword v10, v[6:7], off
.LBB231_2:
	s_or_b64 exec, exec, s[2:3]
	v_cmp_lt_i32_e64 s[2:3], 1, v8
	s_and_b64 s[2:3], vcc, s[2:3]
	s_mov_b32 s11, 0
	v_mov_b32_e32 v9, 0
	s_and_saveexec_b64 s[4:5], s[2:3]
	s_cbranch_execz .LBB231_4
; %bb.3:
	s_lshl_b64 s[6:7], s[10:11], 2
	v_mov_b32_e32 v9, s7
	v_add_co_u32_e64 v4, s[2:3], s6, v4
	v_addc_co_u32_e64 v5, s[2:3], v5, v9, s[2:3]
	global_load_dword v1, v[4:5], off
	v_add_co_u32_e64 v4, s[2:3], s6, v6
	v_addc_co_u32_e64 v5, s[2:3], v7, v9, s[2:3]
	global_load_dword v9, v[4:5], off
.LBB231_4:
	s_or_b64 exec, exec, s[4:5]
	v_mbcnt_lo_u32_b32 v6, -1, 0
	v_mbcnt_hi_u32_b32 v6, -1, v6
	v_and_b32_e32 v11, 0x7e, v6
	v_xor_b32_e32 v7, 1, v6
	v_add_u32_e32 v11, 2, v11
	v_cmp_lt_i32_e64 s[2:3], v7, v11
	v_cndmask_b32_e64 v6, v6, v7, s[2:3]
	s_waitcnt vmcnt(1)
	v_pk_add_f32 v[4:5], v[0:1], 0 op_sel_hi:[1,0]
	v_lshlrev_b32_e32 v7, 2, v6
	ds_bpermute_b32 v6, v7, v4
	ds_bpermute_b32 v7, v7, v5
	s_and_saveexec_b64 s[2:3], s[0:1]
	s_cbranch_execz .LBB231_10
; %bb.5:
	v_mov_b32_e32 v11, s13
	v_add_co_u32_e64 v2, s[0:1], s12, v2
	v_addc_co_u32_e64 v3, s[0:1], v11, v3, s[0:1]
	s_waitcnt lgkmcnt(0)
	v_pk_add_f32 v[4:5], v[4:5], v[6:7]
	s_and_saveexec_b64 s[2:3], vcc
	s_cbranch_execz .LBB231_7
; %bb.6:
	s_waitcnt vmcnt(0)
	v_mul_f32_e32 v6, 0x3fb8aa3b, v10
	s_mov_b32 s0, 0x3fb8aa3b
	v_rndne_f32_e32 v7, v6
	v_sub_f32_e32 v11, v6, v7
	v_fma_f32 v6, v10, s0, -v6
	v_fmac_f32_e32 v6, 0x32a5705f, v10
	v_add_f32_e32 v6, v11, v6
	v_exp_f32_e32 v6, v6
	v_cvt_i32_f32_e32 v7, v7
	s_mov_b32 s0, 0xc2ce8ed0
	v_cmp_ngt_f32_e64 s[0:1], s0, v10
	v_ldexp_f32 v6, v6, v7
	v_cndmask_b32_e64 v6, 0, v6, s[0:1]
	s_mov_b32 s0, 0x42b17218
	v_mov_b32_e32 v7, 0x7f800000
	v_cmp_nlt_f32_e64 s[0:1], s0, v10
	v_cndmask_b32_e64 v6, v7, v6, s[0:1]
	v_fma_f32 v0, -v4, v6, v0
	global_store_dword v[2:3], v0, off
.LBB231_7:
	s_or_b64 exec, exec, s[2:3]
	v_cmp_ne_u32_e64 s[0:1], 1, v8
	s_and_b64 exec, exec, s[0:1]
	s_cbranch_execz .LBB231_10
; %bb.8:
	s_and_b64 exec, exec, vcc
	s_cbranch_execz .LBB231_10
; %bb.9:
	s_waitcnt vmcnt(0)
	v_mul_f32_e32 v0, 0x3fb8aa3b, v9
	s_mov_b32 s0, 0x3fb8aa3b
	v_rndne_f32_e32 v4, v0
	v_sub_f32_e32 v6, v0, v4
	v_fma_f32 v0, v9, s0, -v0
	v_fmac_f32_e32 v0, 0x32a5705f, v9
	v_add_f32_e32 v0, v6, v0
	v_exp_f32_e32 v0, v0
	v_cvt_i32_f32_e32 v4, v4
	s_mov_b32 s0, 0xc2ce8ed0
	v_cmp_ngt_f32_e32 vcc, s0, v9
	s_mov_b32 s0, 0x42b17218
	v_ldexp_f32 v0, v0, v4
	v_cndmask_b32_e32 v0, 0, v0, vcc
	v_mov_b32_e32 v4, 0x7f800000
	v_cmp_nlt_f32_e32 vcc, s0, v9
	v_cndmask_b32_e32 v0, v4, v0, vcc
	s_lshl_b64 s[0:1], s[10:11], 2
	v_fma_f32 v4, -v5, v0, v1
	v_mov_b32_e32 v1, s1
	v_add_co_u32_e32 v0, vcc, s0, v2
	v_addc_co_u32_e32 v1, vcc, v3, v1, vcc
	global_store_dword v[0:1], v4, off
.LBB231_10:
	s_endpgm
	.section	.rodata,"a",@progbits
	.p2align	6, 0x0
	.amdhsa_kernel _ZN12_GLOBAL__N_121softmax_warp_backwardIfffLi1ELb1ELb0ELi32EEEvPT0_PKT_S5_iiiPKb
		.amdhsa_group_segment_fixed_size 0
		.amdhsa_private_segment_fixed_size 0
		.amdhsa_kernarg_size 304
		.amdhsa_user_sgpr_count 6
		.amdhsa_user_sgpr_private_segment_buffer 1
		.amdhsa_user_sgpr_dispatch_ptr 0
		.amdhsa_user_sgpr_queue_ptr 0
		.amdhsa_user_sgpr_kernarg_segment_ptr 1
		.amdhsa_user_sgpr_dispatch_id 0
		.amdhsa_user_sgpr_flat_scratch_init 0
		.amdhsa_user_sgpr_kernarg_preload_length 0
		.amdhsa_user_sgpr_kernarg_preload_offset 0
		.amdhsa_user_sgpr_private_segment_size 0
		.amdhsa_uses_dynamic_stack 0
		.amdhsa_system_sgpr_private_segment_wavefront_offset 0
		.amdhsa_system_sgpr_workgroup_id_x 1
		.amdhsa_system_sgpr_workgroup_id_y 0
		.amdhsa_system_sgpr_workgroup_id_z 0
		.amdhsa_system_sgpr_workgroup_info 0
		.amdhsa_system_vgpr_workitem_id 1
		.amdhsa_next_free_vgpr 12
		.amdhsa_next_free_sgpr 16
		.amdhsa_accum_offset 12
		.amdhsa_reserve_vcc 1
		.amdhsa_reserve_flat_scratch 0
		.amdhsa_float_round_mode_32 0
		.amdhsa_float_round_mode_16_64 0
		.amdhsa_float_denorm_mode_32 3
		.amdhsa_float_denorm_mode_16_64 3
		.amdhsa_dx10_clamp 1
		.amdhsa_ieee_mode 1
		.amdhsa_fp16_overflow 0
		.amdhsa_tg_split 0
		.amdhsa_exception_fp_ieee_invalid_op 0
		.amdhsa_exception_fp_denorm_src 0
		.amdhsa_exception_fp_ieee_div_zero 0
		.amdhsa_exception_fp_ieee_overflow 0
		.amdhsa_exception_fp_ieee_underflow 0
		.amdhsa_exception_fp_ieee_inexact 0
		.amdhsa_exception_int_div_zero 0
	.end_amdhsa_kernel
	.section	.text._ZN12_GLOBAL__N_121softmax_warp_backwardIfffLi1ELb1ELb0ELi32EEEvPT0_PKT_S5_iiiPKb,"axG",@progbits,_ZN12_GLOBAL__N_121softmax_warp_backwardIfffLi1ELb1ELb0ELi32EEEvPT0_PKT_S5_iiiPKb,comdat
.Lfunc_end231:
	.size	_ZN12_GLOBAL__N_121softmax_warp_backwardIfffLi1ELb1ELb0ELi32EEEvPT0_PKT_S5_iiiPKb, .Lfunc_end231-_ZN12_GLOBAL__N_121softmax_warp_backwardIfffLi1ELb1ELb0ELi32EEEvPT0_PKT_S5_iiiPKb
                                        ; -- End function
	.section	.AMDGPU.csdata,"",@progbits
; Kernel info:
; codeLenInByte = 692
; NumSgprs: 20
; NumVgprs: 12
; NumAgprs: 0
; TotalNumVgprs: 12
; ScratchSize: 0
; MemoryBound: 0
; FloatMode: 240
; IeeeMode: 1
; LDSByteSize: 0 bytes/workgroup (compile time only)
; SGPRBlocks: 2
; VGPRBlocks: 1
; NumSGPRsForWavesPerEU: 20
; NumVGPRsForWavesPerEU: 12
; AccumOffset: 12
; Occupancy: 8
; WaveLimiterHint : 0
; COMPUTE_PGM_RSRC2:SCRATCH_EN: 0
; COMPUTE_PGM_RSRC2:USER_SGPR: 6
; COMPUTE_PGM_RSRC2:TRAP_HANDLER: 0
; COMPUTE_PGM_RSRC2:TGID_X_EN: 1
; COMPUTE_PGM_RSRC2:TGID_Y_EN: 0
; COMPUTE_PGM_RSRC2:TGID_Z_EN: 0
; COMPUTE_PGM_RSRC2:TIDIG_COMP_CNT: 1
; COMPUTE_PGM_RSRC3_GFX90A:ACCUM_OFFSET: 2
; COMPUTE_PGM_RSRC3_GFX90A:TG_SPLIT: 0
	.section	.text._ZN12_GLOBAL__N_121softmax_warp_backwardIfffLi2ELb1ELb0ELi64EEEvPT0_PKT_S5_iiiPKb,"axG",@progbits,_ZN12_GLOBAL__N_121softmax_warp_backwardIfffLi2ELb1ELb0ELi64EEEvPT0_PKT_S5_iiiPKb,comdat
	.globl	_ZN12_GLOBAL__N_121softmax_warp_backwardIfffLi2ELb1ELb0ELi64EEEvPT0_PKT_S5_iiiPKb ; -- Begin function _ZN12_GLOBAL__N_121softmax_warp_backwardIfffLi2ELb1ELb0ELi64EEEvPT0_PKT_S5_iiiPKb
	.p2align	8
	.type	_ZN12_GLOBAL__N_121softmax_warp_backwardIfffLi2ELb1ELb0ELi64EEEvPT0_PKT_S5_iiiPKb,@function
_ZN12_GLOBAL__N_121softmax_warp_backwardIfffLi2ELb1ELb0ELi64EEEvPT0_PKT_S5_iiiPKb: ; @_ZN12_GLOBAL__N_121softmax_warp_backwardIfffLi2ELb1ELb0ELi64EEEvPT0_PKT_S5_iiiPKb
; %bb.0:
	s_load_dword s2, s[4:5], 0x3c
	s_load_dwordx4 s[8:11], s[4:5], 0x18
	s_load_dwordx4 s[12:15], s[4:5], 0x0
	s_load_dwordx2 s[0:1], s[4:5], 0x10
	v_bfe_u32 v1, v0, 10, 10
	s_waitcnt lgkmcnt(0)
	s_lshr_b32 s2, s2, 16
	s_mul_i32 s6, s6, s2
	v_add_lshl_u32 v1, s6, v1, 1
	v_and_b32_e32 v0, 3, v0
	v_mad_u64_u32 v[2:3], s[2:3], v1, s9, v[0:1]
	v_ashrrev_i32_e32 v3, 31, v2
	v_lshlrev_b64 v[2:3], 2, v[2:3]
	v_sub_u32_e32 v8, s8, v1
	v_mov_b32_e32 v1, s15
	v_add_co_u32_e32 v4, vcc, s14, v2
	v_addc_co_u32_e32 v5, vcc, v1, v3, vcc
	v_mov_b32_e32 v1, s1
	v_add_co_u32_e32 v6, vcc, s0, v2
	v_addc_co_u32_e32 v7, vcc, v1, v3, vcc
	v_cmp_gt_i32_e32 vcc, s10, v0
	v_cmp_lt_i32_e64 s[0:1], 0, v8
	s_and_b64 s[4:5], vcc, s[0:1]
	v_mov_b32_e32 v1, 0
	v_mov_b32_e32 v0, 0
	;; [unrolled: 1-line block ×3, first 2 shown]
	s_and_saveexec_b64 s[2:3], s[4:5]
	s_cbranch_execz .LBB232_2
; %bb.1:
	global_load_dword v0, v[4:5], off
	global_load_dword v10, v[6:7], off
.LBB232_2:
	s_or_b64 exec, exec, s[2:3]
	v_cmp_lt_i32_e64 s[2:3], 1, v8
	s_and_b64 s[2:3], vcc, s[2:3]
	s_mov_b32 s11, 0
	v_mov_b32_e32 v9, 0
	s_and_saveexec_b64 s[4:5], s[2:3]
	s_cbranch_execz .LBB232_4
; %bb.3:
	s_lshl_b64 s[6:7], s[10:11], 2
	v_mov_b32_e32 v9, s7
	v_add_co_u32_e64 v4, s[2:3], s6, v4
	v_addc_co_u32_e64 v5, s[2:3], v5, v9, s[2:3]
	global_load_dword v1, v[4:5], off
	v_add_co_u32_e64 v4, s[2:3], s6, v6
	v_addc_co_u32_e64 v5, s[2:3], v7, v9, s[2:3]
	global_load_dword v9, v[4:5], off
.LBB232_4:
	s_or_b64 exec, exec, s[4:5]
	v_mbcnt_lo_u32_b32 v6, -1, 0
	v_mbcnt_hi_u32_b32 v11, -1, v6
	v_and_b32_e32 v6, 0x7c, v11
	v_add_u32_e32 v12, 4, v6
	v_xor_b32_e32 v6, 2, v11
	v_cmp_lt_i32_e64 s[2:3], v6, v12
	v_cndmask_b32_e64 v6, v11, v6, s[2:3]
	s_waitcnt vmcnt(1)
	v_pk_add_f32 v[4:5], v[0:1], 0 op_sel_hi:[1,0]
	v_lshlrev_b32_e32 v7, 2, v6
	ds_bpermute_b32 v6, v7, v4
	ds_bpermute_b32 v7, v7, v5
	v_xor_b32_e32 v13, 1, v11
	v_cmp_lt_i32_e64 s[2:3], v13, v12
	v_cndmask_b32_e64 v11, v11, v13, s[2:3]
	v_lshlrev_b32_e32 v11, 2, v11
	s_waitcnt lgkmcnt(0)
	v_pk_add_f32 v[4:5], v[4:5], v[6:7]
	ds_bpermute_b32 v6, v11, v4
	ds_bpermute_b32 v7, v11, v5
	s_and_saveexec_b64 s[2:3], s[0:1]
	s_cbranch_execz .LBB232_10
; %bb.5:
	v_mov_b32_e32 v11, s13
	v_add_co_u32_e64 v2, s[0:1], s12, v2
	v_addc_co_u32_e64 v3, s[0:1], v11, v3, s[0:1]
	s_waitcnt lgkmcnt(0)
	v_pk_add_f32 v[4:5], v[4:5], v[6:7]
	s_and_saveexec_b64 s[2:3], vcc
	s_cbranch_execz .LBB232_7
; %bb.6:
	s_waitcnt vmcnt(0)
	v_mul_f32_e32 v6, 0x3fb8aa3b, v10
	s_mov_b32 s0, 0x3fb8aa3b
	v_rndne_f32_e32 v7, v6
	v_sub_f32_e32 v11, v6, v7
	v_fma_f32 v6, v10, s0, -v6
	v_fmac_f32_e32 v6, 0x32a5705f, v10
	v_add_f32_e32 v6, v11, v6
	v_exp_f32_e32 v6, v6
	v_cvt_i32_f32_e32 v7, v7
	s_mov_b32 s0, 0xc2ce8ed0
	v_cmp_ngt_f32_e64 s[0:1], s0, v10
	v_ldexp_f32 v6, v6, v7
	v_cndmask_b32_e64 v6, 0, v6, s[0:1]
	s_mov_b32 s0, 0x42b17218
	v_mov_b32_e32 v7, 0x7f800000
	v_cmp_nlt_f32_e64 s[0:1], s0, v10
	v_cndmask_b32_e64 v6, v7, v6, s[0:1]
	v_fma_f32 v0, -v4, v6, v0
	global_store_dword v[2:3], v0, off
.LBB232_7:
	s_or_b64 exec, exec, s[2:3]
	v_cmp_ne_u32_e64 s[0:1], 1, v8
	s_and_b64 exec, exec, s[0:1]
	s_cbranch_execz .LBB232_10
; %bb.8:
	s_and_b64 exec, exec, vcc
	s_cbranch_execz .LBB232_10
; %bb.9:
	s_waitcnt vmcnt(0)
	v_mul_f32_e32 v0, 0x3fb8aa3b, v9
	s_mov_b32 s0, 0x3fb8aa3b
	v_rndne_f32_e32 v4, v0
	v_sub_f32_e32 v6, v0, v4
	v_fma_f32 v0, v9, s0, -v0
	v_fmac_f32_e32 v0, 0x32a5705f, v9
	v_add_f32_e32 v0, v6, v0
	v_exp_f32_e32 v0, v0
	v_cvt_i32_f32_e32 v4, v4
	s_mov_b32 s0, 0xc2ce8ed0
	v_cmp_ngt_f32_e32 vcc, s0, v9
	s_mov_b32 s0, 0x42b17218
	v_ldexp_f32 v0, v0, v4
	v_cndmask_b32_e32 v0, 0, v0, vcc
	v_mov_b32_e32 v4, 0x7f800000
	v_cmp_nlt_f32_e32 vcc, s0, v9
	v_cndmask_b32_e32 v0, v4, v0, vcc
	s_lshl_b64 s[0:1], s[10:11], 2
	v_fma_f32 v4, -v5, v0, v1
	v_mov_b32_e32 v1, s1
	v_add_co_u32_e32 v0, vcc, s0, v2
	v_addc_co_u32_e32 v1, vcc, v3, v1, vcc
	global_store_dword v[0:1], v4, off
.LBB232_10:
	s_endpgm
	.section	.rodata,"a",@progbits
	.p2align	6, 0x0
	.amdhsa_kernel _ZN12_GLOBAL__N_121softmax_warp_backwardIfffLi2ELb1ELb0ELi64EEEvPT0_PKT_S5_iiiPKb
		.amdhsa_group_segment_fixed_size 0
		.amdhsa_private_segment_fixed_size 0
		.amdhsa_kernarg_size 304
		.amdhsa_user_sgpr_count 6
		.amdhsa_user_sgpr_private_segment_buffer 1
		.amdhsa_user_sgpr_dispatch_ptr 0
		.amdhsa_user_sgpr_queue_ptr 0
		.amdhsa_user_sgpr_kernarg_segment_ptr 1
		.amdhsa_user_sgpr_dispatch_id 0
		.amdhsa_user_sgpr_flat_scratch_init 0
		.amdhsa_user_sgpr_kernarg_preload_length 0
		.amdhsa_user_sgpr_kernarg_preload_offset 0
		.amdhsa_user_sgpr_private_segment_size 0
		.amdhsa_uses_dynamic_stack 0
		.amdhsa_system_sgpr_private_segment_wavefront_offset 0
		.amdhsa_system_sgpr_workgroup_id_x 1
		.amdhsa_system_sgpr_workgroup_id_y 0
		.amdhsa_system_sgpr_workgroup_id_z 0
		.amdhsa_system_sgpr_workgroup_info 0
		.amdhsa_system_vgpr_workitem_id 1
		.amdhsa_next_free_vgpr 14
		.amdhsa_next_free_sgpr 16
		.amdhsa_accum_offset 16
		.amdhsa_reserve_vcc 1
		.amdhsa_reserve_flat_scratch 0
		.amdhsa_float_round_mode_32 0
		.amdhsa_float_round_mode_16_64 0
		.amdhsa_float_denorm_mode_32 3
		.amdhsa_float_denorm_mode_16_64 3
		.amdhsa_dx10_clamp 1
		.amdhsa_ieee_mode 1
		.amdhsa_fp16_overflow 0
		.amdhsa_tg_split 0
		.amdhsa_exception_fp_ieee_invalid_op 0
		.amdhsa_exception_fp_denorm_src 0
		.amdhsa_exception_fp_ieee_div_zero 0
		.amdhsa_exception_fp_ieee_overflow 0
		.amdhsa_exception_fp_ieee_underflow 0
		.amdhsa_exception_fp_ieee_inexact 0
		.amdhsa_exception_int_div_zero 0
	.end_amdhsa_kernel
	.section	.text._ZN12_GLOBAL__N_121softmax_warp_backwardIfffLi2ELb1ELb0ELi64EEEvPT0_PKT_S5_iiiPKb,"axG",@progbits,_ZN12_GLOBAL__N_121softmax_warp_backwardIfffLi2ELb1ELb0ELi64EEEvPT0_PKT_S5_iiiPKb,comdat
.Lfunc_end232:
	.size	_ZN12_GLOBAL__N_121softmax_warp_backwardIfffLi2ELb1ELb0ELi64EEEvPT0_PKT_S5_iiiPKb, .Lfunc_end232-_ZN12_GLOBAL__N_121softmax_warp_backwardIfffLi2ELb1ELb0ELi64EEEvPT0_PKT_S5_iiiPKb
                                        ; -- End function
	.section	.AMDGPU.csdata,"",@progbits
; Kernel info:
; codeLenInByte = 740
; NumSgprs: 20
; NumVgprs: 14
; NumAgprs: 0
; TotalNumVgprs: 14
; ScratchSize: 0
; MemoryBound: 0
; FloatMode: 240
; IeeeMode: 1
; LDSByteSize: 0 bytes/workgroup (compile time only)
; SGPRBlocks: 2
; VGPRBlocks: 1
; NumSGPRsForWavesPerEU: 20
; NumVGPRsForWavesPerEU: 14
; AccumOffset: 16
; Occupancy: 8
; WaveLimiterHint : 0
; COMPUTE_PGM_RSRC2:SCRATCH_EN: 0
; COMPUTE_PGM_RSRC2:USER_SGPR: 6
; COMPUTE_PGM_RSRC2:TRAP_HANDLER: 0
; COMPUTE_PGM_RSRC2:TGID_X_EN: 1
; COMPUTE_PGM_RSRC2:TGID_Y_EN: 0
; COMPUTE_PGM_RSRC2:TGID_Z_EN: 0
; COMPUTE_PGM_RSRC2:TIDIG_COMP_CNT: 1
; COMPUTE_PGM_RSRC3_GFX90A:ACCUM_OFFSET: 3
; COMPUTE_PGM_RSRC3_GFX90A:TG_SPLIT: 0
	.section	.text._ZN12_GLOBAL__N_121softmax_warp_backwardIfffLi2ELb1ELb0ELi32EEEvPT0_PKT_S5_iiiPKb,"axG",@progbits,_ZN12_GLOBAL__N_121softmax_warp_backwardIfffLi2ELb1ELb0ELi32EEEvPT0_PKT_S5_iiiPKb,comdat
	.globl	_ZN12_GLOBAL__N_121softmax_warp_backwardIfffLi2ELb1ELb0ELi32EEEvPT0_PKT_S5_iiiPKb ; -- Begin function _ZN12_GLOBAL__N_121softmax_warp_backwardIfffLi2ELb1ELb0ELi32EEEvPT0_PKT_S5_iiiPKb
	.p2align	8
	.type	_ZN12_GLOBAL__N_121softmax_warp_backwardIfffLi2ELb1ELb0ELi32EEEvPT0_PKT_S5_iiiPKb,@function
_ZN12_GLOBAL__N_121softmax_warp_backwardIfffLi2ELb1ELb0ELi32EEEvPT0_PKT_S5_iiiPKb: ; @_ZN12_GLOBAL__N_121softmax_warp_backwardIfffLi2ELb1ELb0ELi32EEEvPT0_PKT_S5_iiiPKb
; %bb.0:
	s_load_dword s2, s[4:5], 0x3c
	s_load_dwordx4 s[8:11], s[4:5], 0x18
	s_load_dwordx4 s[12:15], s[4:5], 0x0
	s_load_dwordx2 s[0:1], s[4:5], 0x10
	v_bfe_u32 v1, v0, 10, 10
	s_waitcnt lgkmcnt(0)
	s_lshr_b32 s2, s2, 16
	s_mul_i32 s6, s6, s2
	v_add_lshl_u32 v1, s6, v1, 1
	v_and_b32_e32 v0, 3, v0
	v_mad_u64_u32 v[2:3], s[2:3], v1, s9, v[0:1]
	v_ashrrev_i32_e32 v3, 31, v2
	v_lshlrev_b64 v[2:3], 2, v[2:3]
	v_sub_u32_e32 v8, s8, v1
	v_mov_b32_e32 v1, s15
	v_add_co_u32_e32 v4, vcc, s14, v2
	v_addc_co_u32_e32 v5, vcc, v1, v3, vcc
	v_mov_b32_e32 v1, s1
	v_add_co_u32_e32 v6, vcc, s0, v2
	v_addc_co_u32_e32 v7, vcc, v1, v3, vcc
	v_cmp_gt_i32_e32 vcc, s10, v0
	v_cmp_lt_i32_e64 s[0:1], 0, v8
	s_and_b64 s[4:5], vcc, s[0:1]
	v_mov_b32_e32 v1, 0
	v_mov_b32_e32 v0, 0
	;; [unrolled: 1-line block ×3, first 2 shown]
	s_and_saveexec_b64 s[2:3], s[4:5]
	s_cbranch_execz .LBB233_2
; %bb.1:
	global_load_dword v0, v[4:5], off
	global_load_dword v10, v[6:7], off
.LBB233_2:
	s_or_b64 exec, exec, s[2:3]
	v_cmp_lt_i32_e64 s[2:3], 1, v8
	s_and_b64 s[2:3], vcc, s[2:3]
	s_mov_b32 s11, 0
	v_mov_b32_e32 v9, 0
	s_and_saveexec_b64 s[4:5], s[2:3]
	s_cbranch_execz .LBB233_4
; %bb.3:
	s_lshl_b64 s[6:7], s[10:11], 2
	v_mov_b32_e32 v9, s7
	v_add_co_u32_e64 v4, s[2:3], s6, v4
	v_addc_co_u32_e64 v5, s[2:3], v5, v9, s[2:3]
	global_load_dword v1, v[4:5], off
	v_add_co_u32_e64 v4, s[2:3], s6, v6
	v_addc_co_u32_e64 v5, s[2:3], v7, v9, s[2:3]
	global_load_dword v9, v[4:5], off
.LBB233_4:
	s_or_b64 exec, exec, s[4:5]
	v_mbcnt_lo_u32_b32 v6, -1, 0
	v_mbcnt_hi_u32_b32 v11, -1, v6
	v_and_b32_e32 v6, 0x7c, v11
	v_add_u32_e32 v12, 4, v6
	v_xor_b32_e32 v6, 2, v11
	v_cmp_lt_i32_e64 s[2:3], v6, v12
	v_cndmask_b32_e64 v6, v11, v6, s[2:3]
	s_waitcnt vmcnt(1)
	v_pk_add_f32 v[4:5], v[0:1], 0 op_sel_hi:[1,0]
	v_lshlrev_b32_e32 v7, 2, v6
	ds_bpermute_b32 v6, v7, v4
	ds_bpermute_b32 v7, v7, v5
	v_xor_b32_e32 v13, 1, v11
	v_cmp_lt_i32_e64 s[2:3], v13, v12
	v_cndmask_b32_e64 v11, v11, v13, s[2:3]
	v_lshlrev_b32_e32 v11, 2, v11
	s_waitcnt lgkmcnt(0)
	v_pk_add_f32 v[4:5], v[4:5], v[6:7]
	ds_bpermute_b32 v6, v11, v4
	ds_bpermute_b32 v7, v11, v5
	s_and_saveexec_b64 s[2:3], s[0:1]
	s_cbranch_execz .LBB233_10
; %bb.5:
	v_mov_b32_e32 v11, s13
	v_add_co_u32_e64 v2, s[0:1], s12, v2
	v_addc_co_u32_e64 v3, s[0:1], v11, v3, s[0:1]
	s_waitcnt lgkmcnt(0)
	v_pk_add_f32 v[4:5], v[4:5], v[6:7]
	s_and_saveexec_b64 s[2:3], vcc
	s_cbranch_execz .LBB233_7
; %bb.6:
	s_waitcnt vmcnt(0)
	v_mul_f32_e32 v6, 0x3fb8aa3b, v10
	s_mov_b32 s0, 0x3fb8aa3b
	v_rndne_f32_e32 v7, v6
	v_sub_f32_e32 v11, v6, v7
	v_fma_f32 v6, v10, s0, -v6
	v_fmac_f32_e32 v6, 0x32a5705f, v10
	v_add_f32_e32 v6, v11, v6
	v_exp_f32_e32 v6, v6
	v_cvt_i32_f32_e32 v7, v7
	s_mov_b32 s0, 0xc2ce8ed0
	v_cmp_ngt_f32_e64 s[0:1], s0, v10
	v_ldexp_f32 v6, v6, v7
	v_cndmask_b32_e64 v6, 0, v6, s[0:1]
	s_mov_b32 s0, 0x42b17218
	v_mov_b32_e32 v7, 0x7f800000
	v_cmp_nlt_f32_e64 s[0:1], s0, v10
	v_cndmask_b32_e64 v6, v7, v6, s[0:1]
	v_fma_f32 v0, -v4, v6, v0
	global_store_dword v[2:3], v0, off
.LBB233_7:
	s_or_b64 exec, exec, s[2:3]
	v_cmp_ne_u32_e64 s[0:1], 1, v8
	s_and_b64 exec, exec, s[0:1]
	s_cbranch_execz .LBB233_10
; %bb.8:
	s_and_b64 exec, exec, vcc
	s_cbranch_execz .LBB233_10
; %bb.9:
	s_waitcnt vmcnt(0)
	v_mul_f32_e32 v0, 0x3fb8aa3b, v9
	s_mov_b32 s0, 0x3fb8aa3b
	v_rndne_f32_e32 v4, v0
	v_sub_f32_e32 v6, v0, v4
	v_fma_f32 v0, v9, s0, -v0
	v_fmac_f32_e32 v0, 0x32a5705f, v9
	v_add_f32_e32 v0, v6, v0
	v_exp_f32_e32 v0, v0
	v_cvt_i32_f32_e32 v4, v4
	s_mov_b32 s0, 0xc2ce8ed0
	v_cmp_ngt_f32_e32 vcc, s0, v9
	s_mov_b32 s0, 0x42b17218
	v_ldexp_f32 v0, v0, v4
	v_cndmask_b32_e32 v0, 0, v0, vcc
	v_mov_b32_e32 v4, 0x7f800000
	v_cmp_nlt_f32_e32 vcc, s0, v9
	v_cndmask_b32_e32 v0, v4, v0, vcc
	s_lshl_b64 s[0:1], s[10:11], 2
	v_fma_f32 v4, -v5, v0, v1
	v_mov_b32_e32 v1, s1
	v_add_co_u32_e32 v0, vcc, s0, v2
	v_addc_co_u32_e32 v1, vcc, v3, v1, vcc
	global_store_dword v[0:1], v4, off
.LBB233_10:
	s_endpgm
	.section	.rodata,"a",@progbits
	.p2align	6, 0x0
	.amdhsa_kernel _ZN12_GLOBAL__N_121softmax_warp_backwardIfffLi2ELb1ELb0ELi32EEEvPT0_PKT_S5_iiiPKb
		.amdhsa_group_segment_fixed_size 0
		.amdhsa_private_segment_fixed_size 0
		.amdhsa_kernarg_size 304
		.amdhsa_user_sgpr_count 6
		.amdhsa_user_sgpr_private_segment_buffer 1
		.amdhsa_user_sgpr_dispatch_ptr 0
		.amdhsa_user_sgpr_queue_ptr 0
		.amdhsa_user_sgpr_kernarg_segment_ptr 1
		.amdhsa_user_sgpr_dispatch_id 0
		.amdhsa_user_sgpr_flat_scratch_init 0
		.amdhsa_user_sgpr_kernarg_preload_length 0
		.amdhsa_user_sgpr_kernarg_preload_offset 0
		.amdhsa_user_sgpr_private_segment_size 0
		.amdhsa_uses_dynamic_stack 0
		.amdhsa_system_sgpr_private_segment_wavefront_offset 0
		.amdhsa_system_sgpr_workgroup_id_x 1
		.amdhsa_system_sgpr_workgroup_id_y 0
		.amdhsa_system_sgpr_workgroup_id_z 0
		.amdhsa_system_sgpr_workgroup_info 0
		.amdhsa_system_vgpr_workitem_id 1
		.amdhsa_next_free_vgpr 14
		.amdhsa_next_free_sgpr 16
		.amdhsa_accum_offset 16
		.amdhsa_reserve_vcc 1
		.amdhsa_reserve_flat_scratch 0
		.amdhsa_float_round_mode_32 0
		.amdhsa_float_round_mode_16_64 0
		.amdhsa_float_denorm_mode_32 3
		.amdhsa_float_denorm_mode_16_64 3
		.amdhsa_dx10_clamp 1
		.amdhsa_ieee_mode 1
		.amdhsa_fp16_overflow 0
		.amdhsa_tg_split 0
		.amdhsa_exception_fp_ieee_invalid_op 0
		.amdhsa_exception_fp_denorm_src 0
		.amdhsa_exception_fp_ieee_div_zero 0
		.amdhsa_exception_fp_ieee_overflow 0
		.amdhsa_exception_fp_ieee_underflow 0
		.amdhsa_exception_fp_ieee_inexact 0
		.amdhsa_exception_int_div_zero 0
	.end_amdhsa_kernel
	.section	.text._ZN12_GLOBAL__N_121softmax_warp_backwardIfffLi2ELb1ELb0ELi32EEEvPT0_PKT_S5_iiiPKb,"axG",@progbits,_ZN12_GLOBAL__N_121softmax_warp_backwardIfffLi2ELb1ELb0ELi32EEEvPT0_PKT_S5_iiiPKb,comdat
.Lfunc_end233:
	.size	_ZN12_GLOBAL__N_121softmax_warp_backwardIfffLi2ELb1ELb0ELi32EEEvPT0_PKT_S5_iiiPKb, .Lfunc_end233-_ZN12_GLOBAL__N_121softmax_warp_backwardIfffLi2ELb1ELb0ELi32EEEvPT0_PKT_S5_iiiPKb
                                        ; -- End function
	.section	.AMDGPU.csdata,"",@progbits
; Kernel info:
; codeLenInByte = 740
; NumSgprs: 20
; NumVgprs: 14
; NumAgprs: 0
; TotalNumVgprs: 14
; ScratchSize: 0
; MemoryBound: 0
; FloatMode: 240
; IeeeMode: 1
; LDSByteSize: 0 bytes/workgroup (compile time only)
; SGPRBlocks: 2
; VGPRBlocks: 1
; NumSGPRsForWavesPerEU: 20
; NumVGPRsForWavesPerEU: 14
; AccumOffset: 16
; Occupancy: 8
; WaveLimiterHint : 0
; COMPUTE_PGM_RSRC2:SCRATCH_EN: 0
; COMPUTE_PGM_RSRC2:USER_SGPR: 6
; COMPUTE_PGM_RSRC2:TRAP_HANDLER: 0
; COMPUTE_PGM_RSRC2:TGID_X_EN: 1
; COMPUTE_PGM_RSRC2:TGID_Y_EN: 0
; COMPUTE_PGM_RSRC2:TGID_Z_EN: 0
; COMPUTE_PGM_RSRC2:TIDIG_COMP_CNT: 1
; COMPUTE_PGM_RSRC3_GFX90A:ACCUM_OFFSET: 3
; COMPUTE_PGM_RSRC3_GFX90A:TG_SPLIT: 0
	.section	.text._ZN12_GLOBAL__N_121softmax_warp_backwardIfffLi3ELb1ELb0ELi64EEEvPT0_PKT_S5_iiiPKb,"axG",@progbits,_ZN12_GLOBAL__N_121softmax_warp_backwardIfffLi3ELb1ELb0ELi64EEEvPT0_PKT_S5_iiiPKb,comdat
	.globl	_ZN12_GLOBAL__N_121softmax_warp_backwardIfffLi3ELb1ELb0ELi64EEEvPT0_PKT_S5_iiiPKb ; -- Begin function _ZN12_GLOBAL__N_121softmax_warp_backwardIfffLi3ELb1ELb0ELi64EEEvPT0_PKT_S5_iiiPKb
	.p2align	8
	.type	_ZN12_GLOBAL__N_121softmax_warp_backwardIfffLi3ELb1ELb0ELi64EEEvPT0_PKT_S5_iiiPKb,@function
_ZN12_GLOBAL__N_121softmax_warp_backwardIfffLi3ELb1ELb0ELi64EEEvPT0_PKT_S5_iiiPKb: ; @_ZN12_GLOBAL__N_121softmax_warp_backwardIfffLi3ELb1ELb0ELi64EEEvPT0_PKT_S5_iiiPKb
; %bb.0:
	s_load_dword s2, s[4:5], 0x3c
	s_load_dwordx4 s[8:11], s[4:5], 0x18
	s_load_dwordx4 s[12:15], s[4:5], 0x0
	s_load_dwordx2 s[0:1], s[4:5], 0x10
	v_bfe_u32 v1, v0, 10, 10
	s_waitcnt lgkmcnt(0)
	s_lshr_b32 s2, s2, 16
	s_mul_i32 s6, s6, s2
	v_add_lshl_u32 v1, s6, v1, 1
	v_and_b32_e32 v0, 7, v0
	v_mad_u64_u32 v[2:3], s[2:3], v1, s9, v[0:1]
	v_ashrrev_i32_e32 v3, 31, v2
	v_lshlrev_b64 v[2:3], 2, v[2:3]
	v_sub_u32_e32 v8, s8, v1
	v_mov_b32_e32 v1, s15
	v_add_co_u32_e32 v4, vcc, s14, v2
	v_addc_co_u32_e32 v5, vcc, v1, v3, vcc
	v_mov_b32_e32 v1, s1
	v_add_co_u32_e32 v6, vcc, s0, v2
	v_addc_co_u32_e32 v7, vcc, v1, v3, vcc
	v_cmp_gt_i32_e32 vcc, s10, v0
	v_cmp_lt_i32_e64 s[0:1], 0, v8
	s_and_b64 s[4:5], vcc, s[0:1]
	v_mov_b32_e32 v1, 0
	v_mov_b32_e32 v0, 0
	;; [unrolled: 1-line block ×3, first 2 shown]
	s_and_saveexec_b64 s[2:3], s[4:5]
	s_cbranch_execz .LBB234_2
; %bb.1:
	global_load_dword v0, v[4:5], off
	global_load_dword v10, v[6:7], off
.LBB234_2:
	s_or_b64 exec, exec, s[2:3]
	v_cmp_lt_i32_e64 s[2:3], 1, v8
	s_and_b64 s[2:3], vcc, s[2:3]
	s_mov_b32 s11, 0
	v_mov_b32_e32 v9, 0
	s_and_saveexec_b64 s[4:5], s[2:3]
	s_cbranch_execz .LBB234_4
; %bb.3:
	s_lshl_b64 s[6:7], s[10:11], 2
	v_mov_b32_e32 v9, s7
	v_add_co_u32_e64 v4, s[2:3], s6, v4
	v_addc_co_u32_e64 v5, s[2:3], v5, v9, s[2:3]
	global_load_dword v1, v[4:5], off
	v_add_co_u32_e64 v4, s[2:3], s6, v6
	v_addc_co_u32_e64 v5, s[2:3], v7, v9, s[2:3]
	global_load_dword v9, v[4:5], off
.LBB234_4:
	s_or_b64 exec, exec, s[4:5]
	v_mbcnt_lo_u32_b32 v6, -1, 0
	v_mbcnt_hi_u32_b32 v11, -1, v6
	v_and_b32_e32 v6, 0x78, v11
	v_add_u32_e32 v12, 8, v6
	v_xor_b32_e32 v6, 4, v11
	v_cmp_lt_i32_e64 s[2:3], v6, v12
	v_cndmask_b32_e64 v6, v11, v6, s[2:3]
	s_waitcnt vmcnt(1)
	v_pk_add_f32 v[4:5], v[0:1], 0 op_sel_hi:[1,0]
	v_lshlrev_b32_e32 v7, 2, v6
	ds_bpermute_b32 v6, v7, v4
	ds_bpermute_b32 v7, v7, v5
	v_xor_b32_e32 v13, 2, v11
	v_cmp_lt_i32_e64 s[2:3], v13, v12
	v_cndmask_b32_e64 v13, v11, v13, s[2:3]
	v_lshlrev_b32_e32 v13, 2, v13
	s_waitcnt lgkmcnt(0)
	v_pk_add_f32 v[4:5], v[4:5], v[6:7]
	ds_bpermute_b32 v6, v13, v4
	ds_bpermute_b32 v7, v13, v5
	v_xor_b32_e32 v13, 1, v11
	v_cmp_lt_i32_e64 s[2:3], v13, v12
	v_cndmask_b32_e64 v11, v11, v13, s[2:3]
	v_lshlrev_b32_e32 v11, 2, v11
	s_waitcnt lgkmcnt(0)
	v_pk_add_f32 v[4:5], v[4:5], v[6:7]
	ds_bpermute_b32 v6, v11, v4
	ds_bpermute_b32 v7, v11, v5
	s_and_saveexec_b64 s[2:3], s[0:1]
	s_cbranch_execz .LBB234_10
; %bb.5:
	v_mov_b32_e32 v11, s13
	v_add_co_u32_e64 v2, s[0:1], s12, v2
	v_addc_co_u32_e64 v3, s[0:1], v11, v3, s[0:1]
	s_waitcnt lgkmcnt(0)
	v_pk_add_f32 v[4:5], v[4:5], v[6:7]
	s_and_saveexec_b64 s[2:3], vcc
	s_cbranch_execz .LBB234_7
; %bb.6:
	s_waitcnt vmcnt(0)
	v_mul_f32_e32 v6, 0x3fb8aa3b, v10
	s_mov_b32 s0, 0x3fb8aa3b
	v_rndne_f32_e32 v7, v6
	v_sub_f32_e32 v11, v6, v7
	v_fma_f32 v6, v10, s0, -v6
	v_fmac_f32_e32 v6, 0x32a5705f, v10
	v_add_f32_e32 v6, v11, v6
	v_exp_f32_e32 v6, v6
	v_cvt_i32_f32_e32 v7, v7
	s_mov_b32 s0, 0xc2ce8ed0
	v_cmp_ngt_f32_e64 s[0:1], s0, v10
	v_ldexp_f32 v6, v6, v7
	v_cndmask_b32_e64 v6, 0, v6, s[0:1]
	s_mov_b32 s0, 0x42b17218
	v_mov_b32_e32 v7, 0x7f800000
	v_cmp_nlt_f32_e64 s[0:1], s0, v10
	v_cndmask_b32_e64 v6, v7, v6, s[0:1]
	v_fma_f32 v0, -v4, v6, v0
	global_store_dword v[2:3], v0, off
.LBB234_7:
	s_or_b64 exec, exec, s[2:3]
	v_cmp_ne_u32_e64 s[0:1], 1, v8
	s_and_b64 exec, exec, s[0:1]
	s_cbranch_execz .LBB234_10
; %bb.8:
	s_and_b64 exec, exec, vcc
	s_cbranch_execz .LBB234_10
; %bb.9:
	s_waitcnt vmcnt(0)
	v_mul_f32_e32 v0, 0x3fb8aa3b, v9
	s_mov_b32 s0, 0x3fb8aa3b
	v_rndne_f32_e32 v4, v0
	v_sub_f32_e32 v6, v0, v4
	v_fma_f32 v0, v9, s0, -v0
	v_fmac_f32_e32 v0, 0x32a5705f, v9
	v_add_f32_e32 v0, v6, v0
	v_exp_f32_e32 v0, v0
	v_cvt_i32_f32_e32 v4, v4
	s_mov_b32 s0, 0xc2ce8ed0
	v_cmp_ngt_f32_e32 vcc, s0, v9
	s_mov_b32 s0, 0x42b17218
	v_ldexp_f32 v0, v0, v4
	v_cndmask_b32_e32 v0, 0, v0, vcc
	v_mov_b32_e32 v4, 0x7f800000
	v_cmp_nlt_f32_e32 vcc, s0, v9
	v_cndmask_b32_e32 v0, v4, v0, vcc
	s_lshl_b64 s[0:1], s[10:11], 2
	v_fma_f32 v4, -v5, v0, v1
	v_mov_b32_e32 v1, s1
	v_add_co_u32_e32 v0, vcc, s0, v2
	v_addc_co_u32_e32 v1, vcc, v3, v1, vcc
	global_store_dword v[0:1], v4, off
.LBB234_10:
	s_endpgm
	.section	.rodata,"a",@progbits
	.p2align	6, 0x0
	.amdhsa_kernel _ZN12_GLOBAL__N_121softmax_warp_backwardIfffLi3ELb1ELb0ELi64EEEvPT0_PKT_S5_iiiPKb
		.amdhsa_group_segment_fixed_size 0
		.amdhsa_private_segment_fixed_size 0
		.amdhsa_kernarg_size 304
		.amdhsa_user_sgpr_count 6
		.amdhsa_user_sgpr_private_segment_buffer 1
		.amdhsa_user_sgpr_dispatch_ptr 0
		.amdhsa_user_sgpr_queue_ptr 0
		.amdhsa_user_sgpr_kernarg_segment_ptr 1
		.amdhsa_user_sgpr_dispatch_id 0
		.amdhsa_user_sgpr_flat_scratch_init 0
		.amdhsa_user_sgpr_kernarg_preload_length 0
		.amdhsa_user_sgpr_kernarg_preload_offset 0
		.amdhsa_user_sgpr_private_segment_size 0
		.amdhsa_uses_dynamic_stack 0
		.amdhsa_system_sgpr_private_segment_wavefront_offset 0
		.amdhsa_system_sgpr_workgroup_id_x 1
		.amdhsa_system_sgpr_workgroup_id_y 0
		.amdhsa_system_sgpr_workgroup_id_z 0
		.amdhsa_system_sgpr_workgroup_info 0
		.amdhsa_system_vgpr_workitem_id 1
		.amdhsa_next_free_vgpr 14
		.amdhsa_next_free_sgpr 16
		.amdhsa_accum_offset 16
		.amdhsa_reserve_vcc 1
		.amdhsa_reserve_flat_scratch 0
		.amdhsa_float_round_mode_32 0
		.amdhsa_float_round_mode_16_64 0
		.amdhsa_float_denorm_mode_32 3
		.amdhsa_float_denorm_mode_16_64 3
		.amdhsa_dx10_clamp 1
		.amdhsa_ieee_mode 1
		.amdhsa_fp16_overflow 0
		.amdhsa_tg_split 0
		.amdhsa_exception_fp_ieee_invalid_op 0
		.amdhsa_exception_fp_denorm_src 0
		.amdhsa_exception_fp_ieee_div_zero 0
		.amdhsa_exception_fp_ieee_overflow 0
		.amdhsa_exception_fp_ieee_underflow 0
		.amdhsa_exception_fp_ieee_inexact 0
		.amdhsa_exception_int_div_zero 0
	.end_amdhsa_kernel
	.section	.text._ZN12_GLOBAL__N_121softmax_warp_backwardIfffLi3ELb1ELb0ELi64EEEvPT0_PKT_S5_iiiPKb,"axG",@progbits,_ZN12_GLOBAL__N_121softmax_warp_backwardIfffLi3ELb1ELb0ELi64EEEvPT0_PKT_S5_iiiPKb,comdat
.Lfunc_end234:
	.size	_ZN12_GLOBAL__N_121softmax_warp_backwardIfffLi3ELb1ELb0ELi64EEEvPT0_PKT_S5_iiiPKb, .Lfunc_end234-_ZN12_GLOBAL__N_121softmax_warp_backwardIfffLi3ELb1ELb0ELi64EEEvPT0_PKT_S5_iiiPKb
                                        ; -- End function
	.section	.AMDGPU.csdata,"",@progbits
; Kernel info:
; codeLenInByte = 792
; NumSgprs: 20
; NumVgprs: 14
; NumAgprs: 0
; TotalNumVgprs: 14
; ScratchSize: 0
; MemoryBound: 0
; FloatMode: 240
; IeeeMode: 1
; LDSByteSize: 0 bytes/workgroup (compile time only)
; SGPRBlocks: 2
; VGPRBlocks: 1
; NumSGPRsForWavesPerEU: 20
; NumVGPRsForWavesPerEU: 14
; AccumOffset: 16
; Occupancy: 8
; WaveLimiterHint : 0
; COMPUTE_PGM_RSRC2:SCRATCH_EN: 0
; COMPUTE_PGM_RSRC2:USER_SGPR: 6
; COMPUTE_PGM_RSRC2:TRAP_HANDLER: 0
; COMPUTE_PGM_RSRC2:TGID_X_EN: 1
; COMPUTE_PGM_RSRC2:TGID_Y_EN: 0
; COMPUTE_PGM_RSRC2:TGID_Z_EN: 0
; COMPUTE_PGM_RSRC2:TIDIG_COMP_CNT: 1
; COMPUTE_PGM_RSRC3_GFX90A:ACCUM_OFFSET: 3
; COMPUTE_PGM_RSRC3_GFX90A:TG_SPLIT: 0
	.section	.text._ZN12_GLOBAL__N_121softmax_warp_backwardIfffLi3ELb1ELb0ELi32EEEvPT0_PKT_S5_iiiPKb,"axG",@progbits,_ZN12_GLOBAL__N_121softmax_warp_backwardIfffLi3ELb1ELb0ELi32EEEvPT0_PKT_S5_iiiPKb,comdat
	.globl	_ZN12_GLOBAL__N_121softmax_warp_backwardIfffLi3ELb1ELb0ELi32EEEvPT0_PKT_S5_iiiPKb ; -- Begin function _ZN12_GLOBAL__N_121softmax_warp_backwardIfffLi3ELb1ELb0ELi32EEEvPT0_PKT_S5_iiiPKb
	.p2align	8
	.type	_ZN12_GLOBAL__N_121softmax_warp_backwardIfffLi3ELb1ELb0ELi32EEEvPT0_PKT_S5_iiiPKb,@function
_ZN12_GLOBAL__N_121softmax_warp_backwardIfffLi3ELb1ELb0ELi32EEEvPT0_PKT_S5_iiiPKb: ; @_ZN12_GLOBAL__N_121softmax_warp_backwardIfffLi3ELb1ELb0ELi32EEEvPT0_PKT_S5_iiiPKb
; %bb.0:
	s_load_dword s2, s[4:5], 0x3c
	s_load_dwordx4 s[8:11], s[4:5], 0x18
	s_load_dwordx4 s[12:15], s[4:5], 0x0
	s_load_dwordx2 s[0:1], s[4:5], 0x10
	v_bfe_u32 v1, v0, 10, 10
	s_waitcnt lgkmcnt(0)
	s_lshr_b32 s2, s2, 16
	s_mul_i32 s6, s6, s2
	v_add_lshl_u32 v1, s6, v1, 1
	v_and_b32_e32 v0, 7, v0
	v_mad_u64_u32 v[2:3], s[2:3], v1, s9, v[0:1]
	v_ashrrev_i32_e32 v3, 31, v2
	v_lshlrev_b64 v[2:3], 2, v[2:3]
	v_sub_u32_e32 v8, s8, v1
	v_mov_b32_e32 v1, s15
	v_add_co_u32_e32 v4, vcc, s14, v2
	v_addc_co_u32_e32 v5, vcc, v1, v3, vcc
	v_mov_b32_e32 v1, s1
	v_add_co_u32_e32 v6, vcc, s0, v2
	v_addc_co_u32_e32 v7, vcc, v1, v3, vcc
	v_cmp_gt_i32_e32 vcc, s10, v0
	v_cmp_lt_i32_e64 s[0:1], 0, v8
	s_and_b64 s[4:5], vcc, s[0:1]
	v_mov_b32_e32 v1, 0
	v_mov_b32_e32 v0, 0
	;; [unrolled: 1-line block ×3, first 2 shown]
	s_and_saveexec_b64 s[2:3], s[4:5]
	s_cbranch_execz .LBB235_2
; %bb.1:
	global_load_dword v0, v[4:5], off
	global_load_dword v10, v[6:7], off
.LBB235_2:
	s_or_b64 exec, exec, s[2:3]
	v_cmp_lt_i32_e64 s[2:3], 1, v8
	s_and_b64 s[2:3], vcc, s[2:3]
	s_mov_b32 s11, 0
	v_mov_b32_e32 v9, 0
	s_and_saveexec_b64 s[4:5], s[2:3]
	s_cbranch_execz .LBB235_4
; %bb.3:
	s_lshl_b64 s[6:7], s[10:11], 2
	v_mov_b32_e32 v9, s7
	v_add_co_u32_e64 v4, s[2:3], s6, v4
	v_addc_co_u32_e64 v5, s[2:3], v5, v9, s[2:3]
	global_load_dword v1, v[4:5], off
	v_add_co_u32_e64 v4, s[2:3], s6, v6
	v_addc_co_u32_e64 v5, s[2:3], v7, v9, s[2:3]
	global_load_dword v9, v[4:5], off
.LBB235_4:
	s_or_b64 exec, exec, s[4:5]
	v_mbcnt_lo_u32_b32 v6, -1, 0
	v_mbcnt_hi_u32_b32 v11, -1, v6
	v_and_b32_e32 v6, 0x78, v11
	v_add_u32_e32 v12, 8, v6
	v_xor_b32_e32 v6, 4, v11
	v_cmp_lt_i32_e64 s[2:3], v6, v12
	v_cndmask_b32_e64 v6, v11, v6, s[2:3]
	s_waitcnt vmcnt(1)
	v_pk_add_f32 v[4:5], v[0:1], 0 op_sel_hi:[1,0]
	v_lshlrev_b32_e32 v7, 2, v6
	ds_bpermute_b32 v6, v7, v4
	ds_bpermute_b32 v7, v7, v5
	v_xor_b32_e32 v13, 2, v11
	v_cmp_lt_i32_e64 s[2:3], v13, v12
	v_cndmask_b32_e64 v13, v11, v13, s[2:3]
	v_lshlrev_b32_e32 v13, 2, v13
	s_waitcnt lgkmcnt(0)
	v_pk_add_f32 v[4:5], v[4:5], v[6:7]
	ds_bpermute_b32 v6, v13, v4
	ds_bpermute_b32 v7, v13, v5
	v_xor_b32_e32 v13, 1, v11
	v_cmp_lt_i32_e64 s[2:3], v13, v12
	v_cndmask_b32_e64 v11, v11, v13, s[2:3]
	v_lshlrev_b32_e32 v11, 2, v11
	s_waitcnt lgkmcnt(0)
	v_pk_add_f32 v[4:5], v[4:5], v[6:7]
	ds_bpermute_b32 v6, v11, v4
	ds_bpermute_b32 v7, v11, v5
	s_and_saveexec_b64 s[2:3], s[0:1]
	s_cbranch_execz .LBB235_10
; %bb.5:
	v_mov_b32_e32 v11, s13
	v_add_co_u32_e64 v2, s[0:1], s12, v2
	v_addc_co_u32_e64 v3, s[0:1], v11, v3, s[0:1]
	s_waitcnt lgkmcnt(0)
	v_pk_add_f32 v[4:5], v[4:5], v[6:7]
	s_and_saveexec_b64 s[2:3], vcc
	s_cbranch_execz .LBB235_7
; %bb.6:
	s_waitcnt vmcnt(0)
	v_mul_f32_e32 v6, 0x3fb8aa3b, v10
	s_mov_b32 s0, 0x3fb8aa3b
	v_rndne_f32_e32 v7, v6
	v_sub_f32_e32 v11, v6, v7
	v_fma_f32 v6, v10, s0, -v6
	v_fmac_f32_e32 v6, 0x32a5705f, v10
	v_add_f32_e32 v6, v11, v6
	v_exp_f32_e32 v6, v6
	v_cvt_i32_f32_e32 v7, v7
	s_mov_b32 s0, 0xc2ce8ed0
	v_cmp_ngt_f32_e64 s[0:1], s0, v10
	v_ldexp_f32 v6, v6, v7
	v_cndmask_b32_e64 v6, 0, v6, s[0:1]
	s_mov_b32 s0, 0x42b17218
	v_mov_b32_e32 v7, 0x7f800000
	v_cmp_nlt_f32_e64 s[0:1], s0, v10
	v_cndmask_b32_e64 v6, v7, v6, s[0:1]
	v_fma_f32 v0, -v4, v6, v0
	global_store_dword v[2:3], v0, off
.LBB235_7:
	s_or_b64 exec, exec, s[2:3]
	v_cmp_ne_u32_e64 s[0:1], 1, v8
	s_and_b64 exec, exec, s[0:1]
	s_cbranch_execz .LBB235_10
; %bb.8:
	s_and_b64 exec, exec, vcc
	s_cbranch_execz .LBB235_10
; %bb.9:
	s_waitcnt vmcnt(0)
	v_mul_f32_e32 v0, 0x3fb8aa3b, v9
	s_mov_b32 s0, 0x3fb8aa3b
	v_rndne_f32_e32 v4, v0
	v_sub_f32_e32 v6, v0, v4
	v_fma_f32 v0, v9, s0, -v0
	v_fmac_f32_e32 v0, 0x32a5705f, v9
	v_add_f32_e32 v0, v6, v0
	v_exp_f32_e32 v0, v0
	v_cvt_i32_f32_e32 v4, v4
	s_mov_b32 s0, 0xc2ce8ed0
	v_cmp_ngt_f32_e32 vcc, s0, v9
	s_mov_b32 s0, 0x42b17218
	v_ldexp_f32 v0, v0, v4
	v_cndmask_b32_e32 v0, 0, v0, vcc
	v_mov_b32_e32 v4, 0x7f800000
	v_cmp_nlt_f32_e32 vcc, s0, v9
	v_cndmask_b32_e32 v0, v4, v0, vcc
	s_lshl_b64 s[0:1], s[10:11], 2
	v_fma_f32 v4, -v5, v0, v1
	v_mov_b32_e32 v1, s1
	v_add_co_u32_e32 v0, vcc, s0, v2
	v_addc_co_u32_e32 v1, vcc, v3, v1, vcc
	global_store_dword v[0:1], v4, off
.LBB235_10:
	s_endpgm
	.section	.rodata,"a",@progbits
	.p2align	6, 0x0
	.amdhsa_kernel _ZN12_GLOBAL__N_121softmax_warp_backwardIfffLi3ELb1ELb0ELi32EEEvPT0_PKT_S5_iiiPKb
		.amdhsa_group_segment_fixed_size 0
		.amdhsa_private_segment_fixed_size 0
		.amdhsa_kernarg_size 304
		.amdhsa_user_sgpr_count 6
		.amdhsa_user_sgpr_private_segment_buffer 1
		.amdhsa_user_sgpr_dispatch_ptr 0
		.amdhsa_user_sgpr_queue_ptr 0
		.amdhsa_user_sgpr_kernarg_segment_ptr 1
		.amdhsa_user_sgpr_dispatch_id 0
		.amdhsa_user_sgpr_flat_scratch_init 0
		.amdhsa_user_sgpr_kernarg_preload_length 0
		.amdhsa_user_sgpr_kernarg_preload_offset 0
		.amdhsa_user_sgpr_private_segment_size 0
		.amdhsa_uses_dynamic_stack 0
		.amdhsa_system_sgpr_private_segment_wavefront_offset 0
		.amdhsa_system_sgpr_workgroup_id_x 1
		.amdhsa_system_sgpr_workgroup_id_y 0
		.amdhsa_system_sgpr_workgroup_id_z 0
		.amdhsa_system_sgpr_workgroup_info 0
		.amdhsa_system_vgpr_workitem_id 1
		.amdhsa_next_free_vgpr 14
		.amdhsa_next_free_sgpr 16
		.amdhsa_accum_offset 16
		.amdhsa_reserve_vcc 1
		.amdhsa_reserve_flat_scratch 0
		.amdhsa_float_round_mode_32 0
		.amdhsa_float_round_mode_16_64 0
		.amdhsa_float_denorm_mode_32 3
		.amdhsa_float_denorm_mode_16_64 3
		.amdhsa_dx10_clamp 1
		.amdhsa_ieee_mode 1
		.amdhsa_fp16_overflow 0
		.amdhsa_tg_split 0
		.amdhsa_exception_fp_ieee_invalid_op 0
		.amdhsa_exception_fp_denorm_src 0
		.amdhsa_exception_fp_ieee_div_zero 0
		.amdhsa_exception_fp_ieee_overflow 0
		.amdhsa_exception_fp_ieee_underflow 0
		.amdhsa_exception_fp_ieee_inexact 0
		.amdhsa_exception_int_div_zero 0
	.end_amdhsa_kernel
	.section	.text._ZN12_GLOBAL__N_121softmax_warp_backwardIfffLi3ELb1ELb0ELi32EEEvPT0_PKT_S5_iiiPKb,"axG",@progbits,_ZN12_GLOBAL__N_121softmax_warp_backwardIfffLi3ELb1ELb0ELi32EEEvPT0_PKT_S5_iiiPKb,comdat
.Lfunc_end235:
	.size	_ZN12_GLOBAL__N_121softmax_warp_backwardIfffLi3ELb1ELb0ELi32EEEvPT0_PKT_S5_iiiPKb, .Lfunc_end235-_ZN12_GLOBAL__N_121softmax_warp_backwardIfffLi3ELb1ELb0ELi32EEEvPT0_PKT_S5_iiiPKb
                                        ; -- End function
	.section	.AMDGPU.csdata,"",@progbits
; Kernel info:
; codeLenInByte = 792
; NumSgprs: 20
; NumVgprs: 14
; NumAgprs: 0
; TotalNumVgprs: 14
; ScratchSize: 0
; MemoryBound: 0
; FloatMode: 240
; IeeeMode: 1
; LDSByteSize: 0 bytes/workgroup (compile time only)
; SGPRBlocks: 2
; VGPRBlocks: 1
; NumSGPRsForWavesPerEU: 20
; NumVGPRsForWavesPerEU: 14
; AccumOffset: 16
; Occupancy: 8
; WaveLimiterHint : 0
; COMPUTE_PGM_RSRC2:SCRATCH_EN: 0
; COMPUTE_PGM_RSRC2:USER_SGPR: 6
; COMPUTE_PGM_RSRC2:TRAP_HANDLER: 0
; COMPUTE_PGM_RSRC2:TGID_X_EN: 1
; COMPUTE_PGM_RSRC2:TGID_Y_EN: 0
; COMPUTE_PGM_RSRC2:TGID_Z_EN: 0
; COMPUTE_PGM_RSRC2:TIDIG_COMP_CNT: 1
; COMPUTE_PGM_RSRC3_GFX90A:ACCUM_OFFSET: 3
; COMPUTE_PGM_RSRC3_GFX90A:TG_SPLIT: 0
	.section	.text._ZN12_GLOBAL__N_121softmax_warp_backwardIfffLi4ELb1ELb0ELi64EEEvPT0_PKT_S5_iiiPKb,"axG",@progbits,_ZN12_GLOBAL__N_121softmax_warp_backwardIfffLi4ELb1ELb0ELi64EEEvPT0_PKT_S5_iiiPKb,comdat
	.globl	_ZN12_GLOBAL__N_121softmax_warp_backwardIfffLi4ELb1ELb0ELi64EEEvPT0_PKT_S5_iiiPKb ; -- Begin function _ZN12_GLOBAL__N_121softmax_warp_backwardIfffLi4ELb1ELb0ELi64EEEvPT0_PKT_S5_iiiPKb
	.p2align	8
	.type	_ZN12_GLOBAL__N_121softmax_warp_backwardIfffLi4ELb1ELb0ELi64EEEvPT0_PKT_S5_iiiPKb,@function
_ZN12_GLOBAL__N_121softmax_warp_backwardIfffLi4ELb1ELb0ELi64EEEvPT0_PKT_S5_iiiPKb: ; @_ZN12_GLOBAL__N_121softmax_warp_backwardIfffLi4ELb1ELb0ELi64EEEvPT0_PKT_S5_iiiPKb
; %bb.0:
	s_load_dword s2, s[4:5], 0x3c
	s_load_dwordx4 s[8:11], s[4:5], 0x18
	s_load_dwordx4 s[12:15], s[4:5], 0x0
	s_load_dwordx2 s[0:1], s[4:5], 0x10
	v_bfe_u32 v1, v0, 10, 10
	s_waitcnt lgkmcnt(0)
	s_lshr_b32 s2, s2, 16
	s_mul_i32 s6, s6, s2
	v_add_lshl_u32 v1, s6, v1, 1
	v_and_b32_e32 v0, 15, v0
	v_mad_u64_u32 v[2:3], s[2:3], v1, s9, v[0:1]
	v_ashrrev_i32_e32 v3, 31, v2
	v_lshlrev_b64 v[2:3], 2, v[2:3]
	v_sub_u32_e32 v8, s8, v1
	v_mov_b32_e32 v1, s15
	v_add_co_u32_e32 v4, vcc, s14, v2
	v_addc_co_u32_e32 v5, vcc, v1, v3, vcc
	v_mov_b32_e32 v1, s1
	v_add_co_u32_e32 v6, vcc, s0, v2
	v_addc_co_u32_e32 v7, vcc, v1, v3, vcc
	v_cmp_gt_i32_e32 vcc, s10, v0
	v_cmp_lt_i32_e64 s[0:1], 0, v8
	s_and_b64 s[4:5], vcc, s[0:1]
	v_mov_b32_e32 v1, 0
	v_mov_b32_e32 v0, 0
	;; [unrolled: 1-line block ×3, first 2 shown]
	s_and_saveexec_b64 s[2:3], s[4:5]
	s_cbranch_execz .LBB236_2
; %bb.1:
	global_load_dword v0, v[4:5], off
	global_load_dword v10, v[6:7], off
.LBB236_2:
	s_or_b64 exec, exec, s[2:3]
	v_cmp_lt_i32_e64 s[2:3], 1, v8
	s_and_b64 s[2:3], vcc, s[2:3]
	s_mov_b32 s11, 0
	v_mov_b32_e32 v9, 0
	s_and_saveexec_b64 s[4:5], s[2:3]
	s_cbranch_execz .LBB236_4
; %bb.3:
	s_lshl_b64 s[6:7], s[10:11], 2
	v_mov_b32_e32 v9, s7
	v_add_co_u32_e64 v4, s[2:3], s6, v4
	v_addc_co_u32_e64 v5, s[2:3], v5, v9, s[2:3]
	global_load_dword v1, v[4:5], off
	v_add_co_u32_e64 v4, s[2:3], s6, v6
	v_addc_co_u32_e64 v5, s[2:3], v7, v9, s[2:3]
	global_load_dword v9, v[4:5], off
.LBB236_4:
	s_or_b64 exec, exec, s[4:5]
	v_mbcnt_lo_u32_b32 v6, -1, 0
	v_mbcnt_hi_u32_b32 v11, -1, v6
	v_and_b32_e32 v6, 0x70, v11
	v_add_u32_e32 v12, 16, v6
	v_xor_b32_e32 v6, 8, v11
	v_cmp_lt_i32_e64 s[2:3], v6, v12
	v_cndmask_b32_e64 v6, v11, v6, s[2:3]
	s_waitcnt vmcnt(1)
	v_pk_add_f32 v[4:5], v[0:1], 0 op_sel_hi:[1,0]
	v_lshlrev_b32_e32 v7, 2, v6
	ds_bpermute_b32 v6, v7, v4
	ds_bpermute_b32 v7, v7, v5
	v_xor_b32_e32 v13, 4, v11
	v_cmp_lt_i32_e64 s[2:3], v13, v12
	v_cndmask_b32_e64 v13, v11, v13, s[2:3]
	v_lshlrev_b32_e32 v13, 2, v13
	s_waitcnt lgkmcnt(0)
	v_pk_add_f32 v[4:5], v[4:5], v[6:7]
	ds_bpermute_b32 v6, v13, v4
	ds_bpermute_b32 v7, v13, v5
	v_xor_b32_e32 v13, 2, v11
	v_cmp_lt_i32_e64 s[2:3], v13, v12
	v_cndmask_b32_e64 v13, v11, v13, s[2:3]
	v_lshlrev_b32_e32 v13, 2, v13
	s_waitcnt lgkmcnt(0)
	v_pk_add_f32 v[4:5], v[4:5], v[6:7]
	;; [unrolled: 8-line block ×3, first 2 shown]
	ds_bpermute_b32 v6, v11, v4
	ds_bpermute_b32 v7, v11, v5
	s_and_saveexec_b64 s[2:3], s[0:1]
	s_cbranch_execz .LBB236_10
; %bb.5:
	v_mov_b32_e32 v11, s13
	v_add_co_u32_e64 v2, s[0:1], s12, v2
	v_addc_co_u32_e64 v3, s[0:1], v11, v3, s[0:1]
	s_waitcnt lgkmcnt(0)
	v_pk_add_f32 v[4:5], v[4:5], v[6:7]
	s_and_saveexec_b64 s[2:3], vcc
	s_cbranch_execz .LBB236_7
; %bb.6:
	s_waitcnt vmcnt(0)
	v_mul_f32_e32 v6, 0x3fb8aa3b, v10
	s_mov_b32 s0, 0x3fb8aa3b
	v_rndne_f32_e32 v7, v6
	v_sub_f32_e32 v11, v6, v7
	v_fma_f32 v6, v10, s0, -v6
	v_fmac_f32_e32 v6, 0x32a5705f, v10
	v_add_f32_e32 v6, v11, v6
	v_exp_f32_e32 v6, v6
	v_cvt_i32_f32_e32 v7, v7
	s_mov_b32 s0, 0xc2ce8ed0
	v_cmp_ngt_f32_e64 s[0:1], s0, v10
	v_ldexp_f32 v6, v6, v7
	v_cndmask_b32_e64 v6, 0, v6, s[0:1]
	s_mov_b32 s0, 0x42b17218
	v_mov_b32_e32 v7, 0x7f800000
	v_cmp_nlt_f32_e64 s[0:1], s0, v10
	v_cndmask_b32_e64 v6, v7, v6, s[0:1]
	v_fma_f32 v0, -v4, v6, v0
	global_store_dword v[2:3], v0, off
.LBB236_7:
	s_or_b64 exec, exec, s[2:3]
	v_cmp_ne_u32_e64 s[0:1], 1, v8
	s_and_b64 exec, exec, s[0:1]
	s_cbranch_execz .LBB236_10
; %bb.8:
	s_and_b64 exec, exec, vcc
	s_cbranch_execz .LBB236_10
; %bb.9:
	s_waitcnt vmcnt(0)
	v_mul_f32_e32 v0, 0x3fb8aa3b, v9
	s_mov_b32 s0, 0x3fb8aa3b
	v_rndne_f32_e32 v4, v0
	v_sub_f32_e32 v6, v0, v4
	v_fma_f32 v0, v9, s0, -v0
	v_fmac_f32_e32 v0, 0x32a5705f, v9
	v_add_f32_e32 v0, v6, v0
	v_exp_f32_e32 v0, v0
	v_cvt_i32_f32_e32 v4, v4
	s_mov_b32 s0, 0xc2ce8ed0
	v_cmp_ngt_f32_e32 vcc, s0, v9
	s_mov_b32 s0, 0x42b17218
	v_ldexp_f32 v0, v0, v4
	v_cndmask_b32_e32 v0, 0, v0, vcc
	v_mov_b32_e32 v4, 0x7f800000
	v_cmp_nlt_f32_e32 vcc, s0, v9
	v_cndmask_b32_e32 v0, v4, v0, vcc
	s_lshl_b64 s[0:1], s[10:11], 2
	v_fma_f32 v4, -v5, v0, v1
	v_mov_b32_e32 v1, s1
	v_add_co_u32_e32 v0, vcc, s0, v2
	v_addc_co_u32_e32 v1, vcc, v3, v1, vcc
	global_store_dword v[0:1], v4, off
.LBB236_10:
	s_endpgm
	.section	.rodata,"a",@progbits
	.p2align	6, 0x0
	.amdhsa_kernel _ZN12_GLOBAL__N_121softmax_warp_backwardIfffLi4ELb1ELb0ELi64EEEvPT0_PKT_S5_iiiPKb
		.amdhsa_group_segment_fixed_size 0
		.amdhsa_private_segment_fixed_size 0
		.amdhsa_kernarg_size 304
		.amdhsa_user_sgpr_count 6
		.amdhsa_user_sgpr_private_segment_buffer 1
		.amdhsa_user_sgpr_dispatch_ptr 0
		.amdhsa_user_sgpr_queue_ptr 0
		.amdhsa_user_sgpr_kernarg_segment_ptr 1
		.amdhsa_user_sgpr_dispatch_id 0
		.amdhsa_user_sgpr_flat_scratch_init 0
		.amdhsa_user_sgpr_kernarg_preload_length 0
		.amdhsa_user_sgpr_kernarg_preload_offset 0
		.amdhsa_user_sgpr_private_segment_size 0
		.amdhsa_uses_dynamic_stack 0
		.amdhsa_system_sgpr_private_segment_wavefront_offset 0
		.amdhsa_system_sgpr_workgroup_id_x 1
		.amdhsa_system_sgpr_workgroup_id_y 0
		.amdhsa_system_sgpr_workgroup_id_z 0
		.amdhsa_system_sgpr_workgroup_info 0
		.amdhsa_system_vgpr_workitem_id 1
		.amdhsa_next_free_vgpr 14
		.amdhsa_next_free_sgpr 16
		.amdhsa_accum_offset 16
		.amdhsa_reserve_vcc 1
		.amdhsa_reserve_flat_scratch 0
		.amdhsa_float_round_mode_32 0
		.amdhsa_float_round_mode_16_64 0
		.amdhsa_float_denorm_mode_32 3
		.amdhsa_float_denorm_mode_16_64 3
		.amdhsa_dx10_clamp 1
		.amdhsa_ieee_mode 1
		.amdhsa_fp16_overflow 0
		.amdhsa_tg_split 0
		.amdhsa_exception_fp_ieee_invalid_op 0
		.amdhsa_exception_fp_denorm_src 0
		.amdhsa_exception_fp_ieee_div_zero 0
		.amdhsa_exception_fp_ieee_overflow 0
		.amdhsa_exception_fp_ieee_underflow 0
		.amdhsa_exception_fp_ieee_inexact 0
		.amdhsa_exception_int_div_zero 0
	.end_amdhsa_kernel
	.section	.text._ZN12_GLOBAL__N_121softmax_warp_backwardIfffLi4ELb1ELb0ELi64EEEvPT0_PKT_S5_iiiPKb,"axG",@progbits,_ZN12_GLOBAL__N_121softmax_warp_backwardIfffLi4ELb1ELb0ELi64EEEvPT0_PKT_S5_iiiPKb,comdat
.Lfunc_end236:
	.size	_ZN12_GLOBAL__N_121softmax_warp_backwardIfffLi4ELb1ELb0ELi64EEEvPT0_PKT_S5_iiiPKb, .Lfunc_end236-_ZN12_GLOBAL__N_121softmax_warp_backwardIfffLi4ELb1ELb0ELi64EEEvPT0_PKT_S5_iiiPKb
                                        ; -- End function
	.section	.AMDGPU.csdata,"",@progbits
; Kernel info:
; codeLenInByte = 844
; NumSgprs: 20
; NumVgprs: 14
; NumAgprs: 0
; TotalNumVgprs: 14
; ScratchSize: 0
; MemoryBound: 0
; FloatMode: 240
; IeeeMode: 1
; LDSByteSize: 0 bytes/workgroup (compile time only)
; SGPRBlocks: 2
; VGPRBlocks: 1
; NumSGPRsForWavesPerEU: 20
; NumVGPRsForWavesPerEU: 14
; AccumOffset: 16
; Occupancy: 8
; WaveLimiterHint : 0
; COMPUTE_PGM_RSRC2:SCRATCH_EN: 0
; COMPUTE_PGM_RSRC2:USER_SGPR: 6
; COMPUTE_PGM_RSRC2:TRAP_HANDLER: 0
; COMPUTE_PGM_RSRC2:TGID_X_EN: 1
; COMPUTE_PGM_RSRC2:TGID_Y_EN: 0
; COMPUTE_PGM_RSRC2:TGID_Z_EN: 0
; COMPUTE_PGM_RSRC2:TIDIG_COMP_CNT: 1
; COMPUTE_PGM_RSRC3_GFX90A:ACCUM_OFFSET: 3
; COMPUTE_PGM_RSRC3_GFX90A:TG_SPLIT: 0
	.section	.text._ZN12_GLOBAL__N_121softmax_warp_backwardIfffLi4ELb1ELb0ELi32EEEvPT0_PKT_S5_iiiPKb,"axG",@progbits,_ZN12_GLOBAL__N_121softmax_warp_backwardIfffLi4ELb1ELb0ELi32EEEvPT0_PKT_S5_iiiPKb,comdat
	.globl	_ZN12_GLOBAL__N_121softmax_warp_backwardIfffLi4ELb1ELb0ELi32EEEvPT0_PKT_S5_iiiPKb ; -- Begin function _ZN12_GLOBAL__N_121softmax_warp_backwardIfffLi4ELb1ELb0ELi32EEEvPT0_PKT_S5_iiiPKb
	.p2align	8
	.type	_ZN12_GLOBAL__N_121softmax_warp_backwardIfffLi4ELb1ELb0ELi32EEEvPT0_PKT_S5_iiiPKb,@function
_ZN12_GLOBAL__N_121softmax_warp_backwardIfffLi4ELb1ELb0ELi32EEEvPT0_PKT_S5_iiiPKb: ; @_ZN12_GLOBAL__N_121softmax_warp_backwardIfffLi4ELb1ELb0ELi32EEEvPT0_PKT_S5_iiiPKb
; %bb.0:
	s_load_dword s2, s[4:5], 0x3c
	s_load_dwordx4 s[8:11], s[4:5], 0x18
	s_load_dwordx4 s[12:15], s[4:5], 0x0
	s_load_dwordx2 s[0:1], s[4:5], 0x10
	v_bfe_u32 v1, v0, 10, 10
	s_waitcnt lgkmcnt(0)
	s_lshr_b32 s2, s2, 16
	s_mul_i32 s6, s6, s2
	v_add_lshl_u32 v1, s6, v1, 1
	v_and_b32_e32 v0, 15, v0
	v_mad_u64_u32 v[2:3], s[2:3], v1, s9, v[0:1]
	v_ashrrev_i32_e32 v3, 31, v2
	v_lshlrev_b64 v[2:3], 2, v[2:3]
	v_sub_u32_e32 v8, s8, v1
	v_mov_b32_e32 v1, s15
	v_add_co_u32_e32 v4, vcc, s14, v2
	v_addc_co_u32_e32 v5, vcc, v1, v3, vcc
	v_mov_b32_e32 v1, s1
	v_add_co_u32_e32 v6, vcc, s0, v2
	v_addc_co_u32_e32 v7, vcc, v1, v3, vcc
	v_cmp_gt_i32_e32 vcc, s10, v0
	v_cmp_lt_i32_e64 s[0:1], 0, v8
	s_and_b64 s[4:5], vcc, s[0:1]
	v_mov_b32_e32 v1, 0
	v_mov_b32_e32 v0, 0
	;; [unrolled: 1-line block ×3, first 2 shown]
	s_and_saveexec_b64 s[2:3], s[4:5]
	s_cbranch_execz .LBB237_2
; %bb.1:
	global_load_dword v0, v[4:5], off
	global_load_dword v10, v[6:7], off
.LBB237_2:
	s_or_b64 exec, exec, s[2:3]
	v_cmp_lt_i32_e64 s[2:3], 1, v8
	s_and_b64 s[2:3], vcc, s[2:3]
	s_mov_b32 s11, 0
	v_mov_b32_e32 v9, 0
	s_and_saveexec_b64 s[4:5], s[2:3]
	s_cbranch_execz .LBB237_4
; %bb.3:
	s_lshl_b64 s[6:7], s[10:11], 2
	v_mov_b32_e32 v9, s7
	v_add_co_u32_e64 v4, s[2:3], s6, v4
	v_addc_co_u32_e64 v5, s[2:3], v5, v9, s[2:3]
	global_load_dword v1, v[4:5], off
	v_add_co_u32_e64 v4, s[2:3], s6, v6
	v_addc_co_u32_e64 v5, s[2:3], v7, v9, s[2:3]
	global_load_dword v9, v[4:5], off
.LBB237_4:
	s_or_b64 exec, exec, s[4:5]
	v_mbcnt_lo_u32_b32 v6, -1, 0
	v_mbcnt_hi_u32_b32 v11, -1, v6
	v_and_b32_e32 v6, 0x70, v11
	v_add_u32_e32 v12, 16, v6
	v_xor_b32_e32 v6, 8, v11
	v_cmp_lt_i32_e64 s[2:3], v6, v12
	v_cndmask_b32_e64 v6, v11, v6, s[2:3]
	s_waitcnt vmcnt(1)
	v_pk_add_f32 v[4:5], v[0:1], 0 op_sel_hi:[1,0]
	v_lshlrev_b32_e32 v7, 2, v6
	ds_bpermute_b32 v6, v7, v4
	ds_bpermute_b32 v7, v7, v5
	v_xor_b32_e32 v13, 4, v11
	v_cmp_lt_i32_e64 s[2:3], v13, v12
	v_cndmask_b32_e64 v13, v11, v13, s[2:3]
	v_lshlrev_b32_e32 v13, 2, v13
	s_waitcnt lgkmcnt(0)
	v_pk_add_f32 v[4:5], v[4:5], v[6:7]
	ds_bpermute_b32 v6, v13, v4
	ds_bpermute_b32 v7, v13, v5
	v_xor_b32_e32 v13, 2, v11
	v_cmp_lt_i32_e64 s[2:3], v13, v12
	v_cndmask_b32_e64 v13, v11, v13, s[2:3]
	v_lshlrev_b32_e32 v13, 2, v13
	s_waitcnt lgkmcnt(0)
	v_pk_add_f32 v[4:5], v[4:5], v[6:7]
	;; [unrolled: 8-line block ×3, first 2 shown]
	ds_bpermute_b32 v6, v11, v4
	ds_bpermute_b32 v7, v11, v5
	s_and_saveexec_b64 s[2:3], s[0:1]
	s_cbranch_execz .LBB237_10
; %bb.5:
	v_mov_b32_e32 v11, s13
	v_add_co_u32_e64 v2, s[0:1], s12, v2
	v_addc_co_u32_e64 v3, s[0:1], v11, v3, s[0:1]
	s_waitcnt lgkmcnt(0)
	v_pk_add_f32 v[4:5], v[4:5], v[6:7]
	s_and_saveexec_b64 s[2:3], vcc
	s_cbranch_execz .LBB237_7
; %bb.6:
	s_waitcnt vmcnt(0)
	v_mul_f32_e32 v6, 0x3fb8aa3b, v10
	s_mov_b32 s0, 0x3fb8aa3b
	v_rndne_f32_e32 v7, v6
	v_sub_f32_e32 v11, v6, v7
	v_fma_f32 v6, v10, s0, -v6
	v_fmac_f32_e32 v6, 0x32a5705f, v10
	v_add_f32_e32 v6, v11, v6
	v_exp_f32_e32 v6, v6
	v_cvt_i32_f32_e32 v7, v7
	s_mov_b32 s0, 0xc2ce8ed0
	v_cmp_ngt_f32_e64 s[0:1], s0, v10
	v_ldexp_f32 v6, v6, v7
	v_cndmask_b32_e64 v6, 0, v6, s[0:1]
	s_mov_b32 s0, 0x42b17218
	v_mov_b32_e32 v7, 0x7f800000
	v_cmp_nlt_f32_e64 s[0:1], s0, v10
	v_cndmask_b32_e64 v6, v7, v6, s[0:1]
	v_fma_f32 v0, -v4, v6, v0
	global_store_dword v[2:3], v0, off
.LBB237_7:
	s_or_b64 exec, exec, s[2:3]
	v_cmp_ne_u32_e64 s[0:1], 1, v8
	s_and_b64 exec, exec, s[0:1]
	s_cbranch_execz .LBB237_10
; %bb.8:
	s_and_b64 exec, exec, vcc
	s_cbranch_execz .LBB237_10
; %bb.9:
	s_waitcnt vmcnt(0)
	v_mul_f32_e32 v0, 0x3fb8aa3b, v9
	s_mov_b32 s0, 0x3fb8aa3b
	v_rndne_f32_e32 v4, v0
	v_sub_f32_e32 v6, v0, v4
	v_fma_f32 v0, v9, s0, -v0
	v_fmac_f32_e32 v0, 0x32a5705f, v9
	v_add_f32_e32 v0, v6, v0
	v_exp_f32_e32 v0, v0
	v_cvt_i32_f32_e32 v4, v4
	s_mov_b32 s0, 0xc2ce8ed0
	v_cmp_ngt_f32_e32 vcc, s0, v9
	s_mov_b32 s0, 0x42b17218
	v_ldexp_f32 v0, v0, v4
	v_cndmask_b32_e32 v0, 0, v0, vcc
	v_mov_b32_e32 v4, 0x7f800000
	v_cmp_nlt_f32_e32 vcc, s0, v9
	v_cndmask_b32_e32 v0, v4, v0, vcc
	s_lshl_b64 s[0:1], s[10:11], 2
	v_fma_f32 v4, -v5, v0, v1
	v_mov_b32_e32 v1, s1
	v_add_co_u32_e32 v0, vcc, s0, v2
	v_addc_co_u32_e32 v1, vcc, v3, v1, vcc
	global_store_dword v[0:1], v4, off
.LBB237_10:
	s_endpgm
	.section	.rodata,"a",@progbits
	.p2align	6, 0x0
	.amdhsa_kernel _ZN12_GLOBAL__N_121softmax_warp_backwardIfffLi4ELb1ELb0ELi32EEEvPT0_PKT_S5_iiiPKb
		.amdhsa_group_segment_fixed_size 0
		.amdhsa_private_segment_fixed_size 0
		.amdhsa_kernarg_size 304
		.amdhsa_user_sgpr_count 6
		.amdhsa_user_sgpr_private_segment_buffer 1
		.amdhsa_user_sgpr_dispatch_ptr 0
		.amdhsa_user_sgpr_queue_ptr 0
		.amdhsa_user_sgpr_kernarg_segment_ptr 1
		.amdhsa_user_sgpr_dispatch_id 0
		.amdhsa_user_sgpr_flat_scratch_init 0
		.amdhsa_user_sgpr_kernarg_preload_length 0
		.amdhsa_user_sgpr_kernarg_preload_offset 0
		.amdhsa_user_sgpr_private_segment_size 0
		.amdhsa_uses_dynamic_stack 0
		.amdhsa_system_sgpr_private_segment_wavefront_offset 0
		.amdhsa_system_sgpr_workgroup_id_x 1
		.amdhsa_system_sgpr_workgroup_id_y 0
		.amdhsa_system_sgpr_workgroup_id_z 0
		.amdhsa_system_sgpr_workgroup_info 0
		.amdhsa_system_vgpr_workitem_id 1
		.amdhsa_next_free_vgpr 14
		.amdhsa_next_free_sgpr 16
		.amdhsa_accum_offset 16
		.amdhsa_reserve_vcc 1
		.amdhsa_reserve_flat_scratch 0
		.amdhsa_float_round_mode_32 0
		.amdhsa_float_round_mode_16_64 0
		.amdhsa_float_denorm_mode_32 3
		.amdhsa_float_denorm_mode_16_64 3
		.amdhsa_dx10_clamp 1
		.amdhsa_ieee_mode 1
		.amdhsa_fp16_overflow 0
		.amdhsa_tg_split 0
		.amdhsa_exception_fp_ieee_invalid_op 0
		.amdhsa_exception_fp_denorm_src 0
		.amdhsa_exception_fp_ieee_div_zero 0
		.amdhsa_exception_fp_ieee_overflow 0
		.amdhsa_exception_fp_ieee_underflow 0
		.amdhsa_exception_fp_ieee_inexact 0
		.amdhsa_exception_int_div_zero 0
	.end_amdhsa_kernel
	.section	.text._ZN12_GLOBAL__N_121softmax_warp_backwardIfffLi4ELb1ELb0ELi32EEEvPT0_PKT_S5_iiiPKb,"axG",@progbits,_ZN12_GLOBAL__N_121softmax_warp_backwardIfffLi4ELb1ELb0ELi32EEEvPT0_PKT_S5_iiiPKb,comdat
.Lfunc_end237:
	.size	_ZN12_GLOBAL__N_121softmax_warp_backwardIfffLi4ELb1ELb0ELi32EEEvPT0_PKT_S5_iiiPKb, .Lfunc_end237-_ZN12_GLOBAL__N_121softmax_warp_backwardIfffLi4ELb1ELb0ELi32EEEvPT0_PKT_S5_iiiPKb
                                        ; -- End function
	.section	.AMDGPU.csdata,"",@progbits
; Kernel info:
; codeLenInByte = 844
; NumSgprs: 20
; NumVgprs: 14
; NumAgprs: 0
; TotalNumVgprs: 14
; ScratchSize: 0
; MemoryBound: 0
; FloatMode: 240
; IeeeMode: 1
; LDSByteSize: 0 bytes/workgroup (compile time only)
; SGPRBlocks: 2
; VGPRBlocks: 1
; NumSGPRsForWavesPerEU: 20
; NumVGPRsForWavesPerEU: 14
; AccumOffset: 16
; Occupancy: 8
; WaveLimiterHint : 0
; COMPUTE_PGM_RSRC2:SCRATCH_EN: 0
; COMPUTE_PGM_RSRC2:USER_SGPR: 6
; COMPUTE_PGM_RSRC2:TRAP_HANDLER: 0
; COMPUTE_PGM_RSRC2:TGID_X_EN: 1
; COMPUTE_PGM_RSRC2:TGID_Y_EN: 0
; COMPUTE_PGM_RSRC2:TGID_Z_EN: 0
; COMPUTE_PGM_RSRC2:TIDIG_COMP_CNT: 1
; COMPUTE_PGM_RSRC3_GFX90A:ACCUM_OFFSET: 3
; COMPUTE_PGM_RSRC3_GFX90A:TG_SPLIT: 0
	.section	.text._ZN12_GLOBAL__N_121softmax_warp_backwardIfffLi5ELb1ELb0ELi64EEEvPT0_PKT_S5_iiiPKb,"axG",@progbits,_ZN12_GLOBAL__N_121softmax_warp_backwardIfffLi5ELb1ELb0ELi64EEEvPT0_PKT_S5_iiiPKb,comdat
	.globl	_ZN12_GLOBAL__N_121softmax_warp_backwardIfffLi5ELb1ELb0ELi64EEEvPT0_PKT_S5_iiiPKb ; -- Begin function _ZN12_GLOBAL__N_121softmax_warp_backwardIfffLi5ELb1ELb0ELi64EEEvPT0_PKT_S5_iiiPKb
	.p2align	8
	.type	_ZN12_GLOBAL__N_121softmax_warp_backwardIfffLi5ELb1ELb0ELi64EEEvPT0_PKT_S5_iiiPKb,@function
_ZN12_GLOBAL__N_121softmax_warp_backwardIfffLi5ELb1ELb0ELi64EEEvPT0_PKT_S5_iiiPKb: ; @_ZN12_GLOBAL__N_121softmax_warp_backwardIfffLi5ELb1ELb0ELi64EEEvPT0_PKT_S5_iiiPKb
; %bb.0:
	s_load_dword s2, s[4:5], 0x3c
	s_load_dwordx4 s[8:11], s[4:5], 0x18
	s_load_dwordx4 s[12:15], s[4:5], 0x0
	s_load_dwordx2 s[0:1], s[4:5], 0x10
	v_bfe_u32 v1, v0, 10, 10
	s_waitcnt lgkmcnt(0)
	s_lshr_b32 s2, s2, 16
	s_mul_i32 s6, s6, s2
	v_add_lshl_u32 v1, s6, v1, 1
	v_and_b32_e32 v0, 31, v0
	v_mad_u64_u32 v[2:3], s[2:3], v1, s9, v[0:1]
	v_ashrrev_i32_e32 v3, 31, v2
	v_lshlrev_b64 v[2:3], 2, v[2:3]
	v_sub_u32_e32 v8, s8, v1
	v_mov_b32_e32 v1, s15
	v_add_co_u32_e32 v4, vcc, s14, v2
	v_addc_co_u32_e32 v5, vcc, v1, v3, vcc
	v_mov_b32_e32 v1, s1
	v_add_co_u32_e32 v6, vcc, s0, v2
	v_addc_co_u32_e32 v7, vcc, v1, v3, vcc
	v_cmp_gt_i32_e32 vcc, s10, v0
	v_cmp_lt_i32_e64 s[0:1], 0, v8
	s_and_b64 s[4:5], vcc, s[0:1]
	v_mov_b32_e32 v1, 0
	v_mov_b32_e32 v0, 0
	;; [unrolled: 1-line block ×3, first 2 shown]
	s_and_saveexec_b64 s[2:3], s[4:5]
	s_cbranch_execz .LBB238_2
; %bb.1:
	global_load_dword v0, v[4:5], off
	global_load_dword v10, v[6:7], off
.LBB238_2:
	s_or_b64 exec, exec, s[2:3]
	v_cmp_lt_i32_e64 s[2:3], 1, v8
	s_and_b64 s[2:3], vcc, s[2:3]
	s_mov_b32 s11, 0
	v_mov_b32_e32 v9, 0
	s_and_saveexec_b64 s[4:5], s[2:3]
	s_cbranch_execz .LBB238_4
; %bb.3:
	s_lshl_b64 s[6:7], s[10:11], 2
	v_mov_b32_e32 v9, s7
	v_add_co_u32_e64 v4, s[2:3], s6, v4
	v_addc_co_u32_e64 v5, s[2:3], v5, v9, s[2:3]
	global_load_dword v1, v[4:5], off
	v_add_co_u32_e64 v4, s[2:3], s6, v6
	v_addc_co_u32_e64 v5, s[2:3], v7, v9, s[2:3]
	global_load_dword v9, v[4:5], off
.LBB238_4:
	s_or_b64 exec, exec, s[4:5]
	v_mbcnt_lo_u32_b32 v6, -1, 0
	v_mbcnt_hi_u32_b32 v11, -1, v6
	v_and_b32_e32 v6, 0x60, v11
	v_add_u32_e32 v12, 32, v6
	v_xor_b32_e32 v6, 16, v11
	v_cmp_lt_i32_e64 s[2:3], v6, v12
	v_cndmask_b32_e64 v6, v11, v6, s[2:3]
	s_waitcnt vmcnt(1)
	v_pk_add_f32 v[4:5], v[0:1], 0 op_sel_hi:[1,0]
	v_lshlrev_b32_e32 v7, 2, v6
	ds_bpermute_b32 v6, v7, v4
	ds_bpermute_b32 v7, v7, v5
	v_xor_b32_e32 v13, 8, v11
	v_cmp_lt_i32_e64 s[2:3], v13, v12
	v_cndmask_b32_e64 v13, v11, v13, s[2:3]
	v_lshlrev_b32_e32 v13, 2, v13
	s_waitcnt lgkmcnt(0)
	v_pk_add_f32 v[4:5], v[4:5], v[6:7]
	ds_bpermute_b32 v6, v13, v4
	ds_bpermute_b32 v7, v13, v5
	v_xor_b32_e32 v13, 4, v11
	v_cmp_lt_i32_e64 s[2:3], v13, v12
	v_cndmask_b32_e64 v13, v11, v13, s[2:3]
	v_lshlrev_b32_e32 v13, 2, v13
	s_waitcnt lgkmcnt(0)
	v_pk_add_f32 v[4:5], v[4:5], v[6:7]
	;; [unrolled: 8-line block ×4, first 2 shown]
	ds_bpermute_b32 v6, v11, v4
	ds_bpermute_b32 v7, v11, v5
	s_and_saveexec_b64 s[2:3], s[0:1]
	s_cbranch_execz .LBB238_10
; %bb.5:
	v_mov_b32_e32 v11, s13
	v_add_co_u32_e64 v2, s[0:1], s12, v2
	v_addc_co_u32_e64 v3, s[0:1], v11, v3, s[0:1]
	s_waitcnt lgkmcnt(0)
	v_pk_add_f32 v[4:5], v[4:5], v[6:7]
	s_and_saveexec_b64 s[2:3], vcc
	s_cbranch_execz .LBB238_7
; %bb.6:
	s_waitcnt vmcnt(0)
	v_mul_f32_e32 v6, 0x3fb8aa3b, v10
	s_mov_b32 s0, 0x3fb8aa3b
	v_rndne_f32_e32 v7, v6
	v_sub_f32_e32 v11, v6, v7
	v_fma_f32 v6, v10, s0, -v6
	v_fmac_f32_e32 v6, 0x32a5705f, v10
	v_add_f32_e32 v6, v11, v6
	v_exp_f32_e32 v6, v6
	v_cvt_i32_f32_e32 v7, v7
	s_mov_b32 s0, 0xc2ce8ed0
	v_cmp_ngt_f32_e64 s[0:1], s0, v10
	v_ldexp_f32 v6, v6, v7
	v_cndmask_b32_e64 v6, 0, v6, s[0:1]
	s_mov_b32 s0, 0x42b17218
	v_mov_b32_e32 v7, 0x7f800000
	v_cmp_nlt_f32_e64 s[0:1], s0, v10
	v_cndmask_b32_e64 v6, v7, v6, s[0:1]
	v_fma_f32 v0, -v4, v6, v0
	global_store_dword v[2:3], v0, off
.LBB238_7:
	s_or_b64 exec, exec, s[2:3]
	v_cmp_ne_u32_e64 s[0:1], 1, v8
	s_and_b64 exec, exec, s[0:1]
	s_cbranch_execz .LBB238_10
; %bb.8:
	s_and_b64 exec, exec, vcc
	s_cbranch_execz .LBB238_10
; %bb.9:
	s_waitcnt vmcnt(0)
	v_mul_f32_e32 v0, 0x3fb8aa3b, v9
	s_mov_b32 s0, 0x3fb8aa3b
	v_rndne_f32_e32 v4, v0
	v_sub_f32_e32 v6, v0, v4
	v_fma_f32 v0, v9, s0, -v0
	v_fmac_f32_e32 v0, 0x32a5705f, v9
	v_add_f32_e32 v0, v6, v0
	v_exp_f32_e32 v0, v0
	v_cvt_i32_f32_e32 v4, v4
	s_mov_b32 s0, 0xc2ce8ed0
	v_cmp_ngt_f32_e32 vcc, s0, v9
	s_mov_b32 s0, 0x42b17218
	v_ldexp_f32 v0, v0, v4
	v_cndmask_b32_e32 v0, 0, v0, vcc
	v_mov_b32_e32 v4, 0x7f800000
	v_cmp_nlt_f32_e32 vcc, s0, v9
	v_cndmask_b32_e32 v0, v4, v0, vcc
	s_lshl_b64 s[0:1], s[10:11], 2
	v_fma_f32 v4, -v5, v0, v1
	v_mov_b32_e32 v1, s1
	v_add_co_u32_e32 v0, vcc, s0, v2
	v_addc_co_u32_e32 v1, vcc, v3, v1, vcc
	global_store_dword v[0:1], v4, off
.LBB238_10:
	s_endpgm
	.section	.rodata,"a",@progbits
	.p2align	6, 0x0
	.amdhsa_kernel _ZN12_GLOBAL__N_121softmax_warp_backwardIfffLi5ELb1ELb0ELi64EEEvPT0_PKT_S5_iiiPKb
		.amdhsa_group_segment_fixed_size 0
		.amdhsa_private_segment_fixed_size 0
		.amdhsa_kernarg_size 304
		.amdhsa_user_sgpr_count 6
		.amdhsa_user_sgpr_private_segment_buffer 1
		.amdhsa_user_sgpr_dispatch_ptr 0
		.amdhsa_user_sgpr_queue_ptr 0
		.amdhsa_user_sgpr_kernarg_segment_ptr 1
		.amdhsa_user_sgpr_dispatch_id 0
		.amdhsa_user_sgpr_flat_scratch_init 0
		.amdhsa_user_sgpr_kernarg_preload_length 0
		.amdhsa_user_sgpr_kernarg_preload_offset 0
		.amdhsa_user_sgpr_private_segment_size 0
		.amdhsa_uses_dynamic_stack 0
		.amdhsa_system_sgpr_private_segment_wavefront_offset 0
		.amdhsa_system_sgpr_workgroup_id_x 1
		.amdhsa_system_sgpr_workgroup_id_y 0
		.amdhsa_system_sgpr_workgroup_id_z 0
		.amdhsa_system_sgpr_workgroup_info 0
		.amdhsa_system_vgpr_workitem_id 1
		.amdhsa_next_free_vgpr 14
		.amdhsa_next_free_sgpr 16
		.amdhsa_accum_offset 16
		.amdhsa_reserve_vcc 1
		.amdhsa_reserve_flat_scratch 0
		.amdhsa_float_round_mode_32 0
		.amdhsa_float_round_mode_16_64 0
		.amdhsa_float_denorm_mode_32 3
		.amdhsa_float_denorm_mode_16_64 3
		.amdhsa_dx10_clamp 1
		.amdhsa_ieee_mode 1
		.amdhsa_fp16_overflow 0
		.amdhsa_tg_split 0
		.amdhsa_exception_fp_ieee_invalid_op 0
		.amdhsa_exception_fp_denorm_src 0
		.amdhsa_exception_fp_ieee_div_zero 0
		.amdhsa_exception_fp_ieee_overflow 0
		.amdhsa_exception_fp_ieee_underflow 0
		.amdhsa_exception_fp_ieee_inexact 0
		.amdhsa_exception_int_div_zero 0
	.end_amdhsa_kernel
	.section	.text._ZN12_GLOBAL__N_121softmax_warp_backwardIfffLi5ELb1ELb0ELi64EEEvPT0_PKT_S5_iiiPKb,"axG",@progbits,_ZN12_GLOBAL__N_121softmax_warp_backwardIfffLi5ELb1ELb0ELi64EEEvPT0_PKT_S5_iiiPKb,comdat
.Lfunc_end238:
	.size	_ZN12_GLOBAL__N_121softmax_warp_backwardIfffLi5ELb1ELb0ELi64EEEvPT0_PKT_S5_iiiPKb, .Lfunc_end238-_ZN12_GLOBAL__N_121softmax_warp_backwardIfffLi5ELb1ELb0ELi64EEEvPT0_PKT_S5_iiiPKb
                                        ; -- End function
	.section	.AMDGPU.csdata,"",@progbits
; Kernel info:
; codeLenInByte = 896
; NumSgprs: 20
; NumVgprs: 14
; NumAgprs: 0
; TotalNumVgprs: 14
; ScratchSize: 0
; MemoryBound: 0
; FloatMode: 240
; IeeeMode: 1
; LDSByteSize: 0 bytes/workgroup (compile time only)
; SGPRBlocks: 2
; VGPRBlocks: 1
; NumSGPRsForWavesPerEU: 20
; NumVGPRsForWavesPerEU: 14
; AccumOffset: 16
; Occupancy: 8
; WaveLimiterHint : 0
; COMPUTE_PGM_RSRC2:SCRATCH_EN: 0
; COMPUTE_PGM_RSRC2:USER_SGPR: 6
; COMPUTE_PGM_RSRC2:TRAP_HANDLER: 0
; COMPUTE_PGM_RSRC2:TGID_X_EN: 1
; COMPUTE_PGM_RSRC2:TGID_Y_EN: 0
; COMPUTE_PGM_RSRC2:TGID_Z_EN: 0
; COMPUTE_PGM_RSRC2:TIDIG_COMP_CNT: 1
; COMPUTE_PGM_RSRC3_GFX90A:ACCUM_OFFSET: 3
; COMPUTE_PGM_RSRC3_GFX90A:TG_SPLIT: 0
	.section	.text._ZN12_GLOBAL__N_121softmax_warp_backwardIfffLi5ELb1ELb0ELi32EEEvPT0_PKT_S5_iiiPKb,"axG",@progbits,_ZN12_GLOBAL__N_121softmax_warp_backwardIfffLi5ELb1ELb0ELi32EEEvPT0_PKT_S5_iiiPKb,comdat
	.globl	_ZN12_GLOBAL__N_121softmax_warp_backwardIfffLi5ELb1ELb0ELi32EEEvPT0_PKT_S5_iiiPKb ; -- Begin function _ZN12_GLOBAL__N_121softmax_warp_backwardIfffLi5ELb1ELb0ELi32EEEvPT0_PKT_S5_iiiPKb
	.p2align	8
	.type	_ZN12_GLOBAL__N_121softmax_warp_backwardIfffLi5ELb1ELb0ELi32EEEvPT0_PKT_S5_iiiPKb,@function
_ZN12_GLOBAL__N_121softmax_warp_backwardIfffLi5ELb1ELb0ELi32EEEvPT0_PKT_S5_iiiPKb: ; @_ZN12_GLOBAL__N_121softmax_warp_backwardIfffLi5ELb1ELb0ELi32EEEvPT0_PKT_S5_iiiPKb
; %bb.0:
	s_load_dword s2, s[4:5], 0x3c
	s_load_dwordx4 s[8:11], s[4:5], 0x18
	s_load_dwordx4 s[12:15], s[4:5], 0x0
	s_load_dwordx2 s[0:1], s[4:5], 0x10
	v_bfe_u32 v1, v0, 10, 10
	s_waitcnt lgkmcnt(0)
	s_lshr_b32 s2, s2, 16
	s_mul_i32 s6, s6, s2
	v_add_lshl_u32 v1, s6, v1, 1
	v_and_b32_e32 v0, 31, v0
	v_mad_u64_u32 v[2:3], s[2:3], v1, s9, v[0:1]
	v_ashrrev_i32_e32 v3, 31, v2
	v_lshlrev_b64 v[2:3], 2, v[2:3]
	v_sub_u32_e32 v8, s8, v1
	v_mov_b32_e32 v1, s15
	v_add_co_u32_e32 v4, vcc, s14, v2
	v_addc_co_u32_e32 v5, vcc, v1, v3, vcc
	v_mov_b32_e32 v1, s1
	v_add_co_u32_e32 v6, vcc, s0, v2
	v_addc_co_u32_e32 v7, vcc, v1, v3, vcc
	v_cmp_gt_i32_e32 vcc, s10, v0
	v_cmp_lt_i32_e64 s[0:1], 0, v8
	s_and_b64 s[4:5], vcc, s[0:1]
	v_mov_b32_e32 v1, 0
	v_mov_b32_e32 v0, 0
	;; [unrolled: 1-line block ×3, first 2 shown]
	s_and_saveexec_b64 s[2:3], s[4:5]
	s_cbranch_execz .LBB239_2
; %bb.1:
	global_load_dword v0, v[4:5], off
	global_load_dword v10, v[6:7], off
.LBB239_2:
	s_or_b64 exec, exec, s[2:3]
	v_cmp_lt_i32_e64 s[2:3], 1, v8
	s_and_b64 s[2:3], vcc, s[2:3]
	s_mov_b32 s11, 0
	v_mov_b32_e32 v9, 0
	s_and_saveexec_b64 s[4:5], s[2:3]
	s_cbranch_execz .LBB239_4
; %bb.3:
	s_lshl_b64 s[6:7], s[10:11], 2
	v_mov_b32_e32 v9, s7
	v_add_co_u32_e64 v4, s[2:3], s6, v4
	v_addc_co_u32_e64 v5, s[2:3], v5, v9, s[2:3]
	global_load_dword v1, v[4:5], off
	v_add_co_u32_e64 v4, s[2:3], s6, v6
	v_addc_co_u32_e64 v5, s[2:3], v7, v9, s[2:3]
	global_load_dword v9, v[4:5], off
.LBB239_4:
	s_or_b64 exec, exec, s[4:5]
	v_mbcnt_lo_u32_b32 v6, -1, 0
	v_mbcnt_hi_u32_b32 v11, -1, v6
	v_and_b32_e32 v6, 0x60, v11
	v_add_u32_e32 v12, 32, v6
	v_xor_b32_e32 v6, 16, v11
	v_cmp_lt_i32_e64 s[2:3], v6, v12
	v_cndmask_b32_e64 v6, v11, v6, s[2:3]
	s_waitcnt vmcnt(1)
	v_pk_add_f32 v[4:5], v[0:1], 0 op_sel_hi:[1,0]
	v_lshlrev_b32_e32 v7, 2, v6
	ds_bpermute_b32 v6, v7, v4
	ds_bpermute_b32 v7, v7, v5
	v_xor_b32_e32 v13, 8, v11
	v_cmp_lt_i32_e64 s[2:3], v13, v12
	v_cndmask_b32_e64 v13, v11, v13, s[2:3]
	v_lshlrev_b32_e32 v13, 2, v13
	s_waitcnt lgkmcnt(0)
	v_pk_add_f32 v[4:5], v[4:5], v[6:7]
	ds_bpermute_b32 v6, v13, v4
	ds_bpermute_b32 v7, v13, v5
	v_xor_b32_e32 v13, 4, v11
	v_cmp_lt_i32_e64 s[2:3], v13, v12
	v_cndmask_b32_e64 v13, v11, v13, s[2:3]
	v_lshlrev_b32_e32 v13, 2, v13
	s_waitcnt lgkmcnt(0)
	v_pk_add_f32 v[4:5], v[4:5], v[6:7]
	;; [unrolled: 8-line block ×4, first 2 shown]
	ds_bpermute_b32 v6, v11, v4
	ds_bpermute_b32 v7, v11, v5
	s_and_saveexec_b64 s[2:3], s[0:1]
	s_cbranch_execz .LBB239_10
; %bb.5:
	v_mov_b32_e32 v11, s13
	v_add_co_u32_e64 v2, s[0:1], s12, v2
	v_addc_co_u32_e64 v3, s[0:1], v11, v3, s[0:1]
	s_waitcnt lgkmcnt(0)
	v_pk_add_f32 v[4:5], v[4:5], v[6:7]
	s_and_saveexec_b64 s[2:3], vcc
	s_cbranch_execz .LBB239_7
; %bb.6:
	s_waitcnt vmcnt(0)
	v_mul_f32_e32 v6, 0x3fb8aa3b, v10
	s_mov_b32 s0, 0x3fb8aa3b
	v_rndne_f32_e32 v7, v6
	v_sub_f32_e32 v11, v6, v7
	v_fma_f32 v6, v10, s0, -v6
	v_fmac_f32_e32 v6, 0x32a5705f, v10
	v_add_f32_e32 v6, v11, v6
	v_exp_f32_e32 v6, v6
	v_cvt_i32_f32_e32 v7, v7
	s_mov_b32 s0, 0xc2ce8ed0
	v_cmp_ngt_f32_e64 s[0:1], s0, v10
	v_ldexp_f32 v6, v6, v7
	v_cndmask_b32_e64 v6, 0, v6, s[0:1]
	s_mov_b32 s0, 0x42b17218
	v_mov_b32_e32 v7, 0x7f800000
	v_cmp_nlt_f32_e64 s[0:1], s0, v10
	v_cndmask_b32_e64 v6, v7, v6, s[0:1]
	v_fma_f32 v0, -v4, v6, v0
	global_store_dword v[2:3], v0, off
.LBB239_7:
	s_or_b64 exec, exec, s[2:3]
	v_cmp_ne_u32_e64 s[0:1], 1, v8
	s_and_b64 exec, exec, s[0:1]
	s_cbranch_execz .LBB239_10
; %bb.8:
	s_and_b64 exec, exec, vcc
	s_cbranch_execz .LBB239_10
; %bb.9:
	s_waitcnt vmcnt(0)
	v_mul_f32_e32 v0, 0x3fb8aa3b, v9
	s_mov_b32 s0, 0x3fb8aa3b
	v_rndne_f32_e32 v4, v0
	v_sub_f32_e32 v6, v0, v4
	v_fma_f32 v0, v9, s0, -v0
	v_fmac_f32_e32 v0, 0x32a5705f, v9
	v_add_f32_e32 v0, v6, v0
	v_exp_f32_e32 v0, v0
	v_cvt_i32_f32_e32 v4, v4
	s_mov_b32 s0, 0xc2ce8ed0
	v_cmp_ngt_f32_e32 vcc, s0, v9
	s_mov_b32 s0, 0x42b17218
	v_ldexp_f32 v0, v0, v4
	v_cndmask_b32_e32 v0, 0, v0, vcc
	v_mov_b32_e32 v4, 0x7f800000
	v_cmp_nlt_f32_e32 vcc, s0, v9
	v_cndmask_b32_e32 v0, v4, v0, vcc
	s_lshl_b64 s[0:1], s[10:11], 2
	v_fma_f32 v4, -v5, v0, v1
	v_mov_b32_e32 v1, s1
	v_add_co_u32_e32 v0, vcc, s0, v2
	v_addc_co_u32_e32 v1, vcc, v3, v1, vcc
	global_store_dword v[0:1], v4, off
.LBB239_10:
	s_endpgm
	.section	.rodata,"a",@progbits
	.p2align	6, 0x0
	.amdhsa_kernel _ZN12_GLOBAL__N_121softmax_warp_backwardIfffLi5ELb1ELb0ELi32EEEvPT0_PKT_S5_iiiPKb
		.amdhsa_group_segment_fixed_size 0
		.amdhsa_private_segment_fixed_size 0
		.amdhsa_kernarg_size 304
		.amdhsa_user_sgpr_count 6
		.amdhsa_user_sgpr_private_segment_buffer 1
		.amdhsa_user_sgpr_dispatch_ptr 0
		.amdhsa_user_sgpr_queue_ptr 0
		.amdhsa_user_sgpr_kernarg_segment_ptr 1
		.amdhsa_user_sgpr_dispatch_id 0
		.amdhsa_user_sgpr_flat_scratch_init 0
		.amdhsa_user_sgpr_kernarg_preload_length 0
		.amdhsa_user_sgpr_kernarg_preload_offset 0
		.amdhsa_user_sgpr_private_segment_size 0
		.amdhsa_uses_dynamic_stack 0
		.amdhsa_system_sgpr_private_segment_wavefront_offset 0
		.amdhsa_system_sgpr_workgroup_id_x 1
		.amdhsa_system_sgpr_workgroup_id_y 0
		.amdhsa_system_sgpr_workgroup_id_z 0
		.amdhsa_system_sgpr_workgroup_info 0
		.amdhsa_system_vgpr_workitem_id 1
		.amdhsa_next_free_vgpr 14
		.amdhsa_next_free_sgpr 16
		.amdhsa_accum_offset 16
		.amdhsa_reserve_vcc 1
		.amdhsa_reserve_flat_scratch 0
		.amdhsa_float_round_mode_32 0
		.amdhsa_float_round_mode_16_64 0
		.amdhsa_float_denorm_mode_32 3
		.amdhsa_float_denorm_mode_16_64 3
		.amdhsa_dx10_clamp 1
		.amdhsa_ieee_mode 1
		.amdhsa_fp16_overflow 0
		.amdhsa_tg_split 0
		.amdhsa_exception_fp_ieee_invalid_op 0
		.amdhsa_exception_fp_denorm_src 0
		.amdhsa_exception_fp_ieee_div_zero 0
		.amdhsa_exception_fp_ieee_overflow 0
		.amdhsa_exception_fp_ieee_underflow 0
		.amdhsa_exception_fp_ieee_inexact 0
		.amdhsa_exception_int_div_zero 0
	.end_amdhsa_kernel
	.section	.text._ZN12_GLOBAL__N_121softmax_warp_backwardIfffLi5ELb1ELb0ELi32EEEvPT0_PKT_S5_iiiPKb,"axG",@progbits,_ZN12_GLOBAL__N_121softmax_warp_backwardIfffLi5ELb1ELb0ELi32EEEvPT0_PKT_S5_iiiPKb,comdat
.Lfunc_end239:
	.size	_ZN12_GLOBAL__N_121softmax_warp_backwardIfffLi5ELb1ELb0ELi32EEEvPT0_PKT_S5_iiiPKb, .Lfunc_end239-_ZN12_GLOBAL__N_121softmax_warp_backwardIfffLi5ELb1ELb0ELi32EEEvPT0_PKT_S5_iiiPKb
                                        ; -- End function
	.section	.AMDGPU.csdata,"",@progbits
; Kernel info:
; codeLenInByte = 896
; NumSgprs: 20
; NumVgprs: 14
; NumAgprs: 0
; TotalNumVgprs: 14
; ScratchSize: 0
; MemoryBound: 0
; FloatMode: 240
; IeeeMode: 1
; LDSByteSize: 0 bytes/workgroup (compile time only)
; SGPRBlocks: 2
; VGPRBlocks: 1
; NumSGPRsForWavesPerEU: 20
; NumVGPRsForWavesPerEU: 14
; AccumOffset: 16
; Occupancy: 8
; WaveLimiterHint : 0
; COMPUTE_PGM_RSRC2:SCRATCH_EN: 0
; COMPUTE_PGM_RSRC2:USER_SGPR: 6
; COMPUTE_PGM_RSRC2:TRAP_HANDLER: 0
; COMPUTE_PGM_RSRC2:TGID_X_EN: 1
; COMPUTE_PGM_RSRC2:TGID_Y_EN: 0
; COMPUTE_PGM_RSRC2:TGID_Z_EN: 0
; COMPUTE_PGM_RSRC2:TIDIG_COMP_CNT: 1
; COMPUTE_PGM_RSRC3_GFX90A:ACCUM_OFFSET: 3
; COMPUTE_PGM_RSRC3_GFX90A:TG_SPLIT: 0
	.section	.text._ZN12_GLOBAL__N_121softmax_warp_backwardIfffLi6ELb1ELb0ELi64EEEvPT0_PKT_S5_iiiPKb,"axG",@progbits,_ZN12_GLOBAL__N_121softmax_warp_backwardIfffLi6ELb1ELb0ELi64EEEvPT0_PKT_S5_iiiPKb,comdat
	.globl	_ZN12_GLOBAL__N_121softmax_warp_backwardIfffLi6ELb1ELb0ELi64EEEvPT0_PKT_S5_iiiPKb ; -- Begin function _ZN12_GLOBAL__N_121softmax_warp_backwardIfffLi6ELb1ELb0ELi64EEEvPT0_PKT_S5_iiiPKb
	.p2align	8
	.type	_ZN12_GLOBAL__N_121softmax_warp_backwardIfffLi6ELb1ELb0ELi64EEEvPT0_PKT_S5_iiiPKb,@function
_ZN12_GLOBAL__N_121softmax_warp_backwardIfffLi6ELb1ELb0ELi64EEEvPT0_PKT_S5_iiiPKb: ; @_ZN12_GLOBAL__N_121softmax_warp_backwardIfffLi6ELb1ELb0ELi64EEEvPT0_PKT_S5_iiiPKb
; %bb.0:
	s_load_dword s2, s[4:5], 0x3c
	s_load_dwordx4 s[8:11], s[4:5], 0x18
	s_load_dwordx4 s[12:15], s[4:5], 0x0
	s_load_dwordx2 s[0:1], s[4:5], 0x10
	v_bfe_u32 v1, v0, 10, 10
	s_waitcnt lgkmcnt(0)
	s_lshr_b32 s2, s2, 16
	s_mul_i32 s6, s6, s2
	v_add_lshl_u32 v1, s6, v1, 1
	v_and_b32_e32 v0, 63, v0
	v_mad_u64_u32 v[2:3], s[2:3], v1, s9, v[0:1]
	v_ashrrev_i32_e32 v3, 31, v2
	v_lshlrev_b64 v[2:3], 2, v[2:3]
	v_sub_u32_e32 v8, s8, v1
	v_mov_b32_e32 v1, s15
	v_add_co_u32_e32 v4, vcc, s14, v2
	v_addc_co_u32_e32 v5, vcc, v1, v3, vcc
	v_mov_b32_e32 v1, s1
	v_add_co_u32_e32 v6, vcc, s0, v2
	v_addc_co_u32_e32 v7, vcc, v1, v3, vcc
	v_cmp_gt_i32_e32 vcc, s10, v0
	v_cmp_lt_i32_e64 s[0:1], 0, v8
	s_and_b64 s[4:5], vcc, s[0:1]
	v_mov_b32_e32 v1, 0
	v_mov_b32_e32 v0, 0
	;; [unrolled: 1-line block ×3, first 2 shown]
	s_and_saveexec_b64 s[2:3], s[4:5]
	s_cbranch_execz .LBB240_2
; %bb.1:
	global_load_dword v0, v[4:5], off
	global_load_dword v10, v[6:7], off
.LBB240_2:
	s_or_b64 exec, exec, s[2:3]
	v_cmp_lt_i32_e64 s[2:3], 1, v8
	s_and_b64 s[2:3], vcc, s[2:3]
	s_mov_b32 s11, 0
	v_mov_b32_e32 v9, 0
	s_and_saveexec_b64 s[4:5], s[2:3]
	s_cbranch_execz .LBB240_4
; %bb.3:
	s_lshl_b64 s[6:7], s[10:11], 2
	v_mov_b32_e32 v9, s7
	v_add_co_u32_e64 v4, s[2:3], s6, v4
	v_addc_co_u32_e64 v5, s[2:3], v5, v9, s[2:3]
	global_load_dword v1, v[4:5], off
	v_add_co_u32_e64 v4, s[2:3], s6, v6
	v_addc_co_u32_e64 v5, s[2:3], v7, v9, s[2:3]
	global_load_dword v9, v[4:5], off
.LBB240_4:
	s_or_b64 exec, exec, s[4:5]
	v_mbcnt_lo_u32_b32 v6, -1, 0
	v_mbcnt_hi_u32_b32 v11, -1, v6
	v_and_b32_e32 v6, 64, v11
	v_add_u32_e32 v12, 64, v6
	v_xor_b32_e32 v6, 32, v11
	v_cmp_lt_i32_e64 s[2:3], v6, v12
	v_cndmask_b32_e64 v6, v11, v6, s[2:3]
	s_waitcnt vmcnt(1)
	v_pk_add_f32 v[4:5], v[0:1], 0 op_sel_hi:[1,0]
	v_lshlrev_b32_e32 v7, 2, v6
	ds_bpermute_b32 v6, v7, v4
	ds_bpermute_b32 v7, v7, v5
	v_xor_b32_e32 v13, 16, v11
	v_cmp_lt_i32_e64 s[2:3], v13, v12
	v_cndmask_b32_e64 v13, v11, v13, s[2:3]
	v_lshlrev_b32_e32 v13, 2, v13
	s_waitcnt lgkmcnt(0)
	v_pk_add_f32 v[4:5], v[4:5], v[6:7]
	ds_bpermute_b32 v6, v13, v4
	ds_bpermute_b32 v7, v13, v5
	v_xor_b32_e32 v13, 8, v11
	v_cmp_lt_i32_e64 s[2:3], v13, v12
	v_cndmask_b32_e64 v13, v11, v13, s[2:3]
	v_lshlrev_b32_e32 v13, 2, v13
	s_waitcnt lgkmcnt(0)
	v_pk_add_f32 v[4:5], v[4:5], v[6:7]
	;; [unrolled: 8-line block ×5, first 2 shown]
	ds_bpermute_b32 v6, v11, v4
	ds_bpermute_b32 v7, v11, v5
	s_and_saveexec_b64 s[2:3], s[0:1]
	s_cbranch_execz .LBB240_10
; %bb.5:
	v_mov_b32_e32 v11, s13
	v_add_co_u32_e64 v2, s[0:1], s12, v2
	v_addc_co_u32_e64 v3, s[0:1], v11, v3, s[0:1]
	s_waitcnt lgkmcnt(0)
	v_pk_add_f32 v[4:5], v[4:5], v[6:7]
	s_and_saveexec_b64 s[2:3], vcc
	s_cbranch_execz .LBB240_7
; %bb.6:
	s_waitcnt vmcnt(0)
	v_mul_f32_e32 v6, 0x3fb8aa3b, v10
	s_mov_b32 s0, 0x3fb8aa3b
	v_rndne_f32_e32 v7, v6
	v_sub_f32_e32 v11, v6, v7
	v_fma_f32 v6, v10, s0, -v6
	v_fmac_f32_e32 v6, 0x32a5705f, v10
	v_add_f32_e32 v6, v11, v6
	v_exp_f32_e32 v6, v6
	v_cvt_i32_f32_e32 v7, v7
	s_mov_b32 s0, 0xc2ce8ed0
	v_cmp_ngt_f32_e64 s[0:1], s0, v10
	v_ldexp_f32 v6, v6, v7
	v_cndmask_b32_e64 v6, 0, v6, s[0:1]
	s_mov_b32 s0, 0x42b17218
	v_mov_b32_e32 v7, 0x7f800000
	v_cmp_nlt_f32_e64 s[0:1], s0, v10
	v_cndmask_b32_e64 v6, v7, v6, s[0:1]
	v_fma_f32 v0, -v4, v6, v0
	global_store_dword v[2:3], v0, off
.LBB240_7:
	s_or_b64 exec, exec, s[2:3]
	v_cmp_ne_u32_e64 s[0:1], 1, v8
	s_and_b64 exec, exec, s[0:1]
	s_cbranch_execz .LBB240_10
; %bb.8:
	s_and_b64 exec, exec, vcc
	s_cbranch_execz .LBB240_10
; %bb.9:
	s_waitcnt vmcnt(0)
	v_mul_f32_e32 v0, 0x3fb8aa3b, v9
	s_mov_b32 s0, 0x3fb8aa3b
	v_rndne_f32_e32 v4, v0
	v_sub_f32_e32 v6, v0, v4
	v_fma_f32 v0, v9, s0, -v0
	v_fmac_f32_e32 v0, 0x32a5705f, v9
	v_add_f32_e32 v0, v6, v0
	v_exp_f32_e32 v0, v0
	v_cvt_i32_f32_e32 v4, v4
	s_mov_b32 s0, 0xc2ce8ed0
	v_cmp_ngt_f32_e32 vcc, s0, v9
	s_mov_b32 s0, 0x42b17218
	v_ldexp_f32 v0, v0, v4
	v_cndmask_b32_e32 v0, 0, v0, vcc
	v_mov_b32_e32 v4, 0x7f800000
	v_cmp_nlt_f32_e32 vcc, s0, v9
	v_cndmask_b32_e32 v0, v4, v0, vcc
	s_lshl_b64 s[0:1], s[10:11], 2
	v_fma_f32 v4, -v5, v0, v1
	v_mov_b32_e32 v1, s1
	v_add_co_u32_e32 v0, vcc, s0, v2
	v_addc_co_u32_e32 v1, vcc, v3, v1, vcc
	global_store_dword v[0:1], v4, off
.LBB240_10:
	s_endpgm
	.section	.rodata,"a",@progbits
	.p2align	6, 0x0
	.amdhsa_kernel _ZN12_GLOBAL__N_121softmax_warp_backwardIfffLi6ELb1ELb0ELi64EEEvPT0_PKT_S5_iiiPKb
		.amdhsa_group_segment_fixed_size 0
		.amdhsa_private_segment_fixed_size 0
		.amdhsa_kernarg_size 304
		.amdhsa_user_sgpr_count 6
		.amdhsa_user_sgpr_private_segment_buffer 1
		.amdhsa_user_sgpr_dispatch_ptr 0
		.amdhsa_user_sgpr_queue_ptr 0
		.amdhsa_user_sgpr_kernarg_segment_ptr 1
		.amdhsa_user_sgpr_dispatch_id 0
		.amdhsa_user_sgpr_flat_scratch_init 0
		.amdhsa_user_sgpr_kernarg_preload_length 0
		.amdhsa_user_sgpr_kernarg_preload_offset 0
		.amdhsa_user_sgpr_private_segment_size 0
		.amdhsa_uses_dynamic_stack 0
		.amdhsa_system_sgpr_private_segment_wavefront_offset 0
		.amdhsa_system_sgpr_workgroup_id_x 1
		.amdhsa_system_sgpr_workgroup_id_y 0
		.amdhsa_system_sgpr_workgroup_id_z 0
		.amdhsa_system_sgpr_workgroup_info 0
		.amdhsa_system_vgpr_workitem_id 1
		.amdhsa_next_free_vgpr 14
		.amdhsa_next_free_sgpr 16
		.amdhsa_accum_offset 16
		.amdhsa_reserve_vcc 1
		.amdhsa_reserve_flat_scratch 0
		.amdhsa_float_round_mode_32 0
		.amdhsa_float_round_mode_16_64 0
		.amdhsa_float_denorm_mode_32 3
		.amdhsa_float_denorm_mode_16_64 3
		.amdhsa_dx10_clamp 1
		.amdhsa_ieee_mode 1
		.amdhsa_fp16_overflow 0
		.amdhsa_tg_split 0
		.amdhsa_exception_fp_ieee_invalid_op 0
		.amdhsa_exception_fp_denorm_src 0
		.amdhsa_exception_fp_ieee_div_zero 0
		.amdhsa_exception_fp_ieee_overflow 0
		.amdhsa_exception_fp_ieee_underflow 0
		.amdhsa_exception_fp_ieee_inexact 0
		.amdhsa_exception_int_div_zero 0
	.end_amdhsa_kernel
	.section	.text._ZN12_GLOBAL__N_121softmax_warp_backwardIfffLi6ELb1ELb0ELi64EEEvPT0_PKT_S5_iiiPKb,"axG",@progbits,_ZN12_GLOBAL__N_121softmax_warp_backwardIfffLi6ELb1ELb0ELi64EEEvPT0_PKT_S5_iiiPKb,comdat
.Lfunc_end240:
	.size	_ZN12_GLOBAL__N_121softmax_warp_backwardIfffLi6ELb1ELb0ELi64EEEvPT0_PKT_S5_iiiPKb, .Lfunc_end240-_ZN12_GLOBAL__N_121softmax_warp_backwardIfffLi6ELb1ELb0ELi64EEEvPT0_PKT_S5_iiiPKb
                                        ; -- End function
	.section	.AMDGPU.csdata,"",@progbits
; Kernel info:
; codeLenInByte = 944
; NumSgprs: 20
; NumVgprs: 14
; NumAgprs: 0
; TotalNumVgprs: 14
; ScratchSize: 0
; MemoryBound: 0
; FloatMode: 240
; IeeeMode: 1
; LDSByteSize: 0 bytes/workgroup (compile time only)
; SGPRBlocks: 2
; VGPRBlocks: 1
; NumSGPRsForWavesPerEU: 20
; NumVGPRsForWavesPerEU: 14
; AccumOffset: 16
; Occupancy: 8
; WaveLimiterHint : 0
; COMPUTE_PGM_RSRC2:SCRATCH_EN: 0
; COMPUTE_PGM_RSRC2:USER_SGPR: 6
; COMPUTE_PGM_RSRC2:TRAP_HANDLER: 0
; COMPUTE_PGM_RSRC2:TGID_X_EN: 1
; COMPUTE_PGM_RSRC2:TGID_Y_EN: 0
; COMPUTE_PGM_RSRC2:TGID_Z_EN: 0
; COMPUTE_PGM_RSRC2:TIDIG_COMP_CNT: 1
; COMPUTE_PGM_RSRC3_GFX90A:ACCUM_OFFSET: 3
; COMPUTE_PGM_RSRC3_GFX90A:TG_SPLIT: 0
	.section	.text._ZN12_GLOBAL__N_121softmax_warp_backwardIfffLi6ELb1ELb0ELi32EEEvPT0_PKT_S5_iiiPKb,"axG",@progbits,_ZN12_GLOBAL__N_121softmax_warp_backwardIfffLi6ELb1ELb0ELi32EEEvPT0_PKT_S5_iiiPKb,comdat
	.globl	_ZN12_GLOBAL__N_121softmax_warp_backwardIfffLi6ELb1ELb0ELi32EEEvPT0_PKT_S5_iiiPKb ; -- Begin function _ZN12_GLOBAL__N_121softmax_warp_backwardIfffLi6ELb1ELb0ELi32EEEvPT0_PKT_S5_iiiPKb
	.p2align	8
	.type	_ZN12_GLOBAL__N_121softmax_warp_backwardIfffLi6ELb1ELb0ELi32EEEvPT0_PKT_S5_iiiPKb,@function
_ZN12_GLOBAL__N_121softmax_warp_backwardIfffLi6ELb1ELb0ELi32EEEvPT0_PKT_S5_iiiPKb: ; @_ZN12_GLOBAL__N_121softmax_warp_backwardIfffLi6ELb1ELb0ELi32EEEvPT0_PKT_S5_iiiPKb
; %bb.0:
	s_load_dword s2, s[4:5], 0x3c
	s_load_dwordx4 s[8:11], s[4:5], 0x18
	s_load_dwordx4 s[12:15], s[4:5], 0x0
	s_load_dwordx2 s[0:1], s[4:5], 0x10
	v_bfe_u32 v1, v0, 10, 10
	s_waitcnt lgkmcnt(0)
	s_lshr_b32 s2, s2, 16
	s_mul_i32 s6, s6, s2
	v_add_lshl_u32 v1, s6, v1, 1
	v_sub_u32_e32 v11, s8, v1
	v_and_b32_e32 v10, 31, v0
	v_mad_u64_u32 v[0:1], s[2:3], v1, s9, v[10:11]
	v_ashrrev_i32_e32 v1, 31, v0
	v_lshlrev_b64 v[4:5], 2, v[0:1]
	v_mov_b32_e32 v0, s15
	v_add_co_u32_e32 v6, vcc, s14, v4
	v_addc_co_u32_e32 v7, vcc, v0, v5, vcc
	v_mov_b32_e32 v0, s1
	v_add_co_u32_e32 v8, vcc, s0, v4
	v_cmp_lt_i32_e64 s[2:3], 0, v11
	v_cmp_gt_i32_e64 s[0:1], s10, v10
	v_addc_co_u32_e32 v9, vcc, v0, v5, vcc
	s_and_b64 s[6:7], s[2:3], s[0:1]
	v_mov_b32_e32 v0, 0
	v_mov_b32_e32 v2, 0
	;; [unrolled: 1-line block ×3, first 2 shown]
	s_and_saveexec_b64 s[4:5], s[6:7]
	s_cbranch_execz .LBB241_2
; %bb.1:
	global_load_dword v2, v[6:7], off
	global_load_dword v14, v[8:9], off
.LBB241_2:
	s_or_b64 exec, exec, s[4:5]
	v_or_b32_e32 v1, 32, v10
	v_cmp_gt_i32_e32 vcc, s10, v1
	s_and_b64 s[6:7], s[2:3], vcc
	v_mov_b32_e32 v13, 0
	s_and_saveexec_b64 s[4:5], s[6:7]
	s_cbranch_execz .LBB241_4
; %bb.3:
	global_load_dword v0, v[6:7], off offset:128
	global_load_dword v13, v[8:9], off offset:128
.LBB241_4:
	s_or_b64 exec, exec, s[4:5]
	v_cmp_lt_i32_e64 s[4:5], 1, v11
	s_and_b64 s[6:7], s[4:5], s[0:1]
	s_mov_b32 s11, 0
	v_mov_b32_e32 v1, 0
	v_mov_b32_e32 v3, 0
	;; [unrolled: 1-line block ×3, first 2 shown]
	s_and_saveexec_b64 s[8:9], s[6:7]
	s_cbranch_execz .LBB241_6
; %bb.5:
	s_lshl_b64 s[14:15], s[10:11], 2
	v_mov_b32_e32 v10, s15
	v_add_co_u32_e64 v16, s[6:7], s14, v6
	v_addc_co_u32_e64 v17, s[6:7], v7, v10, s[6:7]
	global_load_dword v3, v[16:17], off
	v_add_co_u32_e64 v16, s[6:7], s14, v8
	v_addc_co_u32_e64 v17, s[6:7], v9, v10, s[6:7]
	global_load_dword v12, v[16:17], off
.LBB241_6:
	s_or_b64 exec, exec, s[8:9]
	s_and_b64 s[4:5], s[4:5], vcc
	v_mov_b32_e32 v10, 0
	s_and_saveexec_b64 s[6:7], s[4:5]
	s_cbranch_execz .LBB241_8
; %bb.7:
	s_lshl_b64 s[8:9], s[10:11], 2
	v_mov_b32_e32 v10, s9
	v_add_co_u32_e64 v6, s[4:5], s8, v6
	v_addc_co_u32_e64 v7, s[4:5], v7, v10, s[4:5]
	global_load_dword v1, v[6:7], off offset:128
	v_add_co_u32_e64 v6, s[4:5], s8, v8
	v_addc_co_u32_e64 v7, s[4:5], v9, v10, s[4:5]
	global_load_dword v10, v[6:7], off offset:128
.LBB241_8:
	s_or_b64 exec, exec, s[6:7]
	v_mbcnt_lo_u32_b32 v8, -1, 0
	v_mbcnt_hi_u32_b32 v15, -1, v8
	v_and_b32_e32 v8, 0x60, v15
	v_add_u32_e32 v16, 32, v8
	v_xor_b32_e32 v8, 16, v15
	v_cmp_lt_i32_e64 s[4:5], v8, v16
	s_waitcnt vmcnt(1)
	v_pk_add_f32 v[6:7], v[2:3], 0 op_sel_hi:[1,0]
	v_cndmask_b32_e64 v8, v15, v8, s[4:5]
	v_lshlrev_b32_e32 v9, 2, v8
	v_pk_add_f32 v[6:7], v[6:7], v[0:1]
	ds_bpermute_b32 v8, v9, v6
	ds_bpermute_b32 v9, v9, v7
	v_xor_b32_e32 v17, 8, v15
	v_cmp_lt_i32_e64 s[4:5], v17, v16
	v_cndmask_b32_e64 v17, v15, v17, s[4:5]
	v_lshlrev_b32_e32 v17, 2, v17
	s_waitcnt lgkmcnt(0)
	v_pk_add_f32 v[6:7], v[6:7], v[8:9]
	ds_bpermute_b32 v8, v17, v6
	ds_bpermute_b32 v9, v17, v7
	v_xor_b32_e32 v17, 4, v15
	v_cmp_lt_i32_e64 s[4:5], v17, v16
	v_cndmask_b32_e64 v17, v15, v17, s[4:5]
	v_lshlrev_b32_e32 v17, 2, v17
	s_waitcnt lgkmcnt(0)
	v_pk_add_f32 v[6:7], v[6:7], v[8:9]
	ds_bpermute_b32 v8, v17, v6
	ds_bpermute_b32 v9, v17, v7
	v_xor_b32_e32 v17, 2, v15
	v_cmp_lt_i32_e64 s[4:5], v17, v16
	v_cndmask_b32_e64 v17, v15, v17, s[4:5]
	v_lshlrev_b32_e32 v17, 2, v17
	s_waitcnt lgkmcnt(0)
	v_pk_add_f32 v[6:7], v[6:7], v[8:9]
	ds_bpermute_b32 v8, v17, v6
	ds_bpermute_b32 v9, v17, v7
	v_xor_b32_e32 v17, 1, v15
	v_cmp_lt_i32_e64 s[4:5], v17, v16
	v_cndmask_b32_e64 v15, v15, v17, s[4:5]
	v_lshlrev_b32_e32 v15, 2, v15
	s_waitcnt lgkmcnt(0)
	v_pk_add_f32 v[6:7], v[6:7], v[8:9]
	ds_bpermute_b32 v8, v15, v6
	ds_bpermute_b32 v9, v15, v7
	s_and_saveexec_b64 s[4:5], s[2:3]
	s_cbranch_execz .LBB241_12
; %bb.9:
	v_mov_b32_e32 v15, s13
	v_add_co_u32_e64 v4, s[2:3], s12, v4
	v_addc_co_u32_e64 v5, s[2:3], v15, v5, s[2:3]
	s_waitcnt lgkmcnt(0)
	v_pk_add_f32 v[6:7], v[6:7], v[8:9]
	s_and_saveexec_b64 s[4:5], s[0:1]
	s_cbranch_execnz .LBB241_13
; %bb.10:
	s_or_b64 exec, exec, s[4:5]
	s_and_saveexec_b64 s[4:5], vcc
	s_cbranch_execnz .LBB241_14
.LBB241_11:
	s_or_b64 exec, exec, s[4:5]
	v_cmp_ne_u32_e64 s[2:3], 1, v11
	s_and_b64 exec, exec, s[2:3]
	s_cbranch_execnz .LBB241_15
.LBB241_12:
	s_endpgm
.LBB241_13:
	s_waitcnt vmcnt(0)
	v_mul_f32_e32 v8, 0x3fb8aa3b, v14
	s_mov_b32 s2, 0x3fb8aa3b
	v_rndne_f32_e32 v9, v8
	v_sub_f32_e32 v15, v8, v9
	v_fma_f32 v8, v14, s2, -v8
	v_fmac_f32_e32 v8, 0x32a5705f, v14
	v_add_f32_e32 v8, v15, v8
	v_exp_f32_e32 v8, v8
	v_cvt_i32_f32_e32 v9, v9
	s_mov_b32 s2, 0xc2ce8ed0
	v_cmp_ngt_f32_e64 s[2:3], s2, v14
	v_ldexp_f32 v8, v8, v9
	v_cndmask_b32_e64 v8, 0, v8, s[2:3]
	s_mov_b32 s2, 0x42b17218
	v_mov_b32_e32 v9, 0x7f800000
	v_cmp_nlt_f32_e64 s[2:3], s2, v14
	v_cndmask_b32_e64 v8, v9, v8, s[2:3]
	v_fma_f32 v2, -v6, v8, v2
	global_store_dword v[4:5], v2, off
	s_or_b64 exec, exec, s[4:5]
	s_and_saveexec_b64 s[4:5], vcc
	s_cbranch_execz .LBB241_11
.LBB241_14:
	s_waitcnt vmcnt(0)
	v_mul_f32_e32 v2, 0x3fb8aa3b, v13
	s_mov_b32 s2, 0x3fb8aa3b
	v_rndne_f32_e32 v8, v2
	v_sub_f32_e32 v9, v2, v8
	v_fma_f32 v2, v13, s2, -v2
	v_fmac_f32_e32 v2, 0x32a5705f, v13
	v_add_f32_e32 v2, v9, v2
	v_exp_f32_e32 v2, v2
	v_cvt_i32_f32_e32 v8, v8
	s_mov_b32 s2, 0xc2ce8ed0
	v_cmp_ngt_f32_e64 s[2:3], s2, v13
	v_ldexp_f32 v2, v2, v8
	v_cndmask_b32_e64 v2, 0, v2, s[2:3]
	s_mov_b32 s2, 0x42b17218
	v_mov_b32_e32 v8, 0x7f800000
	v_cmp_nlt_f32_e64 s[2:3], s2, v13
	v_cndmask_b32_e64 v2, v8, v2, s[2:3]
	v_fma_f32 v0, -v6, v2, v0
	global_store_dword v[4:5], v0, off offset:128
	s_or_b64 exec, exec, s[4:5]
	v_cmp_ne_u32_e64 s[2:3], 1, v11
	s_and_b64 exec, exec, s[2:3]
	s_cbranch_execz .LBB241_12
.LBB241_15:
	s_and_saveexec_b64 s[2:3], s[0:1]
	s_cbranch_execz .LBB241_17
; %bb.16:
	s_waitcnt vmcnt(0)
	v_mul_f32_e32 v0, 0x3fb8aa3b, v12
	s_mov_b32 s0, 0x3fb8aa3b
	v_rndne_f32_e32 v2, v0
	v_sub_f32_e32 v6, v0, v2
	v_fma_f32 v0, v12, s0, -v0
	v_fmac_f32_e32 v0, 0x32a5705f, v12
	v_add_f32_e32 v0, v6, v0
	v_exp_f32_e32 v0, v0
	v_cvt_i32_f32_e32 v2, v2
	s_mov_b32 s0, 0xc2ce8ed0
	v_cmp_ngt_f32_e64 s[0:1], s0, v12
	v_ldexp_f32 v0, v0, v2
	v_cndmask_b32_e64 v0, 0, v0, s[0:1]
	s_mov_b32 s0, 0x42b17218
	v_mov_b32_e32 v2, 0x7f800000
	v_cmp_nlt_f32_e64 s[0:1], s0, v12
	v_cndmask_b32_e64 v0, v2, v0, s[0:1]
	s_lshl_b64 s[0:1], s[10:11], 2
	v_fma_f32 v0, -v7, v0, v3
	v_mov_b32_e32 v3, s1
	v_add_co_u32_e64 v2, s[0:1], s0, v4
	v_addc_co_u32_e64 v3, s[0:1], v5, v3, s[0:1]
	global_store_dword v[2:3], v0, off
.LBB241_17:
	s_or_b64 exec, exec, s[2:3]
	s_and_b64 exec, exec, vcc
	s_cbranch_execz .LBB241_12
; %bb.18:
	s_waitcnt vmcnt(0)
	v_mul_f32_e32 v0, 0x3fb8aa3b, v10
	s_mov_b32 s0, 0x3fb8aa3b
	v_rndne_f32_e32 v2, v0
	v_sub_f32_e32 v3, v0, v2
	v_fma_f32 v0, v10, s0, -v0
	v_fmac_f32_e32 v0, 0x32a5705f, v10
	v_add_f32_e32 v0, v3, v0
	v_exp_f32_e32 v0, v0
	v_cvt_i32_f32_e32 v2, v2
	s_mov_b32 s0, 0xc2ce8ed0
	v_cmp_ngt_f32_e32 vcc, s0, v10
	s_mov_b32 s0, 0x42b17218
	v_ldexp_f32 v0, v0, v2
	v_cndmask_b32_e32 v0, 0, v0, vcc
	v_mov_b32_e32 v2, 0x7f800000
	v_cmp_nlt_f32_e32 vcc, s0, v10
	s_ashr_i32 s11, s10, 31
	v_cndmask_b32_e32 v0, v2, v0, vcc
	s_lshl_b64 s[0:1], s[10:11], 2
	v_fma_f32 v2, -v7, v0, v1
	v_mov_b32_e32 v1, s1
	v_add_co_u32_e32 v0, vcc, s0, v4
	v_addc_co_u32_e32 v1, vcc, v5, v1, vcc
	global_store_dword v[0:1], v2, off offset:128
	s_endpgm
	.section	.rodata,"a",@progbits
	.p2align	6, 0x0
	.amdhsa_kernel _ZN12_GLOBAL__N_121softmax_warp_backwardIfffLi6ELb1ELb0ELi32EEEvPT0_PKT_S5_iiiPKb
		.amdhsa_group_segment_fixed_size 0
		.amdhsa_private_segment_fixed_size 0
		.amdhsa_kernarg_size 304
		.amdhsa_user_sgpr_count 6
		.amdhsa_user_sgpr_private_segment_buffer 1
		.amdhsa_user_sgpr_dispatch_ptr 0
		.amdhsa_user_sgpr_queue_ptr 0
		.amdhsa_user_sgpr_kernarg_segment_ptr 1
		.amdhsa_user_sgpr_dispatch_id 0
		.amdhsa_user_sgpr_flat_scratch_init 0
		.amdhsa_user_sgpr_kernarg_preload_length 0
		.amdhsa_user_sgpr_kernarg_preload_offset 0
		.amdhsa_user_sgpr_private_segment_size 0
		.amdhsa_uses_dynamic_stack 0
		.amdhsa_system_sgpr_private_segment_wavefront_offset 0
		.amdhsa_system_sgpr_workgroup_id_x 1
		.amdhsa_system_sgpr_workgroup_id_y 0
		.amdhsa_system_sgpr_workgroup_id_z 0
		.amdhsa_system_sgpr_workgroup_info 0
		.amdhsa_system_vgpr_workitem_id 1
		.amdhsa_next_free_vgpr 18
		.amdhsa_next_free_sgpr 16
		.amdhsa_accum_offset 20
		.amdhsa_reserve_vcc 1
		.amdhsa_reserve_flat_scratch 0
		.amdhsa_float_round_mode_32 0
		.amdhsa_float_round_mode_16_64 0
		.amdhsa_float_denorm_mode_32 3
		.amdhsa_float_denorm_mode_16_64 3
		.amdhsa_dx10_clamp 1
		.amdhsa_ieee_mode 1
		.amdhsa_fp16_overflow 0
		.amdhsa_tg_split 0
		.amdhsa_exception_fp_ieee_invalid_op 0
		.amdhsa_exception_fp_denorm_src 0
		.amdhsa_exception_fp_ieee_div_zero 0
		.amdhsa_exception_fp_ieee_overflow 0
		.amdhsa_exception_fp_ieee_underflow 0
		.amdhsa_exception_fp_ieee_inexact 0
		.amdhsa_exception_int_div_zero 0
	.end_amdhsa_kernel
	.section	.text._ZN12_GLOBAL__N_121softmax_warp_backwardIfffLi6ELb1ELb0ELi32EEEvPT0_PKT_S5_iiiPKb,"axG",@progbits,_ZN12_GLOBAL__N_121softmax_warp_backwardIfffLi6ELb1ELb0ELi32EEEvPT0_PKT_S5_iiiPKb,comdat
.Lfunc_end241:
	.size	_ZN12_GLOBAL__N_121softmax_warp_backwardIfffLi6ELb1ELb0ELi32EEEvPT0_PKT_S5_iiiPKb, .Lfunc_end241-_ZN12_GLOBAL__N_121softmax_warp_backwardIfffLi6ELb1ELb0ELi32EEEvPT0_PKT_S5_iiiPKb
                                        ; -- End function
	.section	.AMDGPU.csdata,"",@progbits
; Kernel info:
; codeLenInByte = 1396
; NumSgprs: 20
; NumVgprs: 18
; NumAgprs: 0
; TotalNumVgprs: 18
; ScratchSize: 0
; MemoryBound: 0
; FloatMode: 240
; IeeeMode: 1
; LDSByteSize: 0 bytes/workgroup (compile time only)
; SGPRBlocks: 2
; VGPRBlocks: 2
; NumSGPRsForWavesPerEU: 20
; NumVGPRsForWavesPerEU: 18
; AccumOffset: 20
; Occupancy: 8
; WaveLimiterHint : 0
; COMPUTE_PGM_RSRC2:SCRATCH_EN: 0
; COMPUTE_PGM_RSRC2:USER_SGPR: 6
; COMPUTE_PGM_RSRC2:TRAP_HANDLER: 0
; COMPUTE_PGM_RSRC2:TGID_X_EN: 1
; COMPUTE_PGM_RSRC2:TGID_Y_EN: 0
; COMPUTE_PGM_RSRC2:TGID_Z_EN: 0
; COMPUTE_PGM_RSRC2:TIDIG_COMP_CNT: 1
; COMPUTE_PGM_RSRC3_GFX90A:ACCUM_OFFSET: 4
; COMPUTE_PGM_RSRC3_GFX90A:TG_SPLIT: 0
	.section	.text._ZN12_GLOBAL__N_121softmax_warp_backwardIfffLi7ELb1ELb0ELi64EEEvPT0_PKT_S5_iiiPKb,"axG",@progbits,_ZN12_GLOBAL__N_121softmax_warp_backwardIfffLi7ELb1ELb0ELi64EEEvPT0_PKT_S5_iiiPKb,comdat
	.globl	_ZN12_GLOBAL__N_121softmax_warp_backwardIfffLi7ELb1ELb0ELi64EEEvPT0_PKT_S5_iiiPKb ; -- Begin function _ZN12_GLOBAL__N_121softmax_warp_backwardIfffLi7ELb1ELb0ELi64EEEvPT0_PKT_S5_iiiPKb
	.p2align	8
	.type	_ZN12_GLOBAL__N_121softmax_warp_backwardIfffLi7ELb1ELb0ELi64EEEvPT0_PKT_S5_iiiPKb,@function
_ZN12_GLOBAL__N_121softmax_warp_backwardIfffLi7ELb1ELb0ELi64EEEvPT0_PKT_S5_iiiPKb: ; @_ZN12_GLOBAL__N_121softmax_warp_backwardIfffLi7ELb1ELb0ELi64EEEvPT0_PKT_S5_iiiPKb
; %bb.0:
	s_load_dword s2, s[4:5], 0x3c
	s_load_dwordx4 s[8:11], s[4:5], 0x18
	s_load_dwordx4 s[12:15], s[4:5], 0x0
	s_load_dwordx2 s[0:1], s[4:5], 0x10
	v_bfe_u32 v1, v0, 10, 10
	s_waitcnt lgkmcnt(0)
	s_lshr_b32 s2, s2, 16
	s_mul_i32 s6, s6, s2
	v_add_lshl_u32 v1, s6, v1, 1
	v_sub_u32_e32 v11, s8, v1
	v_and_b32_e32 v10, 63, v0
	v_mad_u64_u32 v[0:1], s[2:3], v1, s9, v[10:11]
	v_ashrrev_i32_e32 v1, 31, v0
	v_lshlrev_b64 v[4:5], 2, v[0:1]
	v_mov_b32_e32 v0, s15
	v_add_co_u32_e32 v6, vcc, s14, v4
	v_addc_co_u32_e32 v7, vcc, v0, v5, vcc
	v_mov_b32_e32 v0, s1
	v_add_co_u32_e32 v8, vcc, s0, v4
	v_cmp_lt_i32_e64 s[2:3], 0, v11
	v_cmp_gt_i32_e64 s[0:1], s10, v10
	v_addc_co_u32_e32 v9, vcc, v0, v5, vcc
	s_and_b64 s[6:7], s[2:3], s[0:1]
	v_mov_b32_e32 v0, 0
	v_mov_b32_e32 v2, 0
	;; [unrolled: 1-line block ×3, first 2 shown]
	s_and_saveexec_b64 s[4:5], s[6:7]
	s_cbranch_execz .LBB242_2
; %bb.1:
	global_load_dword v2, v[6:7], off
	global_load_dword v14, v[8:9], off
.LBB242_2:
	s_or_b64 exec, exec, s[4:5]
	v_or_b32_e32 v1, 64, v10
	v_cmp_gt_i32_e32 vcc, s10, v1
	s_and_b64 s[6:7], s[2:3], vcc
	v_mov_b32_e32 v13, 0
	s_and_saveexec_b64 s[4:5], s[6:7]
	s_cbranch_execz .LBB242_4
; %bb.3:
	global_load_dword v0, v[6:7], off offset:256
	global_load_dword v13, v[8:9], off offset:256
.LBB242_4:
	s_or_b64 exec, exec, s[4:5]
	v_cmp_lt_i32_e64 s[4:5], 1, v11
	s_and_b64 s[6:7], s[4:5], s[0:1]
	s_mov_b32 s11, 0
	v_mov_b32_e32 v1, 0
	v_mov_b32_e32 v3, 0
	;; [unrolled: 1-line block ×3, first 2 shown]
	s_and_saveexec_b64 s[8:9], s[6:7]
	s_cbranch_execz .LBB242_6
; %bb.5:
	s_lshl_b64 s[14:15], s[10:11], 2
	v_mov_b32_e32 v10, s15
	v_add_co_u32_e64 v16, s[6:7], s14, v6
	v_addc_co_u32_e64 v17, s[6:7], v7, v10, s[6:7]
	global_load_dword v3, v[16:17], off
	v_add_co_u32_e64 v16, s[6:7], s14, v8
	v_addc_co_u32_e64 v17, s[6:7], v9, v10, s[6:7]
	global_load_dword v12, v[16:17], off
.LBB242_6:
	s_or_b64 exec, exec, s[8:9]
	s_and_b64 s[4:5], s[4:5], vcc
	v_mov_b32_e32 v10, 0
	s_and_saveexec_b64 s[6:7], s[4:5]
	s_cbranch_execz .LBB242_8
; %bb.7:
	s_lshl_b64 s[8:9], s[10:11], 2
	v_mov_b32_e32 v10, s9
	v_add_co_u32_e64 v6, s[4:5], s8, v6
	v_addc_co_u32_e64 v7, s[4:5], v7, v10, s[4:5]
	global_load_dword v1, v[6:7], off offset:256
	v_add_co_u32_e64 v6, s[4:5], s8, v8
	v_addc_co_u32_e64 v7, s[4:5], v9, v10, s[4:5]
	global_load_dword v10, v[6:7], off offset:256
.LBB242_8:
	s_or_b64 exec, exec, s[6:7]
	v_mbcnt_lo_u32_b32 v8, -1, 0
	v_mbcnt_hi_u32_b32 v15, -1, v8
	v_and_b32_e32 v8, 64, v15
	v_add_u32_e32 v16, 64, v8
	v_xor_b32_e32 v8, 32, v15
	v_cmp_lt_i32_e64 s[4:5], v8, v16
	s_waitcnt vmcnt(1)
	v_pk_add_f32 v[6:7], v[2:3], 0 op_sel_hi:[1,0]
	v_cndmask_b32_e64 v8, v15, v8, s[4:5]
	v_lshlrev_b32_e32 v9, 2, v8
	v_pk_add_f32 v[6:7], v[6:7], v[0:1]
	ds_bpermute_b32 v8, v9, v6
	ds_bpermute_b32 v9, v9, v7
	v_xor_b32_e32 v17, 16, v15
	v_cmp_lt_i32_e64 s[4:5], v17, v16
	v_cndmask_b32_e64 v17, v15, v17, s[4:5]
	v_lshlrev_b32_e32 v17, 2, v17
	s_waitcnt lgkmcnt(0)
	v_pk_add_f32 v[6:7], v[6:7], v[8:9]
	ds_bpermute_b32 v8, v17, v6
	ds_bpermute_b32 v9, v17, v7
	v_xor_b32_e32 v17, 8, v15
	v_cmp_lt_i32_e64 s[4:5], v17, v16
	v_cndmask_b32_e64 v17, v15, v17, s[4:5]
	v_lshlrev_b32_e32 v17, 2, v17
	s_waitcnt lgkmcnt(0)
	;; [unrolled: 8-line block ×5, first 2 shown]
	v_pk_add_f32 v[6:7], v[6:7], v[8:9]
	ds_bpermute_b32 v8, v15, v6
	ds_bpermute_b32 v9, v15, v7
	s_and_saveexec_b64 s[4:5], s[2:3]
	s_cbranch_execz .LBB242_12
; %bb.9:
	v_mov_b32_e32 v15, s13
	v_add_co_u32_e64 v4, s[2:3], s12, v4
	v_addc_co_u32_e64 v5, s[2:3], v15, v5, s[2:3]
	s_waitcnt lgkmcnt(0)
	v_pk_add_f32 v[6:7], v[6:7], v[8:9]
	s_and_saveexec_b64 s[4:5], s[0:1]
	s_cbranch_execnz .LBB242_13
; %bb.10:
	s_or_b64 exec, exec, s[4:5]
	s_and_saveexec_b64 s[4:5], vcc
	s_cbranch_execnz .LBB242_14
.LBB242_11:
	s_or_b64 exec, exec, s[4:5]
	v_cmp_ne_u32_e64 s[2:3], 1, v11
	s_and_b64 exec, exec, s[2:3]
	s_cbranch_execnz .LBB242_15
.LBB242_12:
	s_endpgm
.LBB242_13:
	s_waitcnt vmcnt(0)
	v_mul_f32_e32 v8, 0x3fb8aa3b, v14
	s_mov_b32 s2, 0x3fb8aa3b
	v_rndne_f32_e32 v9, v8
	v_sub_f32_e32 v15, v8, v9
	v_fma_f32 v8, v14, s2, -v8
	v_fmac_f32_e32 v8, 0x32a5705f, v14
	v_add_f32_e32 v8, v15, v8
	v_exp_f32_e32 v8, v8
	v_cvt_i32_f32_e32 v9, v9
	s_mov_b32 s2, 0xc2ce8ed0
	v_cmp_ngt_f32_e64 s[2:3], s2, v14
	v_ldexp_f32 v8, v8, v9
	v_cndmask_b32_e64 v8, 0, v8, s[2:3]
	s_mov_b32 s2, 0x42b17218
	v_mov_b32_e32 v9, 0x7f800000
	v_cmp_nlt_f32_e64 s[2:3], s2, v14
	v_cndmask_b32_e64 v8, v9, v8, s[2:3]
	v_fma_f32 v2, -v6, v8, v2
	global_store_dword v[4:5], v2, off
	s_or_b64 exec, exec, s[4:5]
	s_and_saveexec_b64 s[4:5], vcc
	s_cbranch_execz .LBB242_11
.LBB242_14:
	s_waitcnt vmcnt(0)
	v_mul_f32_e32 v2, 0x3fb8aa3b, v13
	s_mov_b32 s2, 0x3fb8aa3b
	v_rndne_f32_e32 v8, v2
	v_sub_f32_e32 v9, v2, v8
	v_fma_f32 v2, v13, s2, -v2
	v_fmac_f32_e32 v2, 0x32a5705f, v13
	v_add_f32_e32 v2, v9, v2
	v_exp_f32_e32 v2, v2
	v_cvt_i32_f32_e32 v8, v8
	s_mov_b32 s2, 0xc2ce8ed0
	v_cmp_ngt_f32_e64 s[2:3], s2, v13
	v_ldexp_f32 v2, v2, v8
	v_cndmask_b32_e64 v2, 0, v2, s[2:3]
	s_mov_b32 s2, 0x42b17218
	v_mov_b32_e32 v8, 0x7f800000
	v_cmp_nlt_f32_e64 s[2:3], s2, v13
	v_cndmask_b32_e64 v2, v8, v2, s[2:3]
	v_fma_f32 v0, -v6, v2, v0
	global_store_dword v[4:5], v0, off offset:256
	s_or_b64 exec, exec, s[4:5]
	v_cmp_ne_u32_e64 s[2:3], 1, v11
	s_and_b64 exec, exec, s[2:3]
	s_cbranch_execz .LBB242_12
.LBB242_15:
	s_and_saveexec_b64 s[2:3], s[0:1]
	s_cbranch_execz .LBB242_17
; %bb.16:
	s_waitcnt vmcnt(0)
	v_mul_f32_e32 v0, 0x3fb8aa3b, v12
	s_mov_b32 s0, 0x3fb8aa3b
	v_rndne_f32_e32 v2, v0
	v_sub_f32_e32 v6, v0, v2
	v_fma_f32 v0, v12, s0, -v0
	v_fmac_f32_e32 v0, 0x32a5705f, v12
	v_add_f32_e32 v0, v6, v0
	v_exp_f32_e32 v0, v0
	v_cvt_i32_f32_e32 v2, v2
	s_mov_b32 s0, 0xc2ce8ed0
	v_cmp_ngt_f32_e64 s[0:1], s0, v12
	v_ldexp_f32 v0, v0, v2
	v_cndmask_b32_e64 v0, 0, v0, s[0:1]
	s_mov_b32 s0, 0x42b17218
	v_mov_b32_e32 v2, 0x7f800000
	v_cmp_nlt_f32_e64 s[0:1], s0, v12
	v_cndmask_b32_e64 v0, v2, v0, s[0:1]
	s_lshl_b64 s[0:1], s[10:11], 2
	v_fma_f32 v0, -v7, v0, v3
	v_mov_b32_e32 v3, s1
	v_add_co_u32_e64 v2, s[0:1], s0, v4
	v_addc_co_u32_e64 v3, s[0:1], v5, v3, s[0:1]
	global_store_dword v[2:3], v0, off
.LBB242_17:
	s_or_b64 exec, exec, s[2:3]
	s_and_b64 exec, exec, vcc
	s_cbranch_execz .LBB242_12
; %bb.18:
	s_waitcnt vmcnt(0)
	v_mul_f32_e32 v0, 0x3fb8aa3b, v10
	s_mov_b32 s0, 0x3fb8aa3b
	v_rndne_f32_e32 v2, v0
	v_sub_f32_e32 v3, v0, v2
	v_fma_f32 v0, v10, s0, -v0
	v_fmac_f32_e32 v0, 0x32a5705f, v10
	v_add_f32_e32 v0, v3, v0
	v_exp_f32_e32 v0, v0
	v_cvt_i32_f32_e32 v2, v2
	s_mov_b32 s0, 0xc2ce8ed0
	v_cmp_ngt_f32_e32 vcc, s0, v10
	s_mov_b32 s0, 0x42b17218
	v_ldexp_f32 v0, v0, v2
	v_cndmask_b32_e32 v0, 0, v0, vcc
	v_mov_b32_e32 v2, 0x7f800000
	v_cmp_nlt_f32_e32 vcc, s0, v10
	s_ashr_i32 s11, s10, 31
	v_cndmask_b32_e32 v0, v2, v0, vcc
	s_lshl_b64 s[0:1], s[10:11], 2
	v_fma_f32 v2, -v7, v0, v1
	v_mov_b32_e32 v1, s1
	v_add_co_u32_e32 v0, vcc, s0, v4
	v_addc_co_u32_e32 v1, vcc, v5, v1, vcc
	global_store_dword v[0:1], v2, off offset:256
	s_endpgm
	.section	.rodata,"a",@progbits
	.p2align	6, 0x0
	.amdhsa_kernel _ZN12_GLOBAL__N_121softmax_warp_backwardIfffLi7ELb1ELb0ELi64EEEvPT0_PKT_S5_iiiPKb
		.amdhsa_group_segment_fixed_size 0
		.amdhsa_private_segment_fixed_size 0
		.amdhsa_kernarg_size 304
		.amdhsa_user_sgpr_count 6
		.amdhsa_user_sgpr_private_segment_buffer 1
		.amdhsa_user_sgpr_dispatch_ptr 0
		.amdhsa_user_sgpr_queue_ptr 0
		.amdhsa_user_sgpr_kernarg_segment_ptr 1
		.amdhsa_user_sgpr_dispatch_id 0
		.amdhsa_user_sgpr_flat_scratch_init 0
		.amdhsa_user_sgpr_kernarg_preload_length 0
		.amdhsa_user_sgpr_kernarg_preload_offset 0
		.amdhsa_user_sgpr_private_segment_size 0
		.amdhsa_uses_dynamic_stack 0
		.amdhsa_system_sgpr_private_segment_wavefront_offset 0
		.amdhsa_system_sgpr_workgroup_id_x 1
		.amdhsa_system_sgpr_workgroup_id_y 0
		.amdhsa_system_sgpr_workgroup_id_z 0
		.amdhsa_system_sgpr_workgroup_info 0
		.amdhsa_system_vgpr_workitem_id 1
		.amdhsa_next_free_vgpr 18
		.amdhsa_next_free_sgpr 16
		.amdhsa_accum_offset 20
		.amdhsa_reserve_vcc 1
		.amdhsa_reserve_flat_scratch 0
		.amdhsa_float_round_mode_32 0
		.amdhsa_float_round_mode_16_64 0
		.amdhsa_float_denorm_mode_32 3
		.amdhsa_float_denorm_mode_16_64 3
		.amdhsa_dx10_clamp 1
		.amdhsa_ieee_mode 1
		.amdhsa_fp16_overflow 0
		.amdhsa_tg_split 0
		.amdhsa_exception_fp_ieee_invalid_op 0
		.amdhsa_exception_fp_denorm_src 0
		.amdhsa_exception_fp_ieee_div_zero 0
		.amdhsa_exception_fp_ieee_overflow 0
		.amdhsa_exception_fp_ieee_underflow 0
		.amdhsa_exception_fp_ieee_inexact 0
		.amdhsa_exception_int_div_zero 0
	.end_amdhsa_kernel
	.section	.text._ZN12_GLOBAL__N_121softmax_warp_backwardIfffLi7ELb1ELb0ELi64EEEvPT0_PKT_S5_iiiPKb,"axG",@progbits,_ZN12_GLOBAL__N_121softmax_warp_backwardIfffLi7ELb1ELb0ELi64EEEvPT0_PKT_S5_iiiPKb,comdat
.Lfunc_end242:
	.size	_ZN12_GLOBAL__N_121softmax_warp_backwardIfffLi7ELb1ELb0ELi64EEEvPT0_PKT_S5_iiiPKb, .Lfunc_end242-_ZN12_GLOBAL__N_121softmax_warp_backwardIfffLi7ELb1ELb0ELi64EEEvPT0_PKT_S5_iiiPKb
                                        ; -- End function
	.section	.AMDGPU.csdata,"",@progbits
; Kernel info:
; codeLenInByte = 1444
; NumSgprs: 20
; NumVgprs: 18
; NumAgprs: 0
; TotalNumVgprs: 18
; ScratchSize: 0
; MemoryBound: 0
; FloatMode: 240
; IeeeMode: 1
; LDSByteSize: 0 bytes/workgroup (compile time only)
; SGPRBlocks: 2
; VGPRBlocks: 2
; NumSGPRsForWavesPerEU: 20
; NumVGPRsForWavesPerEU: 18
; AccumOffset: 20
; Occupancy: 8
; WaveLimiterHint : 0
; COMPUTE_PGM_RSRC2:SCRATCH_EN: 0
; COMPUTE_PGM_RSRC2:USER_SGPR: 6
; COMPUTE_PGM_RSRC2:TRAP_HANDLER: 0
; COMPUTE_PGM_RSRC2:TGID_X_EN: 1
; COMPUTE_PGM_RSRC2:TGID_Y_EN: 0
; COMPUTE_PGM_RSRC2:TGID_Z_EN: 0
; COMPUTE_PGM_RSRC2:TIDIG_COMP_CNT: 1
; COMPUTE_PGM_RSRC3_GFX90A:ACCUM_OFFSET: 4
; COMPUTE_PGM_RSRC3_GFX90A:TG_SPLIT: 0
	.section	.text._ZN12_GLOBAL__N_121softmax_warp_backwardIfffLi7ELb1ELb0ELi32EEEvPT0_PKT_S5_iiiPKb,"axG",@progbits,_ZN12_GLOBAL__N_121softmax_warp_backwardIfffLi7ELb1ELb0ELi32EEEvPT0_PKT_S5_iiiPKb,comdat
	.globl	_ZN12_GLOBAL__N_121softmax_warp_backwardIfffLi7ELb1ELb0ELi32EEEvPT0_PKT_S5_iiiPKb ; -- Begin function _ZN12_GLOBAL__N_121softmax_warp_backwardIfffLi7ELb1ELb0ELi32EEEvPT0_PKT_S5_iiiPKb
	.p2align	8
	.type	_ZN12_GLOBAL__N_121softmax_warp_backwardIfffLi7ELb1ELb0ELi32EEEvPT0_PKT_S5_iiiPKb,@function
_ZN12_GLOBAL__N_121softmax_warp_backwardIfffLi7ELb1ELb0ELi32EEEvPT0_PKT_S5_iiiPKb: ; @_ZN12_GLOBAL__N_121softmax_warp_backwardIfffLi7ELb1ELb0ELi32EEEvPT0_PKT_S5_iiiPKb
; %bb.0:
	s_load_dword s2, s[4:5], 0x3c
	s_load_dwordx4 s[12:15], s[4:5], 0x18
	s_load_dwordx4 s[16:19], s[4:5], 0x0
	s_load_dwordx2 s[0:1], s[4:5], 0x10
	v_bfe_u32 v1, v0, 10, 10
	s_waitcnt lgkmcnt(0)
	s_lshr_b32 s2, s2, 16
	s_mul_i32 s6, s6, s2
	v_add_lshl_u32 v1, s6, v1, 1
	v_and_b32_e32 v14, 31, v0
	v_sub_u32_e32 v16, s12, v1
	v_mad_u64_u32 v[0:1], s[2:3], v1, s13, v[14:15]
	v_ashrrev_i32_e32 v1, 31, v0
	v_lshlrev_b64 v[8:9], 2, v[0:1]
	v_mov_b32_e32 v0, s19
	v_add_co_u32_e32 v10, vcc, s18, v8
	v_addc_co_u32_e32 v11, vcc, v0, v9, vcc
	v_mov_b32_e32 v0, s1
	v_add_co_u32_e32 v12, vcc, s0, v8
	v_cmp_lt_i32_e64 s[6:7], 0, v16
	v_cmp_gt_i32_e64 s[4:5], s14, v14
	v_addc_co_u32_e32 v13, vcc, v0, v9, vcc
	s_and_b64 s[2:3], s[6:7], s[4:5]
	v_mov_b32_e32 v2, 0
	v_mov_b32_e32 v6, 0
	;; [unrolled: 1-line block ×3, first 2 shown]
	s_and_saveexec_b64 s[0:1], s[2:3]
	s_cbranch_execz .LBB243_2
; %bb.1:
	global_load_dword v6, v[10:11], off
	global_load_dword v24, v[12:13], off
.LBB243_2:
	s_or_b64 exec, exec, s[0:1]
	v_or_b32_e32 v0, 32, v14
	v_cmp_gt_i32_e64 s[2:3], s14, v0
	s_and_b64 s[8:9], s[6:7], s[2:3]
	v_mov_b32_e32 v23, 0
	s_and_saveexec_b64 s[0:1], s[8:9]
	s_cbranch_execz .LBB243_4
; %bb.3:
	global_load_dword v2, v[10:11], off offset:128
	global_load_dword v23, v[12:13], off offset:128
.LBB243_4:
	s_or_b64 exec, exec, s[0:1]
	v_or_b32_e32 v0, 64, v14
	v_cmp_gt_i32_e64 s[0:1], s14, v0
	s_and_b64 s[10:11], s[6:7], s[0:1]
	v_mov_b32_e32 v0, 0
	v_mov_b32_e32 v4, 0
	;; [unrolled: 1-line block ×3, first 2 shown]
	s_and_saveexec_b64 s[8:9], s[10:11]
	s_cbranch_execz .LBB243_6
; %bb.5:
	global_load_dword v4, v[10:11], off offset:256
	global_load_dword v22, v[12:13], off offset:256
.LBB243_6:
	s_or_b64 exec, exec, s[8:9]
	v_or_b32_e32 v1, 0x60, v14
	v_cmp_gt_i32_e32 vcc, s14, v1
	s_and_b64 s[10:11], s[6:7], vcc
	v_mov_b32_e32 v21, 0
	s_and_saveexec_b64 s[8:9], s[10:11]
	s_cbranch_execz .LBB243_8
; %bb.7:
	global_load_dword v0, v[10:11], off offset:384
	global_load_dword v21, v[12:13], off offset:384
.LBB243_8:
	s_or_b64 exec, exec, s[8:9]
	v_cmp_lt_i32_e64 s[8:9], 1, v16
	s_and_b64 s[10:11], s[8:9], s[4:5]
	s_mov_b32 s15, 0
	v_mov_b32_e32 v3, 0
	v_mov_b32_e32 v7, 0
	;; [unrolled: 1-line block ×3, first 2 shown]
	s_and_saveexec_b64 s[12:13], s[10:11]
	s_cbranch_execz .LBB243_10
; %bb.9:
	s_lshl_b64 s[18:19], s[14:15], 2
	v_mov_b32_e32 v1, s19
	v_add_co_u32_e64 v14, s[10:11], s18, v10
	v_addc_co_u32_e64 v15, s[10:11], v11, v1, s[10:11]
	global_load_dword v7, v[14:15], off
	v_add_co_u32_e64 v14, s[10:11], s18, v12
	v_addc_co_u32_e64 v15, s[10:11], v13, v1, s[10:11]
	global_load_dword v17, v[14:15], off
.LBB243_10:
	s_or_b64 exec, exec, s[12:13]
	s_and_b64 s[10:11], s[8:9], s[2:3]
	v_mov_b32_e32 v18, 0
	s_and_saveexec_b64 s[12:13], s[10:11]
	s_cbranch_execz .LBB243_12
; %bb.11:
	s_lshl_b64 s[18:19], s[14:15], 2
	v_mov_b32_e32 v1, s19
	v_add_co_u32_e64 v14, s[10:11], s18, v10
	v_addc_co_u32_e64 v15, s[10:11], v11, v1, s[10:11]
	global_load_dword v3, v[14:15], off offset:128
	v_add_co_u32_e64 v14, s[10:11], s18, v12
	v_addc_co_u32_e64 v15, s[10:11], v13, v1, s[10:11]
	global_load_dword v18, v[14:15], off offset:128
.LBB243_12:
	s_or_b64 exec, exec, s[12:13]
	s_and_b64 s[10:11], s[8:9], s[0:1]
	v_mov_b32_e32 v1, 0
	v_mov_b32_e32 v5, 0
	;; [unrolled: 1-line block ×3, first 2 shown]
	s_and_saveexec_b64 s[12:13], s[10:11]
	s_cbranch_execz .LBB243_14
; %bb.13:
	s_lshl_b64 s[18:19], s[14:15], 2
	v_mov_b32_e32 v19, s19
	v_add_co_u32_e64 v14, s[10:11], s18, v10
	v_addc_co_u32_e64 v15, s[10:11], v11, v19, s[10:11]
	global_load_dword v5, v[14:15], off offset:256
	v_add_co_u32_e64 v14, s[10:11], s18, v12
	v_addc_co_u32_e64 v15, s[10:11], v13, v19, s[10:11]
	global_load_dword v19, v[14:15], off offset:256
.LBB243_14:
	s_or_b64 exec, exec, s[12:13]
	s_and_b64 s[8:9], s[8:9], vcc
	v_mov_b32_e32 v20, 0
	s_and_saveexec_b64 s[10:11], s[8:9]
	s_cbranch_execz .LBB243_16
; %bb.15:
	s_lshl_b64 s[12:13], s[14:15], 2
	v_mov_b32_e32 v14, s13
	v_add_co_u32_e64 v10, s[8:9], s12, v10
	v_addc_co_u32_e64 v11, s[8:9], v11, v14, s[8:9]
	global_load_dword v1, v[10:11], off offset:384
	v_add_co_u32_e64 v10, s[8:9], s12, v12
	v_addc_co_u32_e64 v11, s[8:9], v13, v14, s[8:9]
	global_load_dword v20, v[10:11], off offset:384
.LBB243_16:
	s_or_b64 exec, exec, s[10:11]
	v_mbcnt_lo_u32_b32 v12, -1, 0
	v_mbcnt_hi_u32_b32 v14, -1, v12
	v_and_b32_e32 v12, 0x60, v14
	s_waitcnt vmcnt(1)
	v_pk_add_f32 v[10:11], v[6:7], 0 op_sel_hi:[1,0]
	v_add_u32_e32 v15, 32, v12
	v_xor_b32_e32 v12, 16, v14
	v_cmp_lt_i32_e64 s[8:9], v12, v15
	v_pk_add_f32 v[10:11], v[10:11], v[2:3]
	v_cndmask_b32_e64 v12, v14, v12, s[8:9]
	v_pk_add_f32 v[10:11], v[10:11], v[4:5]
	v_lshlrev_b32_e32 v13, 2, v12
	v_pk_add_f32 v[10:11], v[10:11], v[0:1]
	ds_bpermute_b32 v12, v13, v10
	ds_bpermute_b32 v13, v13, v11
	v_xor_b32_e32 v25, 8, v14
	v_cmp_lt_i32_e64 s[8:9], v25, v15
	v_cndmask_b32_e64 v25, v14, v25, s[8:9]
	v_lshlrev_b32_e32 v25, 2, v25
	s_waitcnt lgkmcnt(0)
	v_pk_add_f32 v[10:11], v[10:11], v[12:13]
	ds_bpermute_b32 v12, v25, v10
	ds_bpermute_b32 v13, v25, v11
	v_xor_b32_e32 v25, 4, v14
	v_cmp_lt_i32_e64 s[8:9], v25, v15
	v_cndmask_b32_e64 v25, v14, v25, s[8:9]
	v_lshlrev_b32_e32 v25, 2, v25
	s_waitcnt lgkmcnt(0)
	v_pk_add_f32 v[10:11], v[10:11], v[12:13]
	ds_bpermute_b32 v12, v25, v10
	ds_bpermute_b32 v13, v25, v11
	v_xor_b32_e32 v25, 2, v14
	v_cmp_lt_i32_e64 s[8:9], v25, v15
	v_cndmask_b32_e64 v25, v14, v25, s[8:9]
	v_lshlrev_b32_e32 v25, 2, v25
	s_waitcnt lgkmcnt(0)
	v_pk_add_f32 v[10:11], v[10:11], v[12:13]
	ds_bpermute_b32 v12, v25, v10
	ds_bpermute_b32 v13, v25, v11
	v_xor_b32_e32 v25, 1, v14
	v_cmp_lt_i32_e64 s[8:9], v25, v15
	v_cndmask_b32_e64 v14, v14, v25, s[8:9]
	v_lshlrev_b32_e32 v15, 2, v14
	s_waitcnt lgkmcnt(0)
	v_pk_add_f32 v[12:13], v[10:11], v[12:13]
	ds_bpermute_b32 v14, v15, v12
	ds_bpermute_b32 v15, v15, v13
	s_and_saveexec_b64 s[8:9], s[6:7]
	s_cbranch_execz .LBB243_22
; %bb.17:
	v_mov_b32_e32 v11, s17
	v_add_co_u32_e64 v10, s[6:7], s16, v8
	v_addc_co_u32_e64 v11, s[6:7], v11, v9, s[6:7]
	s_waitcnt lgkmcnt(0)
	v_pk_add_f32 v[8:9], v[12:13], v[14:15]
	s_and_saveexec_b64 s[8:9], s[4:5]
	s_cbranch_execnz .LBB243_23
; %bb.18:
	s_or_b64 exec, exec, s[8:9]
	s_and_saveexec_b64 s[8:9], s[2:3]
	s_cbranch_execnz .LBB243_24
.LBB243_19:
	s_or_b64 exec, exec, s[8:9]
	s_and_saveexec_b64 s[8:9], s[0:1]
	s_cbranch_execnz .LBB243_25
.LBB243_20:
	s_or_b64 exec, exec, s[8:9]
	s_and_saveexec_b64 s[8:9], vcc
	s_cbranch_execnz .LBB243_26
.LBB243_21:
	s_or_b64 exec, exec, s[8:9]
	v_cmp_ne_u32_e64 s[6:7], 1, v16
	s_and_b64 exec, exec, s[6:7]
	s_cbranch_execnz .LBB243_27
.LBB243_22:
	s_endpgm
.LBB243_23:
	s_waitcnt vmcnt(0)
	v_mul_f32_e32 v12, 0x3fb8aa3b, v24
	s_mov_b32 s6, 0x3fb8aa3b
	v_rndne_f32_e32 v13, v12
	v_sub_f32_e32 v14, v12, v13
	v_fma_f32 v12, v24, s6, -v12
	v_fmac_f32_e32 v12, 0x32a5705f, v24
	v_add_f32_e32 v12, v14, v12
	v_exp_f32_e32 v12, v12
	v_cvt_i32_f32_e32 v13, v13
	s_mov_b32 s6, 0xc2ce8ed0
	v_cmp_ngt_f32_e64 s[6:7], s6, v24
	v_ldexp_f32 v12, v12, v13
	v_cndmask_b32_e64 v12, 0, v12, s[6:7]
	s_mov_b32 s6, 0x42b17218
	v_mov_b32_e32 v13, 0x7f800000
	v_cmp_nlt_f32_e64 s[6:7], s6, v24
	v_cndmask_b32_e64 v12, v13, v12, s[6:7]
	v_fma_f32 v6, -v8, v12, v6
	global_store_dword v[10:11], v6, off
	s_or_b64 exec, exec, s[8:9]
	s_and_saveexec_b64 s[8:9], s[2:3]
	s_cbranch_execz .LBB243_19
.LBB243_24:
	s_waitcnt vmcnt(0)
	v_mul_f32_e32 v6, 0x3fb8aa3b, v23
	s_mov_b32 s6, 0x3fb8aa3b
	v_rndne_f32_e32 v12, v6
	v_sub_f32_e32 v13, v6, v12
	v_fma_f32 v6, v23, s6, -v6
	v_fmac_f32_e32 v6, 0x32a5705f, v23
	v_add_f32_e32 v6, v13, v6
	v_exp_f32_e32 v6, v6
	v_cvt_i32_f32_e32 v12, v12
	s_mov_b32 s6, 0xc2ce8ed0
	v_cmp_ngt_f32_e64 s[6:7], s6, v23
	v_ldexp_f32 v6, v6, v12
	v_cndmask_b32_e64 v6, 0, v6, s[6:7]
	s_mov_b32 s6, 0x42b17218
	v_mov_b32_e32 v12, 0x7f800000
	v_cmp_nlt_f32_e64 s[6:7], s6, v23
	v_cndmask_b32_e64 v6, v12, v6, s[6:7]
	v_fma_f32 v2, -v8, v6, v2
	global_store_dword v[10:11], v2, off offset:128
	s_or_b64 exec, exec, s[8:9]
	s_and_saveexec_b64 s[8:9], s[0:1]
	s_cbranch_execz .LBB243_20
.LBB243_25:
	s_waitcnt vmcnt(0)
	v_mul_f32_e32 v2, 0x3fb8aa3b, v22
	s_mov_b32 s6, 0x3fb8aa3b
	v_rndne_f32_e32 v6, v2
	v_sub_f32_e32 v12, v2, v6
	v_fma_f32 v2, v22, s6, -v2
	v_fmac_f32_e32 v2, 0x32a5705f, v22
	v_add_f32_e32 v2, v12, v2
	v_exp_f32_e32 v2, v2
	v_cvt_i32_f32_e32 v6, v6
	s_mov_b32 s6, 0xc2ce8ed0
	v_cmp_ngt_f32_e64 s[6:7], s6, v22
	v_ldexp_f32 v2, v2, v6
	v_cndmask_b32_e64 v2, 0, v2, s[6:7]
	s_mov_b32 s6, 0x42b17218
	v_mov_b32_e32 v6, 0x7f800000
	v_cmp_nlt_f32_e64 s[6:7], s6, v22
	v_cndmask_b32_e64 v2, v6, v2, s[6:7]
	v_fma_f32 v2, -v8, v2, v4
	global_store_dword v[10:11], v2, off offset:256
	s_or_b64 exec, exec, s[8:9]
	s_and_saveexec_b64 s[8:9], vcc
	s_cbranch_execz .LBB243_21
.LBB243_26:
	s_waitcnt vmcnt(0)
	v_mul_f32_e32 v2, 0x3fb8aa3b, v21
	s_mov_b32 s6, 0x3fb8aa3b
	v_rndne_f32_e32 v4, v2
	v_sub_f32_e32 v6, v2, v4
	v_fma_f32 v2, v21, s6, -v2
	v_fmac_f32_e32 v2, 0x32a5705f, v21
	v_add_f32_e32 v2, v6, v2
	v_exp_f32_e32 v2, v2
	v_cvt_i32_f32_e32 v4, v4
	s_mov_b32 s6, 0xc2ce8ed0
	v_cmp_ngt_f32_e64 s[6:7], s6, v21
	v_ldexp_f32 v2, v2, v4
	v_cndmask_b32_e64 v2, 0, v2, s[6:7]
	s_mov_b32 s6, 0x42b17218
	v_mov_b32_e32 v4, 0x7f800000
	v_cmp_nlt_f32_e64 s[6:7], s6, v21
	v_cndmask_b32_e64 v2, v4, v2, s[6:7]
	v_fma_f32 v0, -v8, v2, v0
	global_store_dword v[10:11], v0, off offset:384
	s_or_b64 exec, exec, s[8:9]
	v_cmp_ne_u32_e64 s[6:7], 1, v16
	s_and_b64 exec, exec, s[6:7]
	s_cbranch_execz .LBB243_22
.LBB243_27:
	s_ashr_i32 s15, s14, 31
	s_lshl_b64 s[6:7], s[14:15], 2
	v_mov_b32_e32 v0, s7
	v_add_co_u32_e64 v10, s[6:7], s6, v10
	v_addc_co_u32_e64 v11, s[6:7], v11, v0, s[6:7]
	s_and_saveexec_b64 s[6:7], s[4:5]
	s_cbranch_execnz .LBB243_31
; %bb.28:
	s_or_b64 exec, exec, s[6:7]
	s_and_saveexec_b64 s[4:5], s[2:3]
	s_cbranch_execnz .LBB243_32
.LBB243_29:
	s_or_b64 exec, exec, s[4:5]
	s_and_saveexec_b64 s[2:3], s[0:1]
	s_cbranch_execnz .LBB243_33
.LBB243_30:
	s_or_b64 exec, exec, s[2:3]
	s_and_b64 exec, exec, vcc
	s_cbranch_execz .LBB243_22
	s_branch .LBB243_34
.LBB243_31:
	s_waitcnt vmcnt(0)
	v_mul_f32_e32 v0, 0x3fb8aa3b, v17
	s_mov_b32 s4, 0x3fb8aa3b
	v_rndne_f32_e32 v2, v0
	v_sub_f32_e32 v4, v0, v2
	v_fma_f32 v0, v17, s4, -v0
	v_fmac_f32_e32 v0, 0x32a5705f, v17
	v_add_f32_e32 v0, v4, v0
	v_exp_f32_e32 v0, v0
	v_cvt_i32_f32_e32 v2, v2
	s_mov_b32 s4, 0xc2ce8ed0
	v_cmp_ngt_f32_e64 s[4:5], s4, v17
	v_ldexp_f32 v0, v0, v2
	v_cndmask_b32_e64 v0, 0, v0, s[4:5]
	s_mov_b32 s4, 0x42b17218
	v_mov_b32_e32 v2, 0x7f800000
	v_cmp_nlt_f32_e64 s[4:5], s4, v17
	v_cndmask_b32_e64 v0, v2, v0, s[4:5]
	v_fma_f32 v0, -v9, v0, v7
	global_store_dword v[10:11], v0, off
	s_or_b64 exec, exec, s[6:7]
	s_and_saveexec_b64 s[4:5], s[2:3]
	s_cbranch_execz .LBB243_29
.LBB243_32:
	s_waitcnt vmcnt(0)
	v_mul_f32_e32 v0, 0x3fb8aa3b, v18
	s_mov_b32 s2, 0x3fb8aa3b
	v_rndne_f32_e32 v2, v0
	v_sub_f32_e32 v4, v0, v2
	v_fma_f32 v0, v18, s2, -v0
	v_fmac_f32_e32 v0, 0x32a5705f, v18
	v_add_f32_e32 v0, v4, v0
	v_exp_f32_e32 v0, v0
	v_cvt_i32_f32_e32 v2, v2
	s_mov_b32 s2, 0xc2ce8ed0
	v_cmp_ngt_f32_e64 s[2:3], s2, v18
	v_ldexp_f32 v0, v0, v2
	v_cndmask_b32_e64 v0, 0, v0, s[2:3]
	s_mov_b32 s2, 0x42b17218
	v_mov_b32_e32 v2, 0x7f800000
	v_cmp_nlt_f32_e64 s[2:3], s2, v18
	v_cndmask_b32_e64 v0, v2, v0, s[2:3]
	v_fma_f32 v0, -v9, v0, v3
	global_store_dword v[10:11], v0, off offset:128
	s_or_b64 exec, exec, s[4:5]
	s_and_saveexec_b64 s[2:3], s[0:1]
	s_cbranch_execz .LBB243_30
.LBB243_33:
	s_waitcnt vmcnt(0)
	v_mul_f32_e32 v0, 0x3fb8aa3b, v19
	s_mov_b32 s0, 0x3fb8aa3b
	v_rndne_f32_e32 v2, v0
	v_sub_f32_e32 v3, v0, v2
	v_fma_f32 v0, v19, s0, -v0
	v_fmac_f32_e32 v0, 0x32a5705f, v19
	v_add_f32_e32 v0, v3, v0
	v_exp_f32_e32 v0, v0
	v_cvt_i32_f32_e32 v2, v2
	s_mov_b32 s0, 0xc2ce8ed0
	v_cmp_ngt_f32_e64 s[0:1], s0, v19
	v_ldexp_f32 v0, v0, v2
	v_cndmask_b32_e64 v0, 0, v0, s[0:1]
	s_mov_b32 s0, 0x42b17218
	v_mov_b32_e32 v2, 0x7f800000
	v_cmp_nlt_f32_e64 s[0:1], s0, v19
	v_cndmask_b32_e64 v0, v2, v0, s[0:1]
	v_fma_f32 v0, -v9, v0, v5
	global_store_dword v[10:11], v0, off offset:256
	s_or_b64 exec, exec, s[2:3]
	s_and_b64 exec, exec, vcc
	s_cbranch_execz .LBB243_22
.LBB243_34:
	s_waitcnt vmcnt(0)
	v_mul_f32_e32 v0, 0x3fb8aa3b, v20
	s_mov_b32 s0, 0x3fb8aa3b
	v_rndne_f32_e32 v2, v0
	v_sub_f32_e32 v3, v0, v2
	v_fma_f32 v0, v20, s0, -v0
	v_fmac_f32_e32 v0, 0x32a5705f, v20
	v_add_f32_e32 v0, v3, v0
	v_exp_f32_e32 v0, v0
	v_cvt_i32_f32_e32 v2, v2
	s_mov_b32 s0, 0xc2ce8ed0
	v_cmp_ngt_f32_e32 vcc, s0, v20
	s_mov_b32 s0, 0x42b17218
	v_ldexp_f32 v0, v0, v2
	v_cndmask_b32_e32 v0, 0, v0, vcc
	v_mov_b32_e32 v2, 0x7f800000
	v_cmp_nlt_f32_e32 vcc, s0, v20
	v_cndmask_b32_e32 v0, v2, v0, vcc
	v_fma_f32 v0, -v9, v0, v1
	global_store_dword v[10:11], v0, off offset:384
	s_endpgm
	.section	.rodata,"a",@progbits
	.p2align	6, 0x0
	.amdhsa_kernel _ZN12_GLOBAL__N_121softmax_warp_backwardIfffLi7ELb1ELb0ELi32EEEvPT0_PKT_S5_iiiPKb
		.amdhsa_group_segment_fixed_size 0
		.amdhsa_private_segment_fixed_size 0
		.amdhsa_kernarg_size 304
		.amdhsa_user_sgpr_count 6
		.amdhsa_user_sgpr_private_segment_buffer 1
		.amdhsa_user_sgpr_dispatch_ptr 0
		.amdhsa_user_sgpr_queue_ptr 0
		.amdhsa_user_sgpr_kernarg_segment_ptr 1
		.amdhsa_user_sgpr_dispatch_id 0
		.amdhsa_user_sgpr_flat_scratch_init 0
		.amdhsa_user_sgpr_kernarg_preload_length 0
		.amdhsa_user_sgpr_kernarg_preload_offset 0
		.amdhsa_user_sgpr_private_segment_size 0
		.amdhsa_uses_dynamic_stack 0
		.amdhsa_system_sgpr_private_segment_wavefront_offset 0
		.amdhsa_system_sgpr_workgroup_id_x 1
		.amdhsa_system_sgpr_workgroup_id_y 0
		.amdhsa_system_sgpr_workgroup_id_z 0
		.amdhsa_system_sgpr_workgroup_info 0
		.amdhsa_system_vgpr_workitem_id 1
		.amdhsa_next_free_vgpr 26
		.amdhsa_next_free_sgpr 20
		.amdhsa_accum_offset 28
		.amdhsa_reserve_vcc 1
		.amdhsa_reserve_flat_scratch 0
		.amdhsa_float_round_mode_32 0
		.amdhsa_float_round_mode_16_64 0
		.amdhsa_float_denorm_mode_32 3
		.amdhsa_float_denorm_mode_16_64 3
		.amdhsa_dx10_clamp 1
		.amdhsa_ieee_mode 1
		.amdhsa_fp16_overflow 0
		.amdhsa_tg_split 0
		.amdhsa_exception_fp_ieee_invalid_op 0
		.amdhsa_exception_fp_denorm_src 0
		.amdhsa_exception_fp_ieee_div_zero 0
		.amdhsa_exception_fp_ieee_overflow 0
		.amdhsa_exception_fp_ieee_underflow 0
		.amdhsa_exception_fp_ieee_inexact 0
		.amdhsa_exception_int_div_zero 0
	.end_amdhsa_kernel
	.section	.text._ZN12_GLOBAL__N_121softmax_warp_backwardIfffLi7ELb1ELb0ELi32EEEvPT0_PKT_S5_iiiPKb,"axG",@progbits,_ZN12_GLOBAL__N_121softmax_warp_backwardIfffLi7ELb1ELb0ELi32EEEvPT0_PKT_S5_iiiPKb,comdat
.Lfunc_end243:
	.size	_ZN12_GLOBAL__N_121softmax_warp_backwardIfffLi7ELb1ELb0ELi32EEEvPT0_PKT_S5_iiiPKb, .Lfunc_end243-_ZN12_GLOBAL__N_121softmax_warp_backwardIfffLi7ELb1ELb0ELi32EEEvPT0_PKT_S5_iiiPKb
                                        ; -- End function
	.section	.AMDGPU.csdata,"",@progbits
; Kernel info:
; codeLenInByte = 2320
; NumSgprs: 24
; NumVgprs: 26
; NumAgprs: 0
; TotalNumVgprs: 26
; ScratchSize: 0
; MemoryBound: 0
; FloatMode: 240
; IeeeMode: 1
; LDSByteSize: 0 bytes/workgroup (compile time only)
; SGPRBlocks: 2
; VGPRBlocks: 3
; NumSGPRsForWavesPerEU: 24
; NumVGPRsForWavesPerEU: 26
; AccumOffset: 28
; Occupancy: 8
; WaveLimiterHint : 0
; COMPUTE_PGM_RSRC2:SCRATCH_EN: 0
; COMPUTE_PGM_RSRC2:USER_SGPR: 6
; COMPUTE_PGM_RSRC2:TRAP_HANDLER: 0
; COMPUTE_PGM_RSRC2:TGID_X_EN: 1
; COMPUTE_PGM_RSRC2:TGID_Y_EN: 0
; COMPUTE_PGM_RSRC2:TGID_Z_EN: 0
; COMPUTE_PGM_RSRC2:TIDIG_COMP_CNT: 1
; COMPUTE_PGM_RSRC3_GFX90A:ACCUM_OFFSET: 6
; COMPUTE_PGM_RSRC3_GFX90A:TG_SPLIT: 0
	.section	.text._ZN12_GLOBAL__N_121softmax_warp_backwardIfffLi8ELb1ELb0ELi64EEEvPT0_PKT_S5_iiiPKb,"axG",@progbits,_ZN12_GLOBAL__N_121softmax_warp_backwardIfffLi8ELb1ELb0ELi64EEEvPT0_PKT_S5_iiiPKb,comdat
	.globl	_ZN12_GLOBAL__N_121softmax_warp_backwardIfffLi8ELb1ELb0ELi64EEEvPT0_PKT_S5_iiiPKb ; -- Begin function _ZN12_GLOBAL__N_121softmax_warp_backwardIfffLi8ELb1ELb0ELi64EEEvPT0_PKT_S5_iiiPKb
	.p2align	8
	.type	_ZN12_GLOBAL__N_121softmax_warp_backwardIfffLi8ELb1ELb0ELi64EEEvPT0_PKT_S5_iiiPKb,@function
_ZN12_GLOBAL__N_121softmax_warp_backwardIfffLi8ELb1ELb0ELi64EEEvPT0_PKT_S5_iiiPKb: ; @_ZN12_GLOBAL__N_121softmax_warp_backwardIfffLi8ELb1ELb0ELi64EEEvPT0_PKT_S5_iiiPKb
; %bb.0:
	s_load_dword s2, s[4:5], 0x3c
	s_load_dwordx4 s[12:15], s[4:5], 0x18
	s_load_dwordx4 s[8:11], s[4:5], 0x0
	s_load_dwordx2 s[0:1], s[4:5], 0x10
	v_bfe_u32 v1, v0, 10, 10
	s_waitcnt lgkmcnt(0)
	s_lshr_b32 s2, s2, 16
	s_mul_i32 s6, s6, s2
	v_add_u32_e32 v1, s6, v1
	v_and_b32_e32 v4, 63, v0
	v_sub_u32_e32 v14, s12, v1
	v_mad_u64_u32 v[0:1], s[2:3], v1, s13, v[4:5]
	v_ashrrev_i32_e32 v1, 31, v0
	v_lshlrev_b64 v[0:1], 2, v[0:1]
	v_mov_b32_e32 v3, s11
	v_add_co_u32_e32 v2, vcc, s10, v0
	v_addc_co_u32_e32 v3, vcc, v3, v1, vcc
	v_mov_b32_e32 v5, s1
	v_add_co_u32_e32 v6, vcc, s0, v0
	v_cmp_lt_i32_e64 s[6:7], 0, v14
	v_cmp_gt_i32_e64 s[4:5], s14, v4
	v_addc_co_u32_e32 v7, vcc, v5, v1, vcc
	s_and_b64 s[2:3], s[6:7], s[4:5]
	v_mov_b32_e32 v8, 0
	v_mov_b32_e32 v12, 0
	;; [unrolled: 1-line block ×3, first 2 shown]
	s_and_saveexec_b64 s[0:1], s[2:3]
	s_cbranch_execz .LBB244_2
; %bb.1:
	global_load_dword v12, v[2:3], off
	global_load_dword v13, v[6:7], off
.LBB244_2:
	s_or_b64 exec, exec, s[0:1]
	v_or_b32_e32 v5, 64, v4
	v_cmp_gt_i32_e64 s[2:3], s14, v5
	s_and_b64 s[10:11], s[6:7], s[2:3]
	v_mov_b32_e32 v11, 0
	s_and_saveexec_b64 s[0:1], s[10:11]
	s_cbranch_execz .LBB244_4
; %bb.3:
	global_load_dword v8, v[2:3], off offset:256
	global_load_dword v11, v[6:7], off offset:256
.LBB244_4:
	s_or_b64 exec, exec, s[0:1]
	v_or_b32_e32 v5, 0x80, v4
	v_cmp_gt_i32_e64 s[0:1], s14, v5
	s_and_b64 s[12:13], s[6:7], s[0:1]
	v_mov_b32_e32 v5, 0
	v_mov_b32_e32 v9, 0
	v_mov_b32_e32 v10, 0
	s_and_saveexec_b64 s[10:11], s[12:13]
	s_cbranch_execz .LBB244_6
; %bb.5:
	global_load_dword v9, v[2:3], off offset:512
	global_load_dword v10, v[6:7], off offset:512
.LBB244_6:
	s_or_b64 exec, exec, s[10:11]
	v_or_b32_e32 v4, 0xc0, v4
	v_cmp_gt_i32_e32 vcc, s14, v4
	s_and_b64 s[10:11], s[6:7], vcc
	v_mov_b32_e32 v4, 0
	s_and_saveexec_b64 s[6:7], s[10:11]
	s_cbranch_execz .LBB244_8
; %bb.7:
	global_load_dword v5, v[2:3], off offset:768
	global_load_dword v4, v[6:7], off offset:768
.LBB244_8:
	s_or_b64 exec, exec, s[6:7]
	v_mbcnt_lo_u32_b32 v3, -1, 0
	v_mbcnt_hi_u32_b32 v3, -1, v3
	v_and_b32_e32 v6, 64, v3
	s_waitcnt vmcnt(1)
	v_add_f32_e32 v2, 0, v12
	v_add_u32_e32 v6, 64, v6
	v_xor_b32_e32 v7, 32, v3
	v_add_f32_e32 v2, v2, v8
	v_cmp_lt_i32_e64 s[6:7], v7, v6
	v_add_f32_e32 v2, v2, v9
	v_cndmask_b32_e64 v7, v3, v7, s[6:7]
	v_add_f32_e32 v2, v2, v5
	v_lshlrev_b32_e32 v7, 2, v7
	ds_bpermute_b32 v7, v7, v2
	s_waitcnt lgkmcnt(0)
	v_add_f32_e32 v2, v2, v7
	v_xor_b32_e32 v7, 16, v3
	v_cmp_lt_i32_e64 s[6:7], v7, v6
	v_cndmask_b32_e64 v7, v3, v7, s[6:7]
	v_lshlrev_b32_e32 v7, 2, v7
	ds_bpermute_b32 v7, v7, v2
	s_waitcnt lgkmcnt(0)
	v_add_f32_e32 v2, v2, v7
	v_xor_b32_e32 v7, 8, v3
	v_cmp_lt_i32_e64 s[6:7], v7, v6
	v_cndmask_b32_e64 v7, v3, v7, s[6:7]
	;; [unrolled: 7-line block ×5, first 2 shown]
	v_lshlrev_b32_e32 v3, 2, v3
	ds_bpermute_b32 v3, v3, v2
	v_cmp_lt_i32_e64 s[6:7], 0, v14
	s_and_saveexec_b64 s[10:11], s[6:7]
	s_cbranch_execz .LBB244_14
; %bb.9:
	v_mov_b32_e32 v6, s9
	v_add_co_u32_e64 v0, s[6:7], s8, v0
	v_addc_co_u32_e64 v1, s[6:7], v6, v1, s[6:7]
	s_waitcnt lgkmcnt(0)
	v_add_f32_e32 v2, v2, v3
	s_and_saveexec_b64 s[6:7], s[4:5]
	s_cbranch_execnz .LBB244_15
; %bb.10:
	s_or_b64 exec, exec, s[6:7]
	s_and_saveexec_b64 s[4:5], s[2:3]
	s_cbranch_execnz .LBB244_16
.LBB244_11:
	s_or_b64 exec, exec, s[4:5]
	s_and_saveexec_b64 s[2:3], s[0:1]
	s_cbranch_execnz .LBB244_17
.LBB244_12:
	s_or_b64 exec, exec, s[2:3]
	s_and_b64 exec, exec, vcc
	s_cbranch_execz .LBB244_14
.LBB244_13:
	s_waitcnt vmcnt(0)
	v_mul_f32_e32 v3, 0x3fb8aa3b, v4
	s_mov_b32 s0, 0x3fb8aa3b
	v_rndne_f32_e32 v6, v3
	v_sub_f32_e32 v7, v3, v6
	v_fma_f32 v3, v4, s0, -v3
	v_fmac_f32_e32 v3, 0x32a5705f, v4
	v_add_f32_e32 v3, v7, v3
	v_exp_f32_e32 v3, v3
	v_cvt_i32_f32_e32 v6, v6
	s_mov_b32 s0, 0xc2ce8ed0
	v_cmp_ngt_f32_e32 vcc, s0, v4
	s_mov_b32 s0, 0x42b17218
	v_ldexp_f32 v3, v3, v6
	v_cndmask_b32_e32 v3, 0, v3, vcc
	v_mov_b32_e32 v6, 0x7f800000
	v_cmp_nlt_f32_e32 vcc, s0, v4
	v_cndmask_b32_e32 v3, v6, v3, vcc
	v_fma_f32 v2, -v2, v3, v5
	global_store_dword v[0:1], v2, off offset:768
.LBB244_14:
	s_endpgm
.LBB244_15:
	s_waitcnt vmcnt(0)
	v_mul_f32_e32 v3, 0x3fb8aa3b, v13
	s_mov_b32 s4, 0x3fb8aa3b
	v_rndne_f32_e32 v6, v3
	v_sub_f32_e32 v7, v3, v6
	v_fma_f32 v3, v13, s4, -v3
	v_fmac_f32_e32 v3, 0x32a5705f, v13
	v_add_f32_e32 v3, v7, v3
	v_exp_f32_e32 v3, v3
	v_cvt_i32_f32_e32 v6, v6
	s_mov_b32 s4, 0xc2ce8ed0
	v_cmp_ngt_f32_e64 s[4:5], s4, v13
	v_ldexp_f32 v3, v3, v6
	v_cndmask_b32_e64 v3, 0, v3, s[4:5]
	s_mov_b32 s4, 0x42b17218
	v_mov_b32_e32 v6, 0x7f800000
	v_cmp_nlt_f32_e64 s[4:5], s4, v13
	v_cndmask_b32_e64 v3, v6, v3, s[4:5]
	v_fma_f32 v3, -v2, v3, v12
	global_store_dword v[0:1], v3, off
	s_or_b64 exec, exec, s[6:7]
	s_and_saveexec_b64 s[4:5], s[2:3]
	s_cbranch_execz .LBB244_11
.LBB244_16:
	s_waitcnt vmcnt(0)
	v_mul_f32_e32 v3, 0x3fb8aa3b, v11
	s_mov_b32 s2, 0x3fb8aa3b
	v_rndne_f32_e32 v6, v3
	v_sub_f32_e32 v7, v3, v6
	v_fma_f32 v3, v11, s2, -v3
	v_fmac_f32_e32 v3, 0x32a5705f, v11
	v_add_f32_e32 v3, v7, v3
	v_exp_f32_e32 v3, v3
	v_cvt_i32_f32_e32 v6, v6
	s_mov_b32 s2, 0xc2ce8ed0
	v_cmp_ngt_f32_e64 s[2:3], s2, v11
	v_ldexp_f32 v3, v3, v6
	v_cndmask_b32_e64 v3, 0, v3, s[2:3]
	s_mov_b32 s2, 0x42b17218
	v_mov_b32_e32 v6, 0x7f800000
	v_cmp_nlt_f32_e64 s[2:3], s2, v11
	v_cndmask_b32_e64 v3, v6, v3, s[2:3]
	v_fma_f32 v3, -v2, v3, v8
	global_store_dword v[0:1], v3, off offset:256
	s_or_b64 exec, exec, s[4:5]
	s_and_saveexec_b64 s[2:3], s[0:1]
	s_cbranch_execz .LBB244_12
.LBB244_17:
	s_waitcnt vmcnt(0)
	v_mul_f32_e32 v3, 0x3fb8aa3b, v10
	s_mov_b32 s0, 0x3fb8aa3b
	v_rndne_f32_e32 v6, v3
	v_sub_f32_e32 v7, v3, v6
	v_fma_f32 v3, v10, s0, -v3
	v_fmac_f32_e32 v3, 0x32a5705f, v10
	v_add_f32_e32 v3, v7, v3
	v_exp_f32_e32 v3, v3
	v_cvt_i32_f32_e32 v6, v6
	s_mov_b32 s0, 0xc2ce8ed0
	v_cmp_ngt_f32_e64 s[0:1], s0, v10
	v_ldexp_f32 v3, v3, v6
	v_cndmask_b32_e64 v3, 0, v3, s[0:1]
	s_mov_b32 s0, 0x42b17218
	v_mov_b32_e32 v6, 0x7f800000
	v_cmp_nlt_f32_e64 s[0:1], s0, v10
	v_cndmask_b32_e64 v3, v6, v3, s[0:1]
	v_fma_f32 v3, -v2, v3, v9
	global_store_dword v[0:1], v3, off offset:512
	s_or_b64 exec, exec, s[2:3]
	s_and_b64 exec, exec, vcc
	s_cbranch_execnz .LBB244_13
	s_branch .LBB244_14
	.section	.rodata,"a",@progbits
	.p2align	6, 0x0
	.amdhsa_kernel _ZN12_GLOBAL__N_121softmax_warp_backwardIfffLi8ELb1ELb0ELi64EEEvPT0_PKT_S5_iiiPKb
		.amdhsa_group_segment_fixed_size 0
		.amdhsa_private_segment_fixed_size 0
		.amdhsa_kernarg_size 304
		.amdhsa_user_sgpr_count 6
		.amdhsa_user_sgpr_private_segment_buffer 1
		.amdhsa_user_sgpr_dispatch_ptr 0
		.amdhsa_user_sgpr_queue_ptr 0
		.amdhsa_user_sgpr_kernarg_segment_ptr 1
		.amdhsa_user_sgpr_dispatch_id 0
		.amdhsa_user_sgpr_flat_scratch_init 0
		.amdhsa_user_sgpr_kernarg_preload_length 0
		.amdhsa_user_sgpr_kernarg_preload_offset 0
		.amdhsa_user_sgpr_private_segment_size 0
		.amdhsa_uses_dynamic_stack 0
		.amdhsa_system_sgpr_private_segment_wavefront_offset 0
		.amdhsa_system_sgpr_workgroup_id_x 1
		.amdhsa_system_sgpr_workgroup_id_y 0
		.amdhsa_system_sgpr_workgroup_id_z 0
		.amdhsa_system_sgpr_workgroup_info 0
		.amdhsa_system_vgpr_workitem_id 1
		.amdhsa_next_free_vgpr 15
		.amdhsa_next_free_sgpr 16
		.amdhsa_accum_offset 16
		.amdhsa_reserve_vcc 1
		.amdhsa_reserve_flat_scratch 0
		.amdhsa_float_round_mode_32 0
		.amdhsa_float_round_mode_16_64 0
		.amdhsa_float_denorm_mode_32 3
		.amdhsa_float_denorm_mode_16_64 3
		.amdhsa_dx10_clamp 1
		.amdhsa_ieee_mode 1
		.amdhsa_fp16_overflow 0
		.amdhsa_tg_split 0
		.amdhsa_exception_fp_ieee_invalid_op 0
		.amdhsa_exception_fp_denorm_src 0
		.amdhsa_exception_fp_ieee_div_zero 0
		.amdhsa_exception_fp_ieee_overflow 0
		.amdhsa_exception_fp_ieee_underflow 0
		.amdhsa_exception_fp_ieee_inexact 0
		.amdhsa_exception_int_div_zero 0
	.end_amdhsa_kernel
	.section	.text._ZN12_GLOBAL__N_121softmax_warp_backwardIfffLi8ELb1ELb0ELi64EEEvPT0_PKT_S5_iiiPKb,"axG",@progbits,_ZN12_GLOBAL__N_121softmax_warp_backwardIfffLi8ELb1ELb0ELi64EEEvPT0_PKT_S5_iiiPKb,comdat
.Lfunc_end244:
	.size	_ZN12_GLOBAL__N_121softmax_warp_backwardIfffLi8ELb1ELb0ELi64EEEvPT0_PKT_S5_iiiPKb, .Lfunc_end244-_ZN12_GLOBAL__N_121softmax_warp_backwardIfffLi8ELb1ELb0ELi64EEEvPT0_PKT_S5_iiiPKb
                                        ; -- End function
	.section	.AMDGPU.csdata,"",@progbits
; Kernel info:
; codeLenInByte = 1260
; NumSgprs: 20
; NumVgprs: 15
; NumAgprs: 0
; TotalNumVgprs: 15
; ScratchSize: 0
; MemoryBound: 0
; FloatMode: 240
; IeeeMode: 1
; LDSByteSize: 0 bytes/workgroup (compile time only)
; SGPRBlocks: 2
; VGPRBlocks: 1
; NumSGPRsForWavesPerEU: 20
; NumVGPRsForWavesPerEU: 15
; AccumOffset: 16
; Occupancy: 8
; WaveLimiterHint : 0
; COMPUTE_PGM_RSRC2:SCRATCH_EN: 0
; COMPUTE_PGM_RSRC2:USER_SGPR: 6
; COMPUTE_PGM_RSRC2:TRAP_HANDLER: 0
; COMPUTE_PGM_RSRC2:TGID_X_EN: 1
; COMPUTE_PGM_RSRC2:TGID_Y_EN: 0
; COMPUTE_PGM_RSRC2:TGID_Z_EN: 0
; COMPUTE_PGM_RSRC2:TIDIG_COMP_CNT: 1
; COMPUTE_PGM_RSRC3_GFX90A:ACCUM_OFFSET: 3
; COMPUTE_PGM_RSRC3_GFX90A:TG_SPLIT: 0
	.section	.text._ZN12_GLOBAL__N_121softmax_warp_backwardIfffLi8ELb1ELb0ELi32EEEvPT0_PKT_S5_iiiPKb,"axG",@progbits,_ZN12_GLOBAL__N_121softmax_warp_backwardIfffLi8ELb1ELb0ELi32EEEvPT0_PKT_S5_iiiPKb,comdat
	.globl	_ZN12_GLOBAL__N_121softmax_warp_backwardIfffLi8ELb1ELb0ELi32EEEvPT0_PKT_S5_iiiPKb ; -- Begin function _ZN12_GLOBAL__N_121softmax_warp_backwardIfffLi8ELb1ELb0ELi32EEEvPT0_PKT_S5_iiiPKb
	.p2align	8
	.type	_ZN12_GLOBAL__N_121softmax_warp_backwardIfffLi8ELb1ELb0ELi32EEEvPT0_PKT_S5_iiiPKb,@function
_ZN12_GLOBAL__N_121softmax_warp_backwardIfffLi8ELb1ELb0ELi32EEEvPT0_PKT_S5_iiiPKb: ; @_ZN12_GLOBAL__N_121softmax_warp_backwardIfffLi8ELb1ELb0ELi32EEEvPT0_PKT_S5_iiiPKb
; %bb.0:
	s_load_dword s2, s[4:5], 0x3c
	s_load_dwordx4 s[20:23], s[4:5], 0x18
	s_load_dwordx4 s[16:19], s[4:5], 0x0
	s_load_dwordx2 s[0:1], s[4:5], 0x10
	v_bfe_u32 v1, v0, 10, 10
	s_waitcnt lgkmcnt(0)
	s_lshr_b32 s2, s2, 16
	s_mul_i32 s6, s6, s2
	v_add_u32_e32 v1, s6, v1
	v_and_b32_e32 v4, 31, v0
	v_sub_u32_e32 v22, s20, v1
	v_mad_u64_u32 v[0:1], s[2:3], v1, s21, v[4:5]
	v_ashrrev_i32_e32 v1, 31, v0
	v_lshlrev_b64 v[0:1], 2, v[0:1]
	v_mov_b32_e32 v3, s19
	v_add_co_u32_e32 v2, vcc, s18, v0
	v_addc_co_u32_e32 v3, vcc, v3, v1, vcc
	v_mov_b32_e32 v5, s1
	v_add_co_u32_e32 v6, vcc, s0, v0
	v_cmp_lt_i32_e64 s[14:15], 0, v22
	v_cmp_gt_i32_e64 s[12:13], s22, v4
	v_addc_co_u32_e32 v7, vcc, v5, v1, vcc
	s_and_b64 s[2:3], s[14:15], s[12:13]
	v_mov_b32_e32 v15, 0
	v_mov_b32_e32 v20, 0
	v_mov_b32_e32 v21, 0
	s_and_saveexec_b64 s[0:1], s[2:3]
	s_cbranch_execz .LBB245_2
; %bb.1:
	global_load_dword v20, v[2:3], off
	global_load_dword v21, v[6:7], off
.LBB245_2:
	s_or_b64 exec, exec, s[0:1]
	v_or_b32_e32 v5, 32, v4
	v_cmp_gt_i32_e64 s[10:11], s22, v5
	s_and_b64 s[2:3], s[14:15], s[10:11]
	v_mov_b32_e32 v19, 0
	s_and_saveexec_b64 s[0:1], s[2:3]
	s_cbranch_execz .LBB245_4
; %bb.3:
	global_load_dword v15, v[2:3], off offset:128
	global_load_dword v19, v[6:7], off offset:128
.LBB245_4:
	s_or_b64 exec, exec, s[0:1]
	v_or_b32_e32 v5, 64, v4
	v_cmp_gt_i32_e64 s[8:9], s22, v5
	s_and_b64 s[2:3], s[14:15], s[8:9]
	v_mov_b32_e32 v11, 0
	v_mov_b32_e32 v17, 0
	v_mov_b32_e32 v18, 0
	s_and_saveexec_b64 s[0:1], s[2:3]
	s_cbranch_execz .LBB245_6
; %bb.5:
	global_load_dword v17, v[2:3], off offset:256
	global_load_dword v18, v[6:7], off offset:256
.LBB245_6:
	s_or_b64 exec, exec, s[0:1]
	v_or_b32_e32 v5, 0x60, v4
	v_cmp_gt_i32_e64 s[6:7], s22, v5
	s_and_b64 s[2:3], s[14:15], s[6:7]
	v_mov_b32_e32 v16, 0
	s_and_saveexec_b64 s[0:1], s[2:3]
	s_cbranch_execz .LBB245_8
; %bb.7:
	global_load_dword v11, v[2:3], off offset:384
	global_load_dword v16, v[6:7], off offset:384
.LBB245_8:
	s_or_b64 exec, exec, s[0:1]
	v_or_b32_e32 v5, 0x80, v4
	v_cmp_gt_i32_e64 s[4:5], s22, v5
	s_and_b64 s[2:3], s[14:15], s[4:5]
	v_mov_b32_e32 v8, 0
	v_mov_b32_e32 v13, 0
	v_mov_b32_e32 v14, 0
	s_and_saveexec_b64 s[0:1], s[2:3]
	s_cbranch_execz .LBB245_10
; %bb.9:
	global_load_dword v13, v[2:3], off offset:512
	global_load_dword v14, v[6:7], off offset:512
.LBB245_10:
	;; [unrolled: 24-line block ×3, first 2 shown]
	s_or_b64 exec, exec, s[18:19]
	v_or_b32_e32 v4, 0xe0, v4
	v_cmp_gt_i32_e32 vcc, s22, v4
	s_and_b64 s[18:19], s[14:15], vcc
	v_mov_b32_e32 v4, 0
	s_and_saveexec_b64 s[14:15], s[18:19]
	s_cbranch_execz .LBB245_16
; %bb.15:
	global_load_dword v5, v[2:3], off offset:896
	global_load_dword v4, v[6:7], off offset:896
.LBB245_16:
	s_or_b64 exec, exec, s[14:15]
	s_waitcnt vmcnt(1)
	v_add_f32_e32 v2, 0, v20
	v_add_f32_e32 v2, v2, v15
	v_mbcnt_lo_u32_b32 v3, -1, 0
	v_add_f32_e32 v2, v2, v17
	v_mbcnt_hi_u32_b32 v3, -1, v3
	v_add_f32_e32 v2, v2, v11
	v_and_b32_e32 v6, 0x60, v3
	v_add_f32_e32 v2, v2, v13
	v_add_u32_e32 v6, 32, v6
	v_xor_b32_e32 v7, 16, v3
	v_add_f32_e32 v2, v2, v8
	v_cmp_lt_i32_e64 s[14:15], v7, v6
	v_add_f32_e32 v2, v2, v9
	v_cndmask_b32_e64 v7, v3, v7, s[14:15]
	v_add_f32_e32 v2, v2, v5
	v_lshlrev_b32_e32 v7, 2, v7
	ds_bpermute_b32 v7, v7, v2
	s_waitcnt lgkmcnt(0)
	v_add_f32_e32 v2, v2, v7
	v_xor_b32_e32 v7, 8, v3
	v_cmp_lt_i32_e64 s[14:15], v7, v6
	v_cndmask_b32_e64 v7, v3, v7, s[14:15]
	v_lshlrev_b32_e32 v7, 2, v7
	ds_bpermute_b32 v7, v7, v2
	s_waitcnt lgkmcnt(0)
	v_add_f32_e32 v2, v2, v7
	v_xor_b32_e32 v7, 4, v3
	v_cmp_lt_i32_e64 s[14:15], v7, v6
	v_cndmask_b32_e64 v7, v3, v7, s[14:15]
	;; [unrolled: 7-line block ×4, first 2 shown]
	v_lshlrev_b32_e32 v3, 2, v3
	ds_bpermute_b32 v3, v3, v2
	v_cmp_lt_i32_e64 s[14:15], 0, v22
	s_and_saveexec_b64 s[18:19], s[14:15]
	s_cbranch_execz .LBB245_26
; %bb.17:
	v_mov_b32_e32 v6, s17
	v_add_co_u32_e64 v0, s[14:15], s16, v0
	v_addc_co_u32_e64 v1, s[14:15], v6, v1, s[14:15]
	s_waitcnt lgkmcnt(0)
	v_add_f32_e32 v2, v2, v3
	s_and_saveexec_b64 s[14:15], s[12:13]
	s_cbranch_execnz .LBB245_27
; %bb.18:
	s_or_b64 exec, exec, s[14:15]
	s_and_saveexec_b64 s[12:13], s[10:11]
	s_cbranch_execnz .LBB245_28
.LBB245_19:
	s_or_b64 exec, exec, s[12:13]
	s_and_saveexec_b64 s[10:11], s[8:9]
	s_cbranch_execnz .LBB245_29
.LBB245_20:
	s_or_b64 exec, exec, s[10:11]
	s_and_saveexec_b64 s[8:9], s[6:7]
	s_cbranch_execnz .LBB245_30
.LBB245_21:
	s_or_b64 exec, exec, s[8:9]
	s_and_saveexec_b64 s[6:7], s[4:5]
	s_cbranch_execnz .LBB245_31
.LBB245_22:
	s_or_b64 exec, exec, s[6:7]
	s_and_saveexec_b64 s[4:5], s[2:3]
	s_cbranch_execnz .LBB245_32
.LBB245_23:
	s_or_b64 exec, exec, s[4:5]
	s_and_saveexec_b64 s[2:3], s[0:1]
	s_cbranch_execnz .LBB245_33
.LBB245_24:
	s_or_b64 exec, exec, s[2:3]
	s_and_b64 exec, exec, vcc
	s_cbranch_execz .LBB245_26
.LBB245_25:
	s_waitcnt vmcnt(0)
	v_mul_f32_e32 v3, 0x3fb8aa3b, v4
	s_mov_b32 s0, 0x3fb8aa3b
	v_rndne_f32_e32 v6, v3
	v_sub_f32_e32 v7, v3, v6
	v_fma_f32 v3, v4, s0, -v3
	v_fmac_f32_e32 v3, 0x32a5705f, v4
	v_add_f32_e32 v3, v7, v3
	v_exp_f32_e32 v3, v3
	v_cvt_i32_f32_e32 v6, v6
	s_mov_b32 s0, 0xc2ce8ed0
	v_cmp_ngt_f32_e32 vcc, s0, v4
	s_mov_b32 s0, 0x42b17218
	v_ldexp_f32 v3, v3, v6
	v_cndmask_b32_e32 v3, 0, v3, vcc
	v_mov_b32_e32 v6, 0x7f800000
	v_cmp_nlt_f32_e32 vcc, s0, v4
	v_cndmask_b32_e32 v3, v6, v3, vcc
	v_fma_f32 v2, -v2, v3, v5
	global_store_dword v[0:1], v2, off offset:896
.LBB245_26:
	s_endpgm
.LBB245_27:
	s_waitcnt vmcnt(0)
	v_mul_f32_e32 v3, 0x3fb8aa3b, v21
	s_mov_b32 s12, 0x3fb8aa3b
	v_rndne_f32_e32 v6, v3
	v_sub_f32_e32 v7, v3, v6
	v_fma_f32 v3, v21, s12, -v3
	v_fmac_f32_e32 v3, 0x32a5705f, v21
	v_add_f32_e32 v3, v7, v3
	v_exp_f32_e32 v3, v3
	v_cvt_i32_f32_e32 v6, v6
	s_mov_b32 s12, 0xc2ce8ed0
	v_cmp_ngt_f32_e64 s[12:13], s12, v21
	v_ldexp_f32 v3, v3, v6
	v_cndmask_b32_e64 v3, 0, v3, s[12:13]
	s_mov_b32 s12, 0x42b17218
	v_mov_b32_e32 v6, 0x7f800000
	v_cmp_nlt_f32_e64 s[12:13], s12, v21
	v_cndmask_b32_e64 v3, v6, v3, s[12:13]
	v_fma_f32 v3, -v2, v3, v20
	global_store_dword v[0:1], v3, off
	s_or_b64 exec, exec, s[14:15]
	s_and_saveexec_b64 s[12:13], s[10:11]
	s_cbranch_execz .LBB245_19
.LBB245_28:
	s_waitcnt vmcnt(0)
	v_mul_f32_e32 v3, 0x3fb8aa3b, v19
	s_mov_b32 s10, 0x3fb8aa3b
	v_rndne_f32_e32 v6, v3
	v_sub_f32_e32 v7, v3, v6
	v_fma_f32 v3, v19, s10, -v3
	v_fmac_f32_e32 v3, 0x32a5705f, v19
	v_add_f32_e32 v3, v7, v3
	v_exp_f32_e32 v3, v3
	v_cvt_i32_f32_e32 v6, v6
	s_mov_b32 s10, 0xc2ce8ed0
	v_cmp_ngt_f32_e64 s[10:11], s10, v19
	v_ldexp_f32 v3, v3, v6
	v_cndmask_b32_e64 v3, 0, v3, s[10:11]
	s_mov_b32 s10, 0x42b17218
	v_mov_b32_e32 v6, 0x7f800000
	v_cmp_nlt_f32_e64 s[10:11], s10, v19
	v_cndmask_b32_e64 v3, v6, v3, s[10:11]
	v_fma_f32 v3, -v2, v3, v15
	global_store_dword v[0:1], v3, off offset:128
	s_or_b64 exec, exec, s[12:13]
	s_and_saveexec_b64 s[10:11], s[8:9]
	s_cbranch_execz .LBB245_20
.LBB245_29:
	s_waitcnt vmcnt(0)
	v_mul_f32_e32 v3, 0x3fb8aa3b, v18
	s_mov_b32 s8, 0x3fb8aa3b
	v_rndne_f32_e32 v6, v3
	v_sub_f32_e32 v7, v3, v6
	v_fma_f32 v3, v18, s8, -v3
	v_fmac_f32_e32 v3, 0x32a5705f, v18
	v_add_f32_e32 v3, v7, v3
	v_exp_f32_e32 v3, v3
	v_cvt_i32_f32_e32 v6, v6
	s_mov_b32 s8, 0xc2ce8ed0
	v_cmp_ngt_f32_e64 s[8:9], s8, v18
	v_ldexp_f32 v3, v3, v6
	v_cndmask_b32_e64 v3, 0, v3, s[8:9]
	s_mov_b32 s8, 0x42b17218
	v_mov_b32_e32 v6, 0x7f800000
	v_cmp_nlt_f32_e64 s[8:9], s8, v18
	v_cndmask_b32_e64 v3, v6, v3, s[8:9]
	v_fma_f32 v3, -v2, v3, v17
	global_store_dword v[0:1], v3, off offset:256
	s_or_b64 exec, exec, s[10:11]
	s_and_saveexec_b64 s[8:9], s[6:7]
	s_cbranch_execz .LBB245_21
.LBB245_30:
	s_waitcnt vmcnt(0)
	v_mul_f32_e32 v3, 0x3fb8aa3b, v16
	s_mov_b32 s6, 0x3fb8aa3b
	v_rndne_f32_e32 v6, v3
	v_sub_f32_e32 v7, v3, v6
	v_fma_f32 v3, v16, s6, -v3
	v_fmac_f32_e32 v3, 0x32a5705f, v16
	v_add_f32_e32 v3, v7, v3
	v_exp_f32_e32 v3, v3
	v_cvt_i32_f32_e32 v6, v6
	s_mov_b32 s6, 0xc2ce8ed0
	v_cmp_ngt_f32_e64 s[6:7], s6, v16
	v_ldexp_f32 v3, v3, v6
	v_cndmask_b32_e64 v3, 0, v3, s[6:7]
	s_mov_b32 s6, 0x42b17218
	v_mov_b32_e32 v6, 0x7f800000
	v_cmp_nlt_f32_e64 s[6:7], s6, v16
	v_cndmask_b32_e64 v3, v6, v3, s[6:7]
	v_fma_f32 v3, -v2, v3, v11
	global_store_dword v[0:1], v3, off offset:384
	s_or_b64 exec, exec, s[8:9]
	s_and_saveexec_b64 s[6:7], s[4:5]
	s_cbranch_execz .LBB245_22
.LBB245_31:
	s_waitcnt vmcnt(0)
	v_mul_f32_e32 v3, 0x3fb8aa3b, v14
	s_mov_b32 s4, 0x3fb8aa3b
	v_rndne_f32_e32 v6, v3
	v_sub_f32_e32 v7, v3, v6
	v_fma_f32 v3, v14, s4, -v3
	v_fmac_f32_e32 v3, 0x32a5705f, v14
	v_add_f32_e32 v3, v7, v3
	v_exp_f32_e32 v3, v3
	v_cvt_i32_f32_e32 v6, v6
	s_mov_b32 s4, 0xc2ce8ed0
	v_cmp_ngt_f32_e64 s[4:5], s4, v14
	v_ldexp_f32 v3, v3, v6
	v_cndmask_b32_e64 v3, 0, v3, s[4:5]
	s_mov_b32 s4, 0x42b17218
	v_mov_b32_e32 v6, 0x7f800000
	v_cmp_nlt_f32_e64 s[4:5], s4, v14
	v_cndmask_b32_e64 v3, v6, v3, s[4:5]
	v_fma_f32 v3, -v2, v3, v13
	global_store_dword v[0:1], v3, off offset:512
	s_or_b64 exec, exec, s[6:7]
	s_and_saveexec_b64 s[4:5], s[2:3]
	s_cbranch_execz .LBB245_23
.LBB245_32:
	s_waitcnt vmcnt(0)
	v_mul_f32_e32 v3, 0x3fb8aa3b, v12
	s_mov_b32 s2, 0x3fb8aa3b
	v_rndne_f32_e32 v6, v3
	v_sub_f32_e32 v7, v3, v6
	v_fma_f32 v3, v12, s2, -v3
	v_fmac_f32_e32 v3, 0x32a5705f, v12
	v_add_f32_e32 v3, v7, v3
	v_exp_f32_e32 v3, v3
	v_cvt_i32_f32_e32 v6, v6
	s_mov_b32 s2, 0xc2ce8ed0
	v_cmp_ngt_f32_e64 s[2:3], s2, v12
	v_ldexp_f32 v3, v3, v6
	v_cndmask_b32_e64 v3, 0, v3, s[2:3]
	s_mov_b32 s2, 0x42b17218
	v_mov_b32_e32 v6, 0x7f800000
	v_cmp_nlt_f32_e64 s[2:3], s2, v12
	v_cndmask_b32_e64 v3, v6, v3, s[2:3]
	v_fma_f32 v3, -v2, v3, v8
	global_store_dword v[0:1], v3, off offset:640
	s_or_b64 exec, exec, s[4:5]
	s_and_saveexec_b64 s[2:3], s[0:1]
	s_cbranch_execz .LBB245_24
.LBB245_33:
	s_waitcnt vmcnt(0)
	v_mul_f32_e32 v3, 0x3fb8aa3b, v10
	s_mov_b32 s0, 0x3fb8aa3b
	v_rndne_f32_e32 v6, v3
	v_sub_f32_e32 v7, v3, v6
	v_fma_f32 v3, v10, s0, -v3
	v_fmac_f32_e32 v3, 0x32a5705f, v10
	v_add_f32_e32 v3, v7, v3
	v_exp_f32_e32 v3, v3
	v_cvt_i32_f32_e32 v6, v6
	s_mov_b32 s0, 0xc2ce8ed0
	v_cmp_ngt_f32_e64 s[0:1], s0, v10
	v_ldexp_f32 v3, v3, v6
	v_cndmask_b32_e64 v3, 0, v3, s[0:1]
	s_mov_b32 s0, 0x42b17218
	v_mov_b32_e32 v6, 0x7f800000
	v_cmp_nlt_f32_e64 s[0:1], s0, v10
	v_cndmask_b32_e64 v3, v6, v3, s[0:1]
	v_fma_f32 v3, -v2, v3, v9
	global_store_dword v[0:1], v3, off offset:768
	s_or_b64 exec, exec, s[2:3]
	s_and_b64 exec, exec, vcc
	s_cbranch_execnz .LBB245_25
	s_branch .LBB245_26
	.section	.rodata,"a",@progbits
	.p2align	6, 0x0
	.amdhsa_kernel _ZN12_GLOBAL__N_121softmax_warp_backwardIfffLi8ELb1ELb0ELi32EEEvPT0_PKT_S5_iiiPKb
		.amdhsa_group_segment_fixed_size 0
		.amdhsa_private_segment_fixed_size 0
		.amdhsa_kernarg_size 304
		.amdhsa_user_sgpr_count 6
		.amdhsa_user_sgpr_private_segment_buffer 1
		.amdhsa_user_sgpr_dispatch_ptr 0
		.amdhsa_user_sgpr_queue_ptr 0
		.amdhsa_user_sgpr_kernarg_segment_ptr 1
		.amdhsa_user_sgpr_dispatch_id 0
		.amdhsa_user_sgpr_flat_scratch_init 0
		.amdhsa_user_sgpr_kernarg_preload_length 0
		.amdhsa_user_sgpr_kernarg_preload_offset 0
		.amdhsa_user_sgpr_private_segment_size 0
		.amdhsa_uses_dynamic_stack 0
		.amdhsa_system_sgpr_private_segment_wavefront_offset 0
		.amdhsa_system_sgpr_workgroup_id_x 1
		.amdhsa_system_sgpr_workgroup_id_y 0
		.amdhsa_system_sgpr_workgroup_id_z 0
		.amdhsa_system_sgpr_workgroup_info 0
		.amdhsa_system_vgpr_workitem_id 1
		.amdhsa_next_free_vgpr 23
		.amdhsa_next_free_sgpr 24
		.amdhsa_accum_offset 24
		.amdhsa_reserve_vcc 1
		.amdhsa_reserve_flat_scratch 0
		.amdhsa_float_round_mode_32 0
		.amdhsa_float_round_mode_16_64 0
		.amdhsa_float_denorm_mode_32 3
		.amdhsa_float_denorm_mode_16_64 3
		.amdhsa_dx10_clamp 1
		.amdhsa_ieee_mode 1
		.amdhsa_fp16_overflow 0
		.amdhsa_tg_split 0
		.amdhsa_exception_fp_ieee_invalid_op 0
		.amdhsa_exception_fp_denorm_src 0
		.amdhsa_exception_fp_ieee_div_zero 0
		.amdhsa_exception_fp_ieee_overflow 0
		.amdhsa_exception_fp_ieee_underflow 0
		.amdhsa_exception_fp_ieee_inexact 0
		.amdhsa_exception_int_div_zero 0
	.end_amdhsa_kernel
	.section	.text._ZN12_GLOBAL__N_121softmax_warp_backwardIfffLi8ELb1ELb0ELi32EEEvPT0_PKT_S5_iiiPKb,"axG",@progbits,_ZN12_GLOBAL__N_121softmax_warp_backwardIfffLi8ELb1ELb0ELi32EEEvPT0_PKT_S5_iiiPKb,comdat
.Lfunc_end245:
	.size	_ZN12_GLOBAL__N_121softmax_warp_backwardIfffLi8ELb1ELb0ELi32EEEvPT0_PKT_S5_iiiPKb, .Lfunc_end245-_ZN12_GLOBAL__N_121softmax_warp_backwardIfffLi8ELb1ELb0ELi32EEEvPT0_PKT_S5_iiiPKb
                                        ; -- End function
	.section	.AMDGPU.csdata,"",@progbits
; Kernel info:
; codeLenInByte = 2100
; NumSgprs: 28
; NumVgprs: 23
; NumAgprs: 0
; TotalNumVgprs: 23
; ScratchSize: 0
; MemoryBound: 0
; FloatMode: 240
; IeeeMode: 1
; LDSByteSize: 0 bytes/workgroup (compile time only)
; SGPRBlocks: 3
; VGPRBlocks: 2
; NumSGPRsForWavesPerEU: 28
; NumVGPRsForWavesPerEU: 23
; AccumOffset: 24
; Occupancy: 8
; WaveLimiterHint : 0
; COMPUTE_PGM_RSRC2:SCRATCH_EN: 0
; COMPUTE_PGM_RSRC2:USER_SGPR: 6
; COMPUTE_PGM_RSRC2:TRAP_HANDLER: 0
; COMPUTE_PGM_RSRC2:TGID_X_EN: 1
; COMPUTE_PGM_RSRC2:TGID_Y_EN: 0
; COMPUTE_PGM_RSRC2:TGID_Z_EN: 0
; COMPUTE_PGM_RSRC2:TIDIG_COMP_CNT: 1
; COMPUTE_PGM_RSRC3_GFX90A:ACCUM_OFFSET: 5
; COMPUTE_PGM_RSRC3_GFX90A:TG_SPLIT: 0
	.section	.text._ZN12_GLOBAL__N_121softmax_warp_backwardIfffLi9ELb1ELb0ELi64EEEvPT0_PKT_S5_iiiPKb,"axG",@progbits,_ZN12_GLOBAL__N_121softmax_warp_backwardIfffLi9ELb1ELb0ELi64EEEvPT0_PKT_S5_iiiPKb,comdat
	.globl	_ZN12_GLOBAL__N_121softmax_warp_backwardIfffLi9ELb1ELb0ELi64EEEvPT0_PKT_S5_iiiPKb ; -- Begin function _ZN12_GLOBAL__N_121softmax_warp_backwardIfffLi9ELb1ELb0ELi64EEEvPT0_PKT_S5_iiiPKb
	.p2align	8
	.type	_ZN12_GLOBAL__N_121softmax_warp_backwardIfffLi9ELb1ELb0ELi64EEEvPT0_PKT_S5_iiiPKb,@function
_ZN12_GLOBAL__N_121softmax_warp_backwardIfffLi9ELb1ELb0ELi64EEEvPT0_PKT_S5_iiiPKb: ; @_ZN12_GLOBAL__N_121softmax_warp_backwardIfffLi9ELb1ELb0ELi64EEEvPT0_PKT_S5_iiiPKb
; %bb.0:
	s_load_dword s2, s[4:5], 0x3c
	s_load_dwordx4 s[20:23], s[4:5], 0x18
	s_load_dwordx4 s[16:19], s[4:5], 0x0
	s_load_dwordx2 s[0:1], s[4:5], 0x10
	v_bfe_u32 v1, v0, 10, 10
	s_waitcnt lgkmcnt(0)
	s_lshr_b32 s2, s2, 16
	s_mul_i32 s6, s6, s2
	v_add_u32_e32 v1, s6, v1
	v_and_b32_e32 v4, 63, v0
	v_sub_u32_e32 v22, s20, v1
	v_mad_u64_u32 v[0:1], s[2:3], v1, s21, v[4:5]
	v_ashrrev_i32_e32 v1, 31, v0
	v_lshlrev_b64 v[0:1], 2, v[0:1]
	v_mov_b32_e32 v3, s19
	v_add_co_u32_e32 v2, vcc, s18, v0
	v_addc_co_u32_e32 v3, vcc, v3, v1, vcc
	v_mov_b32_e32 v5, s1
	v_add_co_u32_e32 v6, vcc, s0, v0
	v_cmp_lt_i32_e64 s[14:15], 0, v22
	v_cmp_gt_i32_e64 s[12:13], s22, v4
	v_addc_co_u32_e32 v7, vcc, v5, v1, vcc
	s_and_b64 s[2:3], s[14:15], s[12:13]
	v_mov_b32_e32 v15, 0
	v_mov_b32_e32 v20, 0
	;; [unrolled: 1-line block ×3, first 2 shown]
	s_and_saveexec_b64 s[0:1], s[2:3]
	s_cbranch_execz .LBB246_2
; %bb.1:
	global_load_dword v20, v[2:3], off
	global_load_dword v21, v[6:7], off
.LBB246_2:
	s_or_b64 exec, exec, s[0:1]
	v_or_b32_e32 v5, 64, v4
	v_cmp_gt_i32_e64 s[10:11], s22, v5
	s_and_b64 s[2:3], s[14:15], s[10:11]
	v_mov_b32_e32 v19, 0
	s_and_saveexec_b64 s[0:1], s[2:3]
	s_cbranch_execz .LBB246_4
; %bb.3:
	global_load_dword v15, v[2:3], off offset:256
	global_load_dword v19, v[6:7], off offset:256
.LBB246_4:
	s_or_b64 exec, exec, s[0:1]
	v_or_b32_e32 v5, 0x80, v4
	v_cmp_gt_i32_e64 s[8:9], s22, v5
	s_and_b64 s[2:3], s[14:15], s[8:9]
	v_mov_b32_e32 v11, 0
	v_mov_b32_e32 v17, 0
	v_mov_b32_e32 v18, 0
	s_and_saveexec_b64 s[0:1], s[2:3]
	s_cbranch_execz .LBB246_6
; %bb.5:
	global_load_dword v17, v[2:3], off offset:512
	global_load_dword v18, v[6:7], off offset:512
.LBB246_6:
	s_or_b64 exec, exec, s[0:1]
	v_or_b32_e32 v5, 0xc0, v4
	v_cmp_gt_i32_e64 s[6:7], s22, v5
	s_and_b64 s[2:3], s[14:15], s[6:7]
	v_mov_b32_e32 v16, 0
	s_and_saveexec_b64 s[0:1], s[2:3]
	s_cbranch_execz .LBB246_8
; %bb.7:
	global_load_dword v11, v[2:3], off offset:768
	global_load_dword v16, v[6:7], off offset:768
.LBB246_8:
	s_or_b64 exec, exec, s[0:1]
	v_or_b32_e32 v5, 0x100, v4
	v_cmp_gt_i32_e64 s[4:5], s22, v5
	s_and_b64 s[2:3], s[14:15], s[4:5]
	v_mov_b32_e32 v8, 0
	v_mov_b32_e32 v13, 0
	v_mov_b32_e32 v14, 0
	s_and_saveexec_b64 s[0:1], s[2:3]
	s_cbranch_execz .LBB246_10
; %bb.9:
	global_load_dword v13, v[2:3], off offset:1024
	global_load_dword v14, v[6:7], off offset:1024
.LBB246_10:
	;; [unrolled: 24-line block ×3, first 2 shown]
	s_or_b64 exec, exec, s[18:19]
	v_or_b32_e32 v4, 0x1c0, v4
	v_cmp_gt_i32_e32 vcc, s22, v4
	s_and_b64 s[18:19], s[14:15], vcc
	v_mov_b32_e32 v4, 0
	s_and_saveexec_b64 s[14:15], s[18:19]
	s_cbranch_execz .LBB246_16
; %bb.15:
	global_load_dword v5, v[2:3], off offset:1792
	global_load_dword v4, v[6:7], off offset:1792
.LBB246_16:
	s_or_b64 exec, exec, s[14:15]
	s_waitcnt vmcnt(1)
	v_add_f32_e32 v2, 0, v20
	v_add_f32_e32 v2, v2, v15
	v_mbcnt_lo_u32_b32 v3, -1, 0
	v_add_f32_e32 v2, v2, v17
	v_mbcnt_hi_u32_b32 v3, -1, v3
	v_add_f32_e32 v2, v2, v11
	v_and_b32_e32 v6, 64, v3
	v_add_f32_e32 v2, v2, v13
	v_add_u32_e32 v6, 64, v6
	v_xor_b32_e32 v7, 32, v3
	v_add_f32_e32 v2, v2, v8
	v_cmp_lt_i32_e64 s[14:15], v7, v6
	v_add_f32_e32 v2, v2, v9
	v_cndmask_b32_e64 v7, v3, v7, s[14:15]
	v_add_f32_e32 v2, v2, v5
	v_lshlrev_b32_e32 v7, 2, v7
	ds_bpermute_b32 v7, v7, v2
	s_waitcnt lgkmcnt(0)
	v_add_f32_e32 v2, v2, v7
	v_xor_b32_e32 v7, 16, v3
	v_cmp_lt_i32_e64 s[14:15], v7, v6
	v_cndmask_b32_e64 v7, v3, v7, s[14:15]
	v_lshlrev_b32_e32 v7, 2, v7
	ds_bpermute_b32 v7, v7, v2
	s_waitcnt lgkmcnt(0)
	v_add_f32_e32 v2, v2, v7
	v_xor_b32_e32 v7, 8, v3
	v_cmp_lt_i32_e64 s[14:15], v7, v6
	v_cndmask_b32_e64 v7, v3, v7, s[14:15]
	v_lshlrev_b32_e32 v7, 2, v7
	ds_bpermute_b32 v7, v7, v2
	s_waitcnt lgkmcnt(0)
	v_add_f32_e32 v2, v2, v7
	v_xor_b32_e32 v7, 4, v3
	v_cmp_lt_i32_e64 s[14:15], v7, v6
	v_cndmask_b32_e64 v7, v3, v7, s[14:15]
	v_lshlrev_b32_e32 v7, 2, v7
	ds_bpermute_b32 v7, v7, v2
	s_waitcnt lgkmcnt(0)
	v_add_f32_e32 v2, v2, v7
	v_xor_b32_e32 v7, 2, v3
	v_cmp_lt_i32_e64 s[14:15], v7, v6
	v_cndmask_b32_e64 v7, v3, v7, s[14:15]
	v_lshlrev_b32_e32 v7, 2, v7
	ds_bpermute_b32 v7, v7, v2
	s_waitcnt lgkmcnt(0)
	v_add_f32_e32 v2, v2, v7
	v_xor_b32_e32 v7, 1, v3
	v_cmp_lt_i32_e64 s[14:15], v7, v6
	v_cndmask_b32_e64 v3, v3, v7, s[14:15]
	v_lshlrev_b32_e32 v3, 2, v3
	ds_bpermute_b32 v3, v3, v2
	v_cmp_lt_i32_e64 s[14:15], 0, v22
	s_and_saveexec_b64 s[18:19], s[14:15]
	s_cbranch_execz .LBB246_26
; %bb.17:
	v_mov_b32_e32 v6, s17
	v_add_co_u32_e64 v0, s[14:15], s16, v0
	v_addc_co_u32_e64 v1, s[14:15], v6, v1, s[14:15]
	s_waitcnt lgkmcnt(0)
	v_add_f32_e32 v2, v2, v3
	s_and_saveexec_b64 s[14:15], s[12:13]
	s_cbranch_execnz .LBB246_27
; %bb.18:
	s_or_b64 exec, exec, s[14:15]
	s_and_saveexec_b64 s[12:13], s[10:11]
	s_cbranch_execnz .LBB246_28
.LBB246_19:
	s_or_b64 exec, exec, s[12:13]
	s_and_saveexec_b64 s[10:11], s[8:9]
	s_cbranch_execnz .LBB246_29
.LBB246_20:
	s_or_b64 exec, exec, s[10:11]
	s_and_saveexec_b64 s[8:9], s[6:7]
	s_cbranch_execnz .LBB246_30
.LBB246_21:
	s_or_b64 exec, exec, s[8:9]
	s_and_saveexec_b64 s[6:7], s[4:5]
	s_cbranch_execnz .LBB246_31
.LBB246_22:
	s_or_b64 exec, exec, s[6:7]
	s_and_saveexec_b64 s[4:5], s[2:3]
	s_cbranch_execnz .LBB246_32
.LBB246_23:
	s_or_b64 exec, exec, s[4:5]
	s_and_saveexec_b64 s[2:3], s[0:1]
	s_cbranch_execnz .LBB246_33
.LBB246_24:
	s_or_b64 exec, exec, s[2:3]
	s_and_b64 exec, exec, vcc
	s_cbranch_execz .LBB246_26
.LBB246_25:
	s_waitcnt vmcnt(0)
	v_mul_f32_e32 v3, 0x3fb8aa3b, v4
	s_mov_b32 s0, 0x3fb8aa3b
	v_rndne_f32_e32 v6, v3
	v_sub_f32_e32 v7, v3, v6
	v_fma_f32 v3, v4, s0, -v3
	v_fmac_f32_e32 v3, 0x32a5705f, v4
	v_add_f32_e32 v3, v7, v3
	v_exp_f32_e32 v3, v3
	v_cvt_i32_f32_e32 v6, v6
	s_mov_b32 s0, 0xc2ce8ed0
	v_cmp_ngt_f32_e32 vcc, s0, v4
	s_mov_b32 s0, 0x42b17218
	v_ldexp_f32 v3, v3, v6
	v_cndmask_b32_e32 v3, 0, v3, vcc
	v_mov_b32_e32 v6, 0x7f800000
	v_cmp_nlt_f32_e32 vcc, s0, v4
	v_cndmask_b32_e32 v3, v6, v3, vcc
	v_fma_f32 v2, -v2, v3, v5
	global_store_dword v[0:1], v2, off offset:1792
.LBB246_26:
	s_endpgm
.LBB246_27:
	s_waitcnt vmcnt(0)
	v_mul_f32_e32 v3, 0x3fb8aa3b, v21
	s_mov_b32 s12, 0x3fb8aa3b
	v_rndne_f32_e32 v6, v3
	v_sub_f32_e32 v7, v3, v6
	v_fma_f32 v3, v21, s12, -v3
	v_fmac_f32_e32 v3, 0x32a5705f, v21
	v_add_f32_e32 v3, v7, v3
	v_exp_f32_e32 v3, v3
	v_cvt_i32_f32_e32 v6, v6
	s_mov_b32 s12, 0xc2ce8ed0
	v_cmp_ngt_f32_e64 s[12:13], s12, v21
	v_ldexp_f32 v3, v3, v6
	v_cndmask_b32_e64 v3, 0, v3, s[12:13]
	s_mov_b32 s12, 0x42b17218
	v_mov_b32_e32 v6, 0x7f800000
	v_cmp_nlt_f32_e64 s[12:13], s12, v21
	v_cndmask_b32_e64 v3, v6, v3, s[12:13]
	v_fma_f32 v3, -v2, v3, v20
	global_store_dword v[0:1], v3, off
	s_or_b64 exec, exec, s[14:15]
	s_and_saveexec_b64 s[12:13], s[10:11]
	s_cbranch_execz .LBB246_19
.LBB246_28:
	s_waitcnt vmcnt(0)
	v_mul_f32_e32 v3, 0x3fb8aa3b, v19
	s_mov_b32 s10, 0x3fb8aa3b
	v_rndne_f32_e32 v6, v3
	v_sub_f32_e32 v7, v3, v6
	v_fma_f32 v3, v19, s10, -v3
	v_fmac_f32_e32 v3, 0x32a5705f, v19
	v_add_f32_e32 v3, v7, v3
	v_exp_f32_e32 v3, v3
	v_cvt_i32_f32_e32 v6, v6
	s_mov_b32 s10, 0xc2ce8ed0
	v_cmp_ngt_f32_e64 s[10:11], s10, v19
	v_ldexp_f32 v3, v3, v6
	v_cndmask_b32_e64 v3, 0, v3, s[10:11]
	s_mov_b32 s10, 0x42b17218
	v_mov_b32_e32 v6, 0x7f800000
	v_cmp_nlt_f32_e64 s[10:11], s10, v19
	v_cndmask_b32_e64 v3, v6, v3, s[10:11]
	v_fma_f32 v3, -v2, v3, v15
	global_store_dword v[0:1], v3, off offset:256
	s_or_b64 exec, exec, s[12:13]
	s_and_saveexec_b64 s[10:11], s[8:9]
	s_cbranch_execz .LBB246_20
.LBB246_29:
	s_waitcnt vmcnt(0)
	v_mul_f32_e32 v3, 0x3fb8aa3b, v18
	s_mov_b32 s8, 0x3fb8aa3b
	v_rndne_f32_e32 v6, v3
	v_sub_f32_e32 v7, v3, v6
	v_fma_f32 v3, v18, s8, -v3
	v_fmac_f32_e32 v3, 0x32a5705f, v18
	v_add_f32_e32 v3, v7, v3
	v_exp_f32_e32 v3, v3
	v_cvt_i32_f32_e32 v6, v6
	s_mov_b32 s8, 0xc2ce8ed0
	v_cmp_ngt_f32_e64 s[8:9], s8, v18
	v_ldexp_f32 v3, v3, v6
	v_cndmask_b32_e64 v3, 0, v3, s[8:9]
	s_mov_b32 s8, 0x42b17218
	v_mov_b32_e32 v6, 0x7f800000
	v_cmp_nlt_f32_e64 s[8:9], s8, v18
	v_cndmask_b32_e64 v3, v6, v3, s[8:9]
	v_fma_f32 v3, -v2, v3, v17
	global_store_dword v[0:1], v3, off offset:512
	s_or_b64 exec, exec, s[10:11]
	s_and_saveexec_b64 s[8:9], s[6:7]
	s_cbranch_execz .LBB246_21
.LBB246_30:
	s_waitcnt vmcnt(0)
	v_mul_f32_e32 v3, 0x3fb8aa3b, v16
	s_mov_b32 s6, 0x3fb8aa3b
	v_rndne_f32_e32 v6, v3
	v_sub_f32_e32 v7, v3, v6
	v_fma_f32 v3, v16, s6, -v3
	v_fmac_f32_e32 v3, 0x32a5705f, v16
	v_add_f32_e32 v3, v7, v3
	v_exp_f32_e32 v3, v3
	v_cvt_i32_f32_e32 v6, v6
	s_mov_b32 s6, 0xc2ce8ed0
	v_cmp_ngt_f32_e64 s[6:7], s6, v16
	v_ldexp_f32 v3, v3, v6
	v_cndmask_b32_e64 v3, 0, v3, s[6:7]
	s_mov_b32 s6, 0x42b17218
	v_mov_b32_e32 v6, 0x7f800000
	v_cmp_nlt_f32_e64 s[6:7], s6, v16
	v_cndmask_b32_e64 v3, v6, v3, s[6:7]
	v_fma_f32 v3, -v2, v3, v11
	global_store_dword v[0:1], v3, off offset:768
	s_or_b64 exec, exec, s[8:9]
	s_and_saveexec_b64 s[6:7], s[4:5]
	s_cbranch_execz .LBB246_22
.LBB246_31:
	s_waitcnt vmcnt(0)
	v_mul_f32_e32 v3, 0x3fb8aa3b, v14
	s_mov_b32 s4, 0x3fb8aa3b
	v_rndne_f32_e32 v6, v3
	v_sub_f32_e32 v7, v3, v6
	v_fma_f32 v3, v14, s4, -v3
	v_fmac_f32_e32 v3, 0x32a5705f, v14
	v_add_f32_e32 v3, v7, v3
	v_exp_f32_e32 v3, v3
	v_cvt_i32_f32_e32 v6, v6
	s_mov_b32 s4, 0xc2ce8ed0
	v_cmp_ngt_f32_e64 s[4:5], s4, v14
	v_ldexp_f32 v3, v3, v6
	v_cndmask_b32_e64 v3, 0, v3, s[4:5]
	s_mov_b32 s4, 0x42b17218
	v_mov_b32_e32 v6, 0x7f800000
	v_cmp_nlt_f32_e64 s[4:5], s4, v14
	v_cndmask_b32_e64 v3, v6, v3, s[4:5]
	v_fma_f32 v3, -v2, v3, v13
	global_store_dword v[0:1], v3, off offset:1024
	s_or_b64 exec, exec, s[6:7]
	s_and_saveexec_b64 s[4:5], s[2:3]
	s_cbranch_execz .LBB246_23
.LBB246_32:
	s_waitcnt vmcnt(0)
	v_mul_f32_e32 v3, 0x3fb8aa3b, v12
	s_mov_b32 s2, 0x3fb8aa3b
	v_rndne_f32_e32 v6, v3
	v_sub_f32_e32 v7, v3, v6
	v_fma_f32 v3, v12, s2, -v3
	v_fmac_f32_e32 v3, 0x32a5705f, v12
	v_add_f32_e32 v3, v7, v3
	v_exp_f32_e32 v3, v3
	v_cvt_i32_f32_e32 v6, v6
	s_mov_b32 s2, 0xc2ce8ed0
	v_cmp_ngt_f32_e64 s[2:3], s2, v12
	v_ldexp_f32 v3, v3, v6
	v_cndmask_b32_e64 v3, 0, v3, s[2:3]
	s_mov_b32 s2, 0x42b17218
	v_mov_b32_e32 v6, 0x7f800000
	v_cmp_nlt_f32_e64 s[2:3], s2, v12
	v_cndmask_b32_e64 v3, v6, v3, s[2:3]
	v_fma_f32 v3, -v2, v3, v8
	global_store_dword v[0:1], v3, off offset:1280
	s_or_b64 exec, exec, s[4:5]
	s_and_saveexec_b64 s[2:3], s[0:1]
	s_cbranch_execz .LBB246_24
.LBB246_33:
	s_waitcnt vmcnt(0)
	v_mul_f32_e32 v3, 0x3fb8aa3b, v10
	s_mov_b32 s0, 0x3fb8aa3b
	v_rndne_f32_e32 v6, v3
	v_sub_f32_e32 v7, v3, v6
	v_fma_f32 v3, v10, s0, -v3
	v_fmac_f32_e32 v3, 0x32a5705f, v10
	v_add_f32_e32 v3, v7, v3
	v_exp_f32_e32 v3, v3
	v_cvt_i32_f32_e32 v6, v6
	s_mov_b32 s0, 0xc2ce8ed0
	v_cmp_ngt_f32_e64 s[0:1], s0, v10
	v_ldexp_f32 v3, v3, v6
	v_cndmask_b32_e64 v3, 0, v3, s[0:1]
	s_mov_b32 s0, 0x42b17218
	v_mov_b32_e32 v6, 0x7f800000
	v_cmp_nlt_f32_e64 s[0:1], s0, v10
	v_cndmask_b32_e64 v3, v6, v3, s[0:1]
	v_fma_f32 v3, -v2, v3, v9
	global_store_dword v[0:1], v3, off offset:1536
	s_or_b64 exec, exec, s[2:3]
	s_and_b64 exec, exec, vcc
	s_cbranch_execnz .LBB246_25
	s_branch .LBB246_26
	.section	.rodata,"a",@progbits
	.p2align	6, 0x0
	.amdhsa_kernel _ZN12_GLOBAL__N_121softmax_warp_backwardIfffLi9ELb1ELb0ELi64EEEvPT0_PKT_S5_iiiPKb
		.amdhsa_group_segment_fixed_size 0
		.amdhsa_private_segment_fixed_size 0
		.amdhsa_kernarg_size 304
		.amdhsa_user_sgpr_count 6
		.amdhsa_user_sgpr_private_segment_buffer 1
		.amdhsa_user_sgpr_dispatch_ptr 0
		.amdhsa_user_sgpr_queue_ptr 0
		.amdhsa_user_sgpr_kernarg_segment_ptr 1
		.amdhsa_user_sgpr_dispatch_id 0
		.amdhsa_user_sgpr_flat_scratch_init 0
		.amdhsa_user_sgpr_kernarg_preload_length 0
		.amdhsa_user_sgpr_kernarg_preload_offset 0
		.amdhsa_user_sgpr_private_segment_size 0
		.amdhsa_uses_dynamic_stack 0
		.amdhsa_system_sgpr_private_segment_wavefront_offset 0
		.amdhsa_system_sgpr_workgroup_id_x 1
		.amdhsa_system_sgpr_workgroup_id_y 0
		.amdhsa_system_sgpr_workgroup_id_z 0
		.amdhsa_system_sgpr_workgroup_info 0
		.amdhsa_system_vgpr_workitem_id 1
		.amdhsa_next_free_vgpr 23
		.amdhsa_next_free_sgpr 24
		.amdhsa_accum_offset 24
		.amdhsa_reserve_vcc 1
		.amdhsa_reserve_flat_scratch 0
		.amdhsa_float_round_mode_32 0
		.amdhsa_float_round_mode_16_64 0
		.amdhsa_float_denorm_mode_32 3
		.amdhsa_float_denorm_mode_16_64 3
		.amdhsa_dx10_clamp 1
		.amdhsa_ieee_mode 1
		.amdhsa_fp16_overflow 0
		.amdhsa_tg_split 0
		.amdhsa_exception_fp_ieee_invalid_op 0
		.amdhsa_exception_fp_denorm_src 0
		.amdhsa_exception_fp_ieee_div_zero 0
		.amdhsa_exception_fp_ieee_overflow 0
		.amdhsa_exception_fp_ieee_underflow 0
		.amdhsa_exception_fp_ieee_inexact 0
		.amdhsa_exception_int_div_zero 0
	.end_amdhsa_kernel
	.section	.text._ZN12_GLOBAL__N_121softmax_warp_backwardIfffLi9ELb1ELb0ELi64EEEvPT0_PKT_S5_iiiPKb,"axG",@progbits,_ZN12_GLOBAL__N_121softmax_warp_backwardIfffLi9ELb1ELb0ELi64EEEvPT0_PKT_S5_iiiPKb,comdat
.Lfunc_end246:
	.size	_ZN12_GLOBAL__N_121softmax_warp_backwardIfffLi9ELb1ELb0ELi64EEEvPT0_PKT_S5_iiiPKb, .Lfunc_end246-_ZN12_GLOBAL__N_121softmax_warp_backwardIfffLi9ELb1ELb0ELi64EEEvPT0_PKT_S5_iiiPKb
                                        ; -- End function
	.section	.AMDGPU.csdata,"",@progbits
; Kernel info:
; codeLenInByte = 2140
; NumSgprs: 28
; NumVgprs: 23
; NumAgprs: 0
; TotalNumVgprs: 23
; ScratchSize: 0
; MemoryBound: 0
; FloatMode: 240
; IeeeMode: 1
; LDSByteSize: 0 bytes/workgroup (compile time only)
; SGPRBlocks: 3
; VGPRBlocks: 2
; NumSGPRsForWavesPerEU: 28
; NumVGPRsForWavesPerEU: 23
; AccumOffset: 24
; Occupancy: 8
; WaveLimiterHint : 0
; COMPUTE_PGM_RSRC2:SCRATCH_EN: 0
; COMPUTE_PGM_RSRC2:USER_SGPR: 6
; COMPUTE_PGM_RSRC2:TRAP_HANDLER: 0
; COMPUTE_PGM_RSRC2:TGID_X_EN: 1
; COMPUTE_PGM_RSRC2:TGID_Y_EN: 0
; COMPUTE_PGM_RSRC2:TGID_Z_EN: 0
; COMPUTE_PGM_RSRC2:TIDIG_COMP_CNT: 1
; COMPUTE_PGM_RSRC3_GFX90A:ACCUM_OFFSET: 5
; COMPUTE_PGM_RSRC3_GFX90A:TG_SPLIT: 0
	.section	.text._ZN12_GLOBAL__N_121softmax_warp_backwardIfffLi9ELb1ELb0ELi32EEEvPT0_PKT_S5_iiiPKb,"axG",@progbits,_ZN12_GLOBAL__N_121softmax_warp_backwardIfffLi9ELb1ELb0ELi32EEEvPT0_PKT_S5_iiiPKb,comdat
	.globl	_ZN12_GLOBAL__N_121softmax_warp_backwardIfffLi9ELb1ELb0ELi32EEEvPT0_PKT_S5_iiiPKb ; -- Begin function _ZN12_GLOBAL__N_121softmax_warp_backwardIfffLi9ELb1ELb0ELi32EEEvPT0_PKT_S5_iiiPKb
	.p2align	8
	.type	_ZN12_GLOBAL__N_121softmax_warp_backwardIfffLi9ELb1ELb0ELi32EEEvPT0_PKT_S5_iiiPKb,@function
_ZN12_GLOBAL__N_121softmax_warp_backwardIfffLi9ELb1ELb0ELi32EEEvPT0_PKT_S5_iiiPKb: ; @_ZN12_GLOBAL__N_121softmax_warp_backwardIfffLi9ELb1ELb0ELi32EEEvPT0_PKT_S5_iiiPKb
; %bb.0:
	s_load_dword s2, s[4:5], 0x3c
	s_load_dwordx4 s[40:43], s[4:5], 0x18
	s_load_dwordx4 s[36:39], s[4:5], 0x0
	s_load_dwordx2 s[0:1], s[4:5], 0x10
	v_bfe_u32 v1, v0, 10, 10
	s_waitcnt lgkmcnt(0)
	s_lshr_b32 s2, s2, 16
	s_mul_i32 s6, s6, s2
	v_add_u32_e32 v1, s6, v1
	v_and_b32_e32 v4, 31, v0
	v_sub_u32_e32 v38, s40, v1
	v_mad_u64_u32 v[0:1], s[2:3], v1, s41, v[4:5]
	v_ashrrev_i32_e32 v1, 31, v0
	v_lshlrev_b64 v[0:1], 2, v[0:1]
	v_mov_b32_e32 v3, s39
	v_add_co_u32_e32 v2, vcc, s38, v0
	v_addc_co_u32_e32 v3, vcc, v3, v1, vcc
	v_mov_b32_e32 v5, s1
	v_add_co_u32_e32 v6, vcc, s0, v0
	v_cmp_lt_i32_e64 s[30:31], 0, v38
	v_cmp_gt_i32_e64 s[28:29], s42, v4
	v_addc_co_u32_e32 v7, vcc, v5, v1, vcc
	s_and_b64 s[2:3], s[30:31], s[28:29]
	v_mov_b32_e32 v31, 0
	v_mov_b32_e32 v36, 0
	;; [unrolled: 1-line block ×3, first 2 shown]
	s_and_saveexec_b64 s[0:1], s[2:3]
	s_cbranch_execz .LBB247_2
; %bb.1:
	global_load_dword v36, v[2:3], off
	global_load_dword v37, v[6:7], off
.LBB247_2:
	s_or_b64 exec, exec, s[0:1]
	v_or_b32_e32 v5, 32, v4
	v_cmp_gt_i32_e64 s[26:27], s42, v5
	s_and_b64 s[2:3], s[30:31], s[26:27]
	v_mov_b32_e32 v35, 0
	s_and_saveexec_b64 s[0:1], s[2:3]
	s_cbranch_execz .LBB247_4
; %bb.3:
	global_load_dword v31, v[2:3], off offset:128
	global_load_dword v35, v[6:7], off offset:128
.LBB247_4:
	s_or_b64 exec, exec, s[0:1]
	v_or_b32_e32 v5, 64, v4
	v_cmp_gt_i32_e64 s[24:25], s42, v5
	s_and_b64 s[2:3], s[30:31], s[24:25]
	v_mov_b32_e32 v27, 0
	v_mov_b32_e32 v33, 0
	v_mov_b32_e32 v34, 0
	s_and_saveexec_b64 s[0:1], s[2:3]
	s_cbranch_execz .LBB247_6
; %bb.5:
	global_load_dword v33, v[2:3], off offset:256
	global_load_dword v34, v[6:7], off offset:256
.LBB247_6:
	s_or_b64 exec, exec, s[0:1]
	v_or_b32_e32 v5, 0x60, v4
	v_cmp_gt_i32_e64 s[22:23], s42, v5
	s_and_b64 s[2:3], s[30:31], s[22:23]
	v_mov_b32_e32 v32, 0
	s_and_saveexec_b64 s[0:1], s[2:3]
	s_cbranch_execz .LBB247_8
; %bb.7:
	global_load_dword v27, v[2:3], off offset:384
	global_load_dword v32, v[6:7], off offset:384
.LBB247_8:
	s_or_b64 exec, exec, s[0:1]
	v_or_b32_e32 v5, 0x80, v4
	v_cmp_gt_i32_e64 s[20:21], s42, v5
	s_and_b64 s[2:3], s[30:31], s[20:21]
	v_mov_b32_e32 v23, 0
	v_mov_b32_e32 v29, 0
	v_mov_b32_e32 v30, 0
	s_and_saveexec_b64 s[0:1], s[2:3]
	s_cbranch_execz .LBB247_10
; %bb.9:
	global_load_dword v29, v[2:3], off offset:512
	global_load_dword v30, v[6:7], off offset:512
.LBB247_10:
	s_or_b64 exec, exec, s[0:1]
	v_or_b32_e32 v5, 0xa0, v4
	v_cmp_gt_i32_e64 s[18:19], s42, v5
	s_and_b64 s[2:3], s[30:31], s[18:19]
	v_mov_b32_e32 v28, 0
	s_and_saveexec_b64 s[0:1], s[2:3]
	s_cbranch_execz .LBB247_12
; %bb.11:
	global_load_dword v23, v[2:3], off offset:640
	global_load_dword v28, v[6:7], off offset:640
.LBB247_12:
	s_or_b64 exec, exec, s[0:1]
	v_or_b32_e32 v5, 0xc0, v4
	v_cmp_gt_i32_e64 s[16:17], s42, v5
	s_and_b64 s[2:3], s[30:31], s[16:17]
	v_mov_b32_e32 v19, 0
	v_mov_b32_e32 v25, 0
	v_mov_b32_e32 v26, 0
	s_and_saveexec_b64 s[0:1], s[2:3]
	s_cbranch_execz .LBB247_14
; %bb.13:
	global_load_dword v25, v[2:3], off offset:768
	global_load_dword v26, v[6:7], off offset:768
.LBB247_14:
	s_or_b64 exec, exec, s[0:1]
	v_or_b32_e32 v5, 0xe0, v4
	v_cmp_gt_i32_e64 s[14:15], s42, v5
	s_and_b64 s[2:3], s[30:31], s[14:15]
	v_mov_b32_e32 v24, 0
	s_and_saveexec_b64 s[0:1], s[2:3]
	s_cbranch_execz .LBB247_16
; %bb.15:
	global_load_dword v19, v[2:3], off offset:896
	global_load_dword v24, v[6:7], off offset:896
.LBB247_16:
	s_or_b64 exec, exec, s[0:1]
	v_or_b32_e32 v5, 0x100, v4
	v_cmp_gt_i32_e64 s[12:13], s42, v5
	s_and_b64 s[2:3], s[30:31], s[12:13]
	v_mov_b32_e32 v15, 0
	v_mov_b32_e32 v21, 0
	v_mov_b32_e32 v22, 0
	s_and_saveexec_b64 s[0:1], s[2:3]
	s_cbranch_execz .LBB247_18
; %bb.17:
	global_load_dword v21, v[2:3], off offset:1024
	global_load_dword v22, v[6:7], off offset:1024
.LBB247_18:
	s_or_b64 exec, exec, s[0:1]
	v_or_b32_e32 v5, 0x120, v4
	v_cmp_gt_i32_e64 s[10:11], s42, v5
	s_and_b64 s[2:3], s[30:31], s[10:11]
	v_mov_b32_e32 v20, 0
	s_and_saveexec_b64 s[0:1], s[2:3]
	s_cbranch_execz .LBB247_20
; %bb.19:
	global_load_dword v15, v[2:3], off offset:1152
	global_load_dword v20, v[6:7], off offset:1152
.LBB247_20:
	s_or_b64 exec, exec, s[0:1]
	v_or_b32_e32 v5, 0x140, v4
	v_cmp_gt_i32_e64 s[8:9], s42, v5
	s_and_b64 s[2:3], s[30:31], s[8:9]
	v_mov_b32_e32 v11, 0
	v_mov_b32_e32 v17, 0
	v_mov_b32_e32 v18, 0
	s_and_saveexec_b64 s[0:1], s[2:3]
	s_cbranch_execz .LBB247_22
; %bb.21:
	global_load_dword v17, v[2:3], off offset:1280
	global_load_dword v18, v[6:7], off offset:1280
.LBB247_22:
	s_or_b64 exec, exec, s[0:1]
	v_or_b32_e32 v5, 0x160, v4
	v_cmp_gt_i32_e64 s[6:7], s42, v5
	s_and_b64 s[2:3], s[30:31], s[6:7]
	v_mov_b32_e32 v16, 0
	s_and_saveexec_b64 s[0:1], s[2:3]
	s_cbranch_execz .LBB247_24
; %bb.23:
	global_load_dword v11, v[2:3], off offset:1408
	global_load_dword v16, v[6:7], off offset:1408
.LBB247_24:
	s_or_b64 exec, exec, s[0:1]
	v_or_b32_e32 v5, 0x180, v4
	v_cmp_gt_i32_e64 s[4:5], s42, v5
	s_and_b64 s[2:3], s[30:31], s[4:5]
	v_mov_b32_e32 v8, 0
	v_mov_b32_e32 v13, 0
	v_mov_b32_e32 v14, 0
	s_and_saveexec_b64 s[0:1], s[2:3]
	s_cbranch_execz .LBB247_26
; %bb.25:
	global_load_dword v13, v[2:3], off offset:1536
	global_load_dword v14, v[6:7], off offset:1536
.LBB247_26:
	s_or_b64 exec, exec, s[0:1]
	v_or_b32_e32 v5, 0x1a0, v4
	v_cmp_gt_i32_e64 s[2:3], s42, v5
	s_and_b64 s[34:35], s[30:31], s[2:3]
	v_mov_b32_e32 v12, 0
	s_and_saveexec_b64 s[0:1], s[34:35]
	s_cbranch_execz .LBB247_28
; %bb.27:
	global_load_dword v8, v[2:3], off offset:1664
	global_load_dword v12, v[6:7], off offset:1664
.LBB247_28:
	s_or_b64 exec, exec, s[0:1]
	v_or_b32_e32 v5, 0x1c0, v4
	v_cmp_gt_i32_e64 s[0:1], s42, v5
	s_and_b64 s[38:39], s[30:31], s[0:1]
	v_mov_b32_e32 v5, 0
	v_mov_b32_e32 v9, 0
	v_mov_b32_e32 v10, 0
	s_and_saveexec_b64 s[34:35], s[38:39]
	s_cbranch_execz .LBB247_30
; %bb.29:
	global_load_dword v9, v[2:3], off offset:1792
	global_load_dword v10, v[6:7], off offset:1792
.LBB247_30:
	s_or_b64 exec, exec, s[34:35]
	v_or_b32_e32 v4, 0x1e0, v4
	v_cmp_gt_i32_e32 vcc, s42, v4
	s_and_b64 s[34:35], s[30:31], vcc
	v_mov_b32_e32 v4, 0
	s_and_saveexec_b64 s[30:31], s[34:35]
	s_cbranch_execz .LBB247_32
; %bb.31:
	global_load_dword v5, v[2:3], off offset:1920
	global_load_dword v4, v[6:7], off offset:1920
.LBB247_32:
	s_or_b64 exec, exec, s[30:31]
	s_waitcnt vmcnt(1)
	v_add_f32_e32 v2, 0, v36
	v_add_f32_e32 v2, v2, v31
	;; [unrolled: 1-line block ×10, first 2 shown]
	v_mbcnt_lo_u32_b32 v3, -1, 0
	v_add_f32_e32 v2, v2, v17
	v_mbcnt_hi_u32_b32 v3, -1, v3
	v_add_f32_e32 v2, v2, v11
	v_and_b32_e32 v6, 0x60, v3
	v_add_f32_e32 v2, v2, v13
	v_add_u32_e32 v6, 32, v6
	v_xor_b32_e32 v7, 16, v3
	v_add_f32_e32 v2, v2, v8
	v_cmp_lt_i32_e64 s[30:31], v7, v6
	v_add_f32_e32 v2, v2, v9
	v_cndmask_b32_e64 v7, v3, v7, s[30:31]
	v_add_f32_e32 v2, v2, v5
	v_lshlrev_b32_e32 v7, 2, v7
	ds_bpermute_b32 v7, v7, v2
	s_waitcnt lgkmcnt(0)
	v_add_f32_e32 v2, v2, v7
	v_xor_b32_e32 v7, 8, v3
	v_cmp_lt_i32_e64 s[30:31], v7, v6
	v_cndmask_b32_e64 v7, v3, v7, s[30:31]
	v_lshlrev_b32_e32 v7, 2, v7
	ds_bpermute_b32 v7, v7, v2
	s_waitcnt lgkmcnt(0)
	v_add_f32_e32 v2, v2, v7
	v_xor_b32_e32 v7, 4, v3
	v_cmp_lt_i32_e64 s[30:31], v7, v6
	v_cndmask_b32_e64 v7, v3, v7, s[30:31]
	;; [unrolled: 7-line block ×4, first 2 shown]
	v_lshlrev_b32_e32 v3, 2, v3
	ds_bpermute_b32 v3, v3, v2
	v_cmp_lt_i32_e64 s[30:31], 0, v38
	s_and_saveexec_b64 s[34:35], s[30:31]
	s_cbranch_execz .LBB247_50
; %bb.33:
	v_mov_b32_e32 v6, s37
	v_add_co_u32_e64 v0, s[30:31], s36, v0
	v_addc_co_u32_e64 v1, s[30:31], v6, v1, s[30:31]
	s_waitcnt lgkmcnt(0)
	v_add_f32_e32 v2, v2, v3
	s_and_saveexec_b64 s[30:31], s[28:29]
	s_cbranch_execnz .LBB247_51
; %bb.34:
	s_or_b64 exec, exec, s[30:31]
	s_and_saveexec_b64 s[28:29], s[26:27]
	s_cbranch_execnz .LBB247_52
.LBB247_35:
	s_or_b64 exec, exec, s[28:29]
	s_and_saveexec_b64 s[26:27], s[24:25]
	s_cbranch_execnz .LBB247_53
.LBB247_36:
	s_or_b64 exec, exec, s[26:27]
	s_and_saveexec_b64 s[24:25], s[22:23]
	s_cbranch_execnz .LBB247_54
.LBB247_37:
	s_or_b64 exec, exec, s[24:25]
	s_and_saveexec_b64 s[22:23], s[20:21]
	s_cbranch_execnz .LBB247_55
.LBB247_38:
	s_or_b64 exec, exec, s[22:23]
	s_and_saveexec_b64 s[20:21], s[18:19]
	s_cbranch_execnz .LBB247_56
.LBB247_39:
	s_or_b64 exec, exec, s[20:21]
	s_and_saveexec_b64 s[18:19], s[16:17]
	s_cbranch_execnz .LBB247_57
.LBB247_40:
	s_or_b64 exec, exec, s[18:19]
	s_and_saveexec_b64 s[16:17], s[14:15]
	s_cbranch_execnz .LBB247_58
.LBB247_41:
	s_or_b64 exec, exec, s[16:17]
	s_and_saveexec_b64 s[14:15], s[12:13]
	s_cbranch_execnz .LBB247_59
.LBB247_42:
	s_or_b64 exec, exec, s[14:15]
	s_and_saveexec_b64 s[12:13], s[10:11]
	s_cbranch_execnz .LBB247_60
.LBB247_43:
	s_or_b64 exec, exec, s[12:13]
	s_and_saveexec_b64 s[10:11], s[8:9]
	s_cbranch_execnz .LBB247_61
.LBB247_44:
	s_or_b64 exec, exec, s[10:11]
	s_and_saveexec_b64 s[8:9], s[6:7]
	s_cbranch_execnz .LBB247_62
.LBB247_45:
	s_or_b64 exec, exec, s[8:9]
	s_and_saveexec_b64 s[6:7], s[4:5]
	s_cbranch_execnz .LBB247_63
.LBB247_46:
	s_or_b64 exec, exec, s[6:7]
	s_and_saveexec_b64 s[4:5], s[2:3]
	s_cbranch_execnz .LBB247_64
.LBB247_47:
	s_or_b64 exec, exec, s[4:5]
	s_and_saveexec_b64 s[2:3], s[0:1]
	s_cbranch_execnz .LBB247_65
.LBB247_48:
	s_or_b64 exec, exec, s[2:3]
	s_and_b64 exec, exec, vcc
	s_cbranch_execz .LBB247_50
.LBB247_49:
	s_waitcnt vmcnt(0)
	v_mul_f32_e32 v3, 0x3fb8aa3b, v4
	s_mov_b32 s0, 0x3fb8aa3b
	v_rndne_f32_e32 v6, v3
	v_sub_f32_e32 v7, v3, v6
	v_fma_f32 v3, v4, s0, -v3
	v_fmac_f32_e32 v3, 0x32a5705f, v4
	v_add_f32_e32 v3, v7, v3
	v_exp_f32_e32 v3, v3
	v_cvt_i32_f32_e32 v6, v6
	s_mov_b32 s0, 0xc2ce8ed0
	v_cmp_ngt_f32_e32 vcc, s0, v4
	s_mov_b32 s0, 0x42b17218
	v_ldexp_f32 v3, v3, v6
	v_cndmask_b32_e32 v3, 0, v3, vcc
	v_mov_b32_e32 v6, 0x7f800000
	v_cmp_nlt_f32_e32 vcc, s0, v4
	v_cndmask_b32_e32 v3, v6, v3, vcc
	v_fma_f32 v2, -v2, v3, v5
	global_store_dword v[0:1], v2, off offset:1920
.LBB247_50:
	s_endpgm
.LBB247_51:
	s_waitcnt vmcnt(0)
	v_mul_f32_e32 v3, 0x3fb8aa3b, v37
	s_mov_b32 s28, 0x3fb8aa3b
	v_rndne_f32_e32 v6, v3
	v_sub_f32_e32 v7, v3, v6
	v_fma_f32 v3, v37, s28, -v3
	v_fmac_f32_e32 v3, 0x32a5705f, v37
	v_add_f32_e32 v3, v7, v3
	v_exp_f32_e32 v3, v3
	v_cvt_i32_f32_e32 v6, v6
	s_mov_b32 s28, 0xc2ce8ed0
	v_cmp_ngt_f32_e64 s[28:29], s28, v37
	v_ldexp_f32 v3, v3, v6
	v_cndmask_b32_e64 v3, 0, v3, s[28:29]
	s_mov_b32 s28, 0x42b17218
	v_mov_b32_e32 v6, 0x7f800000
	v_cmp_nlt_f32_e64 s[28:29], s28, v37
	v_cndmask_b32_e64 v3, v6, v3, s[28:29]
	v_fma_f32 v3, -v2, v3, v36
	global_store_dword v[0:1], v3, off
	s_or_b64 exec, exec, s[30:31]
	s_and_saveexec_b64 s[28:29], s[26:27]
	s_cbranch_execz .LBB247_35
.LBB247_52:
	s_waitcnt vmcnt(0)
	v_mul_f32_e32 v3, 0x3fb8aa3b, v35
	s_mov_b32 s26, 0x3fb8aa3b
	v_rndne_f32_e32 v6, v3
	v_sub_f32_e32 v7, v3, v6
	v_fma_f32 v3, v35, s26, -v3
	v_fmac_f32_e32 v3, 0x32a5705f, v35
	v_add_f32_e32 v3, v7, v3
	v_exp_f32_e32 v3, v3
	v_cvt_i32_f32_e32 v6, v6
	s_mov_b32 s26, 0xc2ce8ed0
	v_cmp_ngt_f32_e64 s[26:27], s26, v35
	v_ldexp_f32 v3, v3, v6
	v_cndmask_b32_e64 v3, 0, v3, s[26:27]
	s_mov_b32 s26, 0x42b17218
	v_mov_b32_e32 v6, 0x7f800000
	v_cmp_nlt_f32_e64 s[26:27], s26, v35
	v_cndmask_b32_e64 v3, v6, v3, s[26:27]
	v_fma_f32 v3, -v2, v3, v31
	global_store_dword v[0:1], v3, off offset:128
	s_or_b64 exec, exec, s[28:29]
	s_and_saveexec_b64 s[26:27], s[24:25]
	s_cbranch_execz .LBB247_36
.LBB247_53:
	s_waitcnt vmcnt(0)
	v_mul_f32_e32 v3, 0x3fb8aa3b, v34
	s_mov_b32 s24, 0x3fb8aa3b
	v_rndne_f32_e32 v6, v3
	v_sub_f32_e32 v7, v3, v6
	v_fma_f32 v3, v34, s24, -v3
	v_fmac_f32_e32 v3, 0x32a5705f, v34
	v_add_f32_e32 v3, v7, v3
	v_exp_f32_e32 v3, v3
	v_cvt_i32_f32_e32 v6, v6
	s_mov_b32 s24, 0xc2ce8ed0
	v_cmp_ngt_f32_e64 s[24:25], s24, v34
	v_ldexp_f32 v3, v3, v6
	v_cndmask_b32_e64 v3, 0, v3, s[24:25]
	s_mov_b32 s24, 0x42b17218
	v_mov_b32_e32 v6, 0x7f800000
	v_cmp_nlt_f32_e64 s[24:25], s24, v34
	v_cndmask_b32_e64 v3, v6, v3, s[24:25]
	v_fma_f32 v3, -v2, v3, v33
	global_store_dword v[0:1], v3, off offset:256
	s_or_b64 exec, exec, s[26:27]
	s_and_saveexec_b64 s[24:25], s[22:23]
	s_cbranch_execz .LBB247_37
.LBB247_54:
	s_waitcnt vmcnt(0)
	v_mul_f32_e32 v3, 0x3fb8aa3b, v32
	s_mov_b32 s22, 0x3fb8aa3b
	v_rndne_f32_e32 v6, v3
	v_sub_f32_e32 v7, v3, v6
	v_fma_f32 v3, v32, s22, -v3
	v_fmac_f32_e32 v3, 0x32a5705f, v32
	v_add_f32_e32 v3, v7, v3
	v_exp_f32_e32 v3, v3
	v_cvt_i32_f32_e32 v6, v6
	s_mov_b32 s22, 0xc2ce8ed0
	v_cmp_ngt_f32_e64 s[22:23], s22, v32
	v_ldexp_f32 v3, v3, v6
	v_cndmask_b32_e64 v3, 0, v3, s[22:23]
	s_mov_b32 s22, 0x42b17218
	v_mov_b32_e32 v6, 0x7f800000
	v_cmp_nlt_f32_e64 s[22:23], s22, v32
	v_cndmask_b32_e64 v3, v6, v3, s[22:23]
	v_fma_f32 v3, -v2, v3, v27
	global_store_dword v[0:1], v3, off offset:384
	s_or_b64 exec, exec, s[24:25]
	s_and_saveexec_b64 s[22:23], s[20:21]
	s_cbranch_execz .LBB247_38
.LBB247_55:
	s_waitcnt vmcnt(0)
	v_mul_f32_e32 v3, 0x3fb8aa3b, v30
	s_mov_b32 s20, 0x3fb8aa3b
	v_rndne_f32_e32 v6, v3
	v_sub_f32_e32 v7, v3, v6
	v_fma_f32 v3, v30, s20, -v3
	v_fmac_f32_e32 v3, 0x32a5705f, v30
	v_add_f32_e32 v3, v7, v3
	v_exp_f32_e32 v3, v3
	v_cvt_i32_f32_e32 v6, v6
	s_mov_b32 s20, 0xc2ce8ed0
	v_cmp_ngt_f32_e64 s[20:21], s20, v30
	v_ldexp_f32 v3, v3, v6
	v_cndmask_b32_e64 v3, 0, v3, s[20:21]
	s_mov_b32 s20, 0x42b17218
	v_mov_b32_e32 v6, 0x7f800000
	v_cmp_nlt_f32_e64 s[20:21], s20, v30
	v_cndmask_b32_e64 v3, v6, v3, s[20:21]
	v_fma_f32 v3, -v2, v3, v29
	global_store_dword v[0:1], v3, off offset:512
	s_or_b64 exec, exec, s[22:23]
	s_and_saveexec_b64 s[20:21], s[18:19]
	s_cbranch_execz .LBB247_39
.LBB247_56:
	s_waitcnt vmcnt(0)
	v_mul_f32_e32 v3, 0x3fb8aa3b, v28
	s_mov_b32 s18, 0x3fb8aa3b
	v_rndne_f32_e32 v6, v3
	v_sub_f32_e32 v7, v3, v6
	v_fma_f32 v3, v28, s18, -v3
	v_fmac_f32_e32 v3, 0x32a5705f, v28
	v_add_f32_e32 v3, v7, v3
	v_exp_f32_e32 v3, v3
	v_cvt_i32_f32_e32 v6, v6
	s_mov_b32 s18, 0xc2ce8ed0
	v_cmp_ngt_f32_e64 s[18:19], s18, v28
	v_ldexp_f32 v3, v3, v6
	v_cndmask_b32_e64 v3, 0, v3, s[18:19]
	s_mov_b32 s18, 0x42b17218
	v_mov_b32_e32 v6, 0x7f800000
	v_cmp_nlt_f32_e64 s[18:19], s18, v28
	v_cndmask_b32_e64 v3, v6, v3, s[18:19]
	v_fma_f32 v3, -v2, v3, v23
	global_store_dword v[0:1], v3, off offset:640
	s_or_b64 exec, exec, s[20:21]
	s_and_saveexec_b64 s[18:19], s[16:17]
	s_cbranch_execz .LBB247_40
.LBB247_57:
	s_waitcnt vmcnt(0)
	v_mul_f32_e32 v3, 0x3fb8aa3b, v26
	s_mov_b32 s16, 0x3fb8aa3b
	v_rndne_f32_e32 v6, v3
	v_sub_f32_e32 v7, v3, v6
	v_fma_f32 v3, v26, s16, -v3
	v_fmac_f32_e32 v3, 0x32a5705f, v26
	v_add_f32_e32 v3, v7, v3
	v_exp_f32_e32 v3, v3
	v_cvt_i32_f32_e32 v6, v6
	s_mov_b32 s16, 0xc2ce8ed0
	v_cmp_ngt_f32_e64 s[16:17], s16, v26
	v_ldexp_f32 v3, v3, v6
	v_cndmask_b32_e64 v3, 0, v3, s[16:17]
	s_mov_b32 s16, 0x42b17218
	v_mov_b32_e32 v6, 0x7f800000
	v_cmp_nlt_f32_e64 s[16:17], s16, v26
	v_cndmask_b32_e64 v3, v6, v3, s[16:17]
	v_fma_f32 v3, -v2, v3, v25
	global_store_dword v[0:1], v3, off offset:768
	s_or_b64 exec, exec, s[18:19]
	s_and_saveexec_b64 s[16:17], s[14:15]
	s_cbranch_execz .LBB247_41
.LBB247_58:
	s_waitcnt vmcnt(0)
	v_mul_f32_e32 v3, 0x3fb8aa3b, v24
	s_mov_b32 s14, 0x3fb8aa3b
	v_rndne_f32_e32 v6, v3
	v_sub_f32_e32 v7, v3, v6
	v_fma_f32 v3, v24, s14, -v3
	v_fmac_f32_e32 v3, 0x32a5705f, v24
	v_add_f32_e32 v3, v7, v3
	v_exp_f32_e32 v3, v3
	v_cvt_i32_f32_e32 v6, v6
	s_mov_b32 s14, 0xc2ce8ed0
	v_cmp_ngt_f32_e64 s[14:15], s14, v24
	v_ldexp_f32 v3, v3, v6
	v_cndmask_b32_e64 v3, 0, v3, s[14:15]
	s_mov_b32 s14, 0x42b17218
	v_mov_b32_e32 v6, 0x7f800000
	v_cmp_nlt_f32_e64 s[14:15], s14, v24
	v_cndmask_b32_e64 v3, v6, v3, s[14:15]
	v_fma_f32 v3, -v2, v3, v19
	global_store_dword v[0:1], v3, off offset:896
	s_or_b64 exec, exec, s[16:17]
	s_and_saveexec_b64 s[14:15], s[12:13]
	s_cbranch_execz .LBB247_42
.LBB247_59:
	s_waitcnt vmcnt(0)
	v_mul_f32_e32 v3, 0x3fb8aa3b, v22
	s_mov_b32 s12, 0x3fb8aa3b
	v_rndne_f32_e32 v6, v3
	v_sub_f32_e32 v7, v3, v6
	v_fma_f32 v3, v22, s12, -v3
	v_fmac_f32_e32 v3, 0x32a5705f, v22
	v_add_f32_e32 v3, v7, v3
	v_exp_f32_e32 v3, v3
	v_cvt_i32_f32_e32 v6, v6
	s_mov_b32 s12, 0xc2ce8ed0
	v_cmp_ngt_f32_e64 s[12:13], s12, v22
	v_ldexp_f32 v3, v3, v6
	v_cndmask_b32_e64 v3, 0, v3, s[12:13]
	s_mov_b32 s12, 0x42b17218
	v_mov_b32_e32 v6, 0x7f800000
	v_cmp_nlt_f32_e64 s[12:13], s12, v22
	v_cndmask_b32_e64 v3, v6, v3, s[12:13]
	v_fma_f32 v3, -v2, v3, v21
	global_store_dword v[0:1], v3, off offset:1024
	s_or_b64 exec, exec, s[14:15]
	s_and_saveexec_b64 s[12:13], s[10:11]
	s_cbranch_execz .LBB247_43
.LBB247_60:
	s_waitcnt vmcnt(0)
	v_mul_f32_e32 v3, 0x3fb8aa3b, v20
	s_mov_b32 s10, 0x3fb8aa3b
	v_rndne_f32_e32 v6, v3
	v_sub_f32_e32 v7, v3, v6
	v_fma_f32 v3, v20, s10, -v3
	v_fmac_f32_e32 v3, 0x32a5705f, v20
	v_add_f32_e32 v3, v7, v3
	v_exp_f32_e32 v3, v3
	v_cvt_i32_f32_e32 v6, v6
	s_mov_b32 s10, 0xc2ce8ed0
	v_cmp_ngt_f32_e64 s[10:11], s10, v20
	v_ldexp_f32 v3, v3, v6
	v_cndmask_b32_e64 v3, 0, v3, s[10:11]
	s_mov_b32 s10, 0x42b17218
	v_mov_b32_e32 v6, 0x7f800000
	v_cmp_nlt_f32_e64 s[10:11], s10, v20
	v_cndmask_b32_e64 v3, v6, v3, s[10:11]
	v_fma_f32 v3, -v2, v3, v15
	global_store_dword v[0:1], v3, off offset:1152
	s_or_b64 exec, exec, s[12:13]
	s_and_saveexec_b64 s[10:11], s[8:9]
	s_cbranch_execz .LBB247_44
.LBB247_61:
	s_waitcnt vmcnt(0)
	v_mul_f32_e32 v3, 0x3fb8aa3b, v18
	s_mov_b32 s8, 0x3fb8aa3b
	v_rndne_f32_e32 v6, v3
	v_sub_f32_e32 v7, v3, v6
	v_fma_f32 v3, v18, s8, -v3
	v_fmac_f32_e32 v3, 0x32a5705f, v18
	v_add_f32_e32 v3, v7, v3
	v_exp_f32_e32 v3, v3
	v_cvt_i32_f32_e32 v6, v6
	s_mov_b32 s8, 0xc2ce8ed0
	v_cmp_ngt_f32_e64 s[8:9], s8, v18
	v_ldexp_f32 v3, v3, v6
	v_cndmask_b32_e64 v3, 0, v3, s[8:9]
	s_mov_b32 s8, 0x42b17218
	v_mov_b32_e32 v6, 0x7f800000
	v_cmp_nlt_f32_e64 s[8:9], s8, v18
	v_cndmask_b32_e64 v3, v6, v3, s[8:9]
	v_fma_f32 v3, -v2, v3, v17
	global_store_dword v[0:1], v3, off offset:1280
	s_or_b64 exec, exec, s[10:11]
	s_and_saveexec_b64 s[8:9], s[6:7]
	s_cbranch_execz .LBB247_45
.LBB247_62:
	s_waitcnt vmcnt(0)
	v_mul_f32_e32 v3, 0x3fb8aa3b, v16
	s_mov_b32 s6, 0x3fb8aa3b
	v_rndne_f32_e32 v6, v3
	v_sub_f32_e32 v7, v3, v6
	v_fma_f32 v3, v16, s6, -v3
	v_fmac_f32_e32 v3, 0x32a5705f, v16
	v_add_f32_e32 v3, v7, v3
	v_exp_f32_e32 v3, v3
	v_cvt_i32_f32_e32 v6, v6
	s_mov_b32 s6, 0xc2ce8ed0
	v_cmp_ngt_f32_e64 s[6:7], s6, v16
	v_ldexp_f32 v3, v3, v6
	v_cndmask_b32_e64 v3, 0, v3, s[6:7]
	s_mov_b32 s6, 0x42b17218
	v_mov_b32_e32 v6, 0x7f800000
	v_cmp_nlt_f32_e64 s[6:7], s6, v16
	v_cndmask_b32_e64 v3, v6, v3, s[6:7]
	v_fma_f32 v3, -v2, v3, v11
	global_store_dword v[0:1], v3, off offset:1408
	s_or_b64 exec, exec, s[8:9]
	s_and_saveexec_b64 s[6:7], s[4:5]
	s_cbranch_execz .LBB247_46
.LBB247_63:
	s_waitcnt vmcnt(0)
	v_mul_f32_e32 v3, 0x3fb8aa3b, v14
	s_mov_b32 s4, 0x3fb8aa3b
	v_rndne_f32_e32 v6, v3
	v_sub_f32_e32 v7, v3, v6
	v_fma_f32 v3, v14, s4, -v3
	v_fmac_f32_e32 v3, 0x32a5705f, v14
	v_add_f32_e32 v3, v7, v3
	v_exp_f32_e32 v3, v3
	v_cvt_i32_f32_e32 v6, v6
	s_mov_b32 s4, 0xc2ce8ed0
	v_cmp_ngt_f32_e64 s[4:5], s4, v14
	v_ldexp_f32 v3, v3, v6
	v_cndmask_b32_e64 v3, 0, v3, s[4:5]
	s_mov_b32 s4, 0x42b17218
	v_mov_b32_e32 v6, 0x7f800000
	v_cmp_nlt_f32_e64 s[4:5], s4, v14
	v_cndmask_b32_e64 v3, v6, v3, s[4:5]
	v_fma_f32 v3, -v2, v3, v13
	global_store_dword v[0:1], v3, off offset:1536
	s_or_b64 exec, exec, s[6:7]
	s_and_saveexec_b64 s[4:5], s[2:3]
	s_cbranch_execz .LBB247_47
.LBB247_64:
	s_waitcnt vmcnt(0)
	v_mul_f32_e32 v3, 0x3fb8aa3b, v12
	s_mov_b32 s2, 0x3fb8aa3b
	v_rndne_f32_e32 v6, v3
	v_sub_f32_e32 v7, v3, v6
	v_fma_f32 v3, v12, s2, -v3
	v_fmac_f32_e32 v3, 0x32a5705f, v12
	v_add_f32_e32 v3, v7, v3
	v_exp_f32_e32 v3, v3
	v_cvt_i32_f32_e32 v6, v6
	s_mov_b32 s2, 0xc2ce8ed0
	v_cmp_ngt_f32_e64 s[2:3], s2, v12
	v_ldexp_f32 v3, v3, v6
	v_cndmask_b32_e64 v3, 0, v3, s[2:3]
	s_mov_b32 s2, 0x42b17218
	v_mov_b32_e32 v6, 0x7f800000
	v_cmp_nlt_f32_e64 s[2:3], s2, v12
	v_cndmask_b32_e64 v3, v6, v3, s[2:3]
	v_fma_f32 v3, -v2, v3, v8
	global_store_dword v[0:1], v3, off offset:1664
	s_or_b64 exec, exec, s[4:5]
	s_and_saveexec_b64 s[2:3], s[0:1]
	s_cbranch_execz .LBB247_48
.LBB247_65:
	s_waitcnt vmcnt(0)
	v_mul_f32_e32 v3, 0x3fb8aa3b, v10
	s_mov_b32 s0, 0x3fb8aa3b
	v_rndne_f32_e32 v6, v3
	v_sub_f32_e32 v7, v3, v6
	v_fma_f32 v3, v10, s0, -v3
	v_fmac_f32_e32 v3, 0x32a5705f, v10
	v_add_f32_e32 v3, v7, v3
	v_exp_f32_e32 v3, v3
	v_cvt_i32_f32_e32 v6, v6
	s_mov_b32 s0, 0xc2ce8ed0
	v_cmp_ngt_f32_e64 s[0:1], s0, v10
	v_ldexp_f32 v3, v3, v6
	v_cndmask_b32_e64 v3, 0, v3, s[0:1]
	s_mov_b32 s0, 0x42b17218
	v_mov_b32_e32 v6, 0x7f800000
	v_cmp_nlt_f32_e64 s[0:1], s0, v10
	v_cndmask_b32_e64 v3, v6, v3, s[0:1]
	v_fma_f32 v3, -v2, v3, v9
	global_store_dword v[0:1], v3, off offset:1792
	s_or_b64 exec, exec, s[2:3]
	s_and_b64 exec, exec, vcc
	s_cbranch_execnz .LBB247_49
	s_branch .LBB247_50
	.section	.rodata,"a",@progbits
	.p2align	6, 0x0
	.amdhsa_kernel _ZN12_GLOBAL__N_121softmax_warp_backwardIfffLi9ELb1ELb0ELi32EEEvPT0_PKT_S5_iiiPKb
		.amdhsa_group_segment_fixed_size 0
		.amdhsa_private_segment_fixed_size 0
		.amdhsa_kernarg_size 304
		.amdhsa_user_sgpr_count 6
		.amdhsa_user_sgpr_private_segment_buffer 1
		.amdhsa_user_sgpr_dispatch_ptr 0
		.amdhsa_user_sgpr_queue_ptr 0
		.amdhsa_user_sgpr_kernarg_segment_ptr 1
		.amdhsa_user_sgpr_dispatch_id 0
		.amdhsa_user_sgpr_flat_scratch_init 0
		.amdhsa_user_sgpr_kernarg_preload_length 0
		.amdhsa_user_sgpr_kernarg_preload_offset 0
		.amdhsa_user_sgpr_private_segment_size 0
		.amdhsa_uses_dynamic_stack 0
		.amdhsa_system_sgpr_private_segment_wavefront_offset 0
		.amdhsa_system_sgpr_workgroup_id_x 1
		.amdhsa_system_sgpr_workgroup_id_y 0
		.amdhsa_system_sgpr_workgroup_id_z 0
		.amdhsa_system_sgpr_workgroup_info 0
		.amdhsa_system_vgpr_workitem_id 1
		.amdhsa_next_free_vgpr 39
		.amdhsa_next_free_sgpr 44
		.amdhsa_accum_offset 40
		.amdhsa_reserve_vcc 1
		.amdhsa_reserve_flat_scratch 0
		.amdhsa_float_round_mode_32 0
		.amdhsa_float_round_mode_16_64 0
		.amdhsa_float_denorm_mode_32 3
		.amdhsa_float_denorm_mode_16_64 3
		.amdhsa_dx10_clamp 1
		.amdhsa_ieee_mode 1
		.amdhsa_fp16_overflow 0
		.amdhsa_tg_split 0
		.amdhsa_exception_fp_ieee_invalid_op 0
		.amdhsa_exception_fp_denorm_src 0
		.amdhsa_exception_fp_ieee_div_zero 0
		.amdhsa_exception_fp_ieee_overflow 0
		.amdhsa_exception_fp_ieee_underflow 0
		.amdhsa_exception_fp_ieee_inexact 0
		.amdhsa_exception_int_div_zero 0
	.end_amdhsa_kernel
	.section	.text._ZN12_GLOBAL__N_121softmax_warp_backwardIfffLi9ELb1ELb0ELi32EEEvPT0_PKT_S5_iiiPKb,"axG",@progbits,_ZN12_GLOBAL__N_121softmax_warp_backwardIfffLi9ELb1ELb0ELi32EEEvPT0_PKT_S5_iiiPKb,comdat
.Lfunc_end247:
	.size	_ZN12_GLOBAL__N_121softmax_warp_backwardIfffLi9ELb1ELb0ELi32EEEvPT0_PKT_S5_iiiPKb, .Lfunc_end247-_ZN12_GLOBAL__N_121softmax_warp_backwardIfffLi9ELb1ELb0ELi32EEEvPT0_PKT_S5_iiiPKb
                                        ; -- End function
	.section	.AMDGPU.csdata,"",@progbits
; Kernel info:
; codeLenInByte = 3860
; NumSgprs: 48
; NumVgprs: 39
; NumAgprs: 0
; TotalNumVgprs: 39
; ScratchSize: 0
; MemoryBound: 0
; FloatMode: 240
; IeeeMode: 1
; LDSByteSize: 0 bytes/workgroup (compile time only)
; SGPRBlocks: 5
; VGPRBlocks: 4
; NumSGPRsForWavesPerEU: 48
; NumVGPRsForWavesPerEU: 39
; AccumOffset: 40
; Occupancy: 8
; WaveLimiterHint : 0
; COMPUTE_PGM_RSRC2:SCRATCH_EN: 0
; COMPUTE_PGM_RSRC2:USER_SGPR: 6
; COMPUTE_PGM_RSRC2:TRAP_HANDLER: 0
; COMPUTE_PGM_RSRC2:TGID_X_EN: 1
; COMPUTE_PGM_RSRC2:TGID_Y_EN: 0
; COMPUTE_PGM_RSRC2:TGID_Z_EN: 0
; COMPUTE_PGM_RSRC2:TIDIG_COMP_CNT: 1
; COMPUTE_PGM_RSRC3_GFX90A:ACCUM_OFFSET: 9
; COMPUTE_PGM_RSRC3_GFX90A:TG_SPLIT: 0
	.section	.text._ZN12_GLOBAL__N_121softmax_warp_backwardIfffLi10ELb1ELb0ELi64EEEvPT0_PKT_S5_iiiPKb,"axG",@progbits,_ZN12_GLOBAL__N_121softmax_warp_backwardIfffLi10ELb1ELb0ELi64EEEvPT0_PKT_S5_iiiPKb,comdat
	.globl	_ZN12_GLOBAL__N_121softmax_warp_backwardIfffLi10ELb1ELb0ELi64EEEvPT0_PKT_S5_iiiPKb ; -- Begin function _ZN12_GLOBAL__N_121softmax_warp_backwardIfffLi10ELb1ELb0ELi64EEEvPT0_PKT_S5_iiiPKb
	.p2align	8
	.type	_ZN12_GLOBAL__N_121softmax_warp_backwardIfffLi10ELb1ELb0ELi64EEEvPT0_PKT_S5_iiiPKb,@function
_ZN12_GLOBAL__N_121softmax_warp_backwardIfffLi10ELb1ELb0ELi64EEEvPT0_PKT_S5_iiiPKb: ; @_ZN12_GLOBAL__N_121softmax_warp_backwardIfffLi10ELb1ELb0ELi64EEEvPT0_PKT_S5_iiiPKb
; %bb.0:
	s_load_dword s2, s[4:5], 0x3c
	s_load_dwordx4 s[40:43], s[4:5], 0x18
	s_load_dwordx4 s[36:39], s[4:5], 0x0
	s_load_dwordx2 s[0:1], s[4:5], 0x10
	v_bfe_u32 v1, v0, 10, 10
	s_waitcnt lgkmcnt(0)
	s_lshr_b32 s2, s2, 16
	s_mul_i32 s6, s6, s2
	v_and_b32_e32 v8, 0x3ff, v0
	v_add_u32_e32 v1, s6, v1
	v_and_b32_e32 v6, 63, v8
	v_sub_u32_e32 v38, s40, v1
	v_mad_u64_u32 v[0:1], s[2:3], v1, s41, v[6:7]
	v_ashrrev_i32_e32 v1, 31, v0
	v_lshlrev_b64 v[0:1], 2, v[0:1]
	v_mov_b32_e32 v3, s39
	v_add_co_u32_e32 v2, vcc, s38, v0
	v_addc_co_u32_e32 v3, vcc, v3, v1, vcc
	v_mov_b32_e32 v5, s1
	v_add_co_u32_e32 v4, vcc, s0, v0
	v_cmp_lt_i32_e64 s[30:31], 0, v38
	v_cmp_gt_i32_e64 s[28:29], s42, v6
	v_addc_co_u32_e32 v5, vcc, v5, v1, vcc
	s_and_b64 s[2:3], s[30:31], s[28:29]
	v_mov_b32_e32 v31, 0
	v_mov_b32_e32 v36, 0
	;; [unrolled: 1-line block ×3, first 2 shown]
	s_and_saveexec_b64 s[0:1], s[2:3]
	s_cbranch_execz .LBB248_2
; %bb.1:
	global_load_dword v36, v[2:3], off
	global_load_dword v37, v[4:5], off
.LBB248_2:
	s_or_b64 exec, exec, s[0:1]
	v_or_b32_e32 v7, 64, v6
	v_cmp_gt_i32_e64 s[26:27], s42, v7
	s_and_b64 s[2:3], s[30:31], s[26:27]
	v_mov_b32_e32 v35, 0
	s_and_saveexec_b64 s[0:1], s[2:3]
	s_cbranch_execz .LBB248_4
; %bb.3:
	global_load_dword v31, v[2:3], off offset:256
	global_load_dword v35, v[4:5], off offset:256
.LBB248_4:
	s_or_b64 exec, exec, s[0:1]
	v_or_b32_e32 v7, 0x80, v6
	v_cmp_gt_i32_e64 s[24:25], s42, v7
	s_and_b64 s[2:3], s[30:31], s[24:25]
	v_mov_b32_e32 v27, 0
	v_mov_b32_e32 v33, 0
	v_mov_b32_e32 v34, 0
	s_and_saveexec_b64 s[0:1], s[2:3]
	s_cbranch_execz .LBB248_6
; %bb.5:
	global_load_dword v33, v[2:3], off offset:512
	global_load_dword v34, v[4:5], off offset:512
.LBB248_6:
	s_or_b64 exec, exec, s[0:1]
	v_or_b32_e32 v7, 0xc0, v6
	v_cmp_gt_i32_e64 s[22:23], s42, v7
	s_and_b64 s[2:3], s[30:31], s[22:23]
	v_mov_b32_e32 v32, 0
	s_and_saveexec_b64 s[0:1], s[2:3]
	s_cbranch_execz .LBB248_8
; %bb.7:
	global_load_dword v27, v[2:3], off offset:768
	global_load_dword v32, v[4:5], off offset:768
.LBB248_8:
	s_or_b64 exec, exec, s[0:1]
	v_or_b32_e32 v7, 0x100, v6
	v_cmp_gt_i32_e64 s[20:21], s42, v7
	s_and_b64 s[2:3], s[30:31], s[20:21]
	v_mov_b32_e32 v23, 0
	v_mov_b32_e32 v29, 0
	v_mov_b32_e32 v30, 0
	s_and_saveexec_b64 s[0:1], s[2:3]
	s_cbranch_execz .LBB248_10
; %bb.9:
	global_load_dword v29, v[2:3], off offset:1024
	global_load_dword v30, v[4:5], off offset:1024
.LBB248_10:
	;; [unrolled: 24-line block ×7, first 2 shown]
	s_or_b64 exec, exec, s[34:35]
	v_or_b32_e32 v8, 0x3c0, v8
	v_cmp_gt_i32_e32 vcc, s42, v8
	s_and_b64 s[34:35], s[30:31], vcc
	v_mov_b32_e32 v8, 0
	s_and_saveexec_b64 s[30:31], s[34:35]
	s_cbranch_execz .LBB248_32
; %bb.31:
	global_load_dword v6, v[2:3], off offset:3840
	global_load_dword v8, v[4:5], off offset:3840
.LBB248_32:
	s_or_b64 exec, exec, s[30:31]
	s_waitcnt vmcnt(1)
	v_add_f32_e32 v2, 0, v36
	v_add_f32_e32 v2, v2, v31
	;; [unrolled: 1-line block ×10, first 2 shown]
	v_mbcnt_lo_u32_b32 v3, -1, 0
	v_add_f32_e32 v2, v2, v17
	v_mbcnt_hi_u32_b32 v3, -1, v3
	v_add_f32_e32 v2, v2, v11
	v_and_b32_e32 v4, 64, v3
	v_add_f32_e32 v2, v2, v13
	v_add_u32_e32 v4, 64, v4
	v_xor_b32_e32 v5, 32, v3
	v_add_f32_e32 v2, v2, v7
	v_cmp_lt_i32_e64 s[30:31], v5, v4
	v_add_f32_e32 v2, v2, v9
	v_cndmask_b32_e64 v5, v3, v5, s[30:31]
	v_add_f32_e32 v2, v2, v6
	v_lshlrev_b32_e32 v5, 2, v5
	ds_bpermute_b32 v5, v5, v2
	s_waitcnt lgkmcnt(0)
	v_add_f32_e32 v2, v2, v5
	v_xor_b32_e32 v5, 16, v3
	v_cmp_lt_i32_e64 s[30:31], v5, v4
	v_cndmask_b32_e64 v5, v3, v5, s[30:31]
	v_lshlrev_b32_e32 v5, 2, v5
	ds_bpermute_b32 v5, v5, v2
	s_waitcnt lgkmcnt(0)
	v_add_f32_e32 v2, v2, v5
	v_xor_b32_e32 v5, 8, v3
	v_cmp_lt_i32_e64 s[30:31], v5, v4
	v_cndmask_b32_e64 v5, v3, v5, s[30:31]
	;; [unrolled: 7-line block ×5, first 2 shown]
	v_lshlrev_b32_e32 v3, 2, v3
	ds_bpermute_b32 v3, v3, v2
	v_cmp_lt_i32_e64 s[30:31], 0, v38
	s_and_saveexec_b64 s[34:35], s[30:31]
	s_cbranch_execz .LBB248_50
; %bb.33:
	v_mov_b32_e32 v4, s37
	v_add_co_u32_e64 v0, s[30:31], s36, v0
	v_addc_co_u32_e64 v1, s[30:31], v4, v1, s[30:31]
	s_waitcnt lgkmcnt(0)
	v_add_f32_e32 v2, v2, v3
	s_and_saveexec_b64 s[30:31], s[28:29]
	s_cbranch_execnz .LBB248_51
; %bb.34:
	s_or_b64 exec, exec, s[30:31]
	s_and_saveexec_b64 s[28:29], s[26:27]
	s_cbranch_execnz .LBB248_52
.LBB248_35:
	s_or_b64 exec, exec, s[28:29]
	s_and_saveexec_b64 s[26:27], s[24:25]
	s_cbranch_execnz .LBB248_53
.LBB248_36:
	s_or_b64 exec, exec, s[26:27]
	s_and_saveexec_b64 s[24:25], s[22:23]
	s_cbranch_execnz .LBB248_54
.LBB248_37:
	s_or_b64 exec, exec, s[24:25]
	s_and_saveexec_b64 s[22:23], s[20:21]
	s_cbranch_execnz .LBB248_55
.LBB248_38:
	s_or_b64 exec, exec, s[22:23]
	s_and_saveexec_b64 s[20:21], s[18:19]
	s_cbranch_execnz .LBB248_56
.LBB248_39:
	s_or_b64 exec, exec, s[20:21]
	s_and_saveexec_b64 s[18:19], s[16:17]
	s_cbranch_execnz .LBB248_57
.LBB248_40:
	s_or_b64 exec, exec, s[18:19]
	s_and_saveexec_b64 s[16:17], s[14:15]
	s_cbranch_execnz .LBB248_58
.LBB248_41:
	s_or_b64 exec, exec, s[16:17]
	s_and_saveexec_b64 s[14:15], s[12:13]
	s_cbranch_execnz .LBB248_59
.LBB248_42:
	s_or_b64 exec, exec, s[14:15]
	s_and_saveexec_b64 s[12:13], s[10:11]
	s_cbranch_execnz .LBB248_60
.LBB248_43:
	s_or_b64 exec, exec, s[12:13]
	s_and_saveexec_b64 s[10:11], s[8:9]
	s_cbranch_execnz .LBB248_61
.LBB248_44:
	s_or_b64 exec, exec, s[10:11]
	s_and_saveexec_b64 s[8:9], s[6:7]
	s_cbranch_execnz .LBB248_62
.LBB248_45:
	s_or_b64 exec, exec, s[8:9]
	s_and_saveexec_b64 s[6:7], s[4:5]
	s_cbranch_execnz .LBB248_63
.LBB248_46:
	s_or_b64 exec, exec, s[6:7]
	s_and_saveexec_b64 s[4:5], s[2:3]
	s_cbranch_execnz .LBB248_64
.LBB248_47:
	s_or_b64 exec, exec, s[4:5]
	s_and_saveexec_b64 s[2:3], s[0:1]
	s_cbranch_execnz .LBB248_65
.LBB248_48:
	s_or_b64 exec, exec, s[2:3]
	s_and_b64 exec, exec, vcc
	s_cbranch_execz .LBB248_50
.LBB248_49:
	s_waitcnt vmcnt(0)
	v_mul_f32_e32 v3, 0x3fb8aa3b, v8
	s_mov_b32 s0, 0x3fb8aa3b
	v_rndne_f32_e32 v4, v3
	v_sub_f32_e32 v5, v3, v4
	v_fma_f32 v3, v8, s0, -v3
	v_fmac_f32_e32 v3, 0x32a5705f, v8
	v_add_f32_e32 v3, v5, v3
	v_exp_f32_e32 v3, v3
	v_cvt_i32_f32_e32 v4, v4
	s_mov_b32 s0, 0xc2ce8ed0
	v_cmp_ngt_f32_e32 vcc, s0, v8
	s_mov_b32 s0, 0x42b17218
	v_ldexp_f32 v3, v3, v4
	v_cndmask_b32_e32 v3, 0, v3, vcc
	v_mov_b32_e32 v4, 0x7f800000
	v_cmp_nlt_f32_e32 vcc, s0, v8
	v_cndmask_b32_e32 v3, v4, v3, vcc
	v_fma_f32 v2, -v2, v3, v6
	global_store_dword v[0:1], v2, off offset:3840
.LBB248_50:
	s_endpgm
.LBB248_51:
	s_waitcnt vmcnt(0)
	v_mul_f32_e32 v3, 0x3fb8aa3b, v37
	s_mov_b32 s28, 0x3fb8aa3b
	v_rndne_f32_e32 v4, v3
	v_sub_f32_e32 v5, v3, v4
	v_fma_f32 v3, v37, s28, -v3
	v_fmac_f32_e32 v3, 0x32a5705f, v37
	v_add_f32_e32 v3, v5, v3
	v_exp_f32_e32 v3, v3
	v_cvt_i32_f32_e32 v4, v4
	s_mov_b32 s28, 0xc2ce8ed0
	v_cmp_ngt_f32_e64 s[28:29], s28, v37
	v_ldexp_f32 v3, v3, v4
	v_cndmask_b32_e64 v3, 0, v3, s[28:29]
	s_mov_b32 s28, 0x42b17218
	v_mov_b32_e32 v4, 0x7f800000
	v_cmp_nlt_f32_e64 s[28:29], s28, v37
	v_cndmask_b32_e64 v3, v4, v3, s[28:29]
	v_fma_f32 v3, -v2, v3, v36
	global_store_dword v[0:1], v3, off
	s_or_b64 exec, exec, s[30:31]
	s_and_saveexec_b64 s[28:29], s[26:27]
	s_cbranch_execz .LBB248_35
.LBB248_52:
	s_waitcnt vmcnt(0)
	v_mul_f32_e32 v3, 0x3fb8aa3b, v35
	s_mov_b32 s26, 0x3fb8aa3b
	v_rndne_f32_e32 v4, v3
	v_sub_f32_e32 v5, v3, v4
	v_fma_f32 v3, v35, s26, -v3
	v_fmac_f32_e32 v3, 0x32a5705f, v35
	v_add_f32_e32 v3, v5, v3
	v_exp_f32_e32 v3, v3
	v_cvt_i32_f32_e32 v4, v4
	s_mov_b32 s26, 0xc2ce8ed0
	v_cmp_ngt_f32_e64 s[26:27], s26, v35
	v_ldexp_f32 v3, v3, v4
	v_cndmask_b32_e64 v3, 0, v3, s[26:27]
	s_mov_b32 s26, 0x42b17218
	v_mov_b32_e32 v4, 0x7f800000
	v_cmp_nlt_f32_e64 s[26:27], s26, v35
	v_cndmask_b32_e64 v3, v4, v3, s[26:27]
	v_fma_f32 v3, -v2, v3, v31
	global_store_dword v[0:1], v3, off offset:256
	s_or_b64 exec, exec, s[28:29]
	s_and_saveexec_b64 s[26:27], s[24:25]
	s_cbranch_execz .LBB248_36
.LBB248_53:
	s_waitcnt vmcnt(0)
	v_mul_f32_e32 v3, 0x3fb8aa3b, v34
	s_mov_b32 s24, 0x3fb8aa3b
	v_rndne_f32_e32 v4, v3
	v_sub_f32_e32 v5, v3, v4
	v_fma_f32 v3, v34, s24, -v3
	v_fmac_f32_e32 v3, 0x32a5705f, v34
	v_add_f32_e32 v3, v5, v3
	v_exp_f32_e32 v3, v3
	v_cvt_i32_f32_e32 v4, v4
	s_mov_b32 s24, 0xc2ce8ed0
	v_cmp_ngt_f32_e64 s[24:25], s24, v34
	v_ldexp_f32 v3, v3, v4
	v_cndmask_b32_e64 v3, 0, v3, s[24:25]
	s_mov_b32 s24, 0x42b17218
	v_mov_b32_e32 v4, 0x7f800000
	v_cmp_nlt_f32_e64 s[24:25], s24, v34
	v_cndmask_b32_e64 v3, v4, v3, s[24:25]
	v_fma_f32 v3, -v2, v3, v33
	global_store_dword v[0:1], v3, off offset:512
	s_or_b64 exec, exec, s[26:27]
	s_and_saveexec_b64 s[24:25], s[22:23]
	s_cbranch_execz .LBB248_37
.LBB248_54:
	s_waitcnt vmcnt(0)
	v_mul_f32_e32 v3, 0x3fb8aa3b, v32
	s_mov_b32 s22, 0x3fb8aa3b
	v_rndne_f32_e32 v4, v3
	v_sub_f32_e32 v5, v3, v4
	v_fma_f32 v3, v32, s22, -v3
	v_fmac_f32_e32 v3, 0x32a5705f, v32
	v_add_f32_e32 v3, v5, v3
	v_exp_f32_e32 v3, v3
	v_cvt_i32_f32_e32 v4, v4
	s_mov_b32 s22, 0xc2ce8ed0
	v_cmp_ngt_f32_e64 s[22:23], s22, v32
	v_ldexp_f32 v3, v3, v4
	v_cndmask_b32_e64 v3, 0, v3, s[22:23]
	s_mov_b32 s22, 0x42b17218
	v_mov_b32_e32 v4, 0x7f800000
	v_cmp_nlt_f32_e64 s[22:23], s22, v32
	v_cndmask_b32_e64 v3, v4, v3, s[22:23]
	v_fma_f32 v3, -v2, v3, v27
	global_store_dword v[0:1], v3, off offset:768
	s_or_b64 exec, exec, s[24:25]
	s_and_saveexec_b64 s[22:23], s[20:21]
	s_cbranch_execz .LBB248_38
.LBB248_55:
	s_waitcnt vmcnt(0)
	v_mul_f32_e32 v3, 0x3fb8aa3b, v30
	s_mov_b32 s20, 0x3fb8aa3b
	v_rndne_f32_e32 v4, v3
	v_sub_f32_e32 v5, v3, v4
	v_fma_f32 v3, v30, s20, -v3
	v_fmac_f32_e32 v3, 0x32a5705f, v30
	v_add_f32_e32 v3, v5, v3
	v_exp_f32_e32 v3, v3
	v_cvt_i32_f32_e32 v4, v4
	s_mov_b32 s20, 0xc2ce8ed0
	v_cmp_ngt_f32_e64 s[20:21], s20, v30
	v_ldexp_f32 v3, v3, v4
	v_cndmask_b32_e64 v3, 0, v3, s[20:21]
	s_mov_b32 s20, 0x42b17218
	v_mov_b32_e32 v4, 0x7f800000
	v_cmp_nlt_f32_e64 s[20:21], s20, v30
	v_cndmask_b32_e64 v3, v4, v3, s[20:21]
	v_fma_f32 v3, -v2, v3, v29
	global_store_dword v[0:1], v3, off offset:1024
	s_or_b64 exec, exec, s[22:23]
	s_and_saveexec_b64 s[20:21], s[18:19]
	s_cbranch_execz .LBB248_39
.LBB248_56:
	s_waitcnt vmcnt(0)
	v_mul_f32_e32 v3, 0x3fb8aa3b, v28
	s_mov_b32 s18, 0x3fb8aa3b
	v_rndne_f32_e32 v4, v3
	v_sub_f32_e32 v5, v3, v4
	v_fma_f32 v3, v28, s18, -v3
	v_fmac_f32_e32 v3, 0x32a5705f, v28
	v_add_f32_e32 v3, v5, v3
	v_exp_f32_e32 v3, v3
	v_cvt_i32_f32_e32 v4, v4
	s_mov_b32 s18, 0xc2ce8ed0
	v_cmp_ngt_f32_e64 s[18:19], s18, v28
	v_ldexp_f32 v3, v3, v4
	v_cndmask_b32_e64 v3, 0, v3, s[18:19]
	s_mov_b32 s18, 0x42b17218
	v_mov_b32_e32 v4, 0x7f800000
	v_cmp_nlt_f32_e64 s[18:19], s18, v28
	v_cndmask_b32_e64 v3, v4, v3, s[18:19]
	v_fma_f32 v3, -v2, v3, v23
	global_store_dword v[0:1], v3, off offset:1280
	s_or_b64 exec, exec, s[20:21]
	s_and_saveexec_b64 s[18:19], s[16:17]
	s_cbranch_execz .LBB248_40
.LBB248_57:
	s_waitcnt vmcnt(0)
	v_mul_f32_e32 v3, 0x3fb8aa3b, v26
	s_mov_b32 s16, 0x3fb8aa3b
	v_rndne_f32_e32 v4, v3
	v_sub_f32_e32 v5, v3, v4
	v_fma_f32 v3, v26, s16, -v3
	v_fmac_f32_e32 v3, 0x32a5705f, v26
	v_add_f32_e32 v3, v5, v3
	v_exp_f32_e32 v3, v3
	v_cvt_i32_f32_e32 v4, v4
	s_mov_b32 s16, 0xc2ce8ed0
	v_cmp_ngt_f32_e64 s[16:17], s16, v26
	v_ldexp_f32 v3, v3, v4
	v_cndmask_b32_e64 v3, 0, v3, s[16:17]
	s_mov_b32 s16, 0x42b17218
	v_mov_b32_e32 v4, 0x7f800000
	v_cmp_nlt_f32_e64 s[16:17], s16, v26
	v_cndmask_b32_e64 v3, v4, v3, s[16:17]
	v_fma_f32 v3, -v2, v3, v25
	global_store_dword v[0:1], v3, off offset:1536
	s_or_b64 exec, exec, s[18:19]
	s_and_saveexec_b64 s[16:17], s[14:15]
	s_cbranch_execz .LBB248_41
.LBB248_58:
	s_waitcnt vmcnt(0)
	v_mul_f32_e32 v3, 0x3fb8aa3b, v24
	s_mov_b32 s14, 0x3fb8aa3b
	v_rndne_f32_e32 v4, v3
	v_sub_f32_e32 v5, v3, v4
	v_fma_f32 v3, v24, s14, -v3
	v_fmac_f32_e32 v3, 0x32a5705f, v24
	v_add_f32_e32 v3, v5, v3
	v_exp_f32_e32 v3, v3
	v_cvt_i32_f32_e32 v4, v4
	s_mov_b32 s14, 0xc2ce8ed0
	v_cmp_ngt_f32_e64 s[14:15], s14, v24
	v_ldexp_f32 v3, v3, v4
	v_cndmask_b32_e64 v3, 0, v3, s[14:15]
	s_mov_b32 s14, 0x42b17218
	v_mov_b32_e32 v4, 0x7f800000
	v_cmp_nlt_f32_e64 s[14:15], s14, v24
	v_cndmask_b32_e64 v3, v4, v3, s[14:15]
	v_fma_f32 v3, -v2, v3, v19
	global_store_dword v[0:1], v3, off offset:1792
	s_or_b64 exec, exec, s[16:17]
	s_and_saveexec_b64 s[14:15], s[12:13]
	s_cbranch_execz .LBB248_42
.LBB248_59:
	s_waitcnt vmcnt(0)
	v_mul_f32_e32 v3, 0x3fb8aa3b, v22
	s_mov_b32 s12, 0x3fb8aa3b
	v_rndne_f32_e32 v4, v3
	v_sub_f32_e32 v5, v3, v4
	v_fma_f32 v3, v22, s12, -v3
	v_fmac_f32_e32 v3, 0x32a5705f, v22
	v_add_f32_e32 v3, v5, v3
	v_exp_f32_e32 v3, v3
	v_cvt_i32_f32_e32 v4, v4
	s_mov_b32 s12, 0xc2ce8ed0
	v_cmp_ngt_f32_e64 s[12:13], s12, v22
	v_ldexp_f32 v3, v3, v4
	v_cndmask_b32_e64 v3, 0, v3, s[12:13]
	s_mov_b32 s12, 0x42b17218
	v_mov_b32_e32 v4, 0x7f800000
	v_cmp_nlt_f32_e64 s[12:13], s12, v22
	v_cndmask_b32_e64 v3, v4, v3, s[12:13]
	v_fma_f32 v3, -v2, v3, v21
	global_store_dword v[0:1], v3, off offset:2048
	s_or_b64 exec, exec, s[14:15]
	s_and_saveexec_b64 s[12:13], s[10:11]
	s_cbranch_execz .LBB248_43
.LBB248_60:
	s_waitcnt vmcnt(0)
	v_mul_f32_e32 v3, 0x3fb8aa3b, v20
	s_mov_b32 s10, 0x3fb8aa3b
	v_rndne_f32_e32 v4, v3
	v_sub_f32_e32 v5, v3, v4
	v_fma_f32 v3, v20, s10, -v3
	v_fmac_f32_e32 v3, 0x32a5705f, v20
	v_add_f32_e32 v3, v5, v3
	v_exp_f32_e32 v3, v3
	v_cvt_i32_f32_e32 v4, v4
	s_mov_b32 s10, 0xc2ce8ed0
	v_cmp_ngt_f32_e64 s[10:11], s10, v20
	v_ldexp_f32 v3, v3, v4
	v_cndmask_b32_e64 v3, 0, v3, s[10:11]
	s_mov_b32 s10, 0x42b17218
	v_mov_b32_e32 v4, 0x7f800000
	v_cmp_nlt_f32_e64 s[10:11], s10, v20
	v_cndmask_b32_e64 v3, v4, v3, s[10:11]
	v_fma_f32 v3, -v2, v3, v15
	global_store_dword v[0:1], v3, off offset:2304
	s_or_b64 exec, exec, s[12:13]
	s_and_saveexec_b64 s[10:11], s[8:9]
	s_cbranch_execz .LBB248_44
.LBB248_61:
	s_waitcnt vmcnt(0)
	v_mul_f32_e32 v3, 0x3fb8aa3b, v18
	s_mov_b32 s8, 0x3fb8aa3b
	v_rndne_f32_e32 v4, v3
	v_sub_f32_e32 v5, v3, v4
	v_fma_f32 v3, v18, s8, -v3
	v_fmac_f32_e32 v3, 0x32a5705f, v18
	v_add_f32_e32 v3, v5, v3
	v_exp_f32_e32 v3, v3
	v_cvt_i32_f32_e32 v4, v4
	s_mov_b32 s8, 0xc2ce8ed0
	v_cmp_ngt_f32_e64 s[8:9], s8, v18
	v_ldexp_f32 v3, v3, v4
	v_cndmask_b32_e64 v3, 0, v3, s[8:9]
	s_mov_b32 s8, 0x42b17218
	v_mov_b32_e32 v4, 0x7f800000
	v_cmp_nlt_f32_e64 s[8:9], s8, v18
	v_cndmask_b32_e64 v3, v4, v3, s[8:9]
	v_fma_f32 v3, -v2, v3, v17
	global_store_dword v[0:1], v3, off offset:2560
	s_or_b64 exec, exec, s[10:11]
	s_and_saveexec_b64 s[8:9], s[6:7]
	s_cbranch_execz .LBB248_45
.LBB248_62:
	s_waitcnt vmcnt(0)
	v_mul_f32_e32 v3, 0x3fb8aa3b, v16
	s_mov_b32 s6, 0x3fb8aa3b
	v_rndne_f32_e32 v4, v3
	v_sub_f32_e32 v5, v3, v4
	v_fma_f32 v3, v16, s6, -v3
	v_fmac_f32_e32 v3, 0x32a5705f, v16
	v_add_f32_e32 v3, v5, v3
	v_exp_f32_e32 v3, v3
	v_cvt_i32_f32_e32 v4, v4
	s_mov_b32 s6, 0xc2ce8ed0
	v_cmp_ngt_f32_e64 s[6:7], s6, v16
	v_ldexp_f32 v3, v3, v4
	v_cndmask_b32_e64 v3, 0, v3, s[6:7]
	s_mov_b32 s6, 0x42b17218
	v_mov_b32_e32 v4, 0x7f800000
	v_cmp_nlt_f32_e64 s[6:7], s6, v16
	v_cndmask_b32_e64 v3, v4, v3, s[6:7]
	v_fma_f32 v3, -v2, v3, v11
	global_store_dword v[0:1], v3, off offset:2816
	s_or_b64 exec, exec, s[8:9]
	s_and_saveexec_b64 s[6:7], s[4:5]
	s_cbranch_execz .LBB248_46
.LBB248_63:
	s_waitcnt vmcnt(0)
	v_mul_f32_e32 v3, 0x3fb8aa3b, v14
	s_mov_b32 s4, 0x3fb8aa3b
	v_rndne_f32_e32 v4, v3
	v_sub_f32_e32 v5, v3, v4
	v_fma_f32 v3, v14, s4, -v3
	v_fmac_f32_e32 v3, 0x32a5705f, v14
	v_add_f32_e32 v3, v5, v3
	v_exp_f32_e32 v3, v3
	v_cvt_i32_f32_e32 v4, v4
	s_mov_b32 s4, 0xc2ce8ed0
	v_cmp_ngt_f32_e64 s[4:5], s4, v14
	v_ldexp_f32 v3, v3, v4
	v_cndmask_b32_e64 v3, 0, v3, s[4:5]
	s_mov_b32 s4, 0x42b17218
	v_mov_b32_e32 v4, 0x7f800000
	v_cmp_nlt_f32_e64 s[4:5], s4, v14
	v_cndmask_b32_e64 v3, v4, v3, s[4:5]
	v_fma_f32 v3, -v2, v3, v13
	global_store_dword v[0:1], v3, off offset:3072
	s_or_b64 exec, exec, s[6:7]
	s_and_saveexec_b64 s[4:5], s[2:3]
	s_cbranch_execz .LBB248_47
.LBB248_64:
	s_waitcnt vmcnt(0)
	v_mul_f32_e32 v3, 0x3fb8aa3b, v12
	s_mov_b32 s2, 0x3fb8aa3b
	v_rndne_f32_e32 v4, v3
	v_sub_f32_e32 v5, v3, v4
	v_fma_f32 v3, v12, s2, -v3
	v_fmac_f32_e32 v3, 0x32a5705f, v12
	v_add_f32_e32 v3, v5, v3
	v_exp_f32_e32 v3, v3
	v_cvt_i32_f32_e32 v4, v4
	s_mov_b32 s2, 0xc2ce8ed0
	v_cmp_ngt_f32_e64 s[2:3], s2, v12
	v_ldexp_f32 v3, v3, v4
	v_cndmask_b32_e64 v3, 0, v3, s[2:3]
	s_mov_b32 s2, 0x42b17218
	v_mov_b32_e32 v4, 0x7f800000
	v_cmp_nlt_f32_e64 s[2:3], s2, v12
	v_cndmask_b32_e64 v3, v4, v3, s[2:3]
	v_fma_f32 v3, -v2, v3, v7
	global_store_dword v[0:1], v3, off offset:3328
	s_or_b64 exec, exec, s[4:5]
	s_and_saveexec_b64 s[2:3], s[0:1]
	s_cbranch_execz .LBB248_48
.LBB248_65:
	s_waitcnt vmcnt(0)
	v_mul_f32_e32 v3, 0x3fb8aa3b, v10
	s_mov_b32 s0, 0x3fb8aa3b
	v_rndne_f32_e32 v4, v3
	v_sub_f32_e32 v5, v3, v4
	v_fma_f32 v3, v10, s0, -v3
	v_fmac_f32_e32 v3, 0x32a5705f, v10
	v_add_f32_e32 v3, v5, v3
	v_exp_f32_e32 v3, v3
	v_cvt_i32_f32_e32 v4, v4
	s_mov_b32 s0, 0xc2ce8ed0
	v_cmp_ngt_f32_e64 s[0:1], s0, v10
	v_ldexp_f32 v3, v3, v4
	v_cndmask_b32_e64 v3, 0, v3, s[0:1]
	s_mov_b32 s0, 0x42b17218
	v_mov_b32_e32 v4, 0x7f800000
	v_cmp_nlt_f32_e64 s[0:1], s0, v10
	v_cndmask_b32_e64 v3, v4, v3, s[0:1]
	v_fma_f32 v3, -v2, v3, v9
	global_store_dword v[0:1], v3, off offset:3584
	s_or_b64 exec, exec, s[2:3]
	s_and_b64 exec, exec, vcc
	s_cbranch_execnz .LBB248_49
	s_branch .LBB248_50
	.section	.rodata,"a",@progbits
	.p2align	6, 0x0
	.amdhsa_kernel _ZN12_GLOBAL__N_121softmax_warp_backwardIfffLi10ELb1ELb0ELi64EEEvPT0_PKT_S5_iiiPKb
		.amdhsa_group_segment_fixed_size 0
		.amdhsa_private_segment_fixed_size 0
		.amdhsa_kernarg_size 304
		.amdhsa_user_sgpr_count 6
		.amdhsa_user_sgpr_private_segment_buffer 1
		.amdhsa_user_sgpr_dispatch_ptr 0
		.amdhsa_user_sgpr_queue_ptr 0
		.amdhsa_user_sgpr_kernarg_segment_ptr 1
		.amdhsa_user_sgpr_dispatch_id 0
		.amdhsa_user_sgpr_flat_scratch_init 0
		.amdhsa_user_sgpr_kernarg_preload_length 0
		.amdhsa_user_sgpr_kernarg_preload_offset 0
		.amdhsa_user_sgpr_private_segment_size 0
		.amdhsa_uses_dynamic_stack 0
		.amdhsa_system_sgpr_private_segment_wavefront_offset 0
		.amdhsa_system_sgpr_workgroup_id_x 1
		.amdhsa_system_sgpr_workgroup_id_y 0
		.amdhsa_system_sgpr_workgroup_id_z 0
		.amdhsa_system_sgpr_workgroup_info 0
		.amdhsa_system_vgpr_workitem_id 1
		.amdhsa_next_free_vgpr 39
		.amdhsa_next_free_sgpr 44
		.amdhsa_accum_offset 40
		.amdhsa_reserve_vcc 1
		.amdhsa_reserve_flat_scratch 0
		.amdhsa_float_round_mode_32 0
		.amdhsa_float_round_mode_16_64 0
		.amdhsa_float_denorm_mode_32 3
		.amdhsa_float_denorm_mode_16_64 3
		.amdhsa_dx10_clamp 1
		.amdhsa_ieee_mode 1
		.amdhsa_fp16_overflow 0
		.amdhsa_tg_split 0
		.amdhsa_exception_fp_ieee_invalid_op 0
		.amdhsa_exception_fp_denorm_src 0
		.amdhsa_exception_fp_ieee_div_zero 0
		.amdhsa_exception_fp_ieee_overflow 0
		.amdhsa_exception_fp_ieee_underflow 0
		.amdhsa_exception_fp_ieee_inexact 0
		.amdhsa_exception_int_div_zero 0
	.end_amdhsa_kernel
	.section	.text._ZN12_GLOBAL__N_121softmax_warp_backwardIfffLi10ELb1ELb0ELi64EEEvPT0_PKT_S5_iiiPKb,"axG",@progbits,_ZN12_GLOBAL__N_121softmax_warp_backwardIfffLi10ELb1ELb0ELi64EEEvPT0_PKT_S5_iiiPKb,comdat
.Lfunc_end248:
	.size	_ZN12_GLOBAL__N_121softmax_warp_backwardIfffLi10ELb1ELb0ELi64EEEvPT0_PKT_S5_iiiPKb, .Lfunc_end248-_ZN12_GLOBAL__N_121softmax_warp_backwardIfffLi10ELb1ELb0ELi64EEEvPT0_PKT_S5_iiiPKb
                                        ; -- End function
	.section	.AMDGPU.csdata,"",@progbits
; Kernel info:
; codeLenInByte = 3908
; NumSgprs: 48
; NumVgprs: 39
; NumAgprs: 0
; TotalNumVgprs: 39
; ScratchSize: 0
; MemoryBound: 0
; FloatMode: 240
; IeeeMode: 1
; LDSByteSize: 0 bytes/workgroup (compile time only)
; SGPRBlocks: 5
; VGPRBlocks: 4
; NumSGPRsForWavesPerEU: 48
; NumVGPRsForWavesPerEU: 39
; AccumOffset: 40
; Occupancy: 8
; WaveLimiterHint : 0
; COMPUTE_PGM_RSRC2:SCRATCH_EN: 0
; COMPUTE_PGM_RSRC2:USER_SGPR: 6
; COMPUTE_PGM_RSRC2:TRAP_HANDLER: 0
; COMPUTE_PGM_RSRC2:TGID_X_EN: 1
; COMPUTE_PGM_RSRC2:TGID_Y_EN: 0
; COMPUTE_PGM_RSRC2:TGID_Z_EN: 0
; COMPUTE_PGM_RSRC2:TIDIG_COMP_CNT: 1
; COMPUTE_PGM_RSRC3_GFX90A:ACCUM_OFFSET: 9
; COMPUTE_PGM_RSRC3_GFX90A:TG_SPLIT: 0
	.section	.text._ZN12_GLOBAL__N_121softmax_warp_backwardIfffLi10ELb1ELb0ELi32EEEvPT0_PKT_S5_iiiPKb,"axG",@progbits,_ZN12_GLOBAL__N_121softmax_warp_backwardIfffLi10ELb1ELb0ELi32EEEvPT0_PKT_S5_iiiPKb,comdat
	.globl	_ZN12_GLOBAL__N_121softmax_warp_backwardIfffLi10ELb1ELb0ELi32EEEvPT0_PKT_S5_iiiPKb ; -- Begin function _ZN12_GLOBAL__N_121softmax_warp_backwardIfffLi10ELb1ELb0ELi32EEEvPT0_PKT_S5_iiiPKb
	.p2align	8
	.type	_ZN12_GLOBAL__N_121softmax_warp_backwardIfffLi10ELb1ELb0ELi32EEEvPT0_PKT_S5_iiiPKb,@function
_ZN12_GLOBAL__N_121softmax_warp_backwardIfffLi10ELb1ELb0ELi32EEEvPT0_PKT_S5_iiiPKb: ; @_ZN12_GLOBAL__N_121softmax_warp_backwardIfffLi10ELb1ELb0ELi32EEEvPT0_PKT_S5_iiiPKb
; %bb.0:
	s_load_dword s2, s[4:5], 0x3c
	s_load_dwordx4 s[64:67], s[4:5], 0x18
	s_load_dwordx4 s[68:71], s[4:5], 0x0
	s_load_dwordx2 s[0:1], s[4:5], 0x10
	v_bfe_u32 v1, v0, 10, 10
	s_waitcnt lgkmcnt(0)
	s_lshr_b32 s2, s2, 16
	s_mul_i32 s6, s6, s2
	v_and_b32_e32 v8, 0x3ff, v0
	v_add_u32_e32 v1, s6, v1
	v_and_b32_e32 v6, 31, v8
	v_sub_u32_e32 v70, s64, v1
	v_mad_u64_u32 v[0:1], s[2:3], v1, s65, v[6:7]
	v_ashrrev_i32_e32 v1, 31, v0
	v_lshlrev_b64 v[0:1], 2, v[0:1]
	v_mov_b32_e32 v3, s71
	v_add_co_u32_e32 v2, vcc, s70, v0
	v_addc_co_u32_e32 v3, vcc, v3, v1, vcc
	v_mov_b32_e32 v5, s1
	v_add_co_u32_e32 v4, vcc, s0, v0
	v_cmp_lt_i32_e64 s[64:65], 0, v70
	v_cmp_gt_i32_e64 s[62:63], s66, v6
	v_addc_co_u32_e32 v5, vcc, v5, v1, vcc
	s_and_b64 s[2:3], s[64:65], s[62:63]
	v_mov_b32_e32 v63, 0
	v_mov_b32_e32 v68, 0
	;; [unrolled: 1-line block ×3, first 2 shown]
	s_and_saveexec_b64 s[0:1], s[2:3]
	s_cbranch_execz .LBB249_2
; %bb.1:
	global_load_dword v68, v[2:3], off
	global_load_dword v69, v[4:5], off
.LBB249_2:
	s_or_b64 exec, exec, s[0:1]
	v_or_b32_e32 v7, 32, v6
	v_cmp_gt_i32_e64 s[60:61], s66, v7
	s_and_b64 s[2:3], s[64:65], s[60:61]
	v_mov_b32_e32 v67, 0
	s_and_saveexec_b64 s[0:1], s[2:3]
	s_cbranch_execz .LBB249_4
; %bb.3:
	global_load_dword v63, v[2:3], off offset:128
	global_load_dword v67, v[4:5], off offset:128
.LBB249_4:
	s_or_b64 exec, exec, s[0:1]
	v_or_b32_e32 v7, 64, v6
	v_cmp_gt_i32_e64 s[58:59], s66, v7
	s_and_b64 s[2:3], s[64:65], s[58:59]
	v_mov_b32_e32 v59, 0
	v_mov_b32_e32 v65, 0
	v_mov_b32_e32 v66, 0
	s_and_saveexec_b64 s[0:1], s[2:3]
	s_cbranch_execz .LBB249_6
; %bb.5:
	global_load_dword v65, v[2:3], off offset:256
	global_load_dword v66, v[4:5], off offset:256
.LBB249_6:
	s_or_b64 exec, exec, s[0:1]
	v_or_b32_e32 v7, 0x60, v6
	v_cmp_gt_i32_e64 s[56:57], s66, v7
	s_and_b64 s[2:3], s[64:65], s[56:57]
	v_mov_b32_e32 v64, 0
	s_and_saveexec_b64 s[0:1], s[2:3]
	s_cbranch_execz .LBB249_8
; %bb.7:
	global_load_dword v59, v[2:3], off offset:384
	global_load_dword v64, v[4:5], off offset:384
.LBB249_8:
	s_or_b64 exec, exec, s[0:1]
	v_or_b32_e32 v7, 0x80, v6
	v_cmp_gt_i32_e64 s[54:55], s66, v7
	s_and_b64 s[2:3], s[64:65], s[54:55]
	v_mov_b32_e32 v55, 0
	v_mov_b32_e32 v61, 0
	v_mov_b32_e32 v62, 0
	s_and_saveexec_b64 s[0:1], s[2:3]
	s_cbranch_execz .LBB249_10
; %bb.9:
	global_load_dword v61, v[2:3], off offset:512
	global_load_dword v62, v[4:5], off offset:512
.LBB249_10:
	;; [unrolled: 24-line block ×15, first 2 shown]
	s_or_b64 exec, exec, s[70:71]
	v_or_b32_e32 v8, 0x3e0, v8
	v_cmp_gt_i32_e32 vcc, s66, v8
	s_and_b64 s[66:67], s[64:65], vcc
	v_mov_b32_e32 v8, 0
	s_and_saveexec_b64 s[64:65], s[66:67]
	s_cbranch_execz .LBB249_64
; %bb.63:
	global_load_dword v6, v[2:3], off offset:3968
	global_load_dword v8, v[4:5], off offset:3968
.LBB249_64:
	s_or_b64 exec, exec, s[64:65]
	s_waitcnt vmcnt(1)
	v_add_f32_e32 v2, 0, v68
	v_add_f32_e32 v2, v2, v63
	;; [unrolled: 1-line block ×26, first 2 shown]
	v_mbcnt_lo_u32_b32 v3, -1, 0
	v_add_f32_e32 v2, v2, v17
	v_mbcnt_hi_u32_b32 v3, -1, v3
	v_add_f32_e32 v2, v2, v11
	v_and_b32_e32 v4, 0x60, v3
	v_add_f32_e32 v2, v2, v13
	v_add_u32_e32 v4, 32, v4
	v_xor_b32_e32 v5, 16, v3
	v_add_f32_e32 v2, v2, v7
	v_cmp_lt_i32_e64 s[64:65], v5, v4
	v_add_f32_e32 v2, v2, v9
	v_cndmask_b32_e64 v5, v3, v5, s[64:65]
	v_add_f32_e32 v2, v2, v6
	v_lshlrev_b32_e32 v5, 2, v5
	ds_bpermute_b32 v5, v5, v2
	s_waitcnt lgkmcnt(0)
	v_add_f32_e32 v2, v2, v5
	v_xor_b32_e32 v5, 8, v3
	v_cmp_lt_i32_e64 s[64:65], v5, v4
	v_cndmask_b32_e64 v5, v3, v5, s[64:65]
	v_lshlrev_b32_e32 v5, 2, v5
	ds_bpermute_b32 v5, v5, v2
	s_waitcnt lgkmcnt(0)
	v_add_f32_e32 v2, v2, v5
	v_xor_b32_e32 v5, 4, v3
	v_cmp_lt_i32_e64 s[64:65], v5, v4
	v_cndmask_b32_e64 v5, v3, v5, s[64:65]
	;; [unrolled: 7-line block ×4, first 2 shown]
	v_lshlrev_b32_e32 v3, 2, v3
	ds_bpermute_b32 v3, v3, v2
	v_cmp_lt_i32_e64 s[64:65], 0, v70
	s_and_saveexec_b64 s[66:67], s[64:65]
	s_cbranch_execz .LBB249_98
; %bb.65:
	v_mov_b32_e32 v4, s69
	v_add_co_u32_e64 v0, s[64:65], s68, v0
	v_addc_co_u32_e64 v1, s[64:65], v4, v1, s[64:65]
	s_waitcnt lgkmcnt(0)
	v_add_f32_e32 v2, v2, v3
	s_and_saveexec_b64 s[64:65], s[62:63]
	s_cbranch_execnz .LBB249_99
; %bb.66:
	s_or_b64 exec, exec, s[64:65]
	s_and_saveexec_b64 s[62:63], s[60:61]
	s_cbranch_execnz .LBB249_100
.LBB249_67:
	s_or_b64 exec, exec, s[62:63]
	s_and_saveexec_b64 s[60:61], s[58:59]
	s_cbranch_execnz .LBB249_101
.LBB249_68:
	s_or_b64 exec, exec, s[60:61]
	s_and_saveexec_b64 s[58:59], s[56:57]
	s_cbranch_execnz .LBB249_102
.LBB249_69:
	s_or_b64 exec, exec, s[58:59]
	s_and_saveexec_b64 s[56:57], s[54:55]
	s_cbranch_execnz .LBB249_103
.LBB249_70:
	s_or_b64 exec, exec, s[56:57]
	s_and_saveexec_b64 s[54:55], s[52:53]
	s_cbranch_execnz .LBB249_104
.LBB249_71:
	s_or_b64 exec, exec, s[54:55]
	s_and_saveexec_b64 s[52:53], s[50:51]
	s_cbranch_execnz .LBB249_105
.LBB249_72:
	s_or_b64 exec, exec, s[52:53]
	s_and_saveexec_b64 s[50:51], s[48:49]
	s_cbranch_execnz .LBB249_106
.LBB249_73:
	s_or_b64 exec, exec, s[50:51]
	s_and_saveexec_b64 s[48:49], s[46:47]
	s_cbranch_execnz .LBB249_107
.LBB249_74:
	s_or_b64 exec, exec, s[48:49]
	s_and_saveexec_b64 s[46:47], s[44:45]
	s_cbranch_execnz .LBB249_108
.LBB249_75:
	s_or_b64 exec, exec, s[46:47]
	s_and_saveexec_b64 s[44:45], s[42:43]
	s_cbranch_execnz .LBB249_109
.LBB249_76:
	s_or_b64 exec, exec, s[44:45]
	s_and_saveexec_b64 s[42:43], s[40:41]
	s_cbranch_execnz .LBB249_110
.LBB249_77:
	s_or_b64 exec, exec, s[42:43]
	s_and_saveexec_b64 s[40:41], s[38:39]
	s_cbranch_execnz .LBB249_111
.LBB249_78:
	s_or_b64 exec, exec, s[40:41]
	s_and_saveexec_b64 s[38:39], s[36:37]
	s_cbranch_execnz .LBB249_112
.LBB249_79:
	s_or_b64 exec, exec, s[38:39]
	s_and_saveexec_b64 s[36:37], s[34:35]
	s_cbranch_execnz .LBB249_113
.LBB249_80:
	s_or_b64 exec, exec, s[36:37]
	s_and_saveexec_b64 s[34:35], s[30:31]
	s_cbranch_execnz .LBB249_114
.LBB249_81:
	s_or_b64 exec, exec, s[34:35]
	s_and_saveexec_b64 s[30:31], s[28:29]
	s_cbranch_execnz .LBB249_115
.LBB249_82:
	s_or_b64 exec, exec, s[30:31]
	s_and_saveexec_b64 s[28:29], s[26:27]
	s_cbranch_execnz .LBB249_116
.LBB249_83:
	s_or_b64 exec, exec, s[28:29]
	s_and_saveexec_b64 s[26:27], s[24:25]
	s_cbranch_execnz .LBB249_117
.LBB249_84:
	s_or_b64 exec, exec, s[26:27]
	s_and_saveexec_b64 s[24:25], s[22:23]
	s_cbranch_execnz .LBB249_118
.LBB249_85:
	s_or_b64 exec, exec, s[24:25]
	s_and_saveexec_b64 s[22:23], s[20:21]
	s_cbranch_execnz .LBB249_119
.LBB249_86:
	s_or_b64 exec, exec, s[22:23]
	s_and_saveexec_b64 s[20:21], s[18:19]
	s_cbranch_execnz .LBB249_120
.LBB249_87:
	s_or_b64 exec, exec, s[20:21]
	s_and_saveexec_b64 s[18:19], s[16:17]
	s_cbranch_execnz .LBB249_121
.LBB249_88:
	s_or_b64 exec, exec, s[18:19]
	s_and_saveexec_b64 s[16:17], s[14:15]
	s_cbranch_execnz .LBB249_122
.LBB249_89:
	s_or_b64 exec, exec, s[16:17]
	s_and_saveexec_b64 s[14:15], s[12:13]
	s_cbranch_execnz .LBB249_123
.LBB249_90:
	s_or_b64 exec, exec, s[14:15]
	s_and_saveexec_b64 s[12:13], s[10:11]
	s_cbranch_execnz .LBB249_124
.LBB249_91:
	s_or_b64 exec, exec, s[12:13]
	s_and_saveexec_b64 s[10:11], s[8:9]
	s_cbranch_execnz .LBB249_125
.LBB249_92:
	s_or_b64 exec, exec, s[10:11]
	s_and_saveexec_b64 s[8:9], s[6:7]
	s_cbranch_execnz .LBB249_126
.LBB249_93:
	s_or_b64 exec, exec, s[8:9]
	s_and_saveexec_b64 s[6:7], s[4:5]
	s_cbranch_execnz .LBB249_127
.LBB249_94:
	s_or_b64 exec, exec, s[6:7]
	s_and_saveexec_b64 s[4:5], s[2:3]
	s_cbranch_execnz .LBB249_128
.LBB249_95:
	s_or_b64 exec, exec, s[4:5]
	s_and_saveexec_b64 s[2:3], s[0:1]
	s_cbranch_execnz .LBB249_129
.LBB249_96:
	s_or_b64 exec, exec, s[2:3]
	s_and_b64 exec, exec, vcc
	s_cbranch_execz .LBB249_98
.LBB249_97:
	s_waitcnt vmcnt(0)
	v_mul_f32_e32 v3, 0x3fb8aa3b, v8
	s_mov_b32 s0, 0x3fb8aa3b
	v_rndne_f32_e32 v4, v3
	v_sub_f32_e32 v5, v3, v4
	v_fma_f32 v3, v8, s0, -v3
	v_fmac_f32_e32 v3, 0x32a5705f, v8
	v_add_f32_e32 v3, v5, v3
	v_exp_f32_e32 v3, v3
	v_cvt_i32_f32_e32 v4, v4
	s_mov_b32 s0, 0xc2ce8ed0
	v_cmp_ngt_f32_e32 vcc, s0, v8
	s_mov_b32 s0, 0x42b17218
	v_ldexp_f32 v3, v3, v4
	v_cndmask_b32_e32 v3, 0, v3, vcc
	v_mov_b32_e32 v4, 0x7f800000
	v_cmp_nlt_f32_e32 vcc, s0, v8
	v_cndmask_b32_e32 v3, v4, v3, vcc
	v_fma_f32 v2, -v2, v3, v6
	global_store_dword v[0:1], v2, off offset:3968
.LBB249_98:
	s_endpgm
.LBB249_99:
	s_waitcnt vmcnt(0)
	v_mul_f32_e32 v3, 0x3fb8aa3b, v69
	s_mov_b32 s33, 0x3fb8aa3b
	v_rndne_f32_e32 v4, v3
	v_sub_f32_e32 v5, v3, v4
	v_fma_f32 v3, v69, s33, -v3
	v_fmac_f32_e32 v3, 0x32a5705f, v69
	v_add_f32_e32 v3, v5, v3
	v_exp_f32_e32 v3, v3
	v_cvt_i32_f32_e32 v4, v4
	s_mov_b32 s33, 0xc2ce8ed0
	v_cmp_ngt_f32_e64 s[62:63], s33, v69
	s_mov_b32 s33, 0x42b17218
	v_ldexp_f32 v3, v3, v4
	v_cndmask_b32_e64 v3, 0, v3, s[62:63]
	v_mov_b32_e32 v4, 0x7f800000
	v_cmp_nlt_f32_e64 s[62:63], s33, v69
	v_cndmask_b32_e64 v3, v4, v3, s[62:63]
	v_fma_f32 v3, -v2, v3, v68
	global_store_dword v[0:1], v3, off
	s_or_b64 exec, exec, s[64:65]
	s_and_saveexec_b64 s[62:63], s[60:61]
	s_cbranch_execz .LBB249_67
.LBB249_100:
	s_waitcnt vmcnt(0)
	v_mul_f32_e32 v3, 0x3fb8aa3b, v67
	s_mov_b32 s33, 0x3fb8aa3b
	v_rndne_f32_e32 v4, v3
	v_sub_f32_e32 v5, v3, v4
	v_fma_f32 v3, v67, s33, -v3
	v_fmac_f32_e32 v3, 0x32a5705f, v67
	v_add_f32_e32 v3, v5, v3
	v_exp_f32_e32 v3, v3
	v_cvt_i32_f32_e32 v4, v4
	s_mov_b32 s33, 0xc2ce8ed0
	v_cmp_ngt_f32_e64 s[60:61], s33, v67
	s_mov_b32 s33, 0x42b17218
	v_ldexp_f32 v3, v3, v4
	v_cndmask_b32_e64 v3, 0, v3, s[60:61]
	v_mov_b32_e32 v4, 0x7f800000
	v_cmp_nlt_f32_e64 s[60:61], s33, v67
	v_cndmask_b32_e64 v3, v4, v3, s[60:61]
	v_fma_f32 v3, -v2, v3, v63
	global_store_dword v[0:1], v3, off offset:128
	s_or_b64 exec, exec, s[62:63]
	s_and_saveexec_b64 s[60:61], s[58:59]
	s_cbranch_execz .LBB249_68
.LBB249_101:
	s_waitcnt vmcnt(0)
	v_mul_f32_e32 v3, 0x3fb8aa3b, v66
	s_mov_b32 s33, 0x3fb8aa3b
	v_rndne_f32_e32 v4, v3
	v_sub_f32_e32 v5, v3, v4
	v_fma_f32 v3, v66, s33, -v3
	v_fmac_f32_e32 v3, 0x32a5705f, v66
	v_add_f32_e32 v3, v5, v3
	v_exp_f32_e32 v3, v3
	v_cvt_i32_f32_e32 v4, v4
	s_mov_b32 s33, 0xc2ce8ed0
	v_cmp_ngt_f32_e64 s[58:59], s33, v66
	s_mov_b32 s33, 0x42b17218
	v_ldexp_f32 v3, v3, v4
	v_cndmask_b32_e64 v3, 0, v3, s[58:59]
	v_mov_b32_e32 v4, 0x7f800000
	v_cmp_nlt_f32_e64 s[58:59], s33, v66
	v_cndmask_b32_e64 v3, v4, v3, s[58:59]
	v_fma_f32 v3, -v2, v3, v65
	global_store_dword v[0:1], v3, off offset:256
	s_or_b64 exec, exec, s[60:61]
	s_and_saveexec_b64 s[58:59], s[56:57]
	s_cbranch_execz .LBB249_69
.LBB249_102:
	s_waitcnt vmcnt(0)
	v_mul_f32_e32 v3, 0x3fb8aa3b, v64
	s_mov_b32 s33, 0x3fb8aa3b
	v_rndne_f32_e32 v4, v3
	v_sub_f32_e32 v5, v3, v4
	v_fma_f32 v3, v64, s33, -v3
	v_fmac_f32_e32 v3, 0x32a5705f, v64
	v_add_f32_e32 v3, v5, v3
	v_exp_f32_e32 v3, v3
	v_cvt_i32_f32_e32 v4, v4
	s_mov_b32 s33, 0xc2ce8ed0
	v_cmp_ngt_f32_e64 s[56:57], s33, v64
	s_mov_b32 s33, 0x42b17218
	v_ldexp_f32 v3, v3, v4
	v_cndmask_b32_e64 v3, 0, v3, s[56:57]
	v_mov_b32_e32 v4, 0x7f800000
	v_cmp_nlt_f32_e64 s[56:57], s33, v64
	v_cndmask_b32_e64 v3, v4, v3, s[56:57]
	v_fma_f32 v3, -v2, v3, v59
	global_store_dword v[0:1], v3, off offset:384
	s_or_b64 exec, exec, s[58:59]
	s_and_saveexec_b64 s[56:57], s[54:55]
	s_cbranch_execz .LBB249_70
.LBB249_103:
	s_waitcnt vmcnt(0)
	v_mul_f32_e32 v3, 0x3fb8aa3b, v62
	s_mov_b32 s33, 0x3fb8aa3b
	v_rndne_f32_e32 v4, v3
	v_sub_f32_e32 v5, v3, v4
	v_fma_f32 v3, v62, s33, -v3
	v_fmac_f32_e32 v3, 0x32a5705f, v62
	v_add_f32_e32 v3, v5, v3
	v_exp_f32_e32 v3, v3
	v_cvt_i32_f32_e32 v4, v4
	s_mov_b32 s33, 0xc2ce8ed0
	v_cmp_ngt_f32_e64 s[54:55], s33, v62
	s_mov_b32 s33, 0x42b17218
	v_ldexp_f32 v3, v3, v4
	v_cndmask_b32_e64 v3, 0, v3, s[54:55]
	v_mov_b32_e32 v4, 0x7f800000
	v_cmp_nlt_f32_e64 s[54:55], s33, v62
	v_cndmask_b32_e64 v3, v4, v3, s[54:55]
	v_fma_f32 v3, -v2, v3, v61
	global_store_dword v[0:1], v3, off offset:512
	s_or_b64 exec, exec, s[56:57]
	s_and_saveexec_b64 s[54:55], s[52:53]
	s_cbranch_execz .LBB249_71
.LBB249_104:
	s_waitcnt vmcnt(0)
	v_mul_f32_e32 v3, 0x3fb8aa3b, v60
	s_mov_b32 s33, 0x3fb8aa3b
	v_rndne_f32_e32 v4, v3
	v_sub_f32_e32 v5, v3, v4
	v_fma_f32 v3, v60, s33, -v3
	v_fmac_f32_e32 v3, 0x32a5705f, v60
	v_add_f32_e32 v3, v5, v3
	v_exp_f32_e32 v3, v3
	v_cvt_i32_f32_e32 v4, v4
	s_mov_b32 s33, 0xc2ce8ed0
	v_cmp_ngt_f32_e64 s[52:53], s33, v60
	s_mov_b32 s33, 0x42b17218
	v_ldexp_f32 v3, v3, v4
	v_cndmask_b32_e64 v3, 0, v3, s[52:53]
	v_mov_b32_e32 v4, 0x7f800000
	v_cmp_nlt_f32_e64 s[52:53], s33, v60
	v_cndmask_b32_e64 v3, v4, v3, s[52:53]
	v_fma_f32 v3, -v2, v3, v55
	global_store_dword v[0:1], v3, off offset:640
	s_or_b64 exec, exec, s[54:55]
	s_and_saveexec_b64 s[52:53], s[50:51]
	s_cbranch_execz .LBB249_72
.LBB249_105:
	s_waitcnt vmcnt(0)
	v_mul_f32_e32 v3, 0x3fb8aa3b, v58
	s_mov_b32 s33, 0x3fb8aa3b
	v_rndne_f32_e32 v4, v3
	v_sub_f32_e32 v5, v3, v4
	v_fma_f32 v3, v58, s33, -v3
	v_fmac_f32_e32 v3, 0x32a5705f, v58
	v_add_f32_e32 v3, v5, v3
	v_exp_f32_e32 v3, v3
	v_cvt_i32_f32_e32 v4, v4
	s_mov_b32 s33, 0xc2ce8ed0
	v_cmp_ngt_f32_e64 s[50:51], s33, v58
	s_mov_b32 s33, 0x42b17218
	v_ldexp_f32 v3, v3, v4
	v_cndmask_b32_e64 v3, 0, v3, s[50:51]
	v_mov_b32_e32 v4, 0x7f800000
	v_cmp_nlt_f32_e64 s[50:51], s33, v58
	v_cndmask_b32_e64 v3, v4, v3, s[50:51]
	v_fma_f32 v3, -v2, v3, v57
	global_store_dword v[0:1], v3, off offset:768
	s_or_b64 exec, exec, s[52:53]
	s_and_saveexec_b64 s[50:51], s[48:49]
	s_cbranch_execz .LBB249_73
.LBB249_106:
	s_waitcnt vmcnt(0)
	v_mul_f32_e32 v3, 0x3fb8aa3b, v56
	s_mov_b32 s33, 0x3fb8aa3b
	v_rndne_f32_e32 v4, v3
	v_sub_f32_e32 v5, v3, v4
	v_fma_f32 v3, v56, s33, -v3
	v_fmac_f32_e32 v3, 0x32a5705f, v56
	v_add_f32_e32 v3, v5, v3
	v_exp_f32_e32 v3, v3
	v_cvt_i32_f32_e32 v4, v4
	s_mov_b32 s33, 0xc2ce8ed0
	v_cmp_ngt_f32_e64 s[48:49], s33, v56
	s_mov_b32 s33, 0x42b17218
	v_ldexp_f32 v3, v3, v4
	v_cndmask_b32_e64 v3, 0, v3, s[48:49]
	v_mov_b32_e32 v4, 0x7f800000
	v_cmp_nlt_f32_e64 s[48:49], s33, v56
	v_cndmask_b32_e64 v3, v4, v3, s[48:49]
	v_fma_f32 v3, -v2, v3, v51
	global_store_dword v[0:1], v3, off offset:896
	s_or_b64 exec, exec, s[50:51]
	s_and_saveexec_b64 s[48:49], s[46:47]
	s_cbranch_execz .LBB249_74
.LBB249_107:
	s_waitcnt vmcnt(0)
	v_mul_f32_e32 v3, 0x3fb8aa3b, v54
	s_mov_b32 s33, 0x3fb8aa3b
	v_rndne_f32_e32 v4, v3
	v_sub_f32_e32 v5, v3, v4
	v_fma_f32 v3, v54, s33, -v3
	v_fmac_f32_e32 v3, 0x32a5705f, v54
	v_add_f32_e32 v3, v5, v3
	v_exp_f32_e32 v3, v3
	v_cvt_i32_f32_e32 v4, v4
	s_mov_b32 s33, 0xc2ce8ed0
	v_cmp_ngt_f32_e64 s[46:47], s33, v54
	s_mov_b32 s33, 0x42b17218
	v_ldexp_f32 v3, v3, v4
	v_cndmask_b32_e64 v3, 0, v3, s[46:47]
	v_mov_b32_e32 v4, 0x7f800000
	v_cmp_nlt_f32_e64 s[46:47], s33, v54
	v_cndmask_b32_e64 v3, v4, v3, s[46:47]
	v_fma_f32 v3, -v2, v3, v53
	global_store_dword v[0:1], v3, off offset:1024
	s_or_b64 exec, exec, s[48:49]
	s_and_saveexec_b64 s[46:47], s[44:45]
	s_cbranch_execz .LBB249_75
.LBB249_108:
	s_waitcnt vmcnt(0)
	v_mul_f32_e32 v3, 0x3fb8aa3b, v52
	s_mov_b32 s33, 0x3fb8aa3b
	v_rndne_f32_e32 v4, v3
	v_sub_f32_e32 v5, v3, v4
	v_fma_f32 v3, v52, s33, -v3
	v_fmac_f32_e32 v3, 0x32a5705f, v52
	v_add_f32_e32 v3, v5, v3
	v_exp_f32_e32 v3, v3
	v_cvt_i32_f32_e32 v4, v4
	s_mov_b32 s33, 0xc2ce8ed0
	v_cmp_ngt_f32_e64 s[44:45], s33, v52
	s_mov_b32 s33, 0x42b17218
	v_ldexp_f32 v3, v3, v4
	v_cndmask_b32_e64 v3, 0, v3, s[44:45]
	v_mov_b32_e32 v4, 0x7f800000
	v_cmp_nlt_f32_e64 s[44:45], s33, v52
	v_cndmask_b32_e64 v3, v4, v3, s[44:45]
	v_fma_f32 v3, -v2, v3, v47
	global_store_dword v[0:1], v3, off offset:1152
	s_or_b64 exec, exec, s[46:47]
	s_and_saveexec_b64 s[44:45], s[42:43]
	s_cbranch_execz .LBB249_76
.LBB249_109:
	s_waitcnt vmcnt(0)
	v_mul_f32_e32 v3, 0x3fb8aa3b, v50
	s_mov_b32 s33, 0x3fb8aa3b
	v_rndne_f32_e32 v4, v3
	v_sub_f32_e32 v5, v3, v4
	v_fma_f32 v3, v50, s33, -v3
	v_fmac_f32_e32 v3, 0x32a5705f, v50
	v_add_f32_e32 v3, v5, v3
	v_exp_f32_e32 v3, v3
	v_cvt_i32_f32_e32 v4, v4
	s_mov_b32 s33, 0xc2ce8ed0
	v_cmp_ngt_f32_e64 s[42:43], s33, v50
	s_mov_b32 s33, 0x42b17218
	v_ldexp_f32 v3, v3, v4
	v_cndmask_b32_e64 v3, 0, v3, s[42:43]
	v_mov_b32_e32 v4, 0x7f800000
	v_cmp_nlt_f32_e64 s[42:43], s33, v50
	v_cndmask_b32_e64 v3, v4, v3, s[42:43]
	v_fma_f32 v3, -v2, v3, v49
	global_store_dword v[0:1], v3, off offset:1280
	s_or_b64 exec, exec, s[44:45]
	s_and_saveexec_b64 s[42:43], s[40:41]
	s_cbranch_execz .LBB249_77
.LBB249_110:
	s_waitcnt vmcnt(0)
	v_mul_f32_e32 v3, 0x3fb8aa3b, v48
	s_mov_b32 s33, 0x3fb8aa3b
	v_rndne_f32_e32 v4, v3
	v_sub_f32_e32 v5, v3, v4
	v_fma_f32 v3, v48, s33, -v3
	v_fmac_f32_e32 v3, 0x32a5705f, v48
	v_add_f32_e32 v3, v5, v3
	v_exp_f32_e32 v3, v3
	v_cvt_i32_f32_e32 v4, v4
	s_mov_b32 s33, 0xc2ce8ed0
	v_cmp_ngt_f32_e64 s[40:41], s33, v48
	s_mov_b32 s33, 0x42b17218
	v_ldexp_f32 v3, v3, v4
	v_cndmask_b32_e64 v3, 0, v3, s[40:41]
	v_mov_b32_e32 v4, 0x7f800000
	v_cmp_nlt_f32_e64 s[40:41], s33, v48
	v_cndmask_b32_e64 v3, v4, v3, s[40:41]
	v_fma_f32 v3, -v2, v3, v43
	global_store_dword v[0:1], v3, off offset:1408
	s_or_b64 exec, exec, s[42:43]
	s_and_saveexec_b64 s[40:41], s[38:39]
	s_cbranch_execz .LBB249_78
.LBB249_111:
	s_waitcnt vmcnt(0)
	v_mul_f32_e32 v3, 0x3fb8aa3b, v46
	s_mov_b32 s33, 0x3fb8aa3b
	v_rndne_f32_e32 v4, v3
	v_sub_f32_e32 v5, v3, v4
	v_fma_f32 v3, v46, s33, -v3
	v_fmac_f32_e32 v3, 0x32a5705f, v46
	v_add_f32_e32 v3, v5, v3
	v_exp_f32_e32 v3, v3
	v_cvt_i32_f32_e32 v4, v4
	s_mov_b32 s33, 0xc2ce8ed0
	v_cmp_ngt_f32_e64 s[38:39], s33, v46
	s_mov_b32 s33, 0x42b17218
	v_ldexp_f32 v3, v3, v4
	v_cndmask_b32_e64 v3, 0, v3, s[38:39]
	v_mov_b32_e32 v4, 0x7f800000
	v_cmp_nlt_f32_e64 s[38:39], s33, v46
	v_cndmask_b32_e64 v3, v4, v3, s[38:39]
	v_fma_f32 v3, -v2, v3, v45
	global_store_dword v[0:1], v3, off offset:1536
	s_or_b64 exec, exec, s[40:41]
	s_and_saveexec_b64 s[38:39], s[36:37]
	s_cbranch_execz .LBB249_79
.LBB249_112:
	s_waitcnt vmcnt(0)
	v_mul_f32_e32 v3, 0x3fb8aa3b, v44
	s_mov_b32 s33, 0x3fb8aa3b
	v_rndne_f32_e32 v4, v3
	v_sub_f32_e32 v5, v3, v4
	v_fma_f32 v3, v44, s33, -v3
	v_fmac_f32_e32 v3, 0x32a5705f, v44
	v_add_f32_e32 v3, v5, v3
	v_exp_f32_e32 v3, v3
	v_cvt_i32_f32_e32 v4, v4
	s_mov_b32 s33, 0xc2ce8ed0
	v_cmp_ngt_f32_e64 s[36:37], s33, v44
	s_mov_b32 s33, 0x42b17218
	v_ldexp_f32 v3, v3, v4
	v_cndmask_b32_e64 v3, 0, v3, s[36:37]
	v_mov_b32_e32 v4, 0x7f800000
	v_cmp_nlt_f32_e64 s[36:37], s33, v44
	v_cndmask_b32_e64 v3, v4, v3, s[36:37]
	v_fma_f32 v3, -v2, v3, v39
	global_store_dword v[0:1], v3, off offset:1664
	s_or_b64 exec, exec, s[38:39]
	s_and_saveexec_b64 s[36:37], s[34:35]
	s_cbranch_execz .LBB249_80
.LBB249_113:
	s_waitcnt vmcnt(0)
	v_mul_f32_e32 v3, 0x3fb8aa3b, v42
	s_mov_b32 s33, 0x3fb8aa3b
	v_rndne_f32_e32 v4, v3
	v_sub_f32_e32 v5, v3, v4
	v_fma_f32 v3, v42, s33, -v3
	v_fmac_f32_e32 v3, 0x32a5705f, v42
	v_add_f32_e32 v3, v5, v3
	v_exp_f32_e32 v3, v3
	v_cvt_i32_f32_e32 v4, v4
	s_mov_b32 s33, 0xc2ce8ed0
	v_cmp_ngt_f32_e64 s[34:35], s33, v42
	s_mov_b32 s33, 0x42b17218
	v_ldexp_f32 v3, v3, v4
	v_cndmask_b32_e64 v3, 0, v3, s[34:35]
	v_mov_b32_e32 v4, 0x7f800000
	v_cmp_nlt_f32_e64 s[34:35], s33, v42
	v_cndmask_b32_e64 v3, v4, v3, s[34:35]
	v_fma_f32 v3, -v2, v3, v41
	global_store_dword v[0:1], v3, off offset:1792
	s_or_b64 exec, exec, s[36:37]
	s_and_saveexec_b64 s[34:35], s[30:31]
	s_cbranch_execz .LBB249_81
.LBB249_114:
	s_waitcnt vmcnt(0)
	v_mul_f32_e32 v3, 0x3fb8aa3b, v40
	s_mov_b32 s30, 0x3fb8aa3b
	v_rndne_f32_e32 v4, v3
	v_sub_f32_e32 v5, v3, v4
	v_fma_f32 v3, v40, s30, -v3
	v_fmac_f32_e32 v3, 0x32a5705f, v40
	v_add_f32_e32 v3, v5, v3
	v_exp_f32_e32 v3, v3
	v_cvt_i32_f32_e32 v4, v4
	s_mov_b32 s30, 0xc2ce8ed0
	v_cmp_ngt_f32_e64 s[30:31], s30, v40
	v_ldexp_f32 v3, v3, v4
	v_cndmask_b32_e64 v3, 0, v3, s[30:31]
	s_mov_b32 s30, 0x42b17218
	v_mov_b32_e32 v4, 0x7f800000
	v_cmp_nlt_f32_e64 s[30:31], s30, v40
	v_cndmask_b32_e64 v3, v4, v3, s[30:31]
	v_fma_f32 v3, -v2, v3, v35
	global_store_dword v[0:1], v3, off offset:1920
	s_or_b64 exec, exec, s[34:35]
	s_and_saveexec_b64 s[30:31], s[28:29]
	s_cbranch_execz .LBB249_82
.LBB249_115:
	s_waitcnt vmcnt(0)
	v_mul_f32_e32 v3, 0x3fb8aa3b, v38
	s_mov_b32 s28, 0x3fb8aa3b
	v_rndne_f32_e32 v4, v3
	v_sub_f32_e32 v5, v3, v4
	v_fma_f32 v3, v38, s28, -v3
	v_fmac_f32_e32 v3, 0x32a5705f, v38
	v_add_f32_e32 v3, v5, v3
	v_exp_f32_e32 v3, v3
	v_cvt_i32_f32_e32 v4, v4
	s_mov_b32 s28, 0xc2ce8ed0
	v_cmp_ngt_f32_e64 s[28:29], s28, v38
	v_ldexp_f32 v3, v3, v4
	v_cndmask_b32_e64 v3, 0, v3, s[28:29]
	s_mov_b32 s28, 0x42b17218
	v_mov_b32_e32 v4, 0x7f800000
	v_cmp_nlt_f32_e64 s[28:29], s28, v38
	v_cndmask_b32_e64 v3, v4, v3, s[28:29]
	v_fma_f32 v3, -v2, v3, v37
	global_store_dword v[0:1], v3, off offset:2048
	s_or_b64 exec, exec, s[30:31]
	s_and_saveexec_b64 s[28:29], s[26:27]
	s_cbranch_execz .LBB249_83
.LBB249_116:
	s_waitcnt vmcnt(0)
	v_mul_f32_e32 v3, 0x3fb8aa3b, v36
	s_mov_b32 s26, 0x3fb8aa3b
	v_rndne_f32_e32 v4, v3
	v_sub_f32_e32 v5, v3, v4
	v_fma_f32 v3, v36, s26, -v3
	v_fmac_f32_e32 v3, 0x32a5705f, v36
	v_add_f32_e32 v3, v5, v3
	v_exp_f32_e32 v3, v3
	v_cvt_i32_f32_e32 v4, v4
	s_mov_b32 s26, 0xc2ce8ed0
	v_cmp_ngt_f32_e64 s[26:27], s26, v36
	v_ldexp_f32 v3, v3, v4
	v_cndmask_b32_e64 v3, 0, v3, s[26:27]
	s_mov_b32 s26, 0x42b17218
	v_mov_b32_e32 v4, 0x7f800000
	v_cmp_nlt_f32_e64 s[26:27], s26, v36
	v_cndmask_b32_e64 v3, v4, v3, s[26:27]
	v_fma_f32 v3, -v2, v3, v31
	global_store_dword v[0:1], v3, off offset:2176
	s_or_b64 exec, exec, s[28:29]
	s_and_saveexec_b64 s[26:27], s[24:25]
	s_cbranch_execz .LBB249_84
.LBB249_117:
	s_waitcnt vmcnt(0)
	v_mul_f32_e32 v3, 0x3fb8aa3b, v34
	s_mov_b32 s24, 0x3fb8aa3b
	v_rndne_f32_e32 v4, v3
	v_sub_f32_e32 v5, v3, v4
	v_fma_f32 v3, v34, s24, -v3
	v_fmac_f32_e32 v3, 0x32a5705f, v34
	v_add_f32_e32 v3, v5, v3
	v_exp_f32_e32 v3, v3
	v_cvt_i32_f32_e32 v4, v4
	s_mov_b32 s24, 0xc2ce8ed0
	v_cmp_ngt_f32_e64 s[24:25], s24, v34
	v_ldexp_f32 v3, v3, v4
	v_cndmask_b32_e64 v3, 0, v3, s[24:25]
	s_mov_b32 s24, 0x42b17218
	v_mov_b32_e32 v4, 0x7f800000
	v_cmp_nlt_f32_e64 s[24:25], s24, v34
	v_cndmask_b32_e64 v3, v4, v3, s[24:25]
	v_fma_f32 v3, -v2, v3, v33
	global_store_dword v[0:1], v3, off offset:2304
	s_or_b64 exec, exec, s[26:27]
	s_and_saveexec_b64 s[24:25], s[22:23]
	s_cbranch_execz .LBB249_85
.LBB249_118:
	s_waitcnt vmcnt(0)
	v_mul_f32_e32 v3, 0x3fb8aa3b, v32
	s_mov_b32 s22, 0x3fb8aa3b
	v_rndne_f32_e32 v4, v3
	v_sub_f32_e32 v5, v3, v4
	v_fma_f32 v3, v32, s22, -v3
	v_fmac_f32_e32 v3, 0x32a5705f, v32
	v_add_f32_e32 v3, v5, v3
	v_exp_f32_e32 v3, v3
	v_cvt_i32_f32_e32 v4, v4
	s_mov_b32 s22, 0xc2ce8ed0
	v_cmp_ngt_f32_e64 s[22:23], s22, v32
	v_ldexp_f32 v3, v3, v4
	v_cndmask_b32_e64 v3, 0, v3, s[22:23]
	s_mov_b32 s22, 0x42b17218
	v_mov_b32_e32 v4, 0x7f800000
	v_cmp_nlt_f32_e64 s[22:23], s22, v32
	v_cndmask_b32_e64 v3, v4, v3, s[22:23]
	v_fma_f32 v3, -v2, v3, v27
	global_store_dword v[0:1], v3, off offset:2432
	s_or_b64 exec, exec, s[24:25]
	s_and_saveexec_b64 s[22:23], s[20:21]
	s_cbranch_execz .LBB249_86
.LBB249_119:
	s_waitcnt vmcnt(0)
	v_mul_f32_e32 v3, 0x3fb8aa3b, v30
	s_mov_b32 s20, 0x3fb8aa3b
	v_rndne_f32_e32 v4, v3
	v_sub_f32_e32 v5, v3, v4
	v_fma_f32 v3, v30, s20, -v3
	v_fmac_f32_e32 v3, 0x32a5705f, v30
	v_add_f32_e32 v3, v5, v3
	v_exp_f32_e32 v3, v3
	v_cvt_i32_f32_e32 v4, v4
	s_mov_b32 s20, 0xc2ce8ed0
	v_cmp_ngt_f32_e64 s[20:21], s20, v30
	v_ldexp_f32 v3, v3, v4
	v_cndmask_b32_e64 v3, 0, v3, s[20:21]
	s_mov_b32 s20, 0x42b17218
	v_mov_b32_e32 v4, 0x7f800000
	v_cmp_nlt_f32_e64 s[20:21], s20, v30
	v_cndmask_b32_e64 v3, v4, v3, s[20:21]
	v_fma_f32 v3, -v2, v3, v29
	global_store_dword v[0:1], v3, off offset:2560
	s_or_b64 exec, exec, s[22:23]
	s_and_saveexec_b64 s[20:21], s[18:19]
	s_cbranch_execz .LBB249_87
.LBB249_120:
	s_waitcnt vmcnt(0)
	v_mul_f32_e32 v3, 0x3fb8aa3b, v28
	s_mov_b32 s18, 0x3fb8aa3b
	v_rndne_f32_e32 v4, v3
	v_sub_f32_e32 v5, v3, v4
	v_fma_f32 v3, v28, s18, -v3
	v_fmac_f32_e32 v3, 0x32a5705f, v28
	v_add_f32_e32 v3, v5, v3
	v_exp_f32_e32 v3, v3
	v_cvt_i32_f32_e32 v4, v4
	s_mov_b32 s18, 0xc2ce8ed0
	v_cmp_ngt_f32_e64 s[18:19], s18, v28
	v_ldexp_f32 v3, v3, v4
	v_cndmask_b32_e64 v3, 0, v3, s[18:19]
	s_mov_b32 s18, 0x42b17218
	v_mov_b32_e32 v4, 0x7f800000
	v_cmp_nlt_f32_e64 s[18:19], s18, v28
	v_cndmask_b32_e64 v3, v4, v3, s[18:19]
	v_fma_f32 v3, -v2, v3, v23
	global_store_dword v[0:1], v3, off offset:2688
	s_or_b64 exec, exec, s[20:21]
	s_and_saveexec_b64 s[18:19], s[16:17]
	s_cbranch_execz .LBB249_88
.LBB249_121:
	s_waitcnt vmcnt(0)
	v_mul_f32_e32 v3, 0x3fb8aa3b, v26
	s_mov_b32 s16, 0x3fb8aa3b
	v_rndne_f32_e32 v4, v3
	v_sub_f32_e32 v5, v3, v4
	v_fma_f32 v3, v26, s16, -v3
	v_fmac_f32_e32 v3, 0x32a5705f, v26
	v_add_f32_e32 v3, v5, v3
	v_exp_f32_e32 v3, v3
	v_cvt_i32_f32_e32 v4, v4
	s_mov_b32 s16, 0xc2ce8ed0
	v_cmp_ngt_f32_e64 s[16:17], s16, v26
	v_ldexp_f32 v3, v3, v4
	v_cndmask_b32_e64 v3, 0, v3, s[16:17]
	s_mov_b32 s16, 0x42b17218
	v_mov_b32_e32 v4, 0x7f800000
	v_cmp_nlt_f32_e64 s[16:17], s16, v26
	v_cndmask_b32_e64 v3, v4, v3, s[16:17]
	v_fma_f32 v3, -v2, v3, v25
	global_store_dword v[0:1], v3, off offset:2816
	s_or_b64 exec, exec, s[18:19]
	s_and_saveexec_b64 s[16:17], s[14:15]
	s_cbranch_execz .LBB249_89
.LBB249_122:
	s_waitcnt vmcnt(0)
	v_mul_f32_e32 v3, 0x3fb8aa3b, v24
	s_mov_b32 s14, 0x3fb8aa3b
	v_rndne_f32_e32 v4, v3
	v_sub_f32_e32 v5, v3, v4
	v_fma_f32 v3, v24, s14, -v3
	v_fmac_f32_e32 v3, 0x32a5705f, v24
	v_add_f32_e32 v3, v5, v3
	v_exp_f32_e32 v3, v3
	v_cvt_i32_f32_e32 v4, v4
	s_mov_b32 s14, 0xc2ce8ed0
	v_cmp_ngt_f32_e64 s[14:15], s14, v24
	v_ldexp_f32 v3, v3, v4
	v_cndmask_b32_e64 v3, 0, v3, s[14:15]
	s_mov_b32 s14, 0x42b17218
	v_mov_b32_e32 v4, 0x7f800000
	v_cmp_nlt_f32_e64 s[14:15], s14, v24
	v_cndmask_b32_e64 v3, v4, v3, s[14:15]
	v_fma_f32 v3, -v2, v3, v19
	global_store_dword v[0:1], v3, off offset:2944
	s_or_b64 exec, exec, s[16:17]
	s_and_saveexec_b64 s[14:15], s[12:13]
	s_cbranch_execz .LBB249_90
.LBB249_123:
	s_waitcnt vmcnt(0)
	v_mul_f32_e32 v3, 0x3fb8aa3b, v22
	s_mov_b32 s12, 0x3fb8aa3b
	v_rndne_f32_e32 v4, v3
	v_sub_f32_e32 v5, v3, v4
	v_fma_f32 v3, v22, s12, -v3
	v_fmac_f32_e32 v3, 0x32a5705f, v22
	v_add_f32_e32 v3, v5, v3
	v_exp_f32_e32 v3, v3
	v_cvt_i32_f32_e32 v4, v4
	s_mov_b32 s12, 0xc2ce8ed0
	v_cmp_ngt_f32_e64 s[12:13], s12, v22
	v_ldexp_f32 v3, v3, v4
	v_cndmask_b32_e64 v3, 0, v3, s[12:13]
	s_mov_b32 s12, 0x42b17218
	v_mov_b32_e32 v4, 0x7f800000
	v_cmp_nlt_f32_e64 s[12:13], s12, v22
	v_cndmask_b32_e64 v3, v4, v3, s[12:13]
	v_fma_f32 v3, -v2, v3, v21
	global_store_dword v[0:1], v3, off offset:3072
	s_or_b64 exec, exec, s[14:15]
	s_and_saveexec_b64 s[12:13], s[10:11]
	s_cbranch_execz .LBB249_91
.LBB249_124:
	s_waitcnt vmcnt(0)
	v_mul_f32_e32 v3, 0x3fb8aa3b, v20
	s_mov_b32 s10, 0x3fb8aa3b
	v_rndne_f32_e32 v4, v3
	v_sub_f32_e32 v5, v3, v4
	v_fma_f32 v3, v20, s10, -v3
	v_fmac_f32_e32 v3, 0x32a5705f, v20
	v_add_f32_e32 v3, v5, v3
	v_exp_f32_e32 v3, v3
	v_cvt_i32_f32_e32 v4, v4
	s_mov_b32 s10, 0xc2ce8ed0
	v_cmp_ngt_f32_e64 s[10:11], s10, v20
	v_ldexp_f32 v3, v3, v4
	v_cndmask_b32_e64 v3, 0, v3, s[10:11]
	s_mov_b32 s10, 0x42b17218
	v_mov_b32_e32 v4, 0x7f800000
	v_cmp_nlt_f32_e64 s[10:11], s10, v20
	v_cndmask_b32_e64 v3, v4, v3, s[10:11]
	v_fma_f32 v3, -v2, v3, v15
	global_store_dword v[0:1], v3, off offset:3200
	s_or_b64 exec, exec, s[12:13]
	s_and_saveexec_b64 s[10:11], s[8:9]
	s_cbranch_execz .LBB249_92
.LBB249_125:
	s_waitcnt vmcnt(0)
	v_mul_f32_e32 v3, 0x3fb8aa3b, v18
	s_mov_b32 s8, 0x3fb8aa3b
	v_rndne_f32_e32 v4, v3
	v_sub_f32_e32 v5, v3, v4
	v_fma_f32 v3, v18, s8, -v3
	v_fmac_f32_e32 v3, 0x32a5705f, v18
	v_add_f32_e32 v3, v5, v3
	v_exp_f32_e32 v3, v3
	v_cvt_i32_f32_e32 v4, v4
	s_mov_b32 s8, 0xc2ce8ed0
	v_cmp_ngt_f32_e64 s[8:9], s8, v18
	v_ldexp_f32 v3, v3, v4
	v_cndmask_b32_e64 v3, 0, v3, s[8:9]
	s_mov_b32 s8, 0x42b17218
	v_mov_b32_e32 v4, 0x7f800000
	v_cmp_nlt_f32_e64 s[8:9], s8, v18
	v_cndmask_b32_e64 v3, v4, v3, s[8:9]
	v_fma_f32 v3, -v2, v3, v17
	global_store_dword v[0:1], v3, off offset:3328
	s_or_b64 exec, exec, s[10:11]
	s_and_saveexec_b64 s[8:9], s[6:7]
	s_cbranch_execz .LBB249_93
.LBB249_126:
	s_waitcnt vmcnt(0)
	v_mul_f32_e32 v3, 0x3fb8aa3b, v16
	s_mov_b32 s6, 0x3fb8aa3b
	v_rndne_f32_e32 v4, v3
	v_sub_f32_e32 v5, v3, v4
	v_fma_f32 v3, v16, s6, -v3
	v_fmac_f32_e32 v3, 0x32a5705f, v16
	v_add_f32_e32 v3, v5, v3
	v_exp_f32_e32 v3, v3
	v_cvt_i32_f32_e32 v4, v4
	s_mov_b32 s6, 0xc2ce8ed0
	v_cmp_ngt_f32_e64 s[6:7], s6, v16
	v_ldexp_f32 v3, v3, v4
	v_cndmask_b32_e64 v3, 0, v3, s[6:7]
	s_mov_b32 s6, 0x42b17218
	v_mov_b32_e32 v4, 0x7f800000
	v_cmp_nlt_f32_e64 s[6:7], s6, v16
	v_cndmask_b32_e64 v3, v4, v3, s[6:7]
	v_fma_f32 v3, -v2, v3, v11
	global_store_dword v[0:1], v3, off offset:3456
	s_or_b64 exec, exec, s[8:9]
	s_and_saveexec_b64 s[6:7], s[4:5]
	s_cbranch_execz .LBB249_94
.LBB249_127:
	s_waitcnt vmcnt(0)
	v_mul_f32_e32 v3, 0x3fb8aa3b, v14
	s_mov_b32 s4, 0x3fb8aa3b
	v_rndne_f32_e32 v4, v3
	v_sub_f32_e32 v5, v3, v4
	v_fma_f32 v3, v14, s4, -v3
	v_fmac_f32_e32 v3, 0x32a5705f, v14
	v_add_f32_e32 v3, v5, v3
	v_exp_f32_e32 v3, v3
	v_cvt_i32_f32_e32 v4, v4
	s_mov_b32 s4, 0xc2ce8ed0
	v_cmp_ngt_f32_e64 s[4:5], s4, v14
	v_ldexp_f32 v3, v3, v4
	v_cndmask_b32_e64 v3, 0, v3, s[4:5]
	s_mov_b32 s4, 0x42b17218
	v_mov_b32_e32 v4, 0x7f800000
	v_cmp_nlt_f32_e64 s[4:5], s4, v14
	v_cndmask_b32_e64 v3, v4, v3, s[4:5]
	v_fma_f32 v3, -v2, v3, v13
	global_store_dword v[0:1], v3, off offset:3584
	s_or_b64 exec, exec, s[6:7]
	s_and_saveexec_b64 s[4:5], s[2:3]
	s_cbranch_execz .LBB249_95
.LBB249_128:
	s_waitcnt vmcnt(0)
	v_mul_f32_e32 v3, 0x3fb8aa3b, v12
	s_mov_b32 s2, 0x3fb8aa3b
	v_rndne_f32_e32 v4, v3
	v_sub_f32_e32 v5, v3, v4
	v_fma_f32 v3, v12, s2, -v3
	v_fmac_f32_e32 v3, 0x32a5705f, v12
	v_add_f32_e32 v3, v5, v3
	v_exp_f32_e32 v3, v3
	v_cvt_i32_f32_e32 v4, v4
	s_mov_b32 s2, 0xc2ce8ed0
	v_cmp_ngt_f32_e64 s[2:3], s2, v12
	v_ldexp_f32 v3, v3, v4
	v_cndmask_b32_e64 v3, 0, v3, s[2:3]
	s_mov_b32 s2, 0x42b17218
	v_mov_b32_e32 v4, 0x7f800000
	v_cmp_nlt_f32_e64 s[2:3], s2, v12
	v_cndmask_b32_e64 v3, v4, v3, s[2:3]
	v_fma_f32 v3, -v2, v3, v7
	global_store_dword v[0:1], v3, off offset:3712
	s_or_b64 exec, exec, s[4:5]
	s_and_saveexec_b64 s[2:3], s[0:1]
	s_cbranch_execz .LBB249_96
.LBB249_129:
	s_waitcnt vmcnt(0)
	v_mul_f32_e32 v3, 0x3fb8aa3b, v10
	s_mov_b32 s0, 0x3fb8aa3b
	v_rndne_f32_e32 v4, v3
	v_sub_f32_e32 v5, v3, v4
	v_fma_f32 v3, v10, s0, -v3
	v_fmac_f32_e32 v3, 0x32a5705f, v10
	v_add_f32_e32 v3, v5, v3
	v_exp_f32_e32 v3, v3
	v_cvt_i32_f32_e32 v4, v4
	s_mov_b32 s0, 0xc2ce8ed0
	v_cmp_ngt_f32_e64 s[0:1], s0, v10
	v_ldexp_f32 v3, v3, v4
	v_cndmask_b32_e64 v3, 0, v3, s[0:1]
	s_mov_b32 s0, 0x42b17218
	v_mov_b32_e32 v4, 0x7f800000
	v_cmp_nlt_f32_e64 s[0:1], s0, v10
	v_cndmask_b32_e64 v3, v4, v3, s[0:1]
	v_fma_f32 v3, -v2, v3, v9
	global_store_dword v[0:1], v3, off offset:3840
	s_or_b64 exec, exec, s[2:3]
	s_and_b64 exec, exec, vcc
	s_cbranch_execnz .LBB249_97
	s_branch .LBB249_98
	.section	.rodata,"a",@progbits
	.p2align	6, 0x0
	.amdhsa_kernel _ZN12_GLOBAL__N_121softmax_warp_backwardIfffLi10ELb1ELb0ELi32EEEvPT0_PKT_S5_iiiPKb
		.amdhsa_group_segment_fixed_size 0
		.amdhsa_private_segment_fixed_size 0
		.amdhsa_kernarg_size 304
		.amdhsa_user_sgpr_count 6
		.amdhsa_user_sgpr_private_segment_buffer 1
		.amdhsa_user_sgpr_dispatch_ptr 0
		.amdhsa_user_sgpr_queue_ptr 0
		.amdhsa_user_sgpr_kernarg_segment_ptr 1
		.amdhsa_user_sgpr_dispatch_id 0
		.amdhsa_user_sgpr_flat_scratch_init 0
		.amdhsa_user_sgpr_kernarg_preload_length 0
		.amdhsa_user_sgpr_kernarg_preload_offset 0
		.amdhsa_user_sgpr_private_segment_size 0
		.amdhsa_uses_dynamic_stack 0
		.amdhsa_system_sgpr_private_segment_wavefront_offset 0
		.amdhsa_system_sgpr_workgroup_id_x 1
		.amdhsa_system_sgpr_workgroup_id_y 0
		.amdhsa_system_sgpr_workgroup_id_z 0
		.amdhsa_system_sgpr_workgroup_info 0
		.amdhsa_system_vgpr_workitem_id 1
		.amdhsa_next_free_vgpr 71
		.amdhsa_next_free_sgpr 74
		.amdhsa_accum_offset 72
		.amdhsa_reserve_vcc 1
		.amdhsa_reserve_flat_scratch 0
		.amdhsa_float_round_mode_32 0
		.amdhsa_float_round_mode_16_64 0
		.amdhsa_float_denorm_mode_32 3
		.amdhsa_float_denorm_mode_16_64 3
		.amdhsa_dx10_clamp 1
		.amdhsa_ieee_mode 1
		.amdhsa_fp16_overflow 0
		.amdhsa_tg_split 0
		.amdhsa_exception_fp_ieee_invalid_op 0
		.amdhsa_exception_fp_denorm_src 0
		.amdhsa_exception_fp_ieee_div_zero 0
		.amdhsa_exception_fp_ieee_overflow 0
		.amdhsa_exception_fp_ieee_underflow 0
		.amdhsa_exception_fp_ieee_inexact 0
		.amdhsa_exception_int_div_zero 0
	.end_amdhsa_kernel
	.section	.text._ZN12_GLOBAL__N_121softmax_warp_backwardIfffLi10ELb1ELb0ELi32EEEvPT0_PKT_S5_iiiPKb,"axG",@progbits,_ZN12_GLOBAL__N_121softmax_warp_backwardIfffLi10ELb1ELb0ELi32EEEvPT0_PKT_S5_iiiPKb,comdat
.Lfunc_end249:
	.size	_ZN12_GLOBAL__N_121softmax_warp_backwardIfffLi10ELb1ELb0ELi32EEEvPT0_PKT_S5_iiiPKb, .Lfunc_end249-_ZN12_GLOBAL__N_121softmax_warp_backwardIfffLi10ELb1ELb0ELi32EEEvPT0_PKT_S5_iiiPKb
                                        ; -- End function
	.section	.AMDGPU.csdata,"",@progbits
; Kernel info:
; codeLenInByte = 7388
; NumSgprs: 78
; NumVgprs: 71
; NumAgprs: 0
; TotalNumVgprs: 71
; ScratchSize: 0
; MemoryBound: 0
; FloatMode: 240
; IeeeMode: 1
; LDSByteSize: 0 bytes/workgroup (compile time only)
; SGPRBlocks: 9
; VGPRBlocks: 8
; NumSGPRsForWavesPerEU: 78
; NumVGPRsForWavesPerEU: 71
; AccumOffset: 72
; Occupancy: 7
; WaveLimiterHint : 0
; COMPUTE_PGM_RSRC2:SCRATCH_EN: 0
; COMPUTE_PGM_RSRC2:USER_SGPR: 6
; COMPUTE_PGM_RSRC2:TRAP_HANDLER: 0
; COMPUTE_PGM_RSRC2:TGID_X_EN: 1
; COMPUTE_PGM_RSRC2:TGID_Y_EN: 0
; COMPUTE_PGM_RSRC2:TGID_Z_EN: 0
; COMPUTE_PGM_RSRC2:TIDIG_COMP_CNT: 1
; COMPUTE_PGM_RSRC3_GFX90A:ACCUM_OFFSET: 17
; COMPUTE_PGM_RSRC3_GFX90A:TG_SPLIT: 0
	.section	.text._ZN2at6native12_GLOBAL__N_124cunn_SoftMaxBackwardSmemILi4EfffNS1_26LogSoftMaxBackwardEpilogueEEEvPT0_PKT2_S8_l,"axG",@progbits,_ZN2at6native12_GLOBAL__N_124cunn_SoftMaxBackwardSmemILi4EfffNS1_26LogSoftMaxBackwardEpilogueEEEvPT0_PKT2_S8_l,comdat
	.globl	_ZN2at6native12_GLOBAL__N_124cunn_SoftMaxBackwardSmemILi4EfffNS1_26LogSoftMaxBackwardEpilogueEEEvPT0_PKT2_S8_l ; -- Begin function _ZN2at6native12_GLOBAL__N_124cunn_SoftMaxBackwardSmemILi4EfffNS1_26LogSoftMaxBackwardEpilogueEEEvPT0_PKT2_S8_l
	.p2align	8
	.type	_ZN2at6native12_GLOBAL__N_124cunn_SoftMaxBackwardSmemILi4EfffNS1_26LogSoftMaxBackwardEpilogueEEEvPT0_PKT2_S8_l,@function
_ZN2at6native12_GLOBAL__N_124cunn_SoftMaxBackwardSmemILi4EfffNS1_26LogSoftMaxBackwardEpilogueEEEvPT0_PKT2_S8_l: ; @_ZN2at6native12_GLOBAL__N_124cunn_SoftMaxBackwardSmemILi4EfffNS1_26LogSoftMaxBackwardEpilogueEEEvPT0_PKT2_S8_l
; %bb.0:
	s_load_dwordx8 s[8:15], s[4:5], 0x0
	v_lshlrev_b32_e32 v2, 2, v0
	v_mov_b32_e32 v3, 0
	v_lshl_add_u32 v14, v0, 4, 0
	s_waitcnt lgkmcnt(0)
	s_mul_i32 s0, s6, s15
	s_mul_hi_u32 s1, s6, s14
	s_mul_i32 s2, s6, s14
	s_add_i32 s3, s1, s0
	v_cmp_gt_i64_e32 vcc, s[14:15], v[2:3]
	s_and_saveexec_b64 s[6:7], vcc
	s_cbranch_execz .LBB250_4
; %bb.1:
	s_load_dword s17, s[4:5], 0x2c
	s_lshl_b64 s[0:1], s[2:3], 2
	s_add_u32 s16, s12, s0
	s_addc_u32 s0, s13, s1
	v_lshl_add_u32 v1, v0, 4, 0
	s_waitcnt lgkmcnt(0)
	s_and_b32 s17, s17, 0xffff
	v_add_lshl_u32 v4, v0, s17, 2
	s_lshl_b32 s18, s17, 2
	s_lshl_b32 s19, s17, 4
	s_mov_b64 s[12:13], 0
	v_mov_b32_e32 v3, 0
	v_mov_b32_e32 v2, s0
	;; [unrolled: 1-line block ×3, first 2 shown]
.LBB250_2:                              ; =>This Inner Loop Header: Depth=1
	v_ashrrev_i32_e32 v7, 31, v6
	v_lshlrev_b64 v[8:9], 4, v[6:7]
	v_add_co_u32_e64 v8, s[0:1], s16, v8
	v_addc_co_u32_e64 v9, s[0:1], v2, v9, s[0:1]
	global_load_dwordx4 v[8:11], v[8:9], off
	v_ashrrev_i32_e32 v5, 31, v4
	v_cmp_le_i64_e64 s[0:1], s[14:15], v[4:5]
	v_add_u32_e32 v6, s17, v6
	v_add_u32_e32 v4, s18, v4
	s_or_b64 s[12:13], s[0:1], s[12:13]
	s_waitcnt vmcnt(0)
	v_add_f32_e32 v3, v3, v8
	v_add_f32_e32 v3, v3, v9
	;; [unrolled: 1-line block ×3, first 2 shown]
	ds_write_b128 v1, v[8:11]
	v_add_u32_e32 v1, s19, v1
	v_add_f32_e32 v3, v3, v11
	s_andn2_b64 exec, exec, s[12:13]
	s_cbranch_execnz .LBB250_2
; %bb.3:
	s_or_b64 exec, exec, s[12:13]
.LBB250_4:
	s_or_b64 exec, exec, s[6:7]
	v_mbcnt_lo_u32_b32 v1, -1, 0
	v_mbcnt_hi_u32_b32 v6, -1, v1
	v_and_b32_e32 v9, 63, v6
	v_cmp_gt_u32_e64 s[0:1], 32, v9
	v_cndmask_b32_e64 v1, 0, 1, s[0:1]
	v_lshlrev_b32_e32 v1, 5, v1
	v_add_lshl_u32 v1, v1, v6, 2
	ds_bpermute_b32 v2, v1, v3
	v_cmp_gt_u32_e64 s[0:1], 48, v9
	v_cndmask_b32_e64 v4, 0, 1, s[0:1]
	v_lshlrev_b32_e32 v4, 4, v4
	v_cmp_gt_u32_e64 s[0:1], 56, v9
	s_waitcnt lgkmcnt(0)
	v_add_f32_e32 v3, v3, v2
	v_add_lshl_u32 v2, v4, v6, 2
	ds_bpermute_b32 v4, v2, v3
	v_cndmask_b32_e64 v5, 0, 1, s[0:1]
	v_lshlrev_b32_e32 v5, 3, v5
	v_cmp_gt_u32_e64 s[0:1], 60, v9
	v_cndmask_b32_e64 v7, 0, 1, s[0:1]
	s_waitcnt lgkmcnt(0)
	v_add_f32_e32 v4, v3, v4
	v_add_lshl_u32 v3, v5, v6, 2
	ds_bpermute_b32 v5, v3, v4
	v_lshlrev_b32_e32 v7, 2, v7
	v_cmp_gt_u32_e64 s[0:1], 62, v9
	v_cndmask_b32_e64 v8, 0, 1, s[0:1]
	v_lshlrev_b32_e32 v8, 1, v8
	s_waitcnt lgkmcnt(0)
	v_add_f32_e32 v5, v4, v5
	v_add_lshl_u32 v4, v7, v6, 2
	ds_bpermute_b32 v7, v4, v5
	s_lshl_b32 s0, s14, 2
	s_add_i32 s13, s0, 0
	v_cmp_ne_u32_e64 s[0:1], 63, v9
	s_waitcnt lgkmcnt(0)
	v_add_f32_e32 v10, v5, v7
	v_add_lshl_u32 v5, v8, v6, 2
	ds_bpermute_b32 v8, v5, v10
	v_addc_co_u32_e64 v6, s[0:1], 0, v6, s[0:1]
	v_lshlrev_b32_e32 v6, 2, v6
	v_and_b32_e32 v7, 63, v0
	s_waitcnt lgkmcnt(0)
	v_add_f32_e32 v8, v10, v8
	ds_bpermute_b32 v9, v6, v8
	v_cmp_eq_u32_e64 s[0:1], 0, v7
	s_barrier
	s_waitcnt lgkmcnt(0)
	s_and_saveexec_b64 s[6:7], s[0:1]
	s_cbranch_execz .LBB250_6
; %bb.5:
	v_lshrrev_b32_e32 v10, 4, v0
	v_add_u32_e32 v10, s13, v10
	v_add_f32_e32 v8, v8, v9
	ds_write_b32 v10, v8
.LBB250_6:
	s_or_b64 exec, exec, s[6:7]
	s_waitcnt lgkmcnt(0)
	s_barrier
	s_load_dword s6, s[4:5], 0x2c
	v_mov_b32_e32 v8, 0
	s_waitcnt lgkmcnt(0)
	s_bfe_u32 s0, s6, 0xa0006
	v_cmp_gt_u32_e64 s[0:1], s0, v0
	s_and_saveexec_b64 s[4:5], s[0:1]
	s_cbranch_execnz .LBB250_14
; %bb.7:
	s_or_b64 exec, exec, s[4:5]
	v_cmp_gt_u32_e64 s[0:1], 64, v0
	s_and_saveexec_b64 s[4:5], s[0:1]
	s_cbranch_execnz .LBB250_15
.LBB250_8:
	s_or_b64 exec, exec, s[4:5]
	v_cmp_eq_u32_e64 s[0:1], 0, v0
	s_and_saveexec_b64 s[4:5], s[0:1]
	s_cbranch_execz .LBB250_10
.LBB250_9:
	v_mov_b32_e32 v1, s13
	s_waitcnt lgkmcnt(0)
	ds_write_b32 v1, v8
.LBB250_10:
	s_or_b64 exec, exec, s[4:5]
	s_waitcnt lgkmcnt(0)
	s_barrier
	s_and_saveexec_b64 s[0:1], vcc
	s_cbranch_execz .LBB250_13
; %bb.11:
	v_mov_b32_e32 v1, s13
	s_and_b32 s12, s6, 0xffff
	s_lshl_b64 s[0:1], s[2:3], 2
	ds_read_b32 v10, v1
	s_add_u32 s8, s8, s0
	s_addc_u32 s2, s9, s1
	s_add_u32 s9, s10, s0
	s_addc_u32 s0, s11, s1
	s_waitcnt lgkmcnt(0)
	v_mov_b32_e32 v11, v10
	v_add_lshl_u32 v12, v0, s12, 2
	s_lshl_b32 s10, s12, 2
	s_lshl_b32 s11, s12, 4
	s_mov_b64 s[6:7], 0
	v_mov_b32_e32 v15, s0
	v_mov_b32_e32 v16, s2
	s_mov_b32 s13, 0x3fb8aa3b
	s_mov_b32 s16, 0xc2ce8ed0
	;; [unrolled: 1-line block ×3, first 2 shown]
	v_mov_b32_e32 v17, 0x7f800000
.LBB250_12:                             ; =>This Inner Loop Header: Depth=1
	v_ashrrev_i32_e32 v1, 31, v0
	v_lshlrev_b64 v[18:19], 4, v[0:1]
	v_add_co_u32_e32 v2, vcc, s9, v18
	v_addc_co_u32_e32 v3, vcc, v15, v19, vcc
	global_load_dwordx4 v[6:9], v[2:3], off
	v_ashrrev_i32_e32 v13, 31, v12
	v_cmp_le_i64_e32 vcc, s[14:15], v[12:13]
	ds_read_b128 v[2:5], v14
	v_add_co_u32_e64 v18, s[0:1], s8, v18
	v_addc_co_u32_e64 v19, s[0:1], v16, v19, s[0:1]
	s_or_b64 s[6:7], vcc, s[6:7]
	v_add_u32_e32 v14, s11, v14
	v_add_u32_e32 v0, s12, v0
	;; [unrolled: 1-line block ×3, first 2 shown]
	s_waitcnt vmcnt(0)
	v_mul_f32_e32 v1, 0x3fb8aa3b, v7
	v_mul_f32_e32 v13, 0x3fb8aa3b, v6
	;; [unrolled: 1-line block ×4, first 2 shown]
	v_fma_f32 v22, v7, s13, -v1
	v_rndne_f32_e32 v23, v1
	v_fma_f32 v24, v6, s13, -v13
	v_rndne_f32_e32 v25, v13
	;; [unrolled: 2-line block ×4, first 2 shown]
	v_fmac_f32_e32 v22, 0x32a5705f, v7
	v_sub_f32_e32 v1, v1, v23
	v_fmac_f32_e32 v24, 0x32a5705f, v6
	v_sub_f32_e32 v13, v13, v25
	;; [unrolled: 2-line block ×4, first 2 shown]
	v_add_f32_e32 v1, v1, v22
	v_add_f32_e32 v13, v13, v24
	;; [unrolled: 1-line block ×4, first 2 shown]
	v_cvt_i32_f32_e32 v23, v23
	v_cvt_i32_f32_e32 v25, v25
	;; [unrolled: 1-line block ×4, first 2 shown]
	v_exp_f32_e32 v1, v1
	v_exp_f32_e32 v13, v13
	;; [unrolled: 1-line block ×4, first 2 shown]
	v_ldexp_f32 v1, v1, v23
	v_ldexp_f32 v13, v13, v25
	v_cmp_ngt_f32_e32 vcc, s16, v6
	v_ldexp_f32 v20, v20, v27
	v_cmp_ngt_f32_e64 s[0:1], s16, v9
	v_ldexp_f32 v21, v21, v29
	v_cmp_ngt_f32_e64 s[2:3], s16, v8
	v_cmp_ngt_f32_e64 s[4:5], s16, v7
	v_cndmask_b32_e64 v1, 0, v1, s[4:5]
	v_cndmask_b32_e32 v13, 0, v13, vcc
	v_cmp_nlt_f32_e32 vcc, s17, v6
	v_cndmask_b32_e64 v20, 0, v20, s[0:1]
	v_cmp_nlt_f32_e64 s[0:1], s17, v9
	v_cndmask_b32_e64 v21, 0, v21, s[2:3]
	v_cmp_nlt_f32_e64 s[2:3], s17, v8
	v_cmp_nlt_f32_e64 s[4:5], s17, v7
	v_cndmask_b32_e64 v7, v17, v1, s[4:5]
	v_cndmask_b32_e32 v6, v17, v13, vcc
	v_cndmask_b32_e64 v9, v17, v20, s[0:1]
	v_cndmask_b32_e64 v8, v17, v21, s[2:3]
	s_waitcnt lgkmcnt(0)
	v_pk_fma_f32 v[2:3], v[10:11], v[6:7], v[2:3] neg_lo:[1,0,0] neg_hi:[1,0,0]
	v_pk_fma_f32 v[4:5], v[10:11], v[8:9], v[4:5] neg_lo:[1,0,0] neg_hi:[1,0,0]
	global_store_dwordx4 v[18:19], v[2:5], off
	s_andn2_b64 exec, exec, s[6:7]
	s_cbranch_execnz .LBB250_12
.LBB250_13:
	s_endpgm
.LBB250_14:
	v_lshl_add_u32 v7, v7, 2, s13
	ds_read_b32 v8, v7
	s_or_b64 exec, exec, s[4:5]
	v_cmp_gt_u32_e64 s[0:1], 64, v0
	s_and_saveexec_b64 s[4:5], s[0:1]
	s_cbranch_execz .LBB250_8
.LBB250_15:
	s_waitcnt lgkmcnt(0)
	ds_bpermute_b32 v1, v1, v8
	s_waitcnt lgkmcnt(0)
	v_add_f32_e32 v1, v8, v1
	ds_bpermute_b32 v2, v2, v1
	s_waitcnt lgkmcnt(0)
	v_add_f32_e32 v1, v1, v2
	;; [unrolled: 3-line block ×6, first 2 shown]
	s_or_b64 exec, exec, s[4:5]
	v_cmp_eq_u32_e64 s[0:1], 0, v0
	s_and_saveexec_b64 s[4:5], s[0:1]
	s_cbranch_execnz .LBB250_9
	s_branch .LBB250_10
	.section	.rodata,"a",@progbits
	.p2align	6, 0x0
	.amdhsa_kernel _ZN2at6native12_GLOBAL__N_124cunn_SoftMaxBackwardSmemILi4EfffNS1_26LogSoftMaxBackwardEpilogueEEEvPT0_PKT2_S8_l
		.amdhsa_group_segment_fixed_size 0
		.amdhsa_private_segment_fixed_size 0
		.amdhsa_kernarg_size 288
		.amdhsa_user_sgpr_count 6
		.amdhsa_user_sgpr_private_segment_buffer 1
		.amdhsa_user_sgpr_dispatch_ptr 0
		.amdhsa_user_sgpr_queue_ptr 0
		.amdhsa_user_sgpr_kernarg_segment_ptr 1
		.amdhsa_user_sgpr_dispatch_id 0
		.amdhsa_user_sgpr_flat_scratch_init 0
		.amdhsa_user_sgpr_kernarg_preload_length 0
		.amdhsa_user_sgpr_kernarg_preload_offset 0
		.amdhsa_user_sgpr_private_segment_size 0
		.amdhsa_uses_dynamic_stack 0
		.amdhsa_system_sgpr_private_segment_wavefront_offset 0
		.amdhsa_system_sgpr_workgroup_id_x 1
		.amdhsa_system_sgpr_workgroup_id_y 0
		.amdhsa_system_sgpr_workgroup_id_z 0
		.amdhsa_system_sgpr_workgroup_info 0
		.amdhsa_system_vgpr_workitem_id 0
		.amdhsa_next_free_vgpr 30
		.amdhsa_next_free_sgpr 20
		.amdhsa_accum_offset 32
		.amdhsa_reserve_vcc 1
		.amdhsa_reserve_flat_scratch 0
		.amdhsa_float_round_mode_32 0
		.amdhsa_float_round_mode_16_64 0
		.amdhsa_float_denorm_mode_32 3
		.amdhsa_float_denorm_mode_16_64 3
		.amdhsa_dx10_clamp 1
		.amdhsa_ieee_mode 1
		.amdhsa_fp16_overflow 0
		.amdhsa_tg_split 0
		.amdhsa_exception_fp_ieee_invalid_op 0
		.amdhsa_exception_fp_denorm_src 0
		.amdhsa_exception_fp_ieee_div_zero 0
		.amdhsa_exception_fp_ieee_overflow 0
		.amdhsa_exception_fp_ieee_underflow 0
		.amdhsa_exception_fp_ieee_inexact 0
		.amdhsa_exception_int_div_zero 0
	.end_amdhsa_kernel
	.section	.text._ZN2at6native12_GLOBAL__N_124cunn_SoftMaxBackwardSmemILi4EfffNS1_26LogSoftMaxBackwardEpilogueEEEvPT0_PKT2_S8_l,"axG",@progbits,_ZN2at6native12_GLOBAL__N_124cunn_SoftMaxBackwardSmemILi4EfffNS1_26LogSoftMaxBackwardEpilogueEEEvPT0_PKT2_S8_l,comdat
.Lfunc_end250:
	.size	_ZN2at6native12_GLOBAL__N_124cunn_SoftMaxBackwardSmemILi4EfffNS1_26LogSoftMaxBackwardEpilogueEEEvPT0_PKT2_S8_l, .Lfunc_end250-_ZN2at6native12_GLOBAL__N_124cunn_SoftMaxBackwardSmemILi4EfffNS1_26LogSoftMaxBackwardEpilogueEEEvPT0_PKT2_S8_l
                                        ; -- End function
	.section	.AMDGPU.csdata,"",@progbits
; Kernel info:
; codeLenInByte = 1396
; NumSgprs: 24
; NumVgprs: 30
; NumAgprs: 0
; TotalNumVgprs: 30
; ScratchSize: 0
; MemoryBound: 0
; FloatMode: 240
; IeeeMode: 1
; LDSByteSize: 0 bytes/workgroup (compile time only)
; SGPRBlocks: 2
; VGPRBlocks: 3
; NumSGPRsForWavesPerEU: 24
; NumVGPRsForWavesPerEU: 30
; AccumOffset: 32
; Occupancy: 8
; WaveLimiterHint : 0
; COMPUTE_PGM_RSRC2:SCRATCH_EN: 0
; COMPUTE_PGM_RSRC2:USER_SGPR: 6
; COMPUTE_PGM_RSRC2:TRAP_HANDLER: 0
; COMPUTE_PGM_RSRC2:TGID_X_EN: 1
; COMPUTE_PGM_RSRC2:TGID_Y_EN: 0
; COMPUTE_PGM_RSRC2:TGID_Z_EN: 0
; COMPUTE_PGM_RSRC2:TIDIG_COMP_CNT: 0
; COMPUTE_PGM_RSRC3_GFX90A:ACCUM_OFFSET: 7
; COMPUTE_PGM_RSRC3_GFX90A:TG_SPLIT: 0
	.section	.text._ZN2at6native12_GLOBAL__N_120cunn_SoftMaxBackwardILi4EfffNS1_26LogSoftMaxBackwardEpilogueEEEvPT0_PKT2_S8_l,"axG",@progbits,_ZN2at6native12_GLOBAL__N_120cunn_SoftMaxBackwardILi4EfffNS1_26LogSoftMaxBackwardEpilogueEEEvPT0_PKT2_S8_l,comdat
	.globl	_ZN2at6native12_GLOBAL__N_120cunn_SoftMaxBackwardILi4EfffNS1_26LogSoftMaxBackwardEpilogueEEEvPT0_PKT2_S8_l ; -- Begin function _ZN2at6native12_GLOBAL__N_120cunn_SoftMaxBackwardILi4EfffNS1_26LogSoftMaxBackwardEpilogueEEEvPT0_PKT2_S8_l
	.p2align	8
	.type	_ZN2at6native12_GLOBAL__N_120cunn_SoftMaxBackwardILi4EfffNS1_26LogSoftMaxBackwardEpilogueEEEvPT0_PKT2_S8_l,@function
_ZN2at6native12_GLOBAL__N_120cunn_SoftMaxBackwardILi4EfffNS1_26LogSoftMaxBackwardEpilogueEEEvPT0_PKT2_S8_l: ; @_ZN2at6native12_GLOBAL__N_120cunn_SoftMaxBackwardILi4EfffNS1_26LogSoftMaxBackwardEpilogueEEEvPT0_PKT2_S8_l
; %bb.0:
	s_load_dwordx8 s[36:43], s[4:5], 0x0
	v_mov_b32_e32 v2, 0x7ffffffe
	v_mov_b32_e32 v3, 0
	s_mov_b32 s9, 0
	s_waitcnt lgkmcnt(0)
	s_mul_i32 s1, s6, s43
	s_mul_hi_u32 s2, s6, s42
	s_mul_i32 s0, s6, s42
	s_add_i32 s1, s2, s1
	s_lshl_b64 s[48:49], s[0:1], 2
	s_add_u32 s26, s40, s48
	s_addc_u32 s27, s41, s49
	s_bfe_u32 s8, s26, 0x20002
	v_cmp_gt_i64_e64 s[0:1], s[42:43], v[2:3]
	s_cmp_lg_u32 s8, 0
	s_cselect_b64 s[2:3], -1, 0
	s_and_b64 vcc, exec, s[0:1]
	s_cbranch_vccz .LBB251_16
; %bb.1:
	v_mov_b32_e32 v1, 0
	s_and_b64 vcc, exec, s[2:3]
	s_cbranch_vccz .LBB251_39
; %bb.2:
	s_lshl_b32 s7, s8, 2
	s_sub_u32 s12, s26, s7
	s_subb_u32 s13, s27, 0
	v_cmp_le_u64_e32 vcc, s[8:9], v[0:1]
	v_mov_b32_e32 v8, v1
	s_and_saveexec_b64 s[10:11], vcc
	s_cbranch_execz .LBB251_4
; %bb.3:
	v_lshlrev_b32_e32 v2, 2, v0
	global_load_dword v2, v2, s[12:13]
	s_waitcnt vmcnt(0)
	v_add_f32_e32 v8, 0, v2
.LBB251_4:
	s_or_b64 exec, exec, s[10:11]
	s_load_dword s7, s[4:5], 0x2c
	s_add_u32 s10, s8, s42
	s_addc_u32 s11, 0, s43
	s_add_u32 s14, s4, 32
	s_addc_u32 s15, s5, 0
	s_waitcnt lgkmcnt(0)
	s_and_b32 s7, s7, 0xffff
	s_sub_u32 s10, s10, s7
	s_subb_u32 s11, s11, 0
	s_lshl_b32 s7, s7, 2
	s_add_u32 s12, s12, s7
	s_addc_u32 s13, s13, 0
	s_branch .LBB251_6
.LBB251_5:
	s_add_u32 s14, s4, 32
	s_addc_u32 s15, s5, 0
	v_mov_b32_e32 v8, 0
	s_mov_b64 s[10:11], s[42:43]
	s_mov_b64 s[12:13], s[26:27]
.LBB251_6:
	s_load_dword s7, s[14:15], 0x0
	v_mov_b32_e32 v2, 0
	s_waitcnt lgkmcnt(0)
	s_cmp_lt_u32 s6, s7
	s_cselect_b32 s7, 12, 18
	s_add_u32 s14, s14, s7
	s_addc_u32 s15, s15, 0
	global_load_ushort v2, v2, s[14:15]
	s_mov_b32 s14, 0
	s_mov_b32 s15, s11
	s_waitcnt vmcnt(0)
	v_readfirstlane_b32 s7, v2
	s_and_b32 s7, 0xffff, s7
	s_lshl_b32 s7, s7, 2
	s_cmp_lg_u64 s[14:15], 0
	v_and_b32_e32 v9, 0xffff, v2
	s_cbranch_scc0 .LBB251_40
; %bb.7:
	v_cvt_f32_u32_e32 v2, s7
	v_mov_b32_e32 v3, 0x4f800000
	s_sub_u32 s16, 0, s7
	s_subb_u32 s17, 0, 0
	v_mac_f32_e32 v2, 0, v3
	v_rcp_f32_e32 v2, v2
	v_mul_f32_e32 v2, 0x5f7ffffc, v2
	v_mul_f32_e32 v3, 0x2f800000, v2
	v_trunc_f32_e32 v3, v3
	v_madmk_f32 v2, v3, 0xcf800000, v2
	v_cvt_u32_f32_e32 v3, v3
	v_cvt_u32_f32_e32 v2, v2
	v_readfirstlane_b32 s18, v3
	v_readfirstlane_b32 s19, v2
	s_mul_i32 s20, s16, s18
	s_mul_hi_u32 s22, s16, s19
	s_mul_i32 s21, s17, s19
	s_add_i32 s20, s22, s20
	s_add_i32 s20, s20, s21
	s_mul_i32 s23, s16, s19
	s_mul_hi_u32 s21, s19, s20
	s_mul_i32 s22, s19, s20
	s_mul_hi_u32 s19, s19, s23
	s_add_u32 s19, s19, s22
	s_addc_u32 s21, 0, s21
	s_mul_hi_u32 s24, s18, s23
	s_mul_i32 s23, s18, s23
	s_add_u32 s19, s19, s23
	s_mul_hi_u32 s22, s18, s20
	s_addc_u32 s19, s21, s24
	s_addc_u32 s21, s22, 0
	s_mul_i32 s20, s18, s20
	s_add_u32 s19, s19, s20
	s_addc_u32 s20, 0, s21
	v_add_co_u32_e32 v2, vcc, s19, v2
	s_cmp_lg_u64 vcc, 0
	s_addc_u32 s18, s18, s20
	v_readfirstlane_b32 s20, v2
	s_mul_i32 s19, s16, s18
	s_mul_hi_u32 s21, s16, s20
	s_add_i32 s19, s21, s19
	s_mul_i32 s17, s17, s20
	s_add_i32 s19, s19, s17
	s_mul_i32 s16, s16, s20
	s_mul_hi_u32 s21, s18, s16
	s_mul_i32 s22, s18, s16
	s_mul_i32 s24, s20, s19
	s_mul_hi_u32 s16, s20, s16
	s_mul_hi_u32 s23, s20, s19
	s_add_u32 s16, s16, s24
	s_addc_u32 s20, 0, s23
	s_add_u32 s16, s16, s22
	s_mul_hi_u32 s17, s18, s19
	s_addc_u32 s16, s20, s21
	s_addc_u32 s17, s17, 0
	s_mul_i32 s19, s18, s19
	s_add_u32 s16, s16, s19
	s_addc_u32 s17, 0, s17
	v_add_co_u32_e32 v2, vcc, s16, v2
	s_cmp_lg_u64 vcc, 0
	s_addc_u32 s16, s18, s17
	v_readfirstlane_b32 s19, v2
	s_mul_i32 s18, s10, s16
	s_mul_hi_u32 s20, s10, s19
	s_mul_hi_u32 s17, s10, s16
	s_add_u32 s18, s20, s18
	s_addc_u32 s17, 0, s17
	s_mul_hi_u32 s21, s11, s19
	s_mul_i32 s19, s11, s19
	s_add_u32 s18, s18, s19
	s_mul_hi_u32 s20, s11, s16
	s_addc_u32 s17, s17, s21
	s_addc_u32 s18, s20, 0
	s_mul_i32 s16, s11, s16
	s_add_u32 s16, s17, s16
	s_addc_u32 s17, 0, s18
	s_mul_hi_u32 s18, s7, s16
	s_mul_i32 s16, s7, s16
	s_mul_i32 s17, s7, s17
	v_mov_b32_e32 v2, s16
	s_add_i32 s18, s18, s17
	v_sub_co_u32_e32 v2, vcc, s10, v2
	s_cmp_lg_u64 vcc, 0
	s_subb_u32 s16, s11, s18
	v_subrev_co_u32_e32 v3, vcc, s7, v2
	s_cmp_lg_u64 vcc, 0
	s_subb_u32 s17, s16, 0
	v_subrev_co_u32_e32 v4, vcc, s7, v3
	s_cmp_lg_u64 vcc, 0
	s_subb_u32 s18, s17, 0
	v_cmp_le_u32_e32 vcc, s7, v3
	s_cmp_eq_u32 s17, 0
	v_cndmask_b32_e64 v5, 0, -1, vcc
	s_cselect_b64 vcc, -1, 0
	v_cndmask_b32_e32 v5, -1, v5, vcc
	v_mov_b32_e32 v6, s17
	v_mov_b32_e32 v7, s18
	v_cmp_ne_u32_e32 vcc, 0, v5
	v_cndmask_b32_e32 v5, v6, v7, vcc
	v_cndmask_b32_e32 v4, v3, v4, vcc
	v_cmp_le_u32_e32 vcc, s7, v2
	s_cmp_eq_u32 s16, 0
	v_cndmask_b32_e64 v3, 0, -1, vcc
	s_cselect_b64 vcc, -1, 0
	v_cndmask_b32_e32 v3, -1, v3, vcc
	v_mov_b32_e32 v6, s16
	v_cmp_ne_u32_e32 vcc, 0, v3
	v_cndmask_b32_e32 v3, v6, v5, vcc
	v_cndmask_b32_e32 v2, v2, v4, vcc
	s_cbranch_execnz .LBB251_9
.LBB251_8:
	v_cvt_f32_u32_e32 v2, s7
	s_sub_i32 s14, 0, s7
	v_rcp_iflag_f32_e32 v2, v2
	v_mul_f32_e32 v2, 0x4f7ffffe, v2
	v_cvt_u32_f32_e32 v2, v2
	v_mul_lo_u32 v3, s14, v2
	v_mul_hi_u32 v3, v2, v3
	v_add_u32_e32 v2, v2, v3
	v_mul_hi_u32 v2, s10, v2
	v_mul_lo_u32 v2, v2, s7
	v_sub_u32_e32 v2, s10, v2
	v_subrev_u32_e32 v3, s7, v2
	v_cmp_le_u32_e32 vcc, s7, v2
	v_cndmask_b32_e32 v2, v2, v3, vcc
	v_subrev_u32_e32 v3, s7, v2
	v_cmp_le_u32_e32 vcc, s7, v2
	v_cndmask_b32_e32 v2, v2, v3, vcc
	v_mov_b32_e32 v3, 0
.LBB251_9:
	v_mov_b32_e32 v4, s11
	v_sub_co_u32_e32 v2, vcc, s10, v2
	v_subb_co_u32_e32 v3, vcc, v4, v3, vcc
	v_lshlrev_b32_e32 v4, 4, v0
	v_mov_b32_e32 v5, s13
	v_add_co_u32_e32 v4, vcc, s12, v4
	v_addc_co_u32_e32 v5, vcc, 0, v5, vcc
	v_add_co_u32_e32 v4, vcc, 8, v4
	v_addc_co_u32_e32 v5, vcc, 0, v5, vcc
	v_lshlrev_b32_e32 v10, 4, v9
	s_mov_b64 s[14:15], 0
	v_pk_mov_b32 v[6:7], v[0:1], v[0:1] op_sel:[0,1]
.LBB251_10:                             ; =>This Inner Loop Header: Depth=1
	global_load_dwordx4 v[12:15], v[4:5], off offset:-8
	v_add_co_u32_e32 v6, vcc, v6, v9
	v_addc_co_u32_e32 v7, vcc, 0, v7, vcc
	v_add_co_u32_e32 v4, vcc, v4, v10
	v_addc_co_u32_e32 v5, vcc, 0, v5, vcc
	v_lshlrev_b64 v[16:17], 2, v[6:7]
	v_cmp_ge_i64_e32 vcc, v[16:17], v[2:3]
	s_or_b64 s[14:15], vcc, s[14:15]
	s_waitcnt vmcnt(0)
	v_add_f32_e32 v1, v8, v12
	v_add_f32_e32 v1, v1, v13
	;; [unrolled: 1-line block ×4, first 2 shown]
	s_andn2_b64 exec, exec, s[14:15]
	s_cbranch_execnz .LBB251_10
; %bb.11:
	s_or_b64 exec, exec, s[14:15]
	v_add_co_u32_e32 v2, vcc, v2, v0
	v_addc_co_u32_e32 v3, vcc, 0, v3, vcc
	v_cmp_gt_i64_e32 vcc, s[10:11], v[2:3]
	s_and_saveexec_b64 s[14:15], vcc
	s_cbranch_execz .LBB251_15
; %bb.12:
	s_mov_b64 s[16:17], 0
	v_mov_b32_e32 v1, s13
.LBB251_13:                             ; =>This Inner Loop Header: Depth=1
	v_lshlrev_b64 v[4:5], 2, v[2:3]
	v_add_co_u32_e32 v4, vcc, s12, v4
	v_addc_co_u32_e32 v5, vcc, v1, v5, vcc
	global_load_dword v4, v[4:5], off
	v_add_co_u32_e32 v2, vcc, v2, v9
	v_addc_co_u32_e32 v3, vcc, 0, v3, vcc
	v_cmp_le_i64_e32 vcc, s[10:11], v[2:3]
	s_or_b64 s[16:17], vcc, s[16:17]
	s_waitcnt vmcnt(0)
	v_add_f32_e32 v8, v8, v4
	s_andn2_b64 exec, exec, s[16:17]
	s_cbranch_execnz .LBB251_13
; %bb.14:
	s_or_b64 exec, exec, s[16:17]
.LBB251_15:
	s_or_b64 exec, exec, s[14:15]
	s_branch .LBB251_31
.LBB251_16:
                                        ; implicit-def: $vgpr8
	s_cbranch_execz .LBB251_31
; %bb.17:
	s_and_b64 vcc, exec, s[2:3]
	s_cbranch_vccz .LBB251_41
; %bb.18:
	s_lshl_b64 s[2:3], s[8:9], 2
	s_sub_u32 s12, s26, s2
	s_subb_u32 s13, s27, s3
	s_add_i32 s7, s8, s42
	v_cmp_le_u32_e32 vcc, s8, v0
	v_cmp_gt_i32_e64 s[2:3], s7, v0
	s_and_b64 s[10:11], vcc, s[2:3]
	v_mov_b32_e32 v8, 0
	s_and_saveexec_b64 s[2:3], s[10:11]
	s_cbranch_execz .LBB251_20
; %bb.19:
	v_lshlrev_b32_e32 v1, 2, v0
	global_load_dword v1, v1, s[12:13]
	s_waitcnt vmcnt(0)
	v_add_f32_e32 v8, 0, v1
.LBB251_20:
	s_or_b64 exec, exec, s[2:3]
	s_load_dword s2, s[4:5], 0x2c
	s_add_u32 s10, s4, 32
	s_addc_u32 s11, s5, 0
	s_waitcnt lgkmcnt(0)
	s_and_b32 s2, s2, 0xffff
	v_mov_b32_e32 v1, s2
	s_lshl_b32 s2, s2, 2
	v_sub_u32_e64 v1, s7, v1 clamp
	s_add_u32 s2, s12, s2
	v_readfirstlane_b32 s7, v1
	s_addc_u32 s3, s13, 0
	s_branch .LBB251_22
.LBB251_21:
	s_add_u32 s10, s4, 32
	s_addc_u32 s11, s5, 0
	v_mov_b32_e32 v8, 0
	s_mov_b32 s7, s42
	s_mov_b64 s[2:3], s[26:27]
.LBB251_22:
	s_load_dword s12, s[10:11], 0x0
	v_mov_b32_e32 v1, 0
	s_waitcnt lgkmcnt(0)
	s_cmp_lt_u32 s6, s12
	s_cselect_b32 s12, 12, 18
	s_add_u32 s10, s10, s12
	s_addc_u32 s11, s11, 0
	global_load_ushort v1, v1, s[10:11]
	s_waitcnt vmcnt(0)
	v_readfirstlane_b32 s10, v1
	s_lshl_b32 s10, s10, 2
	v_cvt_f32_u32_e32 v2, s10
	s_sub_i32 s11, 0, s10
	v_rcp_iflag_f32_e32 v2, v2
	v_mul_f32_e32 v2, 0x4f7ffffe, v2
	v_cvt_u32_f32_e32 v2, v2
	v_readfirstlane_b32 s12, v2
	s_mul_i32 s11, s11, s12
	s_mul_hi_u32 s11, s12, s11
	s_add_i32 s12, s12, s11
	s_mul_hi_u32 s11, s7, s12
	s_mul_i32 s11, s11, s10
	s_sub_i32 s11, s7, s11
	s_sub_i32 s12, s11, s10
	s_cmp_ge_u32 s11, s10
	s_cselect_b32 s11, s12, s11
	s_sub_i32 s12, s11, s10
	s_cmp_ge_u32 s11, s10
	s_cselect_b32 s10, s12, s11
	s_sub_i32 s14, s7, s10
	v_lshlrev_b32_e32 v2, 2, v0
	v_cmp_gt_i32_e32 vcc, s14, v2
	s_and_saveexec_b64 s[10:11], vcc
	s_cbranch_execz .LBB251_26
; %bb.23:
	s_mov_b64 s[12:13], 0
	v_mov_b32_e32 v4, s3
	v_mov_b32_e32 v2, v0
.LBB251_24:                             ; =>This Inner Loop Header: Depth=1
	v_ashrrev_i32_e32 v3, 31, v2
	v_lshlrev_b64 v[6:7], 4, v[2:3]
	v_add_co_u32_e32 v6, vcc, s2, v6
	v_addc_co_u32_e32 v7, vcc, v4, v7, vcc
	global_load_dwordx4 v[10:13], v[6:7], off
	v_add_u32_e32 v2, v2, v1
	v_lshlrev_b32_e32 v3, 2, v2
	v_cmp_le_i32_e32 vcc, s14, v3
	s_or_b64 s[12:13], vcc, s[12:13]
	s_waitcnt vmcnt(0)
	v_add_f32_e32 v3, v8, v10
	v_add_f32_e32 v3, v3, v11
	;; [unrolled: 1-line block ×4, first 2 shown]
	s_andn2_b64 exec, exec, s[12:13]
	s_cbranch_execnz .LBB251_24
; %bb.25:
	s_or_b64 exec, exec, s[12:13]
.LBB251_26:
	s_or_b64 exec, exec, s[10:11]
	v_add_u32_e32 v2, s14, v0
	v_cmp_gt_i32_e32 vcc, s7, v2
	s_and_saveexec_b64 s[10:11], vcc
	s_cbranch_execz .LBB251_30
; %bb.27:
	s_mov_b64 s[12:13], 0
	v_mov_b32_e32 v4, s3
.LBB251_28:                             ; =>This Inner Loop Header: Depth=1
	v_ashrrev_i32_e32 v3, 31, v2
	v_lshlrev_b64 v[6:7], 2, v[2:3]
	v_add_co_u32_e32 v6, vcc, s2, v6
	v_addc_co_u32_e32 v7, vcc, v4, v7, vcc
	global_load_dword v3, v[6:7], off
	v_add_u32_e32 v2, v2, v1
	v_cmp_le_i32_e32 vcc, s7, v2
	s_or_b64 s[12:13], vcc, s[12:13]
	s_waitcnt vmcnt(0)
	v_add_f32_e32 v8, v8, v3
	s_andn2_b64 exec, exec, s[12:13]
	s_cbranch_execnz .LBB251_28
; %bb.29:
	s_or_b64 exec, exec, s[12:13]
.LBB251_30:
	s_or_b64 exec, exec, s[10:11]
.LBB251_31:
	v_lshl_add_u32 v1, v0, 2, 0
	s_barrier
	ds_write_b32 v1, v8
	s_waitcnt lgkmcnt(0)
	s_barrier
	s_load_dword s7, s[4:5], 0x2c
	s_add_u32 s28, s4, 32
	s_addc_u32 s29, s5, 0
	s_waitcnt lgkmcnt(0)
	s_bfe_u32 s4, s7, 0xa0006
	s_min_u32 s2, s4, 64
	v_cmp_gt_u32_e32 vcc, s2, v0
	s_and_saveexec_b64 s[2:3], vcc
	s_cbranch_execz .LBB251_33
; %bb.32:
	s_movk_i32 s5, 0xfc
	v_mad_u32_u24 v10, v0, s5, v1
	ds_read2_b32 v[2:3], v10 offset1:1
	ds_read2_b32 v[4:5], v10 offset0:2 offset1:3
	ds_read2_b32 v[6:7], v10 offset0:4 offset1:5
	ds_read2_b32 v[8:9], v10 offset0:6 offset1:7
	s_waitcnt lgkmcnt(3)
	v_add_f32_e32 v2, 0, v2
	v_add_f32_e32 v2, v2, v3
	s_waitcnt lgkmcnt(2)
	v_add_f32_e32 v2, v2, v4
	v_add_f32_e32 v2, v2, v5
	s_waitcnt lgkmcnt(1)
	v_add_f32_e32 v2, v2, v6
	v_add_f32_e32 v2, v2, v7
	s_waitcnt lgkmcnt(0)
	v_add_f32_e32 v4, v2, v8
	ds_read2_b32 v[2:3], v10 offset0:8 offset1:9
	v_add_f32_e32 v11, v4, v9
	ds_read2_b32 v[4:5], v10 offset0:10 offset1:11
	ds_read2_b32 v[6:7], v10 offset0:12 offset1:13
	ds_read2_b32 v[8:9], v10 offset0:14 offset1:15
	s_waitcnt lgkmcnt(3)
	v_add_f32_e32 v2, v11, v2
	v_add_f32_e32 v2, v2, v3
	s_waitcnt lgkmcnt(2)
	v_add_f32_e32 v2, v2, v4
	v_add_f32_e32 v2, v2, v5
	s_waitcnt lgkmcnt(1)
	v_add_f32_e32 v2, v2, v6
	v_add_f32_e32 v2, v2, v7
	s_waitcnt lgkmcnt(0)
	v_add_f32_e32 v4, v2, v8
	ds_read2_b32 v[2:3], v10 offset0:16 offset1:17
	v_add_f32_e32 v11, v4, v9
	;; [unrolled: 16-line block ×7, first 2 shown]
	ds_read2_b32 v[4:5], v10 offset0:58 offset1:59
	ds_read2_b32 v[6:7], v10 offset0:60 offset1:61
	;; [unrolled: 1-line block ×3, first 2 shown]
	s_waitcnt lgkmcnt(3)
	v_add_f32_e32 v2, v11, v2
	v_add_f32_e32 v2, v2, v3
	s_waitcnt lgkmcnt(2)
	v_add_f32_e32 v2, v2, v4
	v_add_f32_e32 v2, v2, v5
	;; [unrolled: 3-line block ×4, first 2 shown]
	ds_write_b32 v1, v2
.LBB251_33:
	s_or_b64 exec, exec, s[2:3]
	s_and_b32 s44, s7, 0xffff
	v_cmp_eq_u32_e32 vcc, 0, v0
	s_waitcnt lgkmcnt(0)
	s_barrier
	s_and_saveexec_b64 s[2:3], vcc
	s_cbranch_execz .LBB251_46
; %bb.34:
	s_cmp_lt_u32 s44, 64
	v_mov_b32_e32 v1, 0
	s_cbranch_scc1 .LBB251_45
; %bb.35:
	s_add_i32 s5, s4, -1
	s_cmp_lt_u32 s5, 7
	s_cbranch_scc1 .LBB251_42
; %bb.36:
	s_and_b32 s5, s4, 0x3f8
	s_mov_b32 s7, 0
	s_mov_b32 s10, 0
	v_mov_b32_e32 v1, 0
.LBB251_37:                             ; =>This Inner Loop Header: Depth=1
	v_mov_b32_e32 v8, s10
	ds_read2_b32 v[2:3], v8 offset1:1
	ds_read2_b32 v[4:5], v8 offset0:2 offset1:3
	ds_read2_b32 v[6:7], v8 offset0:4 offset1:5
	;; [unrolled: 1-line block ×3, first 2 shown]
	s_add_i32 s7, s7, 8
	s_waitcnt lgkmcnt(3)
	v_add_f32_e32 v1, v1, v2
	v_add_f32_e32 v1, v1, v3
	s_waitcnt lgkmcnt(2)
	v_add_f32_e32 v1, v1, v4
	v_add_f32_e32 v1, v1, v5
	;; [unrolled: 3-line block ×3, first 2 shown]
	s_add_i32 s10, s10, 32
	s_waitcnt lgkmcnt(0)
	v_add_f32_e32 v1, v1, v8
	s_cmp_eq_u32 s5, s7
	v_add_f32_e32 v1, v1, v9
	s_cbranch_scc0 .LBB251_37
; %bb.38:
	s_and_b32 s4, s4, 7
	s_cmp_eq_u32 s4, 0
	s_cbranch_scc0 .LBB251_43
	s_branch .LBB251_45
.LBB251_39:
                                        ; implicit-def: $sgpr12_sgpr13
                                        ; implicit-def: $sgpr10_sgpr11
                                        ; implicit-def: $vgpr8
                                        ; implicit-def: $sgpr14_sgpr15
	s_cbranch_execnz .LBB251_5
	s_branch .LBB251_6
.LBB251_40:
                                        ; implicit-def: $vgpr2_vgpr3
	s_branch .LBB251_8
.LBB251_41:
                                        ; implicit-def: $sgpr2_sgpr3
                                        ; implicit-def: $sgpr7
                                        ; implicit-def: $vgpr8
                                        ; implicit-def: $sgpr10_sgpr11
	s_cbranch_execnz .LBB251_21
	s_branch .LBB251_22
.LBB251_42:
	s_mov_b32 s5, 0
	v_mov_b32_e32 v1, 0
	s_and_b32 s4, s4, 7
	s_cmp_eq_u32 s4, 0
	s_cbranch_scc1 .LBB251_45
.LBB251_43:
	s_lshl_b32 s5, s5, 2
	s_add_i32 s5, s5, 0
.LBB251_44:                             ; =>This Inner Loop Header: Depth=1
	v_mov_b32_e32 v2, s5
	ds_read_b32 v2, v2
	s_add_i32 s5, s5, 4
	s_add_i32 s4, s4, -1
	s_cmp_lg_u32 s4, 0
	s_waitcnt lgkmcnt(0)
	v_add_f32_e32 v1, v1, v2
	s_cbranch_scc1 .LBB251_44
.LBB251_45:
	v_mov_b32_e32 v2, 0
	ds_write_b32 v2, v1
.LBB251_46:
	s_or_b64 exec, exec, s[2:3]
	s_add_u32 s30, s36, s48
	s_addc_u32 s31, s37, s49
	s_add_u32 s34, s38, s48
	s_mov_b32 s47, 0
	s_addc_u32 s35, s39, s49
	s_bfe_u32 s46, s30, 0x20002
	s_bfe_u32 s2, s34, 0x20002
	s_mov_b32 s3, s47
	v_mov_b32_e32 v1, 0
	s_waitcnt lgkmcnt(0)
	s_barrier
	ds_read_b32 v10, v1
	s_cmp_eq_u64 s[46:47], s[2:3]
	s_cselect_b64 s[2:3], -1, 0
	s_cmp_eq_u64 s[46:47], s[8:9]
	s_cselect_b64 s[4:5], -1, 0
	s_and_b64 s[2:3], s[2:3], s[4:5]
	s_andn2_b64 vcc, exec, s[2:3]
	s_mov_b64 s[2:3], -1
	s_cbranch_vccz .LBB251_65
; %bb.47:
	s_and_b64 vcc, exec, s[0:1]
	s_cbranch_vccz .LBB251_56
; %bb.48:
	s_lshl_b32 s7, s44, 2
	v_cvt_f32_u32_e32 v1, s7
	s_sub_i32 s3, 0, s7
	s_mov_b32 s2, 0
	v_rcp_iflag_f32_e32 v1, v1
	v_mul_f32_e32 v1, 0x4f7ffffe, v1
	v_cvt_u32_f32_e32 v2, v1
	v_mov_b32_e32 v1, 0
	v_readfirstlane_b32 s4, v2
	s_mul_i32 s3, s3, s4
	s_mul_hi_u32 s3, s4, s3
	s_add_i32 s4, s4, s3
	s_mul_hi_u32 s3, s42, s4
	s_mul_i32 s3, s3, s7
	s_sub_i32 s3, s42, s3
	s_sub_i32 s4, s3, s7
	s_cmp_ge_u32 s3, s7
	s_cselect_b32 s3, s4, s3
	s_sub_i32 s4, s3, s7
	s_cmp_ge_u32 s3, s7
	s_cselect_b32 s3, s4, s3
	s_bfe_i64 s[50:51], s[42:43], 0x200000
	s_sub_u32 s52, s50, s3
	s_subb_u32 s53, s51, 0
	v_cmp_gt_i64_e32 vcc, s[52:53], v[0:1]
	v_pk_mov_b32 v[2:3], v[0:1], v[0:1] op_sel:[0,1]
	s_and_saveexec_b64 s[54:55], vcc
	s_cbranch_execz .LBB251_52
; %bb.49:
	s_lshl_b32 s33, s44, 4
	s_add_u32 s3, s48, s7
	s_addc_u32 s4, s49, 0
	s_add_u32 s45, s38, s3
	s_addc_u32 s64, s39, s4
	s_lshl_b32 s5, s44, 3
	s_add_u32 s5, s48, s5
	s_addc_u32 s8, s49, 0
	s_add_u32 s65, s38, s5
	s_addc_u32 s66, s39, s8
	s_mul_i32 s9, s44, 12
	s_add_u32 s9, s48, s9
	s_addc_u32 s10, s49, 0
	s_add_u32 s67, s38, s9
	s_addc_u32 s68, s39, s10
	;; [unrolled: 2-line block ×7, first 2 shown]
	s_add_u32 s79, s36, s9
	v_lshlrev_b64 v[4:5], 2, v[0:1]
	s_addc_u32 s80, s37, s10
	s_mov_b64 s[56:57], 0
	s_mov_b32 s81, 0x3fb8aa3b
	s_mov_b32 s82, 0xc2ce8ed0
	;; [unrolled: 1-line block ×3, first 2 shown]
	v_mov_b32_e32 v11, 0x7f800000
	v_mov_b32_e32 v28, s2
	s_mov_b64 s[58:59], s[30:31]
	s_mov_b64 s[60:61], s[26:27]
	;; [unrolled: 1-line block ×3, first 2 shown]
	v_pk_mov_b32 v[2:3], v[0:1], v[0:1] op_sel:[0,1]
.LBB251_50:                             ; =>This Inner Loop Header: Depth=1
	v_add_co_u32_e64 v2, s[24:25], s7, v2
	v_addc_co_u32_e64 v3, s[24:25], v3, v28, s[24:25]
	v_mov_b32_e32 v1, s63
	v_mov_b32_e32 v7, s61
	v_add_co_u32_e32 v8, vcc, s60, v4
	v_mov_b32_e32 v13, s64
	v_add_co_u32_e64 v24, s[2:3], s45, v4
	v_add_co_u32_e64 v32, s[24:25], s62, v4
	v_mov_b32_e32 v17, s66
	v_add_co_u32_e64 v26, s[16:17], s65, v4
	v_mov_b32_e32 v21, s68
	v_add_co_u32_e64 v30, s[10:11], s67, v4
	v_addc_co_u32_e64 v33, s[24:25], v1, v5, s[24:25]
	v_addc_co_u32_e32 v9, vcc, v7, v5, vcc
	v_addc_co_u32_e64 v25, vcc, v13, v5, s[2:3]
	v_addc_co_u32_e64 v27, vcc, v17, v5, s[16:17]
	;; [unrolled: 1-line block ×3, first 2 shown]
	global_load_dword v1, v[32:33], off
	s_nop 0
	global_load_dword v24, v[24:25], off
	s_nop 0
	;; [unrolled: 2-line block ×3, first 2 shown]
	global_load_dword v26, v[30:31], off
	v_mov_b32_e32 v15, s70
	v_add_co_u32_e64 v14, s[4:5], s69, v4
	v_mov_b32_e32 v19, s72
	v_add_co_u32_e64 v18, s[8:9], s71, v4
	;; [unrolled: 2-line block ×3, first 2 shown]
	v_addc_co_u32_e64 v15, vcc, v15, v5, s[4:5]
	v_addc_co_u32_e64 v19, vcc, v19, v5, s[8:9]
	;; [unrolled: 1-line block ×3, first 2 shown]
	global_load_dword v8, v[8:9], off
	s_nop 0
	global_load_dword v9, v[14:15], off
	s_nop 0
	global_load_dword v14, v[18:19], off
	global_load_dword v15, v[20:21], off
	s_add_u32 s62, s62, s33
	s_addc_u32 s63, s63, 0
	s_add_u32 s45, s45, s33
	s_addc_u32 s64, s64, 0
	;; [unrolled: 2-line block ×7, first 2 shown]
	s_add_u32 s73, s73, s33
	v_mov_b32_e32 v29, s59
	v_add_co_u32_e64 v6, s[14:15], s58, v4
	s_addc_u32 s74, s74, 0
	v_mov_b32_e32 v34, s76
	v_add_co_u32_e64 v12, s[18:19], s75, v4
	v_mov_b32_e32 v35, s78
	v_add_co_u32_e64 v16, s[20:21], s77, v4
	v_addc_co_u32_e64 v7, vcc, v29, v5, s[14:15]
	s_add_u32 s58, s58, s33
	v_addc_co_u32_e64 v13, vcc, v34, v5, s[18:19]
	v_addc_co_u32_e64 v17, vcc, v35, v5, s[20:21]
	s_addc_u32 s59, s59, 0
	s_add_u32 s75, s75, s33
	s_addc_u32 s76, s76, 0
	s_add_u32 s77, s77, s33
	v_mov_b32_e32 v36, s80
	v_add_co_u32_e64 v22, s[22:23], s79, v4
	s_addc_u32 s78, s78, 0
	v_addc_co_u32_e64 v23, vcc, v36, v5, s[22:23]
	s_add_u32 s79, s79, s33
	v_cmp_le_i64_e32 vcc, s[52:53], v[2:3]
	s_addc_u32 s80, s80, 0
	s_or_b64 s[56:57], vcc, s[56:57]
	s_waitcnt vmcnt(7)
	v_mul_f32_e32 v18, 0x3fb8aa3b, v1
	s_waitcnt vmcnt(6)
	v_mul_f32_e32 v19, 0x3fb8aa3b, v24
	;; [unrolled: 2-line block ×4, first 2 shown]
	v_fma_f32 v27, v1, s81, -v18
	v_rndne_f32_e32 v29, v18
	v_fma_f32 v30, v24, s81, -v19
	v_rndne_f32_e32 v31, v19
	;; [unrolled: 2-line block ×4, first 2 shown]
	v_fmac_f32_e32 v27, 0x32a5705f, v1
	v_sub_f32_e32 v18, v18, v29
	v_fmac_f32_e32 v30, 0x32a5705f, v24
	v_sub_f32_e32 v19, v19, v31
	;; [unrolled: 2-line block ×4, first 2 shown]
	v_add_f32_e32 v18, v18, v27
	v_cvt_i32_f32_e32 v29, v29
	v_add_f32_e32 v19, v19, v30
	v_add_f32_e32 v20, v20, v32
	;; [unrolled: 1-line block ×3, first 2 shown]
	v_exp_f32_e32 v18, v18
	v_cvt_i32_f32_e32 v31, v31
	v_cvt_i32_f32_e32 v33, v33
	v_cvt_i32_f32_e32 v35, v35
	v_exp_f32_e32 v19, v19
	v_exp_f32_e32 v20, v20
	;; [unrolled: 1-line block ×3, first 2 shown]
	v_ldexp_f32 v18, v18, v29
	v_cmp_ngt_f32_e64 s[8:9], s82, v1
	v_ldexp_f32 v19, v19, v31
	v_cmp_ngt_f32_e32 vcc, s82, v24
	v_ldexp_f32 v20, v20, v33
	v_cmp_ngt_f32_e64 s[2:3], s82, v25
	v_ldexp_f32 v21, v21, v35
	v_cmp_ngt_f32_e64 s[4:5], s82, v26
	v_cndmask_b32_e64 v18, 0, v18, s[8:9]
	v_cmp_nlt_f32_e64 s[8:9], s83, v1
	v_cndmask_b32_e32 v19, 0, v19, vcc
	v_cmp_nlt_f32_e32 vcc, s83, v24
	v_cndmask_b32_e64 v20, 0, v20, s[2:3]
	v_cmp_nlt_f32_e64 s[2:3], s83, v25
	v_cndmask_b32_e64 v21, 0, v21, s[4:5]
	v_cmp_nlt_f32_e64 s[4:5], s83, v26
	v_cndmask_b32_e64 v1, v11, v18, s[8:9]
	v_cndmask_b32_e32 v18, v11, v19, vcc
	v_cndmask_b32_e64 v19, v11, v20, s[2:3]
	v_cndmask_b32_e64 v20, v11, v21, s[4:5]
	s_waitcnt vmcnt(3) lgkmcnt(0)
	v_fma_f32 v1, -v10, v1, v8
	s_waitcnt vmcnt(2)
	v_fma_f32 v8, -v10, v18, v9
	s_waitcnt vmcnt(1)
	;; [unrolled: 2-line block ×3, first 2 shown]
	v_fma_f32 v14, -v10, v20, v15
	global_store_dword v[6:7], v1, off
	global_store_dword v[12:13], v8, off
	global_store_dword v[16:17], v9, off
	global_store_dword v[22:23], v14, off
	s_andn2_b64 exec, exec, s[56:57]
	s_cbranch_execnz .LBB251_50
; %bb.51:
	s_or_b64 exec, exec, s[56:57]
.LBB251_52:
	s_or_b64 exec, exec, s[54:55]
	v_cmp_gt_i64_e32 vcc, s[50:51], v[2:3]
	s_and_saveexec_b64 s[2:3], vcc
	s_cbranch_execz .LBB251_55
; %bb.53:
	v_lshlrev_b64 v[4:5], 2, v[2:3]
	s_mov_b32 s11, 0
	v_mov_b32_e32 v1, s49
	v_add_co_u32_e32 v4, vcc, s48, v4
	v_addc_co_u32_e32 v1, vcc, v1, v5, vcc
	s_mov_b64 s[4:5], 0
	v_mov_b32_e32 v5, s41
	v_mov_b32_e32 v6, s39
	s_mov_b32 s8, 0x3fb8aa3b
	s_mov_b32 s9, 0xc2ce8ed0
	;; [unrolled: 1-line block ×3, first 2 shown]
	v_mov_b32_e32 v7, 0x7f800000
	v_mov_b32_e32 v8, s37
	;; [unrolled: 1-line block ×4, first 2 shown]
.LBB251_54:                             ; =>This Inner Loop Header: Depth=1
	v_add_co_u32_e32 v12, vcc, s38, v4
	v_addc_co_u32_e32 v13, vcc, v6, v1, vcc
	global_load_dword v14, v[12:13], off
	v_add_co_u32_e32 v12, vcc, s40, v4
	v_addc_co_u32_e32 v13, vcc, v5, v1, vcc
	global_load_dword v15, v[12:13], off
	v_add_co_u32_e32 v12, vcc, s36, v4
	v_addc_co_u32_e32 v13, vcc, v8, v1, vcc
	v_add_co_u32_e32 v2, vcc, s44, v2
	v_addc_co_u32_e32 v3, vcc, v3, v9, vcc
	;; [unrolled: 2-line block ×3, first 2 shown]
	v_cmp_le_i64_e32 vcc, s[50:51], v[2:3]
	s_or_b64 s[4:5], vcc, s[4:5]
	s_waitcnt vmcnt(1)
	v_mul_f32_e32 v16, 0x3fb8aa3b, v14
	v_fma_f32 v17, v14, s8, -v16
	v_rndne_f32_e32 v18, v16
	v_fmac_f32_e32 v17, 0x32a5705f, v14
	v_sub_f32_e32 v16, v16, v18
	v_add_f32_e32 v16, v16, v17
	v_cvt_i32_f32_e32 v18, v18
	v_exp_f32_e32 v16, v16
	v_cmp_ngt_f32_e32 vcc, s9, v14
	v_ldexp_f32 v16, v16, v18
	v_cndmask_b32_e32 v16, 0, v16, vcc
	v_cmp_nlt_f32_e32 vcc, s10, v14
	v_cndmask_b32_e32 v14, v7, v16, vcc
	s_waitcnt vmcnt(0) lgkmcnt(0)
	v_fma_f32 v14, -v10, v14, v15
	global_store_dword v[12:13], v14, off
	s_andn2_b64 exec, exec, s[4:5]
	s_cbranch_execnz .LBB251_54
.LBB251_55:
	s_or_b64 exec, exec, s[2:3]
	s_mov_b64 s[2:3], 0
.LBB251_56:
	s_and_b64 vcc, exec, s[2:3]
	s_cbranch_vccz .LBB251_92
; %bb.57:
	s_lshl_b32 s2, s44, 2
	v_cvt_f32_u32_e32 v1, s2
	s_sub_i32 s3, 0, s2
	v_mov_b32_e32 v2, v0
	v_rcp_iflag_f32_e32 v1, v1
	v_mul_f32_e32 v1, 0x4f7ffffe, v1
	v_cvt_u32_f32_e32 v1, v1
	v_readfirstlane_b32 s4, v1
	s_mul_i32 s3, s3, s4
	s_mul_hi_u32 s3, s4, s3
	s_add_i32 s4, s4, s3
	s_mul_hi_u32 s3, s42, s4
	s_mul_i32 s3, s3, s2
	s_sub_i32 s3, s42, s3
	s_sub_i32 s4, s3, s2
	s_cmp_ge_u32 s3, s2
	s_cselect_b32 s3, s4, s3
	s_sub_i32 s4, s3, s2
	s_cmp_ge_u32 s3, s2
	s_cselect_b32 s2, s4, s3
	s_sub_i32 s7, s42, s2
	v_cmp_gt_i32_e32 vcc, s7, v0
	s_and_saveexec_b64 s[10:11], vcc
	s_cbranch_execz .LBB251_61
; %bb.58:
	s_add_i32 s19, s44, s44
	s_lshl_b32 s14, s44, 1
	s_mul_i32 s15, s44, 3
	s_mov_b64 s[12:13], 0
	v_mov_b32_e32 v1, s35
	v_mov_b32_e32 v6, s27
	s_mov_b32 s16, 0x3fb8aa3b
	s_mov_b32 s17, 0xc2ce8ed0
	;; [unrolled: 1-line block ×3, first 2 shown]
	v_mov_b32_e32 v7, 0x7f800000
	v_mov_b32_e32 v8, s31
	s_add_i32 s19, s19, s44
	v_mov_b32_e32 v3, 0
	v_mov_b32_e32 v2, v0
.LBB251_59:                             ; =>This Inner Loop Header: Depth=1
	v_lshlrev_b64 v[12:13], 2, v[2:3]
	v_add_co_u32_e32 v16, vcc, s34, v12
	v_addc_co_u32_e32 v17, vcc, v1, v13, vcc
	v_add_u32_e32 v4, s44, v2
	v_mov_b32_e32 v5, v3
	v_add_co_u32_e32 v18, vcc, s26, v12
	v_addc_co_u32_e32 v19, vcc, v6, v13, vcc
	v_lshlrev_b64 v[20:21], 2, v[4:5]
	global_load_dword v9, v[16:17], off
	global_load_dword v11, v[18:19], off
	v_add_co_u32_e32 v16, vcc, s34, v20
	v_addc_co_u32_e32 v17, vcc, v1, v21, vcc
	v_add_u32_e32 v14, s14, v2
	v_mov_b32_e32 v15, v3
	v_add_co_u32_e32 v18, vcc, s26, v20
	v_lshlrev_b64 v[14:15], 2, v[14:15]
	v_addc_co_u32_e32 v19, vcc, v6, v21, vcc
	v_add_u32_e32 v2, s15, v2
	v_add_co_u32_e32 v24, vcc, s34, v14
	v_lshlrev_b64 v[22:23], 2, v[2:3]
	v_addc_co_u32_e32 v25, vcc, v1, v15, vcc
	v_add_co_u32_e32 v26, vcc, s34, v22
	v_addc_co_u32_e32 v27, vcc, v1, v23, vcc
	global_load_dword v30, v[16:17], off
	global_load_dword v31, v[24:25], off
	;; [unrolled: 1-line block ×3, first 2 shown]
	v_add_co_u32_e32 v28, vcc, s26, v14
	v_addc_co_u32_e32 v29, vcc, v6, v15, vcc
	v_add_co_u32_e32 v16, vcc, s26, v22
	v_addc_co_u32_e32 v17, vcc, v6, v23, vcc
	global_load_dword v24, v[18:19], off
	global_load_dword v25, v[28:29], off
	;; [unrolled: 1-line block ×3, first 2 shown]
	v_add_co_u32_e32 v12, vcc, s30, v12
	v_addc_co_u32_e32 v13, vcc, v8, v13, vcc
	v_add_u32_e32 v2, s19, v4
	v_add_co_u32_e32 v4, vcc, s30, v20
	v_addc_co_u32_e32 v5, vcc, v8, v21, vcc
	v_add_co_u32_e32 v14, vcc, s30, v14
	v_addc_co_u32_e32 v15, vcc, v8, v15, vcc
	;; [unrolled: 2-line block ×3, first 2 shown]
	v_cmp_le_i32_e32 vcc, s7, v2
	s_or_b64 s[12:13], vcc, s[12:13]
	s_waitcnt vmcnt(7)
	v_mul_f32_e32 v18, 0x3fb8aa3b, v9
	v_fma_f32 v19, v9, s16, -v18
	v_rndne_f32_e32 v20, v18
	v_fmac_f32_e32 v19, 0x32a5705f, v9
	v_sub_f32_e32 v18, v18, v20
	v_add_f32_e32 v18, v18, v19
	v_cvt_i32_f32_e32 v20, v20
	v_exp_f32_e32 v18, v18
	v_cmp_ngt_f32_e32 vcc, s17, v9
	v_cmp_nlt_f32_e64 s[8:9], s18, v9
	v_ldexp_f32 v18, v18, v20
	v_cndmask_b32_e32 v18, 0, v18, vcc
	v_cndmask_b32_e64 v9, v7, v18, s[8:9]
	s_waitcnt vmcnt(6) lgkmcnt(0)
	v_fma_f32 v9, -v10, v9, v11
	global_store_dword v[12:13], v9, off
	s_waitcnt vmcnt(6)
	v_mul_f32_e32 v21, 0x3fb8aa3b, v30
	s_waitcnt vmcnt(5)
	v_mul_f32_e32 v22, 0x3fb8aa3b, v31
	;; [unrolled: 2-line block ×3, first 2 shown]
	v_fma_f32 v27, v30, s16, -v21
	v_rndne_f32_e32 v28, v21
	v_fma_f32 v29, v31, s16, -v22
	v_rndne_f32_e32 v33, v22
	;; [unrolled: 2-line block ×3, first 2 shown]
	v_fmac_f32_e32 v27, 0x32a5705f, v30
	v_sub_f32_e32 v19, v21, v28
	v_fmac_f32_e32 v29, 0x32a5705f, v31
	v_sub_f32_e32 v22, v22, v33
	;; [unrolled: 2-line block ×3, first 2 shown]
	v_add_f32_e32 v19, v19, v27
	v_add_f32_e32 v22, v22, v29
	v_add_f32_e32 v23, v23, v34
	v_cvt_i32_f32_e32 v21, v28
	v_cvt_i32_f32_e32 v28, v33
	;; [unrolled: 1-line block ×3, first 2 shown]
	v_exp_f32_e32 v19, v19
	v_exp_f32_e32 v22, v22
	;; [unrolled: 1-line block ×3, first 2 shown]
	v_cmp_ngt_f32_e32 vcc, s17, v30
	v_ldexp_f32 v19, v19, v21
	v_ldexp_f32 v20, v22, v28
	v_cmp_ngt_f32_e64 s[2:3], s17, v31
	v_ldexp_f32 v21, v23, v33
	v_cmp_ngt_f32_e64 s[4:5], s17, v32
	v_cndmask_b32_e32 v18, 0, v19, vcc
	v_cndmask_b32_e64 v19, 0, v20, s[2:3]
	v_cndmask_b32_e64 v20, 0, v21, s[4:5]
	v_cmp_nlt_f32_e64 s[4:5], s18, v30
	v_cmp_nlt_f32_e32 vcc, s18, v31
	v_cmp_nlt_f32_e64 s[2:3], s18, v32
	v_cndmask_b32_e64 v11, v7, v18, s[4:5]
	v_cndmask_b32_e32 v18, v7, v19, vcc
	v_cndmask_b32_e64 v19, v7, v20, s[2:3]
	s_waitcnt vmcnt(3)
	v_fma_f32 v9, -v10, v11, v24
	s_waitcnt vmcnt(2)
	v_fma_f32 v11, -v10, v18, v25
	;; [unrolled: 2-line block ×3, first 2 shown]
	global_store_dword v[4:5], v9, off
	global_store_dword v[14:15], v11, off
	global_store_dword v[16:17], v12, off
	s_andn2_b64 exec, exec, s[12:13]
	s_cbranch_execnz .LBB251_59
; %bb.60:
	s_or_b64 exec, exec, s[12:13]
.LBB251_61:
	s_or_b64 exec, exec, s[10:11]
	v_cmp_gt_i32_e32 vcc, s42, v2
	s_and_saveexec_b64 s[4:5], vcc
	s_cbranch_execz .LBB251_64
; %bb.62:
	s_mov_b64 s[8:9], 0
	v_mov_b32_e32 v1, s27
	v_mov_b32_e32 v4, s35
	s_mov_b32 s7, 0x3fb8aa3b
	s_mov_b32 s10, 0xc2ce8ed0
	;; [unrolled: 1-line block ×3, first 2 shown]
	v_mov_b32_e32 v5, 0x7f800000
	v_mov_b32_e32 v6, s31
.LBB251_63:                             ; =>This Inner Loop Header: Depth=1
	v_ashrrev_i32_e32 v3, 31, v2
	v_lshlrev_b64 v[8:9], 2, v[2:3]
	v_add_co_u32_e32 v12, vcc, s34, v8
	v_addc_co_u32_e32 v13, vcc, v4, v9, vcc
	global_load_dword v3, v[12:13], off
	v_add_co_u32_e32 v12, vcc, s26, v8
	v_addc_co_u32_e32 v13, vcc, v1, v9, vcc
	global_load_dword v7, v[12:13], off
	v_add_co_u32_e32 v8, vcc, s30, v8
	v_add_u32_e32 v2, s44, v2
	v_addc_co_u32_e32 v9, vcc, v6, v9, vcc
	v_cmp_le_i32_e32 vcc, s42, v2
	s_or_b64 s[8:9], vcc, s[8:9]
	s_waitcnt vmcnt(1)
	v_mul_f32_e32 v11, 0x3fb8aa3b, v3
	v_fma_f32 v12, v3, s7, -v11
	v_rndne_f32_e32 v13, v11
	v_fmac_f32_e32 v12, 0x32a5705f, v3
	v_sub_f32_e32 v11, v11, v13
	v_add_f32_e32 v11, v11, v12
	v_cvt_i32_f32_e32 v13, v13
	v_exp_f32_e32 v11, v11
	v_cmp_ngt_f32_e64 s[2:3], s10, v3
	v_ldexp_f32 v11, v11, v13
	v_cndmask_b32_e64 v11, 0, v11, s[2:3]
	v_cmp_nlt_f32_e64 s[2:3], s11, v3
	v_cndmask_b32_e64 v3, v5, v11, s[2:3]
	s_waitcnt vmcnt(0) lgkmcnt(0)
	v_fma_f32 v3, -v10, v3, v7
	global_store_dword v[8:9], v3, off
	s_andn2_b64 exec, exec, s[8:9]
	s_cbranch_execnz .LBB251_63
.LBB251_64:
	s_or_b64 exec, exec, s[4:5]
	s_mov_b64 s[2:3], 0
.LBB251_65:
	s_andn2_b64 vcc, exec, s[2:3]
	s_cbranch_vccnz .LBB251_93
.LBB251_66:
	s_cmp_lg_u64 s[46:47], 0
	s_cselect_b64 s[4:5], -1, 0
	v_cndmask_b32_e64 v1, 0, 1, s[4:5]
	s_mov_b64 s[2:3], -1
	s_and_b64 vcc, exec, s[0:1]
	v_cmp_ne_u32_e64 s[0:1], 1, v1
	s_cbranch_vccz .LBB251_81
; %bb.67:
	v_mov_b32_e32 v1, 0
	s_and_b64 vcc, exec, s[0:1]
	s_mov_b64 s[10:11], s[42:43]
	s_mov_b64 s[12:13], s[30:31]
	;; [unrolled: 1-line block ×4, first 2 shown]
	s_cbranch_vccnz .LBB251_71
; %bb.68:
	s_lshl_b32 s2, s46, 2
	s_sub_u32 s9, s30, s2
	s_subb_u32 s13, s31, 0
	s_sub_u32 s7, s34, s2
	s_subb_u32 s8, s35, 0
	s_sub_u32 s4, s26, s2
	s_mov_b32 s45, 0
	s_subb_u32 s5, s27, 0
	v_cmp_le_u64_e32 vcc, s[46:47], v[0:1]
	s_and_saveexec_b64 s[2:3], vcc
	s_cbranch_execz .LBB251_70
; %bb.69:
	v_lshlrev_b64 v[2:3], 2, v[0:1]
	v_mov_b32_e32 v5, s8
	v_add_co_u32_e32 v4, vcc, s7, v2
	v_addc_co_u32_e32 v5, vcc, v5, v3, vcc
	global_load_dword v6, v[4:5], off
	v_mov_b32_e32 v5, s5
	v_add_co_u32_e32 v4, vcc, s4, v2
	v_addc_co_u32_e32 v5, vcc, v5, v3, vcc
	global_load_dword v4, v[4:5], off
	s_mov_b32 s10, 0x3fb8aa3b
	s_mov_b32 s11, 0xc2ce8ed0
	v_mov_b32_e32 v9, s13
	s_waitcnt vmcnt(1)
	v_mul_f32_e32 v5, 0x3fb8aa3b, v6
	v_fma_f32 v7, v6, s10, -v5
	v_rndne_f32_e32 v8, v5
	v_fmac_f32_e32 v7, 0x32a5705f, v6
	v_sub_f32_e32 v5, v5, v8
	v_add_f32_e32 v5, v5, v7
	v_cvt_i32_f32_e32 v8, v8
	v_exp_f32_e32 v5, v5
	s_mov_b32 s10, 0x42b17218
	v_cmp_ngt_f32_e32 vcc, s11, v6
	v_mov_b32_e32 v7, 0x7f800000
	v_ldexp_f32 v5, v5, v8
	v_cndmask_b32_e32 v5, 0, v5, vcc
	v_cmp_nlt_f32_e32 vcc, s10, v6
	v_cndmask_b32_e32 v5, v7, v5, vcc
	v_add_co_u32_e32 v2, vcc, s9, v2
	s_waitcnt vmcnt(0) lgkmcnt(0)
	v_fma_f32 v4, -v10, v5, v4
	v_addc_co_u32_e32 v3, vcc, v9, v3, vcc
	global_store_dword v[2:3], v4, off
.LBB251_70:
	s_or_b64 exec, exec, s[2:3]
	s_add_u32 s2, s46, s42
	s_addc_u32 s3, 0, s43
	v_pk_mov_b32 v[2:3], s[44:45], s[44:45] op_sel:[0,1]
	v_cmp_lt_i64_e32 vcc, s[2:3], v[2:3]
	s_and_b64 s[10:11], vcc, exec
	s_cselect_b32 s10, s2, s44
	s_cselect_b32 s11, s3, 0
	s_sub_u32 s10, s2, s10
	s_subb_u32 s11, s3, s11
	s_lshl_b32 s2, s44, 2
	s_add_u32 s12, s9, s2
	s_addc_u32 s13, s13, 0
	s_add_u32 s14, s7, s2
	s_addc_u32 s15, s8, 0
	;; [unrolled: 2-line block ×3, first 2 shown]
.LBB251_71:
	s_load_dword s2, s[28:29], 0x0
	v_mov_b32_e32 v2, 0
	s_waitcnt lgkmcnt(0)
	s_cmp_lt_u32 s6, s2
	s_cselect_b32 s2, 12, 18
	s_add_u32 s2, s28, s2
	s_addc_u32 s3, s29, 0
	global_load_ushort v4, v2, s[2:3]
	s_mov_b32 s2, 0
	s_waitcnt vmcnt(0)
	v_readfirstlane_b32 s3, v4
	s_and_b32 s3, 0xffff, s3
	s_lshl_b32 s7, s3, 2
	s_mov_b32 s3, s11
	s_cmp_lg_u64 s[2:3], 0
	s_cbranch_scc0 .LBB251_94
; %bb.72:
	v_cvt_f32_u32_e32 v2, s7
	v_cvt_f32_ubyte0_e32 v3, 0
	s_sub_u32 s4, 0, s7
	s_subb_u32 s5, 0, 0
	v_madmk_f32 v2, v3, 0x4f800000, v2
	v_rcp_f32_e32 v2, v2
	v_mul_f32_e32 v2, 0x5f7ffffc, v2
	v_mul_f32_e32 v3, 0x2f800000, v2
	v_trunc_f32_e32 v3, v3
	v_madmk_f32 v2, v3, 0xcf800000, v2
	v_cvt_u32_f32_e32 v3, v3
	v_cvt_u32_f32_e32 v2, v2
	v_readfirstlane_b32 s8, v3
	v_readfirstlane_b32 s9, v2
	s_mul_i32 s18, s4, s8
	s_mul_hi_u32 s20, s4, s9
	s_mul_i32 s19, s5, s9
	s_add_i32 s18, s20, s18
	s_add_i32 s18, s18, s19
	s_mul_i32 s21, s4, s9
	s_mul_hi_u32 s19, s9, s18
	s_mul_i32 s20, s9, s18
	s_mul_hi_u32 s9, s9, s21
	s_add_u32 s9, s9, s20
	s_addc_u32 s19, 0, s19
	s_mul_hi_u32 s22, s8, s21
	s_mul_i32 s21, s8, s21
	s_add_u32 s9, s9, s21
	s_mul_hi_u32 s20, s8, s18
	s_addc_u32 s9, s19, s22
	s_addc_u32 s19, s20, 0
	s_mul_i32 s18, s8, s18
	s_add_u32 s9, s9, s18
	s_addc_u32 s18, 0, s19
	v_add_co_u32_e32 v2, vcc, s9, v2
	s_cmp_lg_u64 vcc, 0
	s_addc_u32 s8, s8, s18
	v_readfirstlane_b32 s18, v2
	s_mul_i32 s9, s4, s8
	s_mul_hi_u32 s19, s4, s18
	s_add_i32 s9, s19, s9
	s_mul_i32 s5, s5, s18
	s_add_i32 s9, s9, s5
	s_mul_i32 s4, s4, s18
	s_mul_hi_u32 s19, s8, s4
	s_mul_i32 s20, s8, s4
	s_mul_i32 s22, s18, s9
	s_mul_hi_u32 s4, s18, s4
	s_mul_hi_u32 s21, s18, s9
	s_add_u32 s4, s4, s22
	s_addc_u32 s18, 0, s21
	s_add_u32 s4, s4, s20
	s_mul_hi_u32 s5, s8, s9
	s_addc_u32 s4, s18, s19
	s_addc_u32 s5, s5, 0
	s_mul_i32 s9, s8, s9
	s_add_u32 s4, s4, s9
	s_addc_u32 s5, 0, s5
	v_add_co_u32_e32 v2, vcc, s4, v2
	s_cmp_lg_u64 vcc, 0
	s_addc_u32 s18, s8, s5
	s_ashr_i32 s4, s11, 31
	s_add_u32 s8, s10, s4
	s_mov_b32 s5, s4
	s_addc_u32 s9, s11, s4
	s_xor_b64 s[8:9], s[8:9], s[4:5]
	v_readfirstlane_b32 s20, v2
	s_mul_i32 s19, s8, s18
	s_mul_hi_u32 s21, s8, s20
	s_mul_hi_u32 s5, s8, s18
	s_add_u32 s19, s21, s19
	s_addc_u32 s5, 0, s5
	s_mul_hi_u32 s22, s9, s20
	s_mul_i32 s20, s9, s20
	s_add_u32 s19, s19, s20
	s_mul_hi_u32 s21, s9, s18
	s_addc_u32 s5, s5, s22
	s_addc_u32 s19, s21, 0
	s_mul_i32 s18, s9, s18
	s_add_u32 s5, s5, s18
	s_addc_u32 s18, 0, s19
	s_mul_hi_u32 s19, s7, s5
	s_mul_i32 s5, s7, s5
	s_mul_i32 s18, s7, s18
	v_mov_b32_e32 v2, s5
	s_add_i32 s19, s19, s18
	v_sub_co_u32_e32 v2, vcc, s8, v2
	s_cmp_lg_u64 vcc, 0
	s_subb_u32 s5, s9, s19
	v_subrev_co_u32_e32 v3, vcc, s7, v2
	s_cmp_lg_u64 vcc, 0
	s_subb_u32 s8, s5, 0
	v_subrev_co_u32_e32 v5, vcc, s7, v3
	s_cmp_lg_u64 vcc, 0
	s_subb_u32 s9, s8, 0
	v_cmp_le_u32_e32 vcc, s7, v3
	s_cmp_eq_u32 s8, 0
	v_cndmask_b32_e64 v6, 0, -1, vcc
	s_cselect_b64 vcc, -1, 0
	v_cndmask_b32_e32 v6, -1, v6, vcc
	v_mov_b32_e32 v7, s8
	v_mov_b32_e32 v8, s9
	v_cmp_ne_u32_e32 vcc, 0, v6
	v_cndmask_b32_e32 v6, v7, v8, vcc
	v_cndmask_b32_e32 v3, v3, v5, vcc
	v_cmp_le_u32_e32 vcc, s7, v2
	s_cmp_eq_u32 s5, 0
	v_cndmask_b32_e64 v5, 0, -1, vcc
	s_cselect_b64 vcc, -1, 0
	v_cndmask_b32_e32 v5, -1, v5, vcc
	v_cmp_ne_u32_e32 vcc, 0, v5
	v_mov_b32_e32 v7, s5
	v_cndmask_b32_e32 v2, v2, v3, vcc
	v_cndmask_b32_e32 v5, v7, v6, vcc
	v_xor_b32_e32 v2, s4, v2
	v_xor_b32_e32 v3, s4, v5
	v_mov_b32_e32 v5, s4
	v_subrev_co_u32_e32 v2, vcc, s4, v2
	v_subb_co_u32_e32 v3, vcc, v3, v5, vcc
	v_and_b32_e32 v20, 0xffff, v4
	s_cbranch_execnz .LBB251_74
.LBB251_73:
	v_cvt_f32_u32_e32 v2, s7
	s_sub_i32 s2, 0, s7
	v_rcp_iflag_f32_e32 v2, v2
	v_mul_f32_e32 v2, 0x4f7ffffe, v2
	v_cvt_u32_f32_e32 v2, v2
	v_mul_lo_u32 v3, s2, v2
	v_mul_hi_u32 v3, v2, v3
	v_add_u32_e32 v2, v2, v3
	v_mul_hi_u32 v2, s10, v2
	v_mul_lo_u32 v2, v2, s7
	v_sub_u32_e32 v2, s10, v2
	v_subrev_u32_e32 v3, s7, v2
	v_cmp_le_u32_e32 vcc, s7, v2
	v_cndmask_b32_e32 v2, v2, v3, vcc
	v_subrev_u32_e32 v3, s7, v2
	v_cmp_le_u32_e32 vcc, s7, v2
	v_cndmask_b32_e32 v2, v2, v3, vcc
	v_mov_b32_e32 v3, 0
.LBB251_74:
	v_mov_b32_e32 v4, s11
	v_sub_co_u32_e32 v12, vcc, s10, v2
	v_subb_co_u32_e32 v13, vcc, v4, v3, vcc
	v_lshlrev_b64 v[2:3], 2, v[0:1]
	v_cmp_lt_i64_e32 vcc, v[2:3], v[12:13]
	s_and_saveexec_b64 s[18:19], vcc
	s_cbranch_execz .LBB251_77
; %bb.75:
	v_lshlrev_b64 v[14:15], 4, v[0:1]
	v_mov_b32_e32 v11, v10
	v_or_b32_e32 v14, 8, v14
	v_lshlrev_b32_e32 v21, 4, v20
	s_mov_b64 s[20:21], 0
	v_mov_b32_e32 v22, s15
	v_mov_b32_e32 v23, s17
	;; [unrolled: 1-line block ×3, first 2 shown]
	s_mov_b32 s22, 0x3fb8aa3b
	s_mov_b32 s23, 0xc2ce8ed0
	;; [unrolled: 1-line block ×3, first 2 shown]
	v_mov_b32_e32 v25, 0x7f800000
	v_pk_mov_b32 v[16:17], v[0:1], v[0:1] op_sel:[0,1]
.LBB251_76:                             ; =>This Inner Loop Header: Depth=1
	v_add_co_u32_e32 v2, vcc, s14, v14
	v_addc_co_u32_e32 v3, vcc, v22, v15, vcc
	global_load_dwordx4 v[6:9], v[2:3], off offset:-8
	v_add_co_u32_e32 v2, vcc, s16, v14
	v_addc_co_u32_e32 v3, vcc, v23, v15, vcc
	global_load_dwordx4 v[2:5], v[2:3], off offset:-8
	v_add_co_u32_e32 v18, vcc, s12, v14
	v_addc_co_u32_e32 v19, vcc, v24, v15, vcc
	v_add_co_u32_e32 v16, vcc, v16, v20
	v_addc_co_u32_e32 v17, vcc, 0, v17, vcc
	;; [unrolled: 2-line block ×3, first 2 shown]
	v_lshlrev_b64 v[26:27], 2, v[16:17]
	v_cmp_ge_i64_e32 vcc, v[26:27], v[12:13]
	s_or_b64 s[20:21], vcc, s[20:21]
	s_waitcnt vmcnt(1)
	v_mul_f32_e32 v1, 0x3fb8aa3b, v7
	v_mul_f32_e32 v26, 0x3fb8aa3b, v6
	;; [unrolled: 1-line block ×4, first 2 shown]
	v_fma_f32 v29, v7, s22, -v1
	v_rndne_f32_e32 v30, v1
	v_fma_f32 v31, v6, s22, -v26
	v_rndne_f32_e32 v32, v26
	;; [unrolled: 2-line block ×4, first 2 shown]
	v_fmac_f32_e32 v29, 0x32a5705f, v7
	v_sub_f32_e32 v1, v1, v30
	v_fmac_f32_e32 v31, 0x32a5705f, v6
	v_sub_f32_e32 v26, v26, v32
	;; [unrolled: 2-line block ×4, first 2 shown]
	v_add_f32_e32 v1, v1, v29
	v_add_f32_e32 v26, v26, v31
	;; [unrolled: 1-line block ×4, first 2 shown]
	v_cvt_i32_f32_e32 v30, v30
	v_cvt_i32_f32_e32 v32, v32
	;; [unrolled: 1-line block ×4, first 2 shown]
	v_exp_f32_e32 v1, v1
	v_exp_f32_e32 v26, v26
	;; [unrolled: 1-line block ×4, first 2 shown]
	v_ldexp_f32 v1, v1, v30
	v_ldexp_f32 v26, v26, v32
	v_cmp_ngt_f32_e32 vcc, s23, v6
	v_ldexp_f32 v27, v27, v34
	v_cmp_ngt_f32_e64 s[2:3], s23, v9
	v_ldexp_f32 v28, v28, v36
	v_cmp_ngt_f32_e64 s[4:5], s23, v8
	v_cmp_ngt_f32_e64 s[8:9], s23, v7
	v_cndmask_b32_e64 v1, 0, v1, s[8:9]
	v_cndmask_b32_e32 v26, 0, v26, vcc
	v_cmp_nlt_f32_e32 vcc, s24, v6
	v_cndmask_b32_e64 v27, 0, v27, s[2:3]
	v_cmp_nlt_f32_e64 s[2:3], s24, v9
	v_cndmask_b32_e64 v28, 0, v28, s[4:5]
	v_cmp_nlt_f32_e64 s[4:5], s24, v8
	v_cmp_nlt_f32_e64 s[8:9], s24, v7
	v_cndmask_b32_e64 v7, v25, v1, s[8:9]
	v_cndmask_b32_e32 v6, v25, v26, vcc
	v_cndmask_b32_e64 v9, v25, v27, s[2:3]
	v_cndmask_b32_e64 v8, v25, v28, s[4:5]
	s_waitcnt vmcnt(0)
	v_pk_fma_f32 v[2:3], v[10:11], v[6:7], v[2:3] neg_lo:[1,0,0] neg_hi:[1,0,0]
	v_pk_fma_f32 v[4:5], v[10:11], v[8:9], v[4:5] neg_lo:[1,0,0] neg_hi:[1,0,0]
	global_store_dwordx4 v[18:19], v[2:5], off offset:-8
	s_andn2_b64 exec, exec, s[20:21]
	s_cbranch_execnz .LBB251_76
.LBB251_77:
	s_or_b64 exec, exec, s[18:19]
	v_add_co_u32_e32 v2, vcc, v12, v0
	v_addc_co_u32_e32 v3, vcc, 0, v13, vcc
	v_cmp_gt_i64_e32 vcc, s[10:11], v[2:3]
	s_and_saveexec_b64 s[2:3], vcc
	s_cbranch_execz .LBB251_80
; %bb.78:
	v_lshlrev_b64 v[4:5], 2, v[2:3]
	s_mov_b64 s[4:5], 0
	v_mov_b32_e32 v1, s17
	v_mov_b32_e32 v6, s15
	s_mov_b32 s8, 0x3fb8aa3b
	s_mov_b32 s9, 0xc2ce8ed0
	;; [unrolled: 1-line block ×3, first 2 shown]
	v_mov_b32_e32 v7, 0x7f800000
	v_mov_b32_e32 v8, s13
.LBB251_79:                             ; =>This Inner Loop Header: Depth=1
	v_add_co_u32_e32 v12, vcc, s14, v4
	v_addc_co_u32_e32 v13, vcc, v6, v5, vcc
	global_load_dword v9, v[12:13], off
	v_add_co_u32_e32 v12, vcc, s16, v4
	v_addc_co_u32_e32 v13, vcc, v1, v5, vcc
	global_load_dword v11, v[12:13], off
	v_add_co_u32_e32 v12, vcc, s12, v4
	v_addc_co_u32_e32 v13, vcc, v8, v5, vcc
	v_add_co_u32_e32 v2, vcc, v2, v20
	v_addc_co_u32_e32 v3, vcc, 0, v3, vcc
	;; [unrolled: 2-line block ×3, first 2 shown]
	v_cmp_le_i64_e32 vcc, s[10:11], v[2:3]
	s_or_b64 s[4:5], vcc, s[4:5]
	s_waitcnt vmcnt(1)
	v_mul_f32_e32 v14, 0x3fb8aa3b, v9
	v_fma_f32 v15, v9, s8, -v14
	v_rndne_f32_e32 v16, v14
	v_fmac_f32_e32 v15, 0x32a5705f, v9
	v_sub_f32_e32 v14, v14, v16
	v_add_f32_e32 v14, v14, v15
	v_cvt_i32_f32_e32 v16, v16
	v_exp_f32_e32 v14, v14
	v_cmp_ngt_f32_e32 vcc, s9, v9
	v_ldexp_f32 v14, v14, v16
	v_cndmask_b32_e32 v14, 0, v14, vcc
	v_cmp_nlt_f32_e32 vcc, s15, v9
	v_cndmask_b32_e32 v9, v7, v14, vcc
	s_waitcnt vmcnt(0)
	v_fma_f32 v9, -v10, v9, v11
	global_store_dword v[12:13], v9, off
	s_andn2_b64 exec, exec, s[4:5]
	s_cbranch_execnz .LBB251_79
.LBB251_80:
	s_or_b64 exec, exec, s[2:3]
	s_mov_b64 s[2:3], 0
.LBB251_81:
	s_and_b64 vcc, exec, s[2:3]
	s_cbranch_vccz .LBB251_93
; %bb.82:
	s_and_b64 vcc, exec, s[0:1]
	s_cbranch_vccnz .LBB251_86
; %bb.83:
	s_lshl_b32 s0, s46, 2
	s_sub_u32 s7, s30, s0
	s_subb_u32 s8, s31, 0
	s_sub_u32 s4, s34, s0
	s_subb_u32 s5, s35, 0
	;; [unrolled: 2-line block ×3, first 2 shown]
	v_cmp_le_u32_e32 vcc, s46, v0
	s_and_saveexec_b64 s[0:1], vcc
	s_cbranch_execz .LBB251_85
; %bb.84:
	v_mov_b32_e32 v1, 0
	v_lshlrev_b64 v[2:3], 2, v[0:1]
	v_mov_b32_e32 v1, s5
	v_add_co_u32_e32 v4, vcc, s4, v2
	v_addc_co_u32_e32 v5, vcc, v1, v3, vcc
	global_load_dword v1, v[4:5], off
	v_mov_b32_e32 v5, s3
	v_add_co_u32_e32 v4, vcc, s2, v2
	v_addc_co_u32_e32 v5, vcc, v5, v3, vcc
	global_load_dword v4, v[4:5], off
	s_mov_b32 s9, 0x3fb8aa3b
	s_mov_b32 s10, 0xc2ce8ed0
	v_mov_b32_e32 v8, s8
	s_waitcnt vmcnt(1)
	v_mul_f32_e32 v5, 0x3fb8aa3b, v1
	v_fma_f32 v6, v1, s9, -v5
	v_rndne_f32_e32 v7, v5
	v_fmac_f32_e32 v6, 0x32a5705f, v1
	v_sub_f32_e32 v5, v5, v7
	v_add_f32_e32 v5, v5, v6
	v_cvt_i32_f32_e32 v7, v7
	v_exp_f32_e32 v5, v5
	s_mov_b32 s9, 0x42b17218
	v_cmp_ngt_f32_e32 vcc, s10, v1
	v_mov_b32_e32 v6, 0x7f800000
	v_ldexp_f32 v5, v5, v7
	v_cndmask_b32_e32 v5, 0, v5, vcc
	v_cmp_nlt_f32_e32 vcc, s9, v1
	v_cndmask_b32_e32 v1, v6, v5, vcc
	v_add_co_u32_e32 v2, vcc, s7, v2
	s_waitcnt vmcnt(0) lgkmcnt(0)
	v_fma_f32 v1, -v10, v1, v4
	v_addc_co_u32_e32 v3, vcc, v8, v3, vcc
	global_store_dword v[2:3], v1, off
.LBB251_85:
	s_or_b64 exec, exec, s[0:1]
	s_add_i32 s0, s46, s42
	v_mov_b32_e32 v1, s44
	v_sub_u32_e64 v1, s0, v1 clamp
	s_lshl_b32 s0, s44, 2
	s_add_u32 s30, s7, s0
	s_addc_u32 s31, s8, 0
	s_add_u32 s34, s4, s0
	s_addc_u32 s35, s5, 0
	s_add_u32 s26, s2, s0
	v_readfirstlane_b32 s42, v1
	s_addc_u32 s27, s3, 0
.LBB251_86:
	s_load_dword s0, s[28:29], 0x0
	v_mov_b32_e32 v1, 0
	s_waitcnt lgkmcnt(0)
	s_cmp_lt_u32 s6, s0
	s_cselect_b32 s0, 12, 18
	s_add_u32 s0, s28, s0
	s_addc_u32 s1, s29, 0
	global_load_ushort v14, v1, s[0:1]
	s_waitcnt vmcnt(0)
	v_readfirstlane_b32 s0, v14
	s_lshl_b32 s0, s0, 2
	v_cvt_f32_u32_e32 v1, s0
	s_sub_i32 s1, 0, s0
	v_rcp_iflag_f32_e32 v1, v1
	v_mul_f32_e32 v1, 0x4f7ffffe, v1
	v_cvt_u32_f32_e32 v1, v1
	v_readfirstlane_b32 s2, v1
	s_mul_i32 s1, s1, s2
	s_mul_hi_u32 s1, s2, s1
	s_add_i32 s2, s2, s1
	s_mul_hi_u32 s1, s42, s2
	s_mul_i32 s1, s1, s0
	s_sub_i32 s1, s42, s1
	s_sub_i32 s2, s1, s0
	s_cmp_ge_u32 s1, s0
	s_cselect_b32 s1, s2, s1
	s_sub_i32 s2, s1, s0
	s_cmp_ge_u32 s1, s0
	s_cselect_b32 s0, s2, s1
	s_sub_i32 s6, s42, s0
	v_lshlrev_b32_e32 v1, 2, v0
	v_cmp_gt_i32_e32 vcc, s6, v1
	s_and_saveexec_b64 s[2:3], vcc
	s_cbranch_execz .LBB251_89
; %bb.87:
	v_mov_b32_e32 v11, v10
	s_mov_b64 s[4:5], 0
	v_mov_b32_e32 v1, s35
	v_mov_b32_e32 v15, s27
	v_mov_b32_e32 v16, s31
	s_mov_b32 s7, 0x3fb8aa3b
	s_mov_b32 s8, 0xc2ce8ed0
	;; [unrolled: 1-line block ×3, first 2 shown]
	v_mov_b32_e32 v17, 0x7f800000
	v_mov_b32_e32 v12, v0
.LBB251_88:                             ; =>This Inner Loop Header: Depth=1
	v_ashrrev_i32_e32 v13, 31, v12
	v_lshlrev_b64 v[18:19], 4, v[12:13]
	v_add_co_u32_e32 v2, vcc, s34, v18
	v_addc_co_u32_e32 v3, vcc, v1, v19, vcc
	global_load_dwordx4 v[2:5], v[2:3], off
	v_add_co_u32_e32 v6, vcc, s26, v18
	v_addc_co_u32_e32 v7, vcc, v15, v19, vcc
	global_load_dwordx4 v[6:9], v[6:7], off
	v_add_u32_e32 v12, v12, v14
	v_add_co_u32_e32 v18, vcc, s30, v18
	v_addc_co_u32_e32 v19, vcc, v16, v19, vcc
	v_lshlrev_b32_e32 v13, 2, v12
	v_cmp_le_i32_e32 vcc, s6, v13
	s_or_b64 s[4:5], vcc, s[4:5]
	s_waitcnt vmcnt(1)
	v_mul_f32_e32 v13, 0x3fb8aa3b, v3
	v_mul_f32_e32 v20, 0x3fb8aa3b, v2
	v_fma_f32 v23, v3, s7, -v13
	v_rndne_f32_e32 v24, v13
	v_mul_f32_e32 v21, 0x3fb8aa3b, v5
	v_fma_f32 v25, v2, s7, -v20
	v_rndne_f32_e32 v26, v20
	v_fmac_f32_e32 v23, 0x32a5705f, v3
	v_sub_f32_e32 v13, v13, v24
	v_mul_f32_e32 v22, 0x3fb8aa3b, v4
	v_fma_f32 v27, v5, s7, -v21
	v_rndne_f32_e32 v28, v21
	v_fmac_f32_e32 v25, 0x32a5705f, v2
	v_sub_f32_e32 v20, v20, v26
	v_add_f32_e32 v13, v13, v23
	v_fma_f32 v29, v4, s7, -v22
	v_rndne_f32_e32 v30, v22
	v_cvt_i32_f32_e32 v24, v24
	v_fmac_f32_e32 v27, 0x32a5705f, v5
	v_sub_f32_e32 v21, v21, v28
	v_add_f32_e32 v20, v20, v25
	v_exp_f32_e32 v13, v13
	v_cvt_i32_f32_e32 v26, v26
	v_fmac_f32_e32 v29, 0x32a5705f, v4
	v_sub_f32_e32 v22, v22, v30
	v_add_f32_e32 v21, v21, v27
	v_exp_f32_e32 v20, v20
	v_cvt_i32_f32_e32 v28, v28
	v_add_f32_e32 v22, v22, v29
	v_exp_f32_e32 v21, v21
	v_cvt_i32_f32_e32 v30, v30
	v_exp_f32_e32 v22, v22
	v_ldexp_f32 v13, v13, v24
	v_cmp_ngt_f32_e64 s[0:1], s8, v3
	v_ldexp_f32 v20, v20, v26
	v_cndmask_b32_e64 v13, 0, v13, s[0:1]
	v_cmp_ngt_f32_e64 s[0:1], s8, v2
	v_ldexp_f32 v21, v21, v28
	v_cndmask_b32_e64 v20, 0, v20, s[0:1]
	;; [unrolled: 3-line block ×3, first 2 shown]
	v_cmp_ngt_f32_e64 s[0:1], s8, v4
	v_cndmask_b32_e64 v22, 0, v22, s[0:1]
	v_cmp_nlt_f32_e64 s[0:1], s9, v3
	v_cndmask_b32_e64 v3, v17, v13, s[0:1]
	v_cmp_nlt_f32_e64 s[0:1], s9, v2
	;; [unrolled: 2-line block ×4, first 2 shown]
	v_cndmask_b32_e64 v4, v17, v22, s[0:1]
	s_waitcnt vmcnt(0)
	v_pk_fma_f32 v[2:3], v[10:11], v[2:3], v[6:7] neg_lo:[1,0,0] neg_hi:[1,0,0]
	v_pk_fma_f32 v[4:5], v[10:11], v[4:5], v[8:9] neg_lo:[1,0,0] neg_hi:[1,0,0]
	global_store_dwordx4 v[18:19], v[2:5], off
	s_andn2_b64 exec, exec, s[4:5]
	s_cbranch_execnz .LBB251_88
.LBB251_89:
	s_or_b64 exec, exec, s[2:3]
	v_add_u32_e32 v0, s6, v0
	v_cmp_gt_i32_e32 vcc, s42, v0
	s_and_saveexec_b64 s[0:1], vcc
	s_cbranch_execz .LBB251_93
; %bb.90:
	s_mov_b64 s[2:3], 0
	v_mov_b32_e32 v2, s27
	v_mov_b32_e32 v3, s35
	s_mov_b32 s4, 0x3fb8aa3b
	s_mov_b32 s5, 0xc2ce8ed0
	;; [unrolled: 1-line block ×3, first 2 shown]
	v_mov_b32_e32 v4, 0x7f800000
	v_mov_b32_e32 v5, s31
.LBB251_91:                             ; =>This Inner Loop Header: Depth=1
	v_ashrrev_i32_e32 v1, 31, v0
	v_lshlrev_b64 v[6:7], 2, v[0:1]
	v_add_co_u32_e32 v8, vcc, s34, v6
	v_addc_co_u32_e32 v9, vcc, v3, v7, vcc
	global_load_dword v1, v[8:9], off
	v_add_co_u32_e32 v8, vcc, s26, v6
	v_addc_co_u32_e32 v9, vcc, v2, v7, vcc
	global_load_dword v8, v[8:9], off
	v_add_co_u32_e32 v6, vcc, s30, v6
	v_add_u32_e32 v0, v0, v14
	v_addc_co_u32_e32 v7, vcc, v5, v7, vcc
	v_cmp_le_i32_e32 vcc, s42, v0
	s_or_b64 s[2:3], vcc, s[2:3]
	s_waitcnt vmcnt(1)
	v_mul_f32_e32 v9, 0x3fb8aa3b, v1
	v_fma_f32 v11, v1, s4, -v9
	v_rndne_f32_e32 v12, v9
	v_fmac_f32_e32 v11, 0x32a5705f, v1
	v_sub_f32_e32 v9, v9, v12
	v_add_f32_e32 v9, v9, v11
	v_cvt_i32_f32_e32 v12, v12
	v_exp_f32_e32 v9, v9
	v_cmp_ngt_f32_e64 s[0:1], s5, v1
	v_ldexp_f32 v9, v9, v12
	v_cndmask_b32_e64 v9, 0, v9, s[0:1]
	v_cmp_nlt_f32_e64 s[0:1], s6, v1
	v_cndmask_b32_e64 v1, v4, v9, s[0:1]
	s_waitcnt vmcnt(0)
	v_fma_f32 v1, -v10, v1, v8
	global_store_dword v[6:7], v1, off
	s_andn2_b64 exec, exec, s[2:3]
	s_cbranch_execnz .LBB251_91
	s_branch .LBB251_93
.LBB251_92:
	s_cbranch_execz .LBB251_66
.LBB251_93:
	s_endpgm
.LBB251_94:
                                        ; implicit-def: $vgpr2_vgpr3
	v_and_b32_e32 v20, 0xffff, v4
	s_branch .LBB251_73
	.section	.rodata,"a",@progbits
	.p2align	6, 0x0
	.amdhsa_kernel _ZN2at6native12_GLOBAL__N_120cunn_SoftMaxBackwardILi4EfffNS1_26LogSoftMaxBackwardEpilogueEEEvPT0_PKT2_S8_l
		.amdhsa_group_segment_fixed_size 0
		.amdhsa_private_segment_fixed_size 0
		.amdhsa_kernarg_size 288
		.amdhsa_user_sgpr_count 6
		.amdhsa_user_sgpr_private_segment_buffer 1
		.amdhsa_user_sgpr_dispatch_ptr 0
		.amdhsa_user_sgpr_queue_ptr 0
		.amdhsa_user_sgpr_kernarg_segment_ptr 1
		.amdhsa_user_sgpr_dispatch_id 0
		.amdhsa_user_sgpr_flat_scratch_init 0
		.amdhsa_user_sgpr_kernarg_preload_length 0
		.amdhsa_user_sgpr_kernarg_preload_offset 0
		.amdhsa_user_sgpr_private_segment_size 0
		.amdhsa_uses_dynamic_stack 0
		.amdhsa_system_sgpr_private_segment_wavefront_offset 0
		.amdhsa_system_sgpr_workgroup_id_x 1
		.amdhsa_system_sgpr_workgroup_id_y 0
		.amdhsa_system_sgpr_workgroup_id_z 0
		.amdhsa_system_sgpr_workgroup_info 0
		.amdhsa_system_vgpr_workitem_id 0
		.amdhsa_next_free_vgpr 37
		.amdhsa_next_free_sgpr 84
		.amdhsa_accum_offset 40
		.amdhsa_reserve_vcc 1
		.amdhsa_reserve_flat_scratch 0
		.amdhsa_float_round_mode_32 0
		.amdhsa_float_round_mode_16_64 0
		.amdhsa_float_denorm_mode_32 3
		.amdhsa_float_denorm_mode_16_64 3
		.amdhsa_dx10_clamp 1
		.amdhsa_ieee_mode 1
		.amdhsa_fp16_overflow 0
		.amdhsa_tg_split 0
		.amdhsa_exception_fp_ieee_invalid_op 0
		.amdhsa_exception_fp_denorm_src 0
		.amdhsa_exception_fp_ieee_div_zero 0
		.amdhsa_exception_fp_ieee_overflow 0
		.amdhsa_exception_fp_ieee_underflow 0
		.amdhsa_exception_fp_ieee_inexact 0
		.amdhsa_exception_int_div_zero 0
	.end_amdhsa_kernel
	.section	.text._ZN2at6native12_GLOBAL__N_120cunn_SoftMaxBackwardILi4EfffNS1_26LogSoftMaxBackwardEpilogueEEEvPT0_PKT2_S8_l,"axG",@progbits,_ZN2at6native12_GLOBAL__N_120cunn_SoftMaxBackwardILi4EfffNS1_26LogSoftMaxBackwardEpilogueEEEvPT0_PKT2_S8_l,comdat
.Lfunc_end251:
	.size	_ZN2at6native12_GLOBAL__N_120cunn_SoftMaxBackwardILi4EfffNS1_26LogSoftMaxBackwardEpilogueEEEvPT0_PKT2_S8_l, .Lfunc_end251-_ZN2at6native12_GLOBAL__N_120cunn_SoftMaxBackwardILi4EfffNS1_26LogSoftMaxBackwardEpilogueEEEvPT0_PKT2_S8_l
                                        ; -- End function
	.section	.AMDGPU.csdata,"",@progbits
; Kernel info:
; codeLenInByte = 8284
; NumSgprs: 88
; NumVgprs: 37
; NumAgprs: 0
; TotalNumVgprs: 37
; ScratchSize: 0
; MemoryBound: 0
; FloatMode: 240
; IeeeMode: 1
; LDSByteSize: 0 bytes/workgroup (compile time only)
; SGPRBlocks: 10
; VGPRBlocks: 4
; NumSGPRsForWavesPerEU: 88
; NumVGPRsForWavesPerEU: 37
; AccumOffset: 40
; Occupancy: 8
; WaveLimiterHint : 0
; COMPUTE_PGM_RSRC2:SCRATCH_EN: 0
; COMPUTE_PGM_RSRC2:USER_SGPR: 6
; COMPUTE_PGM_RSRC2:TRAP_HANDLER: 0
; COMPUTE_PGM_RSRC2:TGID_X_EN: 1
; COMPUTE_PGM_RSRC2:TGID_Y_EN: 0
; COMPUTE_PGM_RSRC2:TGID_Z_EN: 0
; COMPUTE_PGM_RSRC2:TIDIG_COMP_CNT: 0
; COMPUTE_PGM_RSRC3_GFX90A:ACCUM_OFFSET: 9
; COMPUTE_PGM_RSRC3_GFX90A:TG_SPLIT: 0
	.section	.text._ZN12_GLOBAL__N_121softmax_warp_backwardIN3c104HalfES2_fLi0ELb1ELb0ELi64EEEvPT0_PKT_S7_iiiPKb,"axG",@progbits,_ZN12_GLOBAL__N_121softmax_warp_backwardIN3c104HalfES2_fLi0ELb1ELb0ELi64EEEvPT0_PKT_S7_iiiPKb,comdat
	.globl	_ZN12_GLOBAL__N_121softmax_warp_backwardIN3c104HalfES2_fLi0ELb1ELb0ELi64EEEvPT0_PKT_S7_iiiPKb ; -- Begin function _ZN12_GLOBAL__N_121softmax_warp_backwardIN3c104HalfES2_fLi0ELb1ELb0ELi64EEEvPT0_PKT_S7_iiiPKb
	.p2align	8
	.type	_ZN12_GLOBAL__N_121softmax_warp_backwardIN3c104HalfES2_fLi0ELb1ELb0ELi64EEEvPT0_PKT_S7_iiiPKb,@function
_ZN12_GLOBAL__N_121softmax_warp_backwardIN3c104HalfES2_fLi0ELb1ELb0ELi64EEEvPT0_PKT_S7_iiiPKb: ; @_ZN12_GLOBAL__N_121softmax_warp_backwardIN3c104HalfES2_fLi0ELb1ELb0ELi64EEEvPT0_PKT_S7_iiiPKb
; %bb.0:
	s_load_dword s2, s[4:5], 0x3c
	s_load_dwordx4 s[8:11], s[4:5], 0x18
	s_load_dwordx4 s[12:15], s[4:5], 0x0
	s_load_dwordx2 s[0:1], s[4:5], 0x10
	v_bfe_u32 v0, v0, 10, 10
	s_waitcnt lgkmcnt(0)
	s_lshr_b32 s2, s2, 16
	s_mul_i32 s6, s6, s2
	v_add_lshl_u32 v0, s6, v0, 1
	v_sub_u32_e32 v6, s8, v0
	v_mul_lo_u32 v0, v0, s9
	v_ashrrev_i32_e32 v1, 31, v0
	v_lshlrev_b64 v[0:1], 1, v[0:1]
	v_mov_b32_e32 v3, s15
	v_add_co_u32_e32 v2, vcc, s14, v0
	v_addc_co_u32_e32 v3, vcc, v3, v1, vcc
	v_mov_b32_e32 v5, s1
	v_add_co_u32_e32 v4, vcc, s0, v0
	v_addc_co_u32_e32 v5, vcc, v5, v1, vcc
	s_cmp_gt_i32 s10, 0
	s_cselect_b64 s[2:3], -1, 0
	v_cmp_lt_i32_e32 vcc, 0, v6
	s_and_b64 s[4:5], s[2:3], vcc
	v_mov_b32_e32 v7, 0
	v_mov_b32_e32 v8, 0
	;; [unrolled: 1-line block ×3, first 2 shown]
	s_and_saveexec_b64 s[0:1], s[4:5]
	s_cbranch_execz .LBB252_2
; %bb.1:
	global_load_ushort v8, v[2:3], off
	global_load_ushort v9, v[4:5], off
	s_waitcnt vmcnt(1)
	v_cvt_f32_f16_e32 v8, v8
	s_waitcnt vmcnt(0)
	v_cvt_f32_f16_e32 v10, v9
.LBB252_2:
	s_or_b64 exec, exec, s[0:1]
	v_cmp_lt_i32_e64 s[0:1], 1, v6
	s_and_b64 s[0:1], s[2:3], s[0:1]
	s_mov_b32 s11, 0
	v_mov_b32_e32 v9, 0
	s_and_saveexec_b64 s[4:5], s[0:1]
	s_cbranch_execz .LBB252_4
; %bb.3:
	s_lshl_b64 s[6:7], s[10:11], 1
	v_mov_b32_e32 v7, s7
	v_add_co_u32_e64 v2, s[0:1], s6, v2
	v_addc_co_u32_e64 v3, s[0:1], v3, v7, s[0:1]
	global_load_ushort v9, v[2:3], off
	v_add_co_u32_e64 v2, s[0:1], s6, v4
	v_addc_co_u32_e64 v3, s[0:1], v5, v7, s[0:1]
	global_load_ushort v2, v[2:3], off
	s_waitcnt vmcnt(1)
	v_cvt_f32_f16_e32 v7, v9
	s_waitcnt vmcnt(0)
	v_cvt_f32_f16_e32 v9, v2
.LBB252_4:
	s_or_b64 exec, exec, s[4:5]
	s_and_saveexec_b64 s[0:1], vcc
	s_cbranch_execz .LBB252_10
; %bb.5:
	v_mov_b32_e32 v2, s13
	v_cndmask_b32_e64 v3, 0, 1, s[2:3]
	s_andn2_b64 vcc, exec, s[2:3]
	v_add_co_u32_e64 v0, s[2:3], s12, v0
	v_cmp_ne_u32_e64 s[0:1], 1, v3
	v_addc_co_u32_e64 v1, s[2:3], v2, v1, s[2:3]
	s_cbranch_vccnz .LBB252_7
; %bb.6:
	v_mul_f32_e32 v2, 0x3fb8aa3b, v10
	s_mov_b32 s2, 0x3fb8aa3b
	v_rndne_f32_e32 v3, v2
	v_sub_f32_e32 v4, v2, v3
	v_fma_f32 v2, v10, s2, -v2
	v_fmac_f32_e32 v2, 0x32a5705f, v10
	v_add_f32_e32 v2, v4, v2
	v_exp_f32_e32 v2, v2
	v_cvt_i32_f32_e32 v3, v3
	s_mov_b32 s2, 0xc2ce8ed0
	v_cmp_ngt_f32_e32 vcc, s2, v10
	s_mov_b32 s2, 0x42b17218
	v_ldexp_f32 v2, v2, v3
	v_cndmask_b32_e32 v2, 0, v2, vcc
	v_mov_b32_e32 v3, 0x7f800000
	v_cmp_nlt_f32_e32 vcc, s2, v10
	v_cndmask_b32_e32 v2, v3, v2, vcc
	v_add_f32_e32 v3, 0, v8
	v_fma_mixlo_f16 v2, -v3, v2, v8
	global_store_short v[0:1], v2, off
.LBB252_7:
	v_cmp_ne_u32_e32 vcc, 1, v6
	s_and_b64 exec, exec, vcc
	s_cbranch_execz .LBB252_10
; %bb.8:
	s_and_b64 vcc, exec, s[0:1]
	s_cbranch_vccnz .LBB252_10
; %bb.9:
	v_mul_f32_e32 v2, 0x3fb8aa3b, v9
	s_mov_b32 s0, 0x3fb8aa3b
	v_rndne_f32_e32 v3, v2
	v_sub_f32_e32 v4, v2, v3
	v_fma_f32 v2, v9, s0, -v2
	v_fmac_f32_e32 v2, 0x32a5705f, v9
	v_add_f32_e32 v2, v4, v2
	v_exp_f32_e32 v2, v2
	v_cvt_i32_f32_e32 v3, v3
	s_mov_b32 s0, 0xc2ce8ed0
	v_cmp_ngt_f32_e32 vcc, s0, v9
	s_mov_b32 s0, 0x42b17218
	v_ldexp_f32 v2, v2, v3
	v_cndmask_b32_e32 v2, 0, v2, vcc
	v_mov_b32_e32 v3, 0x7f800000
	v_cmp_nlt_f32_e32 vcc, s0, v9
	v_cndmask_b32_e32 v2, v3, v2, vcc
	v_add_f32_e32 v3, 0, v7
	s_lshl_b64 s[0:1], s[10:11], 1
	v_fma_mixlo_f16 v2, -v3, v2, v7
	v_mov_b32_e32 v3, s1
	v_add_co_u32_e32 v0, vcc, s0, v0
	v_addc_co_u32_e32 v1, vcc, v1, v3, vcc
	global_store_short v[0:1], v2, off
.LBB252_10:
	s_endpgm
	.section	.rodata,"a",@progbits
	.p2align	6, 0x0
	.amdhsa_kernel _ZN12_GLOBAL__N_121softmax_warp_backwardIN3c104HalfES2_fLi0ELb1ELb0ELi64EEEvPT0_PKT_S7_iiiPKb
		.amdhsa_group_segment_fixed_size 0
		.amdhsa_private_segment_fixed_size 0
		.amdhsa_kernarg_size 304
		.amdhsa_user_sgpr_count 6
		.amdhsa_user_sgpr_private_segment_buffer 1
		.amdhsa_user_sgpr_dispatch_ptr 0
		.amdhsa_user_sgpr_queue_ptr 0
		.amdhsa_user_sgpr_kernarg_segment_ptr 1
		.amdhsa_user_sgpr_dispatch_id 0
		.amdhsa_user_sgpr_flat_scratch_init 0
		.amdhsa_user_sgpr_kernarg_preload_length 0
		.amdhsa_user_sgpr_kernarg_preload_offset 0
		.amdhsa_user_sgpr_private_segment_size 0
		.amdhsa_uses_dynamic_stack 0
		.amdhsa_system_sgpr_private_segment_wavefront_offset 0
		.amdhsa_system_sgpr_workgroup_id_x 1
		.amdhsa_system_sgpr_workgroup_id_y 0
		.amdhsa_system_sgpr_workgroup_id_z 0
		.amdhsa_system_sgpr_workgroup_info 0
		.amdhsa_system_vgpr_workitem_id 1
		.amdhsa_next_free_vgpr 11
		.amdhsa_next_free_sgpr 16
		.amdhsa_accum_offset 12
		.amdhsa_reserve_vcc 1
		.amdhsa_reserve_flat_scratch 0
		.amdhsa_float_round_mode_32 0
		.amdhsa_float_round_mode_16_64 0
		.amdhsa_float_denorm_mode_32 3
		.amdhsa_float_denorm_mode_16_64 3
		.amdhsa_dx10_clamp 1
		.amdhsa_ieee_mode 1
		.amdhsa_fp16_overflow 0
		.amdhsa_tg_split 0
		.amdhsa_exception_fp_ieee_invalid_op 0
		.amdhsa_exception_fp_denorm_src 0
		.amdhsa_exception_fp_ieee_div_zero 0
		.amdhsa_exception_fp_ieee_overflow 0
		.amdhsa_exception_fp_ieee_underflow 0
		.amdhsa_exception_fp_ieee_inexact 0
		.amdhsa_exception_int_div_zero 0
	.end_amdhsa_kernel
	.section	.text._ZN12_GLOBAL__N_121softmax_warp_backwardIN3c104HalfES2_fLi0ELb1ELb0ELi64EEEvPT0_PKT_S7_iiiPKb,"axG",@progbits,_ZN12_GLOBAL__N_121softmax_warp_backwardIN3c104HalfES2_fLi0ELb1ELb0ELi64EEEvPT0_PKT_S7_iiiPKb,comdat
.Lfunc_end252:
	.size	_ZN12_GLOBAL__N_121softmax_warp_backwardIN3c104HalfES2_fLi0ELb1ELb0ELi64EEEvPT0_PKT_S7_iiiPKb, .Lfunc_end252-_ZN12_GLOBAL__N_121softmax_warp_backwardIN3c104HalfES2_fLi0ELb1ELb0ELi64EEEvPT0_PKT_S7_iiiPKb
                                        ; -- End function
	.section	.AMDGPU.csdata,"",@progbits
; Kernel info:
; codeLenInByte = 616
; NumSgprs: 20
; NumVgprs: 11
; NumAgprs: 0
; TotalNumVgprs: 11
; ScratchSize: 0
; MemoryBound: 0
; FloatMode: 240
; IeeeMode: 1
; LDSByteSize: 0 bytes/workgroup (compile time only)
; SGPRBlocks: 2
; VGPRBlocks: 1
; NumSGPRsForWavesPerEU: 20
; NumVGPRsForWavesPerEU: 11
; AccumOffset: 12
; Occupancy: 8
; WaveLimiterHint : 0
; COMPUTE_PGM_RSRC2:SCRATCH_EN: 0
; COMPUTE_PGM_RSRC2:USER_SGPR: 6
; COMPUTE_PGM_RSRC2:TRAP_HANDLER: 0
; COMPUTE_PGM_RSRC2:TGID_X_EN: 1
; COMPUTE_PGM_RSRC2:TGID_Y_EN: 0
; COMPUTE_PGM_RSRC2:TGID_Z_EN: 0
; COMPUTE_PGM_RSRC2:TIDIG_COMP_CNT: 1
; COMPUTE_PGM_RSRC3_GFX90A:ACCUM_OFFSET: 2
; COMPUTE_PGM_RSRC3_GFX90A:TG_SPLIT: 0
	.section	.text._ZN12_GLOBAL__N_121softmax_warp_backwardIN3c104HalfES2_fLi0ELb1ELb0ELi32EEEvPT0_PKT_S7_iiiPKb,"axG",@progbits,_ZN12_GLOBAL__N_121softmax_warp_backwardIN3c104HalfES2_fLi0ELb1ELb0ELi32EEEvPT0_PKT_S7_iiiPKb,comdat
	.globl	_ZN12_GLOBAL__N_121softmax_warp_backwardIN3c104HalfES2_fLi0ELb1ELb0ELi32EEEvPT0_PKT_S7_iiiPKb ; -- Begin function _ZN12_GLOBAL__N_121softmax_warp_backwardIN3c104HalfES2_fLi0ELb1ELb0ELi32EEEvPT0_PKT_S7_iiiPKb
	.p2align	8
	.type	_ZN12_GLOBAL__N_121softmax_warp_backwardIN3c104HalfES2_fLi0ELb1ELb0ELi32EEEvPT0_PKT_S7_iiiPKb,@function
_ZN12_GLOBAL__N_121softmax_warp_backwardIN3c104HalfES2_fLi0ELb1ELb0ELi32EEEvPT0_PKT_S7_iiiPKb: ; @_ZN12_GLOBAL__N_121softmax_warp_backwardIN3c104HalfES2_fLi0ELb1ELb0ELi32EEEvPT0_PKT_S7_iiiPKb
; %bb.0:
	s_load_dword s2, s[4:5], 0x3c
	s_load_dwordx4 s[8:11], s[4:5], 0x18
	s_load_dwordx4 s[12:15], s[4:5], 0x0
	s_load_dwordx2 s[0:1], s[4:5], 0x10
	v_bfe_u32 v0, v0, 10, 10
	s_waitcnt lgkmcnt(0)
	s_lshr_b32 s2, s2, 16
	s_mul_i32 s6, s6, s2
	v_add_lshl_u32 v0, s6, v0, 1
	v_sub_u32_e32 v6, s8, v0
	v_mul_lo_u32 v0, v0, s9
	v_ashrrev_i32_e32 v1, 31, v0
	v_lshlrev_b64 v[0:1], 1, v[0:1]
	v_mov_b32_e32 v3, s15
	v_add_co_u32_e32 v2, vcc, s14, v0
	v_addc_co_u32_e32 v3, vcc, v3, v1, vcc
	v_mov_b32_e32 v5, s1
	v_add_co_u32_e32 v4, vcc, s0, v0
	v_addc_co_u32_e32 v5, vcc, v5, v1, vcc
	s_cmp_gt_i32 s10, 0
	s_cselect_b64 s[2:3], -1, 0
	v_cmp_lt_i32_e32 vcc, 0, v6
	s_and_b64 s[4:5], s[2:3], vcc
	v_mov_b32_e32 v7, 0
	v_mov_b32_e32 v8, 0
	v_mov_b32_e32 v10, 0
	s_and_saveexec_b64 s[0:1], s[4:5]
	s_cbranch_execz .LBB253_2
; %bb.1:
	global_load_ushort v8, v[2:3], off
	global_load_ushort v9, v[4:5], off
	s_waitcnt vmcnt(1)
	v_cvt_f32_f16_e32 v8, v8
	s_waitcnt vmcnt(0)
	v_cvt_f32_f16_e32 v10, v9
.LBB253_2:
	s_or_b64 exec, exec, s[0:1]
	v_cmp_lt_i32_e64 s[0:1], 1, v6
	s_and_b64 s[0:1], s[2:3], s[0:1]
	s_mov_b32 s11, 0
	v_mov_b32_e32 v9, 0
	s_and_saveexec_b64 s[4:5], s[0:1]
	s_cbranch_execz .LBB253_4
; %bb.3:
	s_lshl_b64 s[6:7], s[10:11], 1
	v_mov_b32_e32 v7, s7
	v_add_co_u32_e64 v2, s[0:1], s6, v2
	v_addc_co_u32_e64 v3, s[0:1], v3, v7, s[0:1]
	global_load_ushort v9, v[2:3], off
	v_add_co_u32_e64 v2, s[0:1], s6, v4
	v_addc_co_u32_e64 v3, s[0:1], v5, v7, s[0:1]
	global_load_ushort v2, v[2:3], off
	s_waitcnt vmcnt(1)
	v_cvt_f32_f16_e32 v7, v9
	s_waitcnt vmcnt(0)
	v_cvt_f32_f16_e32 v9, v2
.LBB253_4:
	s_or_b64 exec, exec, s[4:5]
	s_and_saveexec_b64 s[0:1], vcc
	s_cbranch_execz .LBB253_10
; %bb.5:
	v_mov_b32_e32 v2, s13
	v_cndmask_b32_e64 v3, 0, 1, s[2:3]
	s_andn2_b64 vcc, exec, s[2:3]
	v_add_co_u32_e64 v0, s[2:3], s12, v0
	v_cmp_ne_u32_e64 s[0:1], 1, v3
	v_addc_co_u32_e64 v1, s[2:3], v2, v1, s[2:3]
	s_cbranch_vccnz .LBB253_7
; %bb.6:
	v_mul_f32_e32 v2, 0x3fb8aa3b, v10
	s_mov_b32 s2, 0x3fb8aa3b
	v_rndne_f32_e32 v3, v2
	v_sub_f32_e32 v4, v2, v3
	v_fma_f32 v2, v10, s2, -v2
	v_fmac_f32_e32 v2, 0x32a5705f, v10
	v_add_f32_e32 v2, v4, v2
	v_exp_f32_e32 v2, v2
	v_cvt_i32_f32_e32 v3, v3
	s_mov_b32 s2, 0xc2ce8ed0
	v_cmp_ngt_f32_e32 vcc, s2, v10
	s_mov_b32 s2, 0x42b17218
	v_ldexp_f32 v2, v2, v3
	v_cndmask_b32_e32 v2, 0, v2, vcc
	v_mov_b32_e32 v3, 0x7f800000
	v_cmp_nlt_f32_e32 vcc, s2, v10
	v_cndmask_b32_e32 v2, v3, v2, vcc
	v_add_f32_e32 v3, 0, v8
	v_fma_mixlo_f16 v2, -v3, v2, v8
	global_store_short v[0:1], v2, off
.LBB253_7:
	v_cmp_ne_u32_e32 vcc, 1, v6
	s_and_b64 exec, exec, vcc
	s_cbranch_execz .LBB253_10
; %bb.8:
	s_and_b64 vcc, exec, s[0:1]
	s_cbranch_vccnz .LBB253_10
; %bb.9:
	v_mul_f32_e32 v2, 0x3fb8aa3b, v9
	s_mov_b32 s0, 0x3fb8aa3b
	v_rndne_f32_e32 v3, v2
	v_sub_f32_e32 v4, v2, v3
	v_fma_f32 v2, v9, s0, -v2
	v_fmac_f32_e32 v2, 0x32a5705f, v9
	v_add_f32_e32 v2, v4, v2
	v_exp_f32_e32 v2, v2
	v_cvt_i32_f32_e32 v3, v3
	s_mov_b32 s0, 0xc2ce8ed0
	v_cmp_ngt_f32_e32 vcc, s0, v9
	s_mov_b32 s0, 0x42b17218
	v_ldexp_f32 v2, v2, v3
	v_cndmask_b32_e32 v2, 0, v2, vcc
	v_mov_b32_e32 v3, 0x7f800000
	v_cmp_nlt_f32_e32 vcc, s0, v9
	v_cndmask_b32_e32 v2, v3, v2, vcc
	v_add_f32_e32 v3, 0, v7
	s_lshl_b64 s[0:1], s[10:11], 1
	v_fma_mixlo_f16 v2, -v3, v2, v7
	v_mov_b32_e32 v3, s1
	v_add_co_u32_e32 v0, vcc, s0, v0
	v_addc_co_u32_e32 v1, vcc, v1, v3, vcc
	global_store_short v[0:1], v2, off
.LBB253_10:
	s_endpgm
	.section	.rodata,"a",@progbits
	.p2align	6, 0x0
	.amdhsa_kernel _ZN12_GLOBAL__N_121softmax_warp_backwardIN3c104HalfES2_fLi0ELb1ELb0ELi32EEEvPT0_PKT_S7_iiiPKb
		.amdhsa_group_segment_fixed_size 0
		.amdhsa_private_segment_fixed_size 0
		.amdhsa_kernarg_size 304
		.amdhsa_user_sgpr_count 6
		.amdhsa_user_sgpr_private_segment_buffer 1
		.amdhsa_user_sgpr_dispatch_ptr 0
		.amdhsa_user_sgpr_queue_ptr 0
		.amdhsa_user_sgpr_kernarg_segment_ptr 1
		.amdhsa_user_sgpr_dispatch_id 0
		.amdhsa_user_sgpr_flat_scratch_init 0
		.amdhsa_user_sgpr_kernarg_preload_length 0
		.amdhsa_user_sgpr_kernarg_preload_offset 0
		.amdhsa_user_sgpr_private_segment_size 0
		.amdhsa_uses_dynamic_stack 0
		.amdhsa_system_sgpr_private_segment_wavefront_offset 0
		.amdhsa_system_sgpr_workgroup_id_x 1
		.amdhsa_system_sgpr_workgroup_id_y 0
		.amdhsa_system_sgpr_workgroup_id_z 0
		.amdhsa_system_sgpr_workgroup_info 0
		.amdhsa_system_vgpr_workitem_id 1
		.amdhsa_next_free_vgpr 11
		.amdhsa_next_free_sgpr 16
		.amdhsa_accum_offset 12
		.amdhsa_reserve_vcc 1
		.amdhsa_reserve_flat_scratch 0
		.amdhsa_float_round_mode_32 0
		.amdhsa_float_round_mode_16_64 0
		.amdhsa_float_denorm_mode_32 3
		.amdhsa_float_denorm_mode_16_64 3
		.amdhsa_dx10_clamp 1
		.amdhsa_ieee_mode 1
		.amdhsa_fp16_overflow 0
		.amdhsa_tg_split 0
		.amdhsa_exception_fp_ieee_invalid_op 0
		.amdhsa_exception_fp_denorm_src 0
		.amdhsa_exception_fp_ieee_div_zero 0
		.amdhsa_exception_fp_ieee_overflow 0
		.amdhsa_exception_fp_ieee_underflow 0
		.amdhsa_exception_fp_ieee_inexact 0
		.amdhsa_exception_int_div_zero 0
	.end_amdhsa_kernel
	.section	.text._ZN12_GLOBAL__N_121softmax_warp_backwardIN3c104HalfES2_fLi0ELb1ELb0ELi32EEEvPT0_PKT_S7_iiiPKb,"axG",@progbits,_ZN12_GLOBAL__N_121softmax_warp_backwardIN3c104HalfES2_fLi0ELb1ELb0ELi32EEEvPT0_PKT_S7_iiiPKb,comdat
.Lfunc_end253:
	.size	_ZN12_GLOBAL__N_121softmax_warp_backwardIN3c104HalfES2_fLi0ELb1ELb0ELi32EEEvPT0_PKT_S7_iiiPKb, .Lfunc_end253-_ZN12_GLOBAL__N_121softmax_warp_backwardIN3c104HalfES2_fLi0ELb1ELb0ELi32EEEvPT0_PKT_S7_iiiPKb
                                        ; -- End function
	.section	.AMDGPU.csdata,"",@progbits
; Kernel info:
; codeLenInByte = 616
; NumSgprs: 20
; NumVgprs: 11
; NumAgprs: 0
; TotalNumVgprs: 11
; ScratchSize: 0
; MemoryBound: 0
; FloatMode: 240
; IeeeMode: 1
; LDSByteSize: 0 bytes/workgroup (compile time only)
; SGPRBlocks: 2
; VGPRBlocks: 1
; NumSGPRsForWavesPerEU: 20
; NumVGPRsForWavesPerEU: 11
; AccumOffset: 12
; Occupancy: 8
; WaveLimiterHint : 0
; COMPUTE_PGM_RSRC2:SCRATCH_EN: 0
; COMPUTE_PGM_RSRC2:USER_SGPR: 6
; COMPUTE_PGM_RSRC2:TRAP_HANDLER: 0
; COMPUTE_PGM_RSRC2:TGID_X_EN: 1
; COMPUTE_PGM_RSRC2:TGID_Y_EN: 0
; COMPUTE_PGM_RSRC2:TGID_Z_EN: 0
; COMPUTE_PGM_RSRC2:TIDIG_COMP_CNT: 1
; COMPUTE_PGM_RSRC3_GFX90A:ACCUM_OFFSET: 2
; COMPUTE_PGM_RSRC3_GFX90A:TG_SPLIT: 0
	.section	.text._ZN12_GLOBAL__N_121softmax_warp_backwardIN3c104HalfES2_fLi1ELb1ELb0ELi64EEEvPT0_PKT_S7_iiiPKb,"axG",@progbits,_ZN12_GLOBAL__N_121softmax_warp_backwardIN3c104HalfES2_fLi1ELb1ELb0ELi64EEEvPT0_PKT_S7_iiiPKb,comdat
	.globl	_ZN12_GLOBAL__N_121softmax_warp_backwardIN3c104HalfES2_fLi1ELb1ELb0ELi64EEEvPT0_PKT_S7_iiiPKb ; -- Begin function _ZN12_GLOBAL__N_121softmax_warp_backwardIN3c104HalfES2_fLi1ELb1ELb0ELi64EEEvPT0_PKT_S7_iiiPKb
	.p2align	8
	.type	_ZN12_GLOBAL__N_121softmax_warp_backwardIN3c104HalfES2_fLi1ELb1ELb0ELi64EEEvPT0_PKT_S7_iiiPKb,@function
_ZN12_GLOBAL__N_121softmax_warp_backwardIN3c104HalfES2_fLi1ELb1ELb0ELi64EEEvPT0_PKT_S7_iiiPKb: ; @_ZN12_GLOBAL__N_121softmax_warp_backwardIN3c104HalfES2_fLi1ELb1ELb0ELi64EEEvPT0_PKT_S7_iiiPKb
; %bb.0:
	s_load_dword s2, s[4:5], 0x3c
	s_load_dwordx4 s[8:11], s[4:5], 0x18
	s_load_dwordx4 s[12:15], s[4:5], 0x0
	s_load_dwordx2 s[0:1], s[4:5], 0x10
	v_bfe_u32 v1, v0, 10, 10
	s_waitcnt lgkmcnt(0)
	s_lshr_b32 s2, s2, 16
	s_mul_i32 s6, s6, s2
	v_add_lshl_u32 v1, s6, v1, 1
	v_sub_u32_e32 v8, s8, v1
	v_mul_lo_u32 v1, v1, s9
	v_and_b32_e32 v9, 1, v0
	v_or_b32_e32 v0, v1, v9
	v_ashrrev_i32_e32 v1, 31, v0
	v_lshlrev_b64 v[2:3], 1, v[0:1]
	v_mov_b32_e32 v0, s15
	v_add_co_u32_e32 v4, vcc, s14, v2
	v_addc_co_u32_e32 v5, vcc, v0, v3, vcc
	v_mov_b32_e32 v0, s1
	v_add_co_u32_e32 v6, vcc, s0, v2
	v_addc_co_u32_e32 v7, vcc, v0, v3, vcc
	v_cmp_gt_i32_e32 vcc, s10, v9
	v_cmp_lt_i32_e64 s[0:1], 0, v8
	s_and_b64 s[4:5], vcc, s[0:1]
	v_mov_b32_e32 v1, 0
	v_mov_b32_e32 v0, 0
	;; [unrolled: 1-line block ×3, first 2 shown]
	s_and_saveexec_b64 s[2:3], s[4:5]
	s_cbranch_execz .LBB254_2
; %bb.1:
	global_load_ushort v0, v[4:5], off
	global_load_ushort v9, v[6:7], off
	s_waitcnt vmcnt(1)
	v_cvt_f32_f16_e32 v0, v0
	s_waitcnt vmcnt(0)
	v_cvt_f32_f16_e32 v10, v9
.LBB254_2:
	s_or_b64 exec, exec, s[2:3]
	v_cmp_lt_i32_e64 s[2:3], 1, v8
	s_and_b64 s[2:3], vcc, s[2:3]
	s_mov_b32 s11, 0
	v_mov_b32_e32 v9, 0
	s_and_saveexec_b64 s[4:5], s[2:3]
	s_cbranch_execz .LBB254_4
; %bb.3:
	s_lshl_b64 s[6:7], s[10:11], 1
	v_mov_b32_e32 v1, s7
	v_add_co_u32_e64 v4, s[2:3], s6, v4
	v_addc_co_u32_e64 v5, s[2:3], v5, v1, s[2:3]
	global_load_ushort v9, v[4:5], off
	v_add_co_u32_e64 v4, s[2:3], s6, v6
	v_addc_co_u32_e64 v5, s[2:3], v7, v1, s[2:3]
	global_load_ushort v4, v[4:5], off
	s_waitcnt vmcnt(1)
	v_cvt_f32_f16_e32 v1, v9
	s_waitcnt vmcnt(0)
	v_cvt_f32_f16_e32 v9, v4
.LBB254_4:
	s_or_b64 exec, exec, s[4:5]
	v_mbcnt_lo_u32_b32 v6, -1, 0
	v_mbcnt_hi_u32_b32 v6, -1, v6
	v_and_b32_e32 v11, 0x7e, v6
	v_xor_b32_e32 v7, 1, v6
	v_add_u32_e32 v11, 2, v11
	v_cmp_lt_i32_e64 s[2:3], v7, v11
	v_cndmask_b32_e64 v6, v6, v7, s[2:3]
	v_pk_add_f32 v[4:5], v[0:1], 0 op_sel_hi:[1,0]
	v_lshlrev_b32_e32 v7, 2, v6
	ds_bpermute_b32 v6, v7, v4
	ds_bpermute_b32 v7, v7, v5
	s_and_saveexec_b64 s[2:3], s[0:1]
	s_cbranch_execz .LBB254_10
; %bb.5:
	v_mov_b32_e32 v11, s13
	v_add_co_u32_e64 v2, s[0:1], s12, v2
	v_addc_co_u32_e64 v3, s[0:1], v11, v3, s[0:1]
	s_waitcnt lgkmcnt(0)
	v_pk_add_f32 v[4:5], v[4:5], v[6:7]
	s_and_saveexec_b64 s[2:3], vcc
	s_cbranch_execz .LBB254_7
; %bb.6:
	v_mul_f32_e32 v6, 0x3fb8aa3b, v10
	s_mov_b32 s0, 0x3fb8aa3b
	v_rndne_f32_e32 v7, v6
	v_sub_f32_e32 v11, v6, v7
	v_fma_f32 v6, v10, s0, -v6
	v_fmac_f32_e32 v6, 0x32a5705f, v10
	v_add_f32_e32 v6, v11, v6
	v_exp_f32_e32 v6, v6
	v_cvt_i32_f32_e32 v7, v7
	s_mov_b32 s0, 0xc2ce8ed0
	v_cmp_ngt_f32_e64 s[0:1], s0, v10
	v_ldexp_f32 v6, v6, v7
	v_cndmask_b32_e64 v6, 0, v6, s[0:1]
	s_mov_b32 s0, 0x42b17218
	v_mov_b32_e32 v7, 0x7f800000
	v_cmp_nlt_f32_e64 s[0:1], s0, v10
	v_cndmask_b32_e64 v6, v7, v6, s[0:1]
	v_fma_mixlo_f16 v0, -v4, v6, v0
	global_store_short v[2:3], v0, off
.LBB254_7:
	s_or_b64 exec, exec, s[2:3]
	v_cmp_ne_u32_e64 s[0:1], 1, v8
	s_and_b64 exec, exec, s[0:1]
	s_cbranch_execz .LBB254_10
; %bb.8:
	s_and_b64 exec, exec, vcc
	s_cbranch_execz .LBB254_10
; %bb.9:
	v_mul_f32_e32 v0, 0x3fb8aa3b, v9
	s_mov_b32 s0, 0x3fb8aa3b
	v_rndne_f32_e32 v4, v0
	v_sub_f32_e32 v6, v0, v4
	v_fma_f32 v0, v9, s0, -v0
	v_fmac_f32_e32 v0, 0x32a5705f, v9
	v_add_f32_e32 v0, v6, v0
	v_exp_f32_e32 v0, v0
	v_cvt_i32_f32_e32 v4, v4
	s_mov_b32 s0, 0xc2ce8ed0
	v_cmp_ngt_f32_e32 vcc, s0, v9
	s_mov_b32 s0, 0x42b17218
	v_ldexp_f32 v0, v0, v4
	v_cndmask_b32_e32 v0, 0, v0, vcc
	v_mov_b32_e32 v4, 0x7f800000
	v_cmp_nlt_f32_e32 vcc, s0, v9
	v_cndmask_b32_e32 v0, v4, v0, vcc
	s_lshl_b64 s[0:1], s[10:11], 1
	v_fma_mixlo_f16 v4, -v5, v0, v1
	v_mov_b32_e32 v1, s1
	v_add_co_u32_e32 v0, vcc, s0, v2
	v_addc_co_u32_e32 v1, vcc, v3, v1, vcc
	global_store_short v[0:1], v4, off
.LBB254_10:
	s_endpgm
	.section	.rodata,"a",@progbits
	.p2align	6, 0x0
	.amdhsa_kernel _ZN12_GLOBAL__N_121softmax_warp_backwardIN3c104HalfES2_fLi1ELb1ELb0ELi64EEEvPT0_PKT_S7_iiiPKb
		.amdhsa_group_segment_fixed_size 0
		.amdhsa_private_segment_fixed_size 0
		.amdhsa_kernarg_size 304
		.amdhsa_user_sgpr_count 6
		.amdhsa_user_sgpr_private_segment_buffer 1
		.amdhsa_user_sgpr_dispatch_ptr 0
		.amdhsa_user_sgpr_queue_ptr 0
		.amdhsa_user_sgpr_kernarg_segment_ptr 1
		.amdhsa_user_sgpr_dispatch_id 0
		.amdhsa_user_sgpr_flat_scratch_init 0
		.amdhsa_user_sgpr_kernarg_preload_length 0
		.amdhsa_user_sgpr_kernarg_preload_offset 0
		.amdhsa_user_sgpr_private_segment_size 0
		.amdhsa_uses_dynamic_stack 0
		.amdhsa_system_sgpr_private_segment_wavefront_offset 0
		.amdhsa_system_sgpr_workgroup_id_x 1
		.amdhsa_system_sgpr_workgroup_id_y 0
		.amdhsa_system_sgpr_workgroup_id_z 0
		.amdhsa_system_sgpr_workgroup_info 0
		.amdhsa_system_vgpr_workitem_id 1
		.amdhsa_next_free_vgpr 12
		.amdhsa_next_free_sgpr 16
		.amdhsa_accum_offset 12
		.amdhsa_reserve_vcc 1
		.amdhsa_reserve_flat_scratch 0
		.amdhsa_float_round_mode_32 0
		.amdhsa_float_round_mode_16_64 0
		.amdhsa_float_denorm_mode_32 3
		.amdhsa_float_denorm_mode_16_64 3
		.amdhsa_dx10_clamp 1
		.amdhsa_ieee_mode 1
		.amdhsa_fp16_overflow 0
		.amdhsa_tg_split 0
		.amdhsa_exception_fp_ieee_invalid_op 0
		.amdhsa_exception_fp_denorm_src 0
		.amdhsa_exception_fp_ieee_div_zero 0
		.amdhsa_exception_fp_ieee_overflow 0
		.amdhsa_exception_fp_ieee_underflow 0
		.amdhsa_exception_fp_ieee_inexact 0
		.amdhsa_exception_int_div_zero 0
	.end_amdhsa_kernel
	.section	.text._ZN12_GLOBAL__N_121softmax_warp_backwardIN3c104HalfES2_fLi1ELb1ELb0ELi64EEEvPT0_PKT_S7_iiiPKb,"axG",@progbits,_ZN12_GLOBAL__N_121softmax_warp_backwardIN3c104HalfES2_fLi1ELb1ELb0ELi64EEEvPT0_PKT_S7_iiiPKb,comdat
.Lfunc_end254:
	.size	_ZN12_GLOBAL__N_121softmax_warp_backwardIN3c104HalfES2_fLi1ELb1ELb0ELi64EEEvPT0_PKT_S7_iiiPKb, .Lfunc_end254-_ZN12_GLOBAL__N_121softmax_warp_backwardIN3c104HalfES2_fLi1ELb1ELb0ELi64EEEvPT0_PKT_S7_iiiPKb
                                        ; -- End function
	.section	.AMDGPU.csdata,"",@progbits
; Kernel info:
; codeLenInByte = 712
; NumSgprs: 20
; NumVgprs: 12
; NumAgprs: 0
; TotalNumVgprs: 12
; ScratchSize: 0
; MemoryBound: 0
; FloatMode: 240
; IeeeMode: 1
; LDSByteSize: 0 bytes/workgroup (compile time only)
; SGPRBlocks: 2
; VGPRBlocks: 1
; NumSGPRsForWavesPerEU: 20
; NumVGPRsForWavesPerEU: 12
; AccumOffset: 12
; Occupancy: 8
; WaveLimiterHint : 0
; COMPUTE_PGM_RSRC2:SCRATCH_EN: 0
; COMPUTE_PGM_RSRC2:USER_SGPR: 6
; COMPUTE_PGM_RSRC2:TRAP_HANDLER: 0
; COMPUTE_PGM_RSRC2:TGID_X_EN: 1
; COMPUTE_PGM_RSRC2:TGID_Y_EN: 0
; COMPUTE_PGM_RSRC2:TGID_Z_EN: 0
; COMPUTE_PGM_RSRC2:TIDIG_COMP_CNT: 1
; COMPUTE_PGM_RSRC3_GFX90A:ACCUM_OFFSET: 2
; COMPUTE_PGM_RSRC3_GFX90A:TG_SPLIT: 0
	.section	.text._ZN12_GLOBAL__N_121softmax_warp_backwardIN3c104HalfES2_fLi1ELb1ELb0ELi32EEEvPT0_PKT_S7_iiiPKb,"axG",@progbits,_ZN12_GLOBAL__N_121softmax_warp_backwardIN3c104HalfES2_fLi1ELb1ELb0ELi32EEEvPT0_PKT_S7_iiiPKb,comdat
	.globl	_ZN12_GLOBAL__N_121softmax_warp_backwardIN3c104HalfES2_fLi1ELb1ELb0ELi32EEEvPT0_PKT_S7_iiiPKb ; -- Begin function _ZN12_GLOBAL__N_121softmax_warp_backwardIN3c104HalfES2_fLi1ELb1ELb0ELi32EEEvPT0_PKT_S7_iiiPKb
	.p2align	8
	.type	_ZN12_GLOBAL__N_121softmax_warp_backwardIN3c104HalfES2_fLi1ELb1ELb0ELi32EEEvPT0_PKT_S7_iiiPKb,@function
_ZN12_GLOBAL__N_121softmax_warp_backwardIN3c104HalfES2_fLi1ELb1ELb0ELi32EEEvPT0_PKT_S7_iiiPKb: ; @_ZN12_GLOBAL__N_121softmax_warp_backwardIN3c104HalfES2_fLi1ELb1ELb0ELi32EEEvPT0_PKT_S7_iiiPKb
; %bb.0:
	s_load_dword s2, s[4:5], 0x3c
	s_load_dwordx4 s[8:11], s[4:5], 0x18
	s_load_dwordx4 s[12:15], s[4:5], 0x0
	s_load_dwordx2 s[0:1], s[4:5], 0x10
	v_bfe_u32 v1, v0, 10, 10
	s_waitcnt lgkmcnt(0)
	s_lshr_b32 s2, s2, 16
	s_mul_i32 s6, s6, s2
	v_add_lshl_u32 v1, s6, v1, 1
	v_sub_u32_e32 v8, s8, v1
	v_mul_lo_u32 v1, v1, s9
	v_and_b32_e32 v9, 1, v0
	v_or_b32_e32 v0, v1, v9
	v_ashrrev_i32_e32 v1, 31, v0
	v_lshlrev_b64 v[2:3], 1, v[0:1]
	v_mov_b32_e32 v0, s15
	v_add_co_u32_e32 v4, vcc, s14, v2
	v_addc_co_u32_e32 v5, vcc, v0, v3, vcc
	v_mov_b32_e32 v0, s1
	v_add_co_u32_e32 v6, vcc, s0, v2
	v_addc_co_u32_e32 v7, vcc, v0, v3, vcc
	v_cmp_gt_i32_e32 vcc, s10, v9
	v_cmp_lt_i32_e64 s[0:1], 0, v8
	s_and_b64 s[4:5], vcc, s[0:1]
	v_mov_b32_e32 v1, 0
	v_mov_b32_e32 v0, 0
	v_mov_b32_e32 v10, 0
	s_and_saveexec_b64 s[2:3], s[4:5]
	s_cbranch_execz .LBB255_2
; %bb.1:
	global_load_ushort v0, v[4:5], off
	global_load_ushort v9, v[6:7], off
	s_waitcnt vmcnt(1)
	v_cvt_f32_f16_e32 v0, v0
	s_waitcnt vmcnt(0)
	v_cvt_f32_f16_e32 v10, v9
.LBB255_2:
	s_or_b64 exec, exec, s[2:3]
	v_cmp_lt_i32_e64 s[2:3], 1, v8
	s_and_b64 s[2:3], vcc, s[2:3]
	s_mov_b32 s11, 0
	v_mov_b32_e32 v9, 0
	s_and_saveexec_b64 s[4:5], s[2:3]
	s_cbranch_execz .LBB255_4
; %bb.3:
	s_lshl_b64 s[6:7], s[10:11], 1
	v_mov_b32_e32 v1, s7
	v_add_co_u32_e64 v4, s[2:3], s6, v4
	v_addc_co_u32_e64 v5, s[2:3], v5, v1, s[2:3]
	global_load_ushort v9, v[4:5], off
	v_add_co_u32_e64 v4, s[2:3], s6, v6
	v_addc_co_u32_e64 v5, s[2:3], v7, v1, s[2:3]
	global_load_ushort v4, v[4:5], off
	s_waitcnt vmcnt(1)
	v_cvt_f32_f16_e32 v1, v9
	s_waitcnt vmcnt(0)
	v_cvt_f32_f16_e32 v9, v4
.LBB255_4:
	s_or_b64 exec, exec, s[4:5]
	v_mbcnt_lo_u32_b32 v6, -1, 0
	v_mbcnt_hi_u32_b32 v6, -1, v6
	v_and_b32_e32 v11, 0x7e, v6
	v_xor_b32_e32 v7, 1, v6
	v_add_u32_e32 v11, 2, v11
	v_cmp_lt_i32_e64 s[2:3], v7, v11
	v_cndmask_b32_e64 v6, v6, v7, s[2:3]
	v_pk_add_f32 v[4:5], v[0:1], 0 op_sel_hi:[1,0]
	v_lshlrev_b32_e32 v7, 2, v6
	ds_bpermute_b32 v6, v7, v4
	ds_bpermute_b32 v7, v7, v5
	s_and_saveexec_b64 s[2:3], s[0:1]
	s_cbranch_execz .LBB255_10
; %bb.5:
	v_mov_b32_e32 v11, s13
	v_add_co_u32_e64 v2, s[0:1], s12, v2
	v_addc_co_u32_e64 v3, s[0:1], v11, v3, s[0:1]
	s_waitcnt lgkmcnt(0)
	v_pk_add_f32 v[4:5], v[4:5], v[6:7]
	s_and_saveexec_b64 s[2:3], vcc
	s_cbranch_execz .LBB255_7
; %bb.6:
	v_mul_f32_e32 v6, 0x3fb8aa3b, v10
	s_mov_b32 s0, 0x3fb8aa3b
	v_rndne_f32_e32 v7, v6
	v_sub_f32_e32 v11, v6, v7
	v_fma_f32 v6, v10, s0, -v6
	v_fmac_f32_e32 v6, 0x32a5705f, v10
	v_add_f32_e32 v6, v11, v6
	v_exp_f32_e32 v6, v6
	v_cvt_i32_f32_e32 v7, v7
	s_mov_b32 s0, 0xc2ce8ed0
	v_cmp_ngt_f32_e64 s[0:1], s0, v10
	v_ldexp_f32 v6, v6, v7
	v_cndmask_b32_e64 v6, 0, v6, s[0:1]
	s_mov_b32 s0, 0x42b17218
	v_mov_b32_e32 v7, 0x7f800000
	v_cmp_nlt_f32_e64 s[0:1], s0, v10
	v_cndmask_b32_e64 v6, v7, v6, s[0:1]
	v_fma_mixlo_f16 v0, -v4, v6, v0
	global_store_short v[2:3], v0, off
.LBB255_7:
	s_or_b64 exec, exec, s[2:3]
	v_cmp_ne_u32_e64 s[0:1], 1, v8
	s_and_b64 exec, exec, s[0:1]
	s_cbranch_execz .LBB255_10
; %bb.8:
	s_and_b64 exec, exec, vcc
	s_cbranch_execz .LBB255_10
; %bb.9:
	v_mul_f32_e32 v0, 0x3fb8aa3b, v9
	s_mov_b32 s0, 0x3fb8aa3b
	v_rndne_f32_e32 v4, v0
	v_sub_f32_e32 v6, v0, v4
	v_fma_f32 v0, v9, s0, -v0
	v_fmac_f32_e32 v0, 0x32a5705f, v9
	v_add_f32_e32 v0, v6, v0
	v_exp_f32_e32 v0, v0
	v_cvt_i32_f32_e32 v4, v4
	s_mov_b32 s0, 0xc2ce8ed0
	v_cmp_ngt_f32_e32 vcc, s0, v9
	s_mov_b32 s0, 0x42b17218
	v_ldexp_f32 v0, v0, v4
	v_cndmask_b32_e32 v0, 0, v0, vcc
	v_mov_b32_e32 v4, 0x7f800000
	v_cmp_nlt_f32_e32 vcc, s0, v9
	v_cndmask_b32_e32 v0, v4, v0, vcc
	s_lshl_b64 s[0:1], s[10:11], 1
	v_fma_mixlo_f16 v4, -v5, v0, v1
	v_mov_b32_e32 v1, s1
	v_add_co_u32_e32 v0, vcc, s0, v2
	v_addc_co_u32_e32 v1, vcc, v3, v1, vcc
	global_store_short v[0:1], v4, off
.LBB255_10:
	s_endpgm
	.section	.rodata,"a",@progbits
	.p2align	6, 0x0
	.amdhsa_kernel _ZN12_GLOBAL__N_121softmax_warp_backwardIN3c104HalfES2_fLi1ELb1ELb0ELi32EEEvPT0_PKT_S7_iiiPKb
		.amdhsa_group_segment_fixed_size 0
		.amdhsa_private_segment_fixed_size 0
		.amdhsa_kernarg_size 304
		.amdhsa_user_sgpr_count 6
		.amdhsa_user_sgpr_private_segment_buffer 1
		.amdhsa_user_sgpr_dispatch_ptr 0
		.amdhsa_user_sgpr_queue_ptr 0
		.amdhsa_user_sgpr_kernarg_segment_ptr 1
		.amdhsa_user_sgpr_dispatch_id 0
		.amdhsa_user_sgpr_flat_scratch_init 0
		.amdhsa_user_sgpr_kernarg_preload_length 0
		.amdhsa_user_sgpr_kernarg_preload_offset 0
		.amdhsa_user_sgpr_private_segment_size 0
		.amdhsa_uses_dynamic_stack 0
		.amdhsa_system_sgpr_private_segment_wavefront_offset 0
		.amdhsa_system_sgpr_workgroup_id_x 1
		.amdhsa_system_sgpr_workgroup_id_y 0
		.amdhsa_system_sgpr_workgroup_id_z 0
		.amdhsa_system_sgpr_workgroup_info 0
		.amdhsa_system_vgpr_workitem_id 1
		.amdhsa_next_free_vgpr 12
		.amdhsa_next_free_sgpr 16
		.amdhsa_accum_offset 12
		.amdhsa_reserve_vcc 1
		.amdhsa_reserve_flat_scratch 0
		.amdhsa_float_round_mode_32 0
		.amdhsa_float_round_mode_16_64 0
		.amdhsa_float_denorm_mode_32 3
		.amdhsa_float_denorm_mode_16_64 3
		.amdhsa_dx10_clamp 1
		.amdhsa_ieee_mode 1
		.amdhsa_fp16_overflow 0
		.amdhsa_tg_split 0
		.amdhsa_exception_fp_ieee_invalid_op 0
		.amdhsa_exception_fp_denorm_src 0
		.amdhsa_exception_fp_ieee_div_zero 0
		.amdhsa_exception_fp_ieee_overflow 0
		.amdhsa_exception_fp_ieee_underflow 0
		.amdhsa_exception_fp_ieee_inexact 0
		.amdhsa_exception_int_div_zero 0
	.end_amdhsa_kernel
	.section	.text._ZN12_GLOBAL__N_121softmax_warp_backwardIN3c104HalfES2_fLi1ELb1ELb0ELi32EEEvPT0_PKT_S7_iiiPKb,"axG",@progbits,_ZN12_GLOBAL__N_121softmax_warp_backwardIN3c104HalfES2_fLi1ELb1ELb0ELi32EEEvPT0_PKT_S7_iiiPKb,comdat
.Lfunc_end255:
	.size	_ZN12_GLOBAL__N_121softmax_warp_backwardIN3c104HalfES2_fLi1ELb1ELb0ELi32EEEvPT0_PKT_S7_iiiPKb, .Lfunc_end255-_ZN12_GLOBAL__N_121softmax_warp_backwardIN3c104HalfES2_fLi1ELb1ELb0ELi32EEEvPT0_PKT_S7_iiiPKb
                                        ; -- End function
	.section	.AMDGPU.csdata,"",@progbits
; Kernel info:
; codeLenInByte = 712
; NumSgprs: 20
; NumVgprs: 12
; NumAgprs: 0
; TotalNumVgprs: 12
; ScratchSize: 0
; MemoryBound: 0
; FloatMode: 240
; IeeeMode: 1
; LDSByteSize: 0 bytes/workgroup (compile time only)
; SGPRBlocks: 2
; VGPRBlocks: 1
; NumSGPRsForWavesPerEU: 20
; NumVGPRsForWavesPerEU: 12
; AccumOffset: 12
; Occupancy: 8
; WaveLimiterHint : 0
; COMPUTE_PGM_RSRC2:SCRATCH_EN: 0
; COMPUTE_PGM_RSRC2:USER_SGPR: 6
; COMPUTE_PGM_RSRC2:TRAP_HANDLER: 0
; COMPUTE_PGM_RSRC2:TGID_X_EN: 1
; COMPUTE_PGM_RSRC2:TGID_Y_EN: 0
; COMPUTE_PGM_RSRC2:TGID_Z_EN: 0
; COMPUTE_PGM_RSRC2:TIDIG_COMP_CNT: 1
; COMPUTE_PGM_RSRC3_GFX90A:ACCUM_OFFSET: 2
; COMPUTE_PGM_RSRC3_GFX90A:TG_SPLIT: 0
	.section	.text._ZN12_GLOBAL__N_121softmax_warp_backwardIN3c104HalfES2_fLi2ELb1ELb0ELi64EEEvPT0_PKT_S7_iiiPKb,"axG",@progbits,_ZN12_GLOBAL__N_121softmax_warp_backwardIN3c104HalfES2_fLi2ELb1ELb0ELi64EEEvPT0_PKT_S7_iiiPKb,comdat
	.globl	_ZN12_GLOBAL__N_121softmax_warp_backwardIN3c104HalfES2_fLi2ELb1ELb0ELi64EEEvPT0_PKT_S7_iiiPKb ; -- Begin function _ZN12_GLOBAL__N_121softmax_warp_backwardIN3c104HalfES2_fLi2ELb1ELb0ELi64EEEvPT0_PKT_S7_iiiPKb
	.p2align	8
	.type	_ZN12_GLOBAL__N_121softmax_warp_backwardIN3c104HalfES2_fLi2ELb1ELb0ELi64EEEvPT0_PKT_S7_iiiPKb,@function
_ZN12_GLOBAL__N_121softmax_warp_backwardIN3c104HalfES2_fLi2ELb1ELb0ELi64EEEvPT0_PKT_S7_iiiPKb: ; @_ZN12_GLOBAL__N_121softmax_warp_backwardIN3c104HalfES2_fLi2ELb1ELb0ELi64EEEvPT0_PKT_S7_iiiPKb
; %bb.0:
	s_load_dword s2, s[4:5], 0x3c
	s_load_dwordx4 s[8:11], s[4:5], 0x18
	s_load_dwordx4 s[12:15], s[4:5], 0x0
	s_load_dwordx2 s[0:1], s[4:5], 0x10
	v_bfe_u32 v1, v0, 10, 10
	s_waitcnt lgkmcnt(0)
	s_lshr_b32 s2, s2, 16
	s_mul_i32 s6, s6, s2
	v_add_lshl_u32 v1, s6, v1, 1
	v_and_b32_e32 v0, 3, v0
	v_mad_u64_u32 v[2:3], s[2:3], v1, s9, v[0:1]
	v_ashrrev_i32_e32 v3, 31, v2
	v_lshlrev_b64 v[2:3], 1, v[2:3]
	v_sub_u32_e32 v8, s8, v1
	v_mov_b32_e32 v1, s15
	v_add_co_u32_e32 v4, vcc, s14, v2
	v_addc_co_u32_e32 v5, vcc, v1, v3, vcc
	v_mov_b32_e32 v1, s1
	v_add_co_u32_e32 v6, vcc, s0, v2
	v_addc_co_u32_e32 v7, vcc, v1, v3, vcc
	v_cmp_gt_i32_e32 vcc, s10, v0
	v_cmp_lt_i32_e64 s[0:1], 0, v8
	s_and_b64 s[4:5], vcc, s[0:1]
	v_mov_b32_e32 v1, 0
	v_mov_b32_e32 v0, 0
	;; [unrolled: 1-line block ×3, first 2 shown]
	s_and_saveexec_b64 s[2:3], s[4:5]
	s_cbranch_execz .LBB256_2
; %bb.1:
	global_load_ushort v0, v[4:5], off
	global_load_ushort v9, v[6:7], off
	s_waitcnt vmcnt(1)
	v_cvt_f32_f16_e32 v0, v0
	s_waitcnt vmcnt(0)
	v_cvt_f32_f16_e32 v10, v9
.LBB256_2:
	s_or_b64 exec, exec, s[2:3]
	v_cmp_lt_i32_e64 s[2:3], 1, v8
	s_and_b64 s[2:3], vcc, s[2:3]
	s_mov_b32 s11, 0
	v_mov_b32_e32 v9, 0
	s_and_saveexec_b64 s[4:5], s[2:3]
	s_cbranch_execz .LBB256_4
; %bb.3:
	s_lshl_b64 s[6:7], s[10:11], 1
	v_mov_b32_e32 v1, s7
	v_add_co_u32_e64 v4, s[2:3], s6, v4
	v_addc_co_u32_e64 v5, s[2:3], v5, v1, s[2:3]
	global_load_ushort v9, v[4:5], off
	v_add_co_u32_e64 v4, s[2:3], s6, v6
	v_addc_co_u32_e64 v5, s[2:3], v7, v1, s[2:3]
	global_load_ushort v4, v[4:5], off
	s_waitcnt vmcnt(1)
	v_cvt_f32_f16_e32 v1, v9
	s_waitcnt vmcnt(0)
	v_cvt_f32_f16_e32 v9, v4
.LBB256_4:
	s_or_b64 exec, exec, s[4:5]
	v_mbcnt_lo_u32_b32 v6, -1, 0
	v_mbcnt_hi_u32_b32 v11, -1, v6
	v_and_b32_e32 v6, 0x7c, v11
	v_add_u32_e32 v12, 4, v6
	v_xor_b32_e32 v6, 2, v11
	v_cmp_lt_i32_e64 s[2:3], v6, v12
	v_cndmask_b32_e64 v6, v11, v6, s[2:3]
	v_pk_add_f32 v[4:5], v[0:1], 0 op_sel_hi:[1,0]
	v_lshlrev_b32_e32 v7, 2, v6
	ds_bpermute_b32 v6, v7, v4
	ds_bpermute_b32 v7, v7, v5
	v_xor_b32_e32 v13, 1, v11
	v_cmp_lt_i32_e64 s[2:3], v13, v12
	v_cndmask_b32_e64 v11, v11, v13, s[2:3]
	v_lshlrev_b32_e32 v11, 2, v11
	s_waitcnt lgkmcnt(0)
	v_pk_add_f32 v[4:5], v[4:5], v[6:7]
	ds_bpermute_b32 v6, v11, v4
	ds_bpermute_b32 v7, v11, v5
	s_and_saveexec_b64 s[2:3], s[0:1]
	s_cbranch_execz .LBB256_10
; %bb.5:
	v_mov_b32_e32 v11, s13
	v_add_co_u32_e64 v2, s[0:1], s12, v2
	v_addc_co_u32_e64 v3, s[0:1], v11, v3, s[0:1]
	s_waitcnt lgkmcnt(0)
	v_pk_add_f32 v[4:5], v[4:5], v[6:7]
	s_and_saveexec_b64 s[2:3], vcc
	s_cbranch_execz .LBB256_7
; %bb.6:
	v_mul_f32_e32 v6, 0x3fb8aa3b, v10
	s_mov_b32 s0, 0x3fb8aa3b
	v_rndne_f32_e32 v7, v6
	v_sub_f32_e32 v11, v6, v7
	v_fma_f32 v6, v10, s0, -v6
	v_fmac_f32_e32 v6, 0x32a5705f, v10
	v_add_f32_e32 v6, v11, v6
	v_exp_f32_e32 v6, v6
	v_cvt_i32_f32_e32 v7, v7
	s_mov_b32 s0, 0xc2ce8ed0
	v_cmp_ngt_f32_e64 s[0:1], s0, v10
	v_ldexp_f32 v6, v6, v7
	v_cndmask_b32_e64 v6, 0, v6, s[0:1]
	s_mov_b32 s0, 0x42b17218
	v_mov_b32_e32 v7, 0x7f800000
	v_cmp_nlt_f32_e64 s[0:1], s0, v10
	v_cndmask_b32_e64 v6, v7, v6, s[0:1]
	v_fma_mixlo_f16 v0, -v4, v6, v0
	global_store_short v[2:3], v0, off
.LBB256_7:
	s_or_b64 exec, exec, s[2:3]
	v_cmp_ne_u32_e64 s[0:1], 1, v8
	s_and_b64 exec, exec, s[0:1]
	s_cbranch_execz .LBB256_10
; %bb.8:
	s_and_b64 exec, exec, vcc
	s_cbranch_execz .LBB256_10
; %bb.9:
	v_mul_f32_e32 v0, 0x3fb8aa3b, v9
	s_mov_b32 s0, 0x3fb8aa3b
	v_rndne_f32_e32 v4, v0
	v_sub_f32_e32 v6, v0, v4
	v_fma_f32 v0, v9, s0, -v0
	v_fmac_f32_e32 v0, 0x32a5705f, v9
	v_add_f32_e32 v0, v6, v0
	v_exp_f32_e32 v0, v0
	v_cvt_i32_f32_e32 v4, v4
	s_mov_b32 s0, 0xc2ce8ed0
	v_cmp_ngt_f32_e32 vcc, s0, v9
	s_mov_b32 s0, 0x42b17218
	v_ldexp_f32 v0, v0, v4
	v_cndmask_b32_e32 v0, 0, v0, vcc
	v_mov_b32_e32 v4, 0x7f800000
	v_cmp_nlt_f32_e32 vcc, s0, v9
	v_cndmask_b32_e32 v0, v4, v0, vcc
	s_lshl_b64 s[0:1], s[10:11], 1
	v_fma_mixlo_f16 v4, -v5, v0, v1
	v_mov_b32_e32 v1, s1
	v_add_co_u32_e32 v0, vcc, s0, v2
	v_addc_co_u32_e32 v1, vcc, v3, v1, vcc
	global_store_short v[0:1], v4, off
.LBB256_10:
	s_endpgm
	.section	.rodata,"a",@progbits
	.p2align	6, 0x0
	.amdhsa_kernel _ZN12_GLOBAL__N_121softmax_warp_backwardIN3c104HalfES2_fLi2ELb1ELb0ELi64EEEvPT0_PKT_S7_iiiPKb
		.amdhsa_group_segment_fixed_size 0
		.amdhsa_private_segment_fixed_size 0
		.amdhsa_kernarg_size 304
		.amdhsa_user_sgpr_count 6
		.amdhsa_user_sgpr_private_segment_buffer 1
		.amdhsa_user_sgpr_dispatch_ptr 0
		.amdhsa_user_sgpr_queue_ptr 0
		.amdhsa_user_sgpr_kernarg_segment_ptr 1
		.amdhsa_user_sgpr_dispatch_id 0
		.amdhsa_user_sgpr_flat_scratch_init 0
		.amdhsa_user_sgpr_kernarg_preload_length 0
		.amdhsa_user_sgpr_kernarg_preload_offset 0
		.amdhsa_user_sgpr_private_segment_size 0
		.amdhsa_uses_dynamic_stack 0
		.amdhsa_system_sgpr_private_segment_wavefront_offset 0
		.amdhsa_system_sgpr_workgroup_id_x 1
		.amdhsa_system_sgpr_workgroup_id_y 0
		.amdhsa_system_sgpr_workgroup_id_z 0
		.amdhsa_system_sgpr_workgroup_info 0
		.amdhsa_system_vgpr_workitem_id 1
		.amdhsa_next_free_vgpr 14
		.amdhsa_next_free_sgpr 16
		.amdhsa_accum_offset 16
		.amdhsa_reserve_vcc 1
		.amdhsa_reserve_flat_scratch 0
		.amdhsa_float_round_mode_32 0
		.amdhsa_float_round_mode_16_64 0
		.amdhsa_float_denorm_mode_32 3
		.amdhsa_float_denorm_mode_16_64 3
		.amdhsa_dx10_clamp 1
		.amdhsa_ieee_mode 1
		.amdhsa_fp16_overflow 0
		.amdhsa_tg_split 0
		.amdhsa_exception_fp_ieee_invalid_op 0
		.amdhsa_exception_fp_denorm_src 0
		.amdhsa_exception_fp_ieee_div_zero 0
		.amdhsa_exception_fp_ieee_overflow 0
		.amdhsa_exception_fp_ieee_underflow 0
		.amdhsa_exception_fp_ieee_inexact 0
		.amdhsa_exception_int_div_zero 0
	.end_amdhsa_kernel
	.section	.text._ZN12_GLOBAL__N_121softmax_warp_backwardIN3c104HalfES2_fLi2ELb1ELb0ELi64EEEvPT0_PKT_S7_iiiPKb,"axG",@progbits,_ZN12_GLOBAL__N_121softmax_warp_backwardIN3c104HalfES2_fLi2ELb1ELb0ELi64EEEvPT0_PKT_S7_iiiPKb,comdat
.Lfunc_end256:
	.size	_ZN12_GLOBAL__N_121softmax_warp_backwardIN3c104HalfES2_fLi2ELb1ELb0ELi64EEEvPT0_PKT_S7_iiiPKb, .Lfunc_end256-_ZN12_GLOBAL__N_121softmax_warp_backwardIN3c104HalfES2_fLi2ELb1ELb0ELi64EEEvPT0_PKT_S7_iiiPKb
                                        ; -- End function
	.section	.AMDGPU.csdata,"",@progbits
; Kernel info:
; codeLenInByte = 760
; NumSgprs: 20
; NumVgprs: 14
; NumAgprs: 0
; TotalNumVgprs: 14
; ScratchSize: 0
; MemoryBound: 0
; FloatMode: 240
; IeeeMode: 1
; LDSByteSize: 0 bytes/workgroup (compile time only)
; SGPRBlocks: 2
; VGPRBlocks: 1
; NumSGPRsForWavesPerEU: 20
; NumVGPRsForWavesPerEU: 14
; AccumOffset: 16
; Occupancy: 8
; WaveLimiterHint : 0
; COMPUTE_PGM_RSRC2:SCRATCH_EN: 0
; COMPUTE_PGM_RSRC2:USER_SGPR: 6
; COMPUTE_PGM_RSRC2:TRAP_HANDLER: 0
; COMPUTE_PGM_RSRC2:TGID_X_EN: 1
; COMPUTE_PGM_RSRC2:TGID_Y_EN: 0
; COMPUTE_PGM_RSRC2:TGID_Z_EN: 0
; COMPUTE_PGM_RSRC2:TIDIG_COMP_CNT: 1
; COMPUTE_PGM_RSRC3_GFX90A:ACCUM_OFFSET: 3
; COMPUTE_PGM_RSRC3_GFX90A:TG_SPLIT: 0
	.section	.text._ZN12_GLOBAL__N_121softmax_warp_backwardIN3c104HalfES2_fLi2ELb1ELb0ELi32EEEvPT0_PKT_S7_iiiPKb,"axG",@progbits,_ZN12_GLOBAL__N_121softmax_warp_backwardIN3c104HalfES2_fLi2ELb1ELb0ELi32EEEvPT0_PKT_S7_iiiPKb,comdat
	.globl	_ZN12_GLOBAL__N_121softmax_warp_backwardIN3c104HalfES2_fLi2ELb1ELb0ELi32EEEvPT0_PKT_S7_iiiPKb ; -- Begin function _ZN12_GLOBAL__N_121softmax_warp_backwardIN3c104HalfES2_fLi2ELb1ELb0ELi32EEEvPT0_PKT_S7_iiiPKb
	.p2align	8
	.type	_ZN12_GLOBAL__N_121softmax_warp_backwardIN3c104HalfES2_fLi2ELb1ELb0ELi32EEEvPT0_PKT_S7_iiiPKb,@function
_ZN12_GLOBAL__N_121softmax_warp_backwardIN3c104HalfES2_fLi2ELb1ELb0ELi32EEEvPT0_PKT_S7_iiiPKb: ; @_ZN12_GLOBAL__N_121softmax_warp_backwardIN3c104HalfES2_fLi2ELb1ELb0ELi32EEEvPT0_PKT_S7_iiiPKb
; %bb.0:
	s_load_dword s2, s[4:5], 0x3c
	s_load_dwordx4 s[8:11], s[4:5], 0x18
	s_load_dwordx4 s[12:15], s[4:5], 0x0
	s_load_dwordx2 s[0:1], s[4:5], 0x10
	v_bfe_u32 v1, v0, 10, 10
	s_waitcnt lgkmcnt(0)
	s_lshr_b32 s2, s2, 16
	s_mul_i32 s6, s6, s2
	v_add_lshl_u32 v1, s6, v1, 1
	v_and_b32_e32 v0, 3, v0
	v_mad_u64_u32 v[2:3], s[2:3], v1, s9, v[0:1]
	v_ashrrev_i32_e32 v3, 31, v2
	v_lshlrev_b64 v[2:3], 1, v[2:3]
	v_sub_u32_e32 v8, s8, v1
	v_mov_b32_e32 v1, s15
	v_add_co_u32_e32 v4, vcc, s14, v2
	v_addc_co_u32_e32 v5, vcc, v1, v3, vcc
	v_mov_b32_e32 v1, s1
	v_add_co_u32_e32 v6, vcc, s0, v2
	v_addc_co_u32_e32 v7, vcc, v1, v3, vcc
	v_cmp_gt_i32_e32 vcc, s10, v0
	v_cmp_lt_i32_e64 s[0:1], 0, v8
	s_and_b64 s[4:5], vcc, s[0:1]
	v_mov_b32_e32 v1, 0
	v_mov_b32_e32 v0, 0
	;; [unrolled: 1-line block ×3, first 2 shown]
	s_and_saveexec_b64 s[2:3], s[4:5]
	s_cbranch_execz .LBB257_2
; %bb.1:
	global_load_ushort v0, v[4:5], off
	global_load_ushort v9, v[6:7], off
	s_waitcnt vmcnt(1)
	v_cvt_f32_f16_e32 v0, v0
	s_waitcnt vmcnt(0)
	v_cvt_f32_f16_e32 v10, v9
.LBB257_2:
	s_or_b64 exec, exec, s[2:3]
	v_cmp_lt_i32_e64 s[2:3], 1, v8
	s_and_b64 s[2:3], vcc, s[2:3]
	s_mov_b32 s11, 0
	v_mov_b32_e32 v9, 0
	s_and_saveexec_b64 s[4:5], s[2:3]
	s_cbranch_execz .LBB257_4
; %bb.3:
	s_lshl_b64 s[6:7], s[10:11], 1
	v_mov_b32_e32 v1, s7
	v_add_co_u32_e64 v4, s[2:3], s6, v4
	v_addc_co_u32_e64 v5, s[2:3], v5, v1, s[2:3]
	global_load_ushort v9, v[4:5], off
	v_add_co_u32_e64 v4, s[2:3], s6, v6
	v_addc_co_u32_e64 v5, s[2:3], v7, v1, s[2:3]
	global_load_ushort v4, v[4:5], off
	s_waitcnt vmcnt(1)
	v_cvt_f32_f16_e32 v1, v9
	s_waitcnt vmcnt(0)
	v_cvt_f32_f16_e32 v9, v4
.LBB257_4:
	s_or_b64 exec, exec, s[4:5]
	v_mbcnt_lo_u32_b32 v6, -1, 0
	v_mbcnt_hi_u32_b32 v11, -1, v6
	v_and_b32_e32 v6, 0x7c, v11
	v_add_u32_e32 v12, 4, v6
	v_xor_b32_e32 v6, 2, v11
	v_cmp_lt_i32_e64 s[2:3], v6, v12
	v_cndmask_b32_e64 v6, v11, v6, s[2:3]
	v_pk_add_f32 v[4:5], v[0:1], 0 op_sel_hi:[1,0]
	v_lshlrev_b32_e32 v7, 2, v6
	ds_bpermute_b32 v6, v7, v4
	ds_bpermute_b32 v7, v7, v5
	v_xor_b32_e32 v13, 1, v11
	v_cmp_lt_i32_e64 s[2:3], v13, v12
	v_cndmask_b32_e64 v11, v11, v13, s[2:3]
	v_lshlrev_b32_e32 v11, 2, v11
	s_waitcnt lgkmcnt(0)
	v_pk_add_f32 v[4:5], v[4:5], v[6:7]
	ds_bpermute_b32 v6, v11, v4
	ds_bpermute_b32 v7, v11, v5
	s_and_saveexec_b64 s[2:3], s[0:1]
	s_cbranch_execz .LBB257_10
; %bb.5:
	v_mov_b32_e32 v11, s13
	v_add_co_u32_e64 v2, s[0:1], s12, v2
	v_addc_co_u32_e64 v3, s[0:1], v11, v3, s[0:1]
	s_waitcnt lgkmcnt(0)
	v_pk_add_f32 v[4:5], v[4:5], v[6:7]
	s_and_saveexec_b64 s[2:3], vcc
	s_cbranch_execz .LBB257_7
; %bb.6:
	v_mul_f32_e32 v6, 0x3fb8aa3b, v10
	s_mov_b32 s0, 0x3fb8aa3b
	v_rndne_f32_e32 v7, v6
	v_sub_f32_e32 v11, v6, v7
	v_fma_f32 v6, v10, s0, -v6
	v_fmac_f32_e32 v6, 0x32a5705f, v10
	v_add_f32_e32 v6, v11, v6
	v_exp_f32_e32 v6, v6
	v_cvt_i32_f32_e32 v7, v7
	s_mov_b32 s0, 0xc2ce8ed0
	v_cmp_ngt_f32_e64 s[0:1], s0, v10
	v_ldexp_f32 v6, v6, v7
	v_cndmask_b32_e64 v6, 0, v6, s[0:1]
	s_mov_b32 s0, 0x42b17218
	v_mov_b32_e32 v7, 0x7f800000
	v_cmp_nlt_f32_e64 s[0:1], s0, v10
	v_cndmask_b32_e64 v6, v7, v6, s[0:1]
	v_fma_mixlo_f16 v0, -v4, v6, v0
	global_store_short v[2:3], v0, off
.LBB257_7:
	s_or_b64 exec, exec, s[2:3]
	v_cmp_ne_u32_e64 s[0:1], 1, v8
	s_and_b64 exec, exec, s[0:1]
	s_cbranch_execz .LBB257_10
; %bb.8:
	s_and_b64 exec, exec, vcc
	s_cbranch_execz .LBB257_10
; %bb.9:
	v_mul_f32_e32 v0, 0x3fb8aa3b, v9
	s_mov_b32 s0, 0x3fb8aa3b
	v_rndne_f32_e32 v4, v0
	v_sub_f32_e32 v6, v0, v4
	v_fma_f32 v0, v9, s0, -v0
	v_fmac_f32_e32 v0, 0x32a5705f, v9
	v_add_f32_e32 v0, v6, v0
	v_exp_f32_e32 v0, v0
	v_cvt_i32_f32_e32 v4, v4
	s_mov_b32 s0, 0xc2ce8ed0
	v_cmp_ngt_f32_e32 vcc, s0, v9
	s_mov_b32 s0, 0x42b17218
	v_ldexp_f32 v0, v0, v4
	v_cndmask_b32_e32 v0, 0, v0, vcc
	v_mov_b32_e32 v4, 0x7f800000
	v_cmp_nlt_f32_e32 vcc, s0, v9
	v_cndmask_b32_e32 v0, v4, v0, vcc
	s_lshl_b64 s[0:1], s[10:11], 1
	v_fma_mixlo_f16 v4, -v5, v0, v1
	v_mov_b32_e32 v1, s1
	v_add_co_u32_e32 v0, vcc, s0, v2
	v_addc_co_u32_e32 v1, vcc, v3, v1, vcc
	global_store_short v[0:1], v4, off
.LBB257_10:
	s_endpgm
	.section	.rodata,"a",@progbits
	.p2align	6, 0x0
	.amdhsa_kernel _ZN12_GLOBAL__N_121softmax_warp_backwardIN3c104HalfES2_fLi2ELb1ELb0ELi32EEEvPT0_PKT_S7_iiiPKb
		.amdhsa_group_segment_fixed_size 0
		.amdhsa_private_segment_fixed_size 0
		.amdhsa_kernarg_size 304
		.amdhsa_user_sgpr_count 6
		.amdhsa_user_sgpr_private_segment_buffer 1
		.amdhsa_user_sgpr_dispatch_ptr 0
		.amdhsa_user_sgpr_queue_ptr 0
		.amdhsa_user_sgpr_kernarg_segment_ptr 1
		.amdhsa_user_sgpr_dispatch_id 0
		.amdhsa_user_sgpr_flat_scratch_init 0
		.amdhsa_user_sgpr_kernarg_preload_length 0
		.amdhsa_user_sgpr_kernarg_preload_offset 0
		.amdhsa_user_sgpr_private_segment_size 0
		.amdhsa_uses_dynamic_stack 0
		.amdhsa_system_sgpr_private_segment_wavefront_offset 0
		.amdhsa_system_sgpr_workgroup_id_x 1
		.amdhsa_system_sgpr_workgroup_id_y 0
		.amdhsa_system_sgpr_workgroup_id_z 0
		.amdhsa_system_sgpr_workgroup_info 0
		.amdhsa_system_vgpr_workitem_id 1
		.amdhsa_next_free_vgpr 14
		.amdhsa_next_free_sgpr 16
		.amdhsa_accum_offset 16
		.amdhsa_reserve_vcc 1
		.amdhsa_reserve_flat_scratch 0
		.amdhsa_float_round_mode_32 0
		.amdhsa_float_round_mode_16_64 0
		.amdhsa_float_denorm_mode_32 3
		.amdhsa_float_denorm_mode_16_64 3
		.amdhsa_dx10_clamp 1
		.amdhsa_ieee_mode 1
		.amdhsa_fp16_overflow 0
		.amdhsa_tg_split 0
		.amdhsa_exception_fp_ieee_invalid_op 0
		.amdhsa_exception_fp_denorm_src 0
		.amdhsa_exception_fp_ieee_div_zero 0
		.amdhsa_exception_fp_ieee_overflow 0
		.amdhsa_exception_fp_ieee_underflow 0
		.amdhsa_exception_fp_ieee_inexact 0
		.amdhsa_exception_int_div_zero 0
	.end_amdhsa_kernel
	.section	.text._ZN12_GLOBAL__N_121softmax_warp_backwardIN3c104HalfES2_fLi2ELb1ELb0ELi32EEEvPT0_PKT_S7_iiiPKb,"axG",@progbits,_ZN12_GLOBAL__N_121softmax_warp_backwardIN3c104HalfES2_fLi2ELb1ELb0ELi32EEEvPT0_PKT_S7_iiiPKb,comdat
.Lfunc_end257:
	.size	_ZN12_GLOBAL__N_121softmax_warp_backwardIN3c104HalfES2_fLi2ELb1ELb0ELi32EEEvPT0_PKT_S7_iiiPKb, .Lfunc_end257-_ZN12_GLOBAL__N_121softmax_warp_backwardIN3c104HalfES2_fLi2ELb1ELb0ELi32EEEvPT0_PKT_S7_iiiPKb
                                        ; -- End function
	.section	.AMDGPU.csdata,"",@progbits
; Kernel info:
; codeLenInByte = 760
; NumSgprs: 20
; NumVgprs: 14
; NumAgprs: 0
; TotalNumVgprs: 14
; ScratchSize: 0
; MemoryBound: 0
; FloatMode: 240
; IeeeMode: 1
; LDSByteSize: 0 bytes/workgroup (compile time only)
; SGPRBlocks: 2
; VGPRBlocks: 1
; NumSGPRsForWavesPerEU: 20
; NumVGPRsForWavesPerEU: 14
; AccumOffset: 16
; Occupancy: 8
; WaveLimiterHint : 0
; COMPUTE_PGM_RSRC2:SCRATCH_EN: 0
; COMPUTE_PGM_RSRC2:USER_SGPR: 6
; COMPUTE_PGM_RSRC2:TRAP_HANDLER: 0
; COMPUTE_PGM_RSRC2:TGID_X_EN: 1
; COMPUTE_PGM_RSRC2:TGID_Y_EN: 0
; COMPUTE_PGM_RSRC2:TGID_Z_EN: 0
; COMPUTE_PGM_RSRC2:TIDIG_COMP_CNT: 1
; COMPUTE_PGM_RSRC3_GFX90A:ACCUM_OFFSET: 3
; COMPUTE_PGM_RSRC3_GFX90A:TG_SPLIT: 0
	.section	.text._ZN12_GLOBAL__N_121softmax_warp_backwardIN3c104HalfES2_fLi3ELb1ELb0ELi64EEEvPT0_PKT_S7_iiiPKb,"axG",@progbits,_ZN12_GLOBAL__N_121softmax_warp_backwardIN3c104HalfES2_fLi3ELb1ELb0ELi64EEEvPT0_PKT_S7_iiiPKb,comdat
	.globl	_ZN12_GLOBAL__N_121softmax_warp_backwardIN3c104HalfES2_fLi3ELb1ELb0ELi64EEEvPT0_PKT_S7_iiiPKb ; -- Begin function _ZN12_GLOBAL__N_121softmax_warp_backwardIN3c104HalfES2_fLi3ELb1ELb0ELi64EEEvPT0_PKT_S7_iiiPKb
	.p2align	8
	.type	_ZN12_GLOBAL__N_121softmax_warp_backwardIN3c104HalfES2_fLi3ELb1ELb0ELi64EEEvPT0_PKT_S7_iiiPKb,@function
_ZN12_GLOBAL__N_121softmax_warp_backwardIN3c104HalfES2_fLi3ELb1ELb0ELi64EEEvPT0_PKT_S7_iiiPKb: ; @_ZN12_GLOBAL__N_121softmax_warp_backwardIN3c104HalfES2_fLi3ELb1ELb0ELi64EEEvPT0_PKT_S7_iiiPKb
; %bb.0:
	s_load_dword s2, s[4:5], 0x3c
	s_load_dwordx4 s[8:11], s[4:5], 0x18
	s_load_dwordx4 s[12:15], s[4:5], 0x0
	s_load_dwordx2 s[0:1], s[4:5], 0x10
	v_bfe_u32 v1, v0, 10, 10
	s_waitcnt lgkmcnt(0)
	s_lshr_b32 s2, s2, 16
	s_mul_i32 s6, s6, s2
	v_add_lshl_u32 v1, s6, v1, 1
	v_and_b32_e32 v0, 7, v0
	v_mad_u64_u32 v[2:3], s[2:3], v1, s9, v[0:1]
	v_ashrrev_i32_e32 v3, 31, v2
	v_lshlrev_b64 v[2:3], 1, v[2:3]
	v_sub_u32_e32 v8, s8, v1
	v_mov_b32_e32 v1, s15
	v_add_co_u32_e32 v4, vcc, s14, v2
	v_addc_co_u32_e32 v5, vcc, v1, v3, vcc
	v_mov_b32_e32 v1, s1
	v_add_co_u32_e32 v6, vcc, s0, v2
	v_addc_co_u32_e32 v7, vcc, v1, v3, vcc
	v_cmp_gt_i32_e32 vcc, s10, v0
	v_cmp_lt_i32_e64 s[0:1], 0, v8
	s_and_b64 s[4:5], vcc, s[0:1]
	v_mov_b32_e32 v1, 0
	v_mov_b32_e32 v0, 0
	;; [unrolled: 1-line block ×3, first 2 shown]
	s_and_saveexec_b64 s[2:3], s[4:5]
	s_cbranch_execz .LBB258_2
; %bb.1:
	global_load_ushort v0, v[4:5], off
	global_load_ushort v9, v[6:7], off
	s_waitcnt vmcnt(1)
	v_cvt_f32_f16_e32 v0, v0
	s_waitcnt vmcnt(0)
	v_cvt_f32_f16_e32 v10, v9
.LBB258_2:
	s_or_b64 exec, exec, s[2:3]
	v_cmp_lt_i32_e64 s[2:3], 1, v8
	s_and_b64 s[2:3], vcc, s[2:3]
	s_mov_b32 s11, 0
	v_mov_b32_e32 v9, 0
	s_and_saveexec_b64 s[4:5], s[2:3]
	s_cbranch_execz .LBB258_4
; %bb.3:
	s_lshl_b64 s[6:7], s[10:11], 1
	v_mov_b32_e32 v1, s7
	v_add_co_u32_e64 v4, s[2:3], s6, v4
	v_addc_co_u32_e64 v5, s[2:3], v5, v1, s[2:3]
	global_load_ushort v9, v[4:5], off
	v_add_co_u32_e64 v4, s[2:3], s6, v6
	v_addc_co_u32_e64 v5, s[2:3], v7, v1, s[2:3]
	global_load_ushort v4, v[4:5], off
	s_waitcnt vmcnt(1)
	v_cvt_f32_f16_e32 v1, v9
	s_waitcnt vmcnt(0)
	v_cvt_f32_f16_e32 v9, v4
.LBB258_4:
	s_or_b64 exec, exec, s[4:5]
	v_mbcnt_lo_u32_b32 v6, -1, 0
	v_mbcnt_hi_u32_b32 v11, -1, v6
	v_and_b32_e32 v6, 0x78, v11
	v_add_u32_e32 v12, 8, v6
	v_xor_b32_e32 v6, 4, v11
	v_cmp_lt_i32_e64 s[2:3], v6, v12
	v_cndmask_b32_e64 v6, v11, v6, s[2:3]
	v_pk_add_f32 v[4:5], v[0:1], 0 op_sel_hi:[1,0]
	v_lshlrev_b32_e32 v7, 2, v6
	ds_bpermute_b32 v6, v7, v4
	ds_bpermute_b32 v7, v7, v5
	v_xor_b32_e32 v13, 2, v11
	v_cmp_lt_i32_e64 s[2:3], v13, v12
	v_cndmask_b32_e64 v13, v11, v13, s[2:3]
	v_lshlrev_b32_e32 v13, 2, v13
	s_waitcnt lgkmcnt(0)
	v_pk_add_f32 v[4:5], v[4:5], v[6:7]
	ds_bpermute_b32 v6, v13, v4
	ds_bpermute_b32 v7, v13, v5
	v_xor_b32_e32 v13, 1, v11
	v_cmp_lt_i32_e64 s[2:3], v13, v12
	v_cndmask_b32_e64 v11, v11, v13, s[2:3]
	v_lshlrev_b32_e32 v11, 2, v11
	s_waitcnt lgkmcnt(0)
	v_pk_add_f32 v[4:5], v[4:5], v[6:7]
	ds_bpermute_b32 v6, v11, v4
	ds_bpermute_b32 v7, v11, v5
	s_and_saveexec_b64 s[2:3], s[0:1]
	s_cbranch_execz .LBB258_10
; %bb.5:
	v_mov_b32_e32 v11, s13
	v_add_co_u32_e64 v2, s[0:1], s12, v2
	v_addc_co_u32_e64 v3, s[0:1], v11, v3, s[0:1]
	s_waitcnt lgkmcnt(0)
	v_pk_add_f32 v[4:5], v[4:5], v[6:7]
	s_and_saveexec_b64 s[2:3], vcc
	s_cbranch_execz .LBB258_7
; %bb.6:
	v_mul_f32_e32 v6, 0x3fb8aa3b, v10
	s_mov_b32 s0, 0x3fb8aa3b
	v_rndne_f32_e32 v7, v6
	v_sub_f32_e32 v11, v6, v7
	v_fma_f32 v6, v10, s0, -v6
	v_fmac_f32_e32 v6, 0x32a5705f, v10
	v_add_f32_e32 v6, v11, v6
	v_exp_f32_e32 v6, v6
	v_cvt_i32_f32_e32 v7, v7
	s_mov_b32 s0, 0xc2ce8ed0
	v_cmp_ngt_f32_e64 s[0:1], s0, v10
	v_ldexp_f32 v6, v6, v7
	v_cndmask_b32_e64 v6, 0, v6, s[0:1]
	s_mov_b32 s0, 0x42b17218
	v_mov_b32_e32 v7, 0x7f800000
	v_cmp_nlt_f32_e64 s[0:1], s0, v10
	v_cndmask_b32_e64 v6, v7, v6, s[0:1]
	v_fma_mixlo_f16 v0, -v4, v6, v0
	global_store_short v[2:3], v0, off
.LBB258_7:
	s_or_b64 exec, exec, s[2:3]
	v_cmp_ne_u32_e64 s[0:1], 1, v8
	s_and_b64 exec, exec, s[0:1]
	s_cbranch_execz .LBB258_10
; %bb.8:
	s_and_b64 exec, exec, vcc
	s_cbranch_execz .LBB258_10
; %bb.9:
	v_mul_f32_e32 v0, 0x3fb8aa3b, v9
	s_mov_b32 s0, 0x3fb8aa3b
	v_rndne_f32_e32 v4, v0
	v_sub_f32_e32 v6, v0, v4
	v_fma_f32 v0, v9, s0, -v0
	v_fmac_f32_e32 v0, 0x32a5705f, v9
	v_add_f32_e32 v0, v6, v0
	v_exp_f32_e32 v0, v0
	v_cvt_i32_f32_e32 v4, v4
	s_mov_b32 s0, 0xc2ce8ed0
	v_cmp_ngt_f32_e32 vcc, s0, v9
	s_mov_b32 s0, 0x42b17218
	v_ldexp_f32 v0, v0, v4
	v_cndmask_b32_e32 v0, 0, v0, vcc
	v_mov_b32_e32 v4, 0x7f800000
	v_cmp_nlt_f32_e32 vcc, s0, v9
	v_cndmask_b32_e32 v0, v4, v0, vcc
	s_lshl_b64 s[0:1], s[10:11], 1
	v_fma_mixlo_f16 v4, -v5, v0, v1
	v_mov_b32_e32 v1, s1
	v_add_co_u32_e32 v0, vcc, s0, v2
	v_addc_co_u32_e32 v1, vcc, v3, v1, vcc
	global_store_short v[0:1], v4, off
.LBB258_10:
	s_endpgm
	.section	.rodata,"a",@progbits
	.p2align	6, 0x0
	.amdhsa_kernel _ZN12_GLOBAL__N_121softmax_warp_backwardIN3c104HalfES2_fLi3ELb1ELb0ELi64EEEvPT0_PKT_S7_iiiPKb
		.amdhsa_group_segment_fixed_size 0
		.amdhsa_private_segment_fixed_size 0
		.amdhsa_kernarg_size 304
		.amdhsa_user_sgpr_count 6
		.amdhsa_user_sgpr_private_segment_buffer 1
		.amdhsa_user_sgpr_dispatch_ptr 0
		.amdhsa_user_sgpr_queue_ptr 0
		.amdhsa_user_sgpr_kernarg_segment_ptr 1
		.amdhsa_user_sgpr_dispatch_id 0
		.amdhsa_user_sgpr_flat_scratch_init 0
		.amdhsa_user_sgpr_kernarg_preload_length 0
		.amdhsa_user_sgpr_kernarg_preload_offset 0
		.amdhsa_user_sgpr_private_segment_size 0
		.amdhsa_uses_dynamic_stack 0
		.amdhsa_system_sgpr_private_segment_wavefront_offset 0
		.amdhsa_system_sgpr_workgroup_id_x 1
		.amdhsa_system_sgpr_workgroup_id_y 0
		.amdhsa_system_sgpr_workgroup_id_z 0
		.amdhsa_system_sgpr_workgroup_info 0
		.amdhsa_system_vgpr_workitem_id 1
		.amdhsa_next_free_vgpr 14
		.amdhsa_next_free_sgpr 16
		.amdhsa_accum_offset 16
		.amdhsa_reserve_vcc 1
		.amdhsa_reserve_flat_scratch 0
		.amdhsa_float_round_mode_32 0
		.amdhsa_float_round_mode_16_64 0
		.amdhsa_float_denorm_mode_32 3
		.amdhsa_float_denorm_mode_16_64 3
		.amdhsa_dx10_clamp 1
		.amdhsa_ieee_mode 1
		.amdhsa_fp16_overflow 0
		.amdhsa_tg_split 0
		.amdhsa_exception_fp_ieee_invalid_op 0
		.amdhsa_exception_fp_denorm_src 0
		.amdhsa_exception_fp_ieee_div_zero 0
		.amdhsa_exception_fp_ieee_overflow 0
		.amdhsa_exception_fp_ieee_underflow 0
		.amdhsa_exception_fp_ieee_inexact 0
		.amdhsa_exception_int_div_zero 0
	.end_amdhsa_kernel
	.section	.text._ZN12_GLOBAL__N_121softmax_warp_backwardIN3c104HalfES2_fLi3ELb1ELb0ELi64EEEvPT0_PKT_S7_iiiPKb,"axG",@progbits,_ZN12_GLOBAL__N_121softmax_warp_backwardIN3c104HalfES2_fLi3ELb1ELb0ELi64EEEvPT0_PKT_S7_iiiPKb,comdat
.Lfunc_end258:
	.size	_ZN12_GLOBAL__N_121softmax_warp_backwardIN3c104HalfES2_fLi3ELb1ELb0ELi64EEEvPT0_PKT_S7_iiiPKb, .Lfunc_end258-_ZN12_GLOBAL__N_121softmax_warp_backwardIN3c104HalfES2_fLi3ELb1ELb0ELi64EEEvPT0_PKT_S7_iiiPKb
                                        ; -- End function
	.section	.AMDGPU.csdata,"",@progbits
; Kernel info:
; codeLenInByte = 812
; NumSgprs: 20
; NumVgprs: 14
; NumAgprs: 0
; TotalNumVgprs: 14
; ScratchSize: 0
; MemoryBound: 0
; FloatMode: 240
; IeeeMode: 1
; LDSByteSize: 0 bytes/workgroup (compile time only)
; SGPRBlocks: 2
; VGPRBlocks: 1
; NumSGPRsForWavesPerEU: 20
; NumVGPRsForWavesPerEU: 14
; AccumOffset: 16
; Occupancy: 8
; WaveLimiterHint : 0
; COMPUTE_PGM_RSRC2:SCRATCH_EN: 0
; COMPUTE_PGM_RSRC2:USER_SGPR: 6
; COMPUTE_PGM_RSRC2:TRAP_HANDLER: 0
; COMPUTE_PGM_RSRC2:TGID_X_EN: 1
; COMPUTE_PGM_RSRC2:TGID_Y_EN: 0
; COMPUTE_PGM_RSRC2:TGID_Z_EN: 0
; COMPUTE_PGM_RSRC2:TIDIG_COMP_CNT: 1
; COMPUTE_PGM_RSRC3_GFX90A:ACCUM_OFFSET: 3
; COMPUTE_PGM_RSRC3_GFX90A:TG_SPLIT: 0
	.section	.text._ZN12_GLOBAL__N_121softmax_warp_backwardIN3c104HalfES2_fLi3ELb1ELb0ELi32EEEvPT0_PKT_S7_iiiPKb,"axG",@progbits,_ZN12_GLOBAL__N_121softmax_warp_backwardIN3c104HalfES2_fLi3ELb1ELb0ELi32EEEvPT0_PKT_S7_iiiPKb,comdat
	.globl	_ZN12_GLOBAL__N_121softmax_warp_backwardIN3c104HalfES2_fLi3ELb1ELb0ELi32EEEvPT0_PKT_S7_iiiPKb ; -- Begin function _ZN12_GLOBAL__N_121softmax_warp_backwardIN3c104HalfES2_fLi3ELb1ELb0ELi32EEEvPT0_PKT_S7_iiiPKb
	.p2align	8
	.type	_ZN12_GLOBAL__N_121softmax_warp_backwardIN3c104HalfES2_fLi3ELb1ELb0ELi32EEEvPT0_PKT_S7_iiiPKb,@function
_ZN12_GLOBAL__N_121softmax_warp_backwardIN3c104HalfES2_fLi3ELb1ELb0ELi32EEEvPT0_PKT_S7_iiiPKb: ; @_ZN12_GLOBAL__N_121softmax_warp_backwardIN3c104HalfES2_fLi3ELb1ELb0ELi32EEEvPT0_PKT_S7_iiiPKb
; %bb.0:
	s_load_dword s2, s[4:5], 0x3c
	s_load_dwordx4 s[8:11], s[4:5], 0x18
	s_load_dwordx4 s[12:15], s[4:5], 0x0
	s_load_dwordx2 s[0:1], s[4:5], 0x10
	v_bfe_u32 v1, v0, 10, 10
	s_waitcnt lgkmcnt(0)
	s_lshr_b32 s2, s2, 16
	s_mul_i32 s6, s6, s2
	v_add_lshl_u32 v1, s6, v1, 1
	v_and_b32_e32 v0, 7, v0
	v_mad_u64_u32 v[2:3], s[2:3], v1, s9, v[0:1]
	v_ashrrev_i32_e32 v3, 31, v2
	v_lshlrev_b64 v[2:3], 1, v[2:3]
	v_sub_u32_e32 v8, s8, v1
	v_mov_b32_e32 v1, s15
	v_add_co_u32_e32 v4, vcc, s14, v2
	v_addc_co_u32_e32 v5, vcc, v1, v3, vcc
	v_mov_b32_e32 v1, s1
	v_add_co_u32_e32 v6, vcc, s0, v2
	v_addc_co_u32_e32 v7, vcc, v1, v3, vcc
	v_cmp_gt_i32_e32 vcc, s10, v0
	v_cmp_lt_i32_e64 s[0:1], 0, v8
	s_and_b64 s[4:5], vcc, s[0:1]
	v_mov_b32_e32 v1, 0
	v_mov_b32_e32 v0, 0
	;; [unrolled: 1-line block ×3, first 2 shown]
	s_and_saveexec_b64 s[2:3], s[4:5]
	s_cbranch_execz .LBB259_2
; %bb.1:
	global_load_ushort v0, v[4:5], off
	global_load_ushort v9, v[6:7], off
	s_waitcnt vmcnt(1)
	v_cvt_f32_f16_e32 v0, v0
	s_waitcnt vmcnt(0)
	v_cvt_f32_f16_e32 v10, v9
.LBB259_2:
	s_or_b64 exec, exec, s[2:3]
	v_cmp_lt_i32_e64 s[2:3], 1, v8
	s_and_b64 s[2:3], vcc, s[2:3]
	s_mov_b32 s11, 0
	v_mov_b32_e32 v9, 0
	s_and_saveexec_b64 s[4:5], s[2:3]
	s_cbranch_execz .LBB259_4
; %bb.3:
	s_lshl_b64 s[6:7], s[10:11], 1
	v_mov_b32_e32 v1, s7
	v_add_co_u32_e64 v4, s[2:3], s6, v4
	v_addc_co_u32_e64 v5, s[2:3], v5, v1, s[2:3]
	global_load_ushort v9, v[4:5], off
	v_add_co_u32_e64 v4, s[2:3], s6, v6
	v_addc_co_u32_e64 v5, s[2:3], v7, v1, s[2:3]
	global_load_ushort v4, v[4:5], off
	s_waitcnt vmcnt(1)
	v_cvt_f32_f16_e32 v1, v9
	s_waitcnt vmcnt(0)
	v_cvt_f32_f16_e32 v9, v4
.LBB259_4:
	s_or_b64 exec, exec, s[4:5]
	v_mbcnt_lo_u32_b32 v6, -1, 0
	v_mbcnt_hi_u32_b32 v11, -1, v6
	v_and_b32_e32 v6, 0x78, v11
	v_add_u32_e32 v12, 8, v6
	v_xor_b32_e32 v6, 4, v11
	v_cmp_lt_i32_e64 s[2:3], v6, v12
	v_cndmask_b32_e64 v6, v11, v6, s[2:3]
	v_pk_add_f32 v[4:5], v[0:1], 0 op_sel_hi:[1,0]
	v_lshlrev_b32_e32 v7, 2, v6
	ds_bpermute_b32 v6, v7, v4
	ds_bpermute_b32 v7, v7, v5
	v_xor_b32_e32 v13, 2, v11
	v_cmp_lt_i32_e64 s[2:3], v13, v12
	v_cndmask_b32_e64 v13, v11, v13, s[2:3]
	v_lshlrev_b32_e32 v13, 2, v13
	s_waitcnt lgkmcnt(0)
	v_pk_add_f32 v[4:5], v[4:5], v[6:7]
	ds_bpermute_b32 v6, v13, v4
	ds_bpermute_b32 v7, v13, v5
	v_xor_b32_e32 v13, 1, v11
	v_cmp_lt_i32_e64 s[2:3], v13, v12
	v_cndmask_b32_e64 v11, v11, v13, s[2:3]
	v_lshlrev_b32_e32 v11, 2, v11
	s_waitcnt lgkmcnt(0)
	v_pk_add_f32 v[4:5], v[4:5], v[6:7]
	ds_bpermute_b32 v6, v11, v4
	ds_bpermute_b32 v7, v11, v5
	s_and_saveexec_b64 s[2:3], s[0:1]
	s_cbranch_execz .LBB259_10
; %bb.5:
	v_mov_b32_e32 v11, s13
	v_add_co_u32_e64 v2, s[0:1], s12, v2
	v_addc_co_u32_e64 v3, s[0:1], v11, v3, s[0:1]
	s_waitcnt lgkmcnt(0)
	v_pk_add_f32 v[4:5], v[4:5], v[6:7]
	s_and_saveexec_b64 s[2:3], vcc
	s_cbranch_execz .LBB259_7
; %bb.6:
	v_mul_f32_e32 v6, 0x3fb8aa3b, v10
	s_mov_b32 s0, 0x3fb8aa3b
	v_rndne_f32_e32 v7, v6
	v_sub_f32_e32 v11, v6, v7
	v_fma_f32 v6, v10, s0, -v6
	v_fmac_f32_e32 v6, 0x32a5705f, v10
	v_add_f32_e32 v6, v11, v6
	v_exp_f32_e32 v6, v6
	v_cvt_i32_f32_e32 v7, v7
	s_mov_b32 s0, 0xc2ce8ed0
	v_cmp_ngt_f32_e64 s[0:1], s0, v10
	v_ldexp_f32 v6, v6, v7
	v_cndmask_b32_e64 v6, 0, v6, s[0:1]
	s_mov_b32 s0, 0x42b17218
	v_mov_b32_e32 v7, 0x7f800000
	v_cmp_nlt_f32_e64 s[0:1], s0, v10
	v_cndmask_b32_e64 v6, v7, v6, s[0:1]
	v_fma_mixlo_f16 v0, -v4, v6, v0
	global_store_short v[2:3], v0, off
.LBB259_7:
	s_or_b64 exec, exec, s[2:3]
	v_cmp_ne_u32_e64 s[0:1], 1, v8
	s_and_b64 exec, exec, s[0:1]
	s_cbranch_execz .LBB259_10
; %bb.8:
	s_and_b64 exec, exec, vcc
	s_cbranch_execz .LBB259_10
; %bb.9:
	v_mul_f32_e32 v0, 0x3fb8aa3b, v9
	s_mov_b32 s0, 0x3fb8aa3b
	v_rndne_f32_e32 v4, v0
	v_sub_f32_e32 v6, v0, v4
	v_fma_f32 v0, v9, s0, -v0
	v_fmac_f32_e32 v0, 0x32a5705f, v9
	v_add_f32_e32 v0, v6, v0
	v_exp_f32_e32 v0, v0
	v_cvt_i32_f32_e32 v4, v4
	s_mov_b32 s0, 0xc2ce8ed0
	v_cmp_ngt_f32_e32 vcc, s0, v9
	s_mov_b32 s0, 0x42b17218
	v_ldexp_f32 v0, v0, v4
	v_cndmask_b32_e32 v0, 0, v0, vcc
	v_mov_b32_e32 v4, 0x7f800000
	v_cmp_nlt_f32_e32 vcc, s0, v9
	v_cndmask_b32_e32 v0, v4, v0, vcc
	s_lshl_b64 s[0:1], s[10:11], 1
	v_fma_mixlo_f16 v4, -v5, v0, v1
	v_mov_b32_e32 v1, s1
	v_add_co_u32_e32 v0, vcc, s0, v2
	v_addc_co_u32_e32 v1, vcc, v3, v1, vcc
	global_store_short v[0:1], v4, off
.LBB259_10:
	s_endpgm
	.section	.rodata,"a",@progbits
	.p2align	6, 0x0
	.amdhsa_kernel _ZN12_GLOBAL__N_121softmax_warp_backwardIN3c104HalfES2_fLi3ELb1ELb0ELi32EEEvPT0_PKT_S7_iiiPKb
		.amdhsa_group_segment_fixed_size 0
		.amdhsa_private_segment_fixed_size 0
		.amdhsa_kernarg_size 304
		.amdhsa_user_sgpr_count 6
		.amdhsa_user_sgpr_private_segment_buffer 1
		.amdhsa_user_sgpr_dispatch_ptr 0
		.amdhsa_user_sgpr_queue_ptr 0
		.amdhsa_user_sgpr_kernarg_segment_ptr 1
		.amdhsa_user_sgpr_dispatch_id 0
		.amdhsa_user_sgpr_flat_scratch_init 0
		.amdhsa_user_sgpr_kernarg_preload_length 0
		.amdhsa_user_sgpr_kernarg_preload_offset 0
		.amdhsa_user_sgpr_private_segment_size 0
		.amdhsa_uses_dynamic_stack 0
		.amdhsa_system_sgpr_private_segment_wavefront_offset 0
		.amdhsa_system_sgpr_workgroup_id_x 1
		.amdhsa_system_sgpr_workgroup_id_y 0
		.amdhsa_system_sgpr_workgroup_id_z 0
		.amdhsa_system_sgpr_workgroup_info 0
		.amdhsa_system_vgpr_workitem_id 1
		.amdhsa_next_free_vgpr 14
		.amdhsa_next_free_sgpr 16
		.amdhsa_accum_offset 16
		.amdhsa_reserve_vcc 1
		.amdhsa_reserve_flat_scratch 0
		.amdhsa_float_round_mode_32 0
		.amdhsa_float_round_mode_16_64 0
		.amdhsa_float_denorm_mode_32 3
		.amdhsa_float_denorm_mode_16_64 3
		.amdhsa_dx10_clamp 1
		.amdhsa_ieee_mode 1
		.amdhsa_fp16_overflow 0
		.amdhsa_tg_split 0
		.amdhsa_exception_fp_ieee_invalid_op 0
		.amdhsa_exception_fp_denorm_src 0
		.amdhsa_exception_fp_ieee_div_zero 0
		.amdhsa_exception_fp_ieee_overflow 0
		.amdhsa_exception_fp_ieee_underflow 0
		.amdhsa_exception_fp_ieee_inexact 0
		.amdhsa_exception_int_div_zero 0
	.end_amdhsa_kernel
	.section	.text._ZN12_GLOBAL__N_121softmax_warp_backwardIN3c104HalfES2_fLi3ELb1ELb0ELi32EEEvPT0_PKT_S7_iiiPKb,"axG",@progbits,_ZN12_GLOBAL__N_121softmax_warp_backwardIN3c104HalfES2_fLi3ELb1ELb0ELi32EEEvPT0_PKT_S7_iiiPKb,comdat
.Lfunc_end259:
	.size	_ZN12_GLOBAL__N_121softmax_warp_backwardIN3c104HalfES2_fLi3ELb1ELb0ELi32EEEvPT0_PKT_S7_iiiPKb, .Lfunc_end259-_ZN12_GLOBAL__N_121softmax_warp_backwardIN3c104HalfES2_fLi3ELb1ELb0ELi32EEEvPT0_PKT_S7_iiiPKb
                                        ; -- End function
	.section	.AMDGPU.csdata,"",@progbits
; Kernel info:
; codeLenInByte = 812
; NumSgprs: 20
; NumVgprs: 14
; NumAgprs: 0
; TotalNumVgprs: 14
; ScratchSize: 0
; MemoryBound: 0
; FloatMode: 240
; IeeeMode: 1
; LDSByteSize: 0 bytes/workgroup (compile time only)
; SGPRBlocks: 2
; VGPRBlocks: 1
; NumSGPRsForWavesPerEU: 20
; NumVGPRsForWavesPerEU: 14
; AccumOffset: 16
; Occupancy: 8
; WaveLimiterHint : 0
; COMPUTE_PGM_RSRC2:SCRATCH_EN: 0
; COMPUTE_PGM_RSRC2:USER_SGPR: 6
; COMPUTE_PGM_RSRC2:TRAP_HANDLER: 0
; COMPUTE_PGM_RSRC2:TGID_X_EN: 1
; COMPUTE_PGM_RSRC2:TGID_Y_EN: 0
; COMPUTE_PGM_RSRC2:TGID_Z_EN: 0
; COMPUTE_PGM_RSRC2:TIDIG_COMP_CNT: 1
; COMPUTE_PGM_RSRC3_GFX90A:ACCUM_OFFSET: 3
; COMPUTE_PGM_RSRC3_GFX90A:TG_SPLIT: 0
	.section	.text._ZN12_GLOBAL__N_121softmax_warp_backwardIN3c104HalfES2_fLi4ELb1ELb0ELi64EEEvPT0_PKT_S7_iiiPKb,"axG",@progbits,_ZN12_GLOBAL__N_121softmax_warp_backwardIN3c104HalfES2_fLi4ELb1ELb0ELi64EEEvPT0_PKT_S7_iiiPKb,comdat
	.globl	_ZN12_GLOBAL__N_121softmax_warp_backwardIN3c104HalfES2_fLi4ELb1ELb0ELi64EEEvPT0_PKT_S7_iiiPKb ; -- Begin function _ZN12_GLOBAL__N_121softmax_warp_backwardIN3c104HalfES2_fLi4ELb1ELb0ELi64EEEvPT0_PKT_S7_iiiPKb
	.p2align	8
	.type	_ZN12_GLOBAL__N_121softmax_warp_backwardIN3c104HalfES2_fLi4ELb1ELb0ELi64EEEvPT0_PKT_S7_iiiPKb,@function
_ZN12_GLOBAL__N_121softmax_warp_backwardIN3c104HalfES2_fLi4ELb1ELb0ELi64EEEvPT0_PKT_S7_iiiPKb: ; @_ZN12_GLOBAL__N_121softmax_warp_backwardIN3c104HalfES2_fLi4ELb1ELb0ELi64EEEvPT0_PKT_S7_iiiPKb
; %bb.0:
	s_load_dword s2, s[4:5], 0x3c
	s_load_dwordx4 s[8:11], s[4:5], 0x18
	s_load_dwordx4 s[12:15], s[4:5], 0x0
	s_load_dwordx2 s[0:1], s[4:5], 0x10
	v_bfe_u32 v1, v0, 10, 10
	s_waitcnt lgkmcnt(0)
	s_lshr_b32 s2, s2, 16
	s_mul_i32 s6, s6, s2
	v_add_lshl_u32 v1, s6, v1, 1
	v_and_b32_e32 v0, 15, v0
	v_mad_u64_u32 v[2:3], s[2:3], v1, s9, v[0:1]
	v_ashrrev_i32_e32 v3, 31, v2
	v_lshlrev_b64 v[2:3], 1, v[2:3]
	v_sub_u32_e32 v8, s8, v1
	v_mov_b32_e32 v1, s15
	v_add_co_u32_e32 v4, vcc, s14, v2
	v_addc_co_u32_e32 v5, vcc, v1, v3, vcc
	v_mov_b32_e32 v1, s1
	v_add_co_u32_e32 v6, vcc, s0, v2
	v_addc_co_u32_e32 v7, vcc, v1, v3, vcc
	v_cmp_gt_i32_e32 vcc, s10, v0
	v_cmp_lt_i32_e64 s[0:1], 0, v8
	s_and_b64 s[4:5], vcc, s[0:1]
	v_mov_b32_e32 v1, 0
	v_mov_b32_e32 v0, 0
	;; [unrolled: 1-line block ×3, first 2 shown]
	s_and_saveexec_b64 s[2:3], s[4:5]
	s_cbranch_execz .LBB260_2
; %bb.1:
	global_load_ushort v0, v[4:5], off
	global_load_ushort v9, v[6:7], off
	s_waitcnt vmcnt(1)
	v_cvt_f32_f16_e32 v0, v0
	s_waitcnt vmcnt(0)
	v_cvt_f32_f16_e32 v10, v9
.LBB260_2:
	s_or_b64 exec, exec, s[2:3]
	v_cmp_lt_i32_e64 s[2:3], 1, v8
	s_and_b64 s[2:3], vcc, s[2:3]
	s_mov_b32 s11, 0
	v_mov_b32_e32 v9, 0
	s_and_saveexec_b64 s[4:5], s[2:3]
	s_cbranch_execz .LBB260_4
; %bb.3:
	s_lshl_b64 s[6:7], s[10:11], 1
	v_mov_b32_e32 v1, s7
	v_add_co_u32_e64 v4, s[2:3], s6, v4
	v_addc_co_u32_e64 v5, s[2:3], v5, v1, s[2:3]
	global_load_ushort v9, v[4:5], off
	v_add_co_u32_e64 v4, s[2:3], s6, v6
	v_addc_co_u32_e64 v5, s[2:3], v7, v1, s[2:3]
	global_load_ushort v4, v[4:5], off
	s_waitcnt vmcnt(1)
	v_cvt_f32_f16_e32 v1, v9
	s_waitcnt vmcnt(0)
	v_cvt_f32_f16_e32 v9, v4
.LBB260_4:
	s_or_b64 exec, exec, s[4:5]
	v_mbcnt_lo_u32_b32 v6, -1, 0
	v_mbcnt_hi_u32_b32 v11, -1, v6
	v_and_b32_e32 v6, 0x70, v11
	v_add_u32_e32 v12, 16, v6
	v_xor_b32_e32 v6, 8, v11
	v_cmp_lt_i32_e64 s[2:3], v6, v12
	v_cndmask_b32_e64 v6, v11, v6, s[2:3]
	v_pk_add_f32 v[4:5], v[0:1], 0 op_sel_hi:[1,0]
	v_lshlrev_b32_e32 v7, 2, v6
	ds_bpermute_b32 v6, v7, v4
	ds_bpermute_b32 v7, v7, v5
	v_xor_b32_e32 v13, 4, v11
	v_cmp_lt_i32_e64 s[2:3], v13, v12
	v_cndmask_b32_e64 v13, v11, v13, s[2:3]
	v_lshlrev_b32_e32 v13, 2, v13
	s_waitcnt lgkmcnt(0)
	v_pk_add_f32 v[4:5], v[4:5], v[6:7]
	ds_bpermute_b32 v6, v13, v4
	ds_bpermute_b32 v7, v13, v5
	v_xor_b32_e32 v13, 2, v11
	v_cmp_lt_i32_e64 s[2:3], v13, v12
	v_cndmask_b32_e64 v13, v11, v13, s[2:3]
	v_lshlrev_b32_e32 v13, 2, v13
	s_waitcnt lgkmcnt(0)
	v_pk_add_f32 v[4:5], v[4:5], v[6:7]
	;; [unrolled: 8-line block ×3, first 2 shown]
	ds_bpermute_b32 v6, v11, v4
	ds_bpermute_b32 v7, v11, v5
	s_and_saveexec_b64 s[2:3], s[0:1]
	s_cbranch_execz .LBB260_10
; %bb.5:
	v_mov_b32_e32 v11, s13
	v_add_co_u32_e64 v2, s[0:1], s12, v2
	v_addc_co_u32_e64 v3, s[0:1], v11, v3, s[0:1]
	s_waitcnt lgkmcnt(0)
	v_pk_add_f32 v[4:5], v[4:5], v[6:7]
	s_and_saveexec_b64 s[2:3], vcc
	s_cbranch_execz .LBB260_7
; %bb.6:
	v_mul_f32_e32 v6, 0x3fb8aa3b, v10
	s_mov_b32 s0, 0x3fb8aa3b
	v_rndne_f32_e32 v7, v6
	v_sub_f32_e32 v11, v6, v7
	v_fma_f32 v6, v10, s0, -v6
	v_fmac_f32_e32 v6, 0x32a5705f, v10
	v_add_f32_e32 v6, v11, v6
	v_exp_f32_e32 v6, v6
	v_cvt_i32_f32_e32 v7, v7
	s_mov_b32 s0, 0xc2ce8ed0
	v_cmp_ngt_f32_e64 s[0:1], s0, v10
	v_ldexp_f32 v6, v6, v7
	v_cndmask_b32_e64 v6, 0, v6, s[0:1]
	s_mov_b32 s0, 0x42b17218
	v_mov_b32_e32 v7, 0x7f800000
	v_cmp_nlt_f32_e64 s[0:1], s0, v10
	v_cndmask_b32_e64 v6, v7, v6, s[0:1]
	v_fma_mixlo_f16 v0, -v4, v6, v0
	global_store_short v[2:3], v0, off
.LBB260_7:
	s_or_b64 exec, exec, s[2:3]
	v_cmp_ne_u32_e64 s[0:1], 1, v8
	s_and_b64 exec, exec, s[0:1]
	s_cbranch_execz .LBB260_10
; %bb.8:
	s_and_b64 exec, exec, vcc
	s_cbranch_execz .LBB260_10
; %bb.9:
	v_mul_f32_e32 v0, 0x3fb8aa3b, v9
	s_mov_b32 s0, 0x3fb8aa3b
	v_rndne_f32_e32 v4, v0
	v_sub_f32_e32 v6, v0, v4
	v_fma_f32 v0, v9, s0, -v0
	v_fmac_f32_e32 v0, 0x32a5705f, v9
	v_add_f32_e32 v0, v6, v0
	v_exp_f32_e32 v0, v0
	v_cvt_i32_f32_e32 v4, v4
	s_mov_b32 s0, 0xc2ce8ed0
	v_cmp_ngt_f32_e32 vcc, s0, v9
	s_mov_b32 s0, 0x42b17218
	v_ldexp_f32 v0, v0, v4
	v_cndmask_b32_e32 v0, 0, v0, vcc
	v_mov_b32_e32 v4, 0x7f800000
	v_cmp_nlt_f32_e32 vcc, s0, v9
	v_cndmask_b32_e32 v0, v4, v0, vcc
	s_lshl_b64 s[0:1], s[10:11], 1
	v_fma_mixlo_f16 v4, -v5, v0, v1
	v_mov_b32_e32 v1, s1
	v_add_co_u32_e32 v0, vcc, s0, v2
	v_addc_co_u32_e32 v1, vcc, v3, v1, vcc
	global_store_short v[0:1], v4, off
.LBB260_10:
	s_endpgm
	.section	.rodata,"a",@progbits
	.p2align	6, 0x0
	.amdhsa_kernel _ZN12_GLOBAL__N_121softmax_warp_backwardIN3c104HalfES2_fLi4ELb1ELb0ELi64EEEvPT0_PKT_S7_iiiPKb
		.amdhsa_group_segment_fixed_size 0
		.amdhsa_private_segment_fixed_size 0
		.amdhsa_kernarg_size 304
		.amdhsa_user_sgpr_count 6
		.amdhsa_user_sgpr_private_segment_buffer 1
		.amdhsa_user_sgpr_dispatch_ptr 0
		.amdhsa_user_sgpr_queue_ptr 0
		.amdhsa_user_sgpr_kernarg_segment_ptr 1
		.amdhsa_user_sgpr_dispatch_id 0
		.amdhsa_user_sgpr_flat_scratch_init 0
		.amdhsa_user_sgpr_kernarg_preload_length 0
		.amdhsa_user_sgpr_kernarg_preload_offset 0
		.amdhsa_user_sgpr_private_segment_size 0
		.amdhsa_uses_dynamic_stack 0
		.amdhsa_system_sgpr_private_segment_wavefront_offset 0
		.amdhsa_system_sgpr_workgroup_id_x 1
		.amdhsa_system_sgpr_workgroup_id_y 0
		.amdhsa_system_sgpr_workgroup_id_z 0
		.amdhsa_system_sgpr_workgroup_info 0
		.amdhsa_system_vgpr_workitem_id 1
		.amdhsa_next_free_vgpr 14
		.amdhsa_next_free_sgpr 16
		.amdhsa_accum_offset 16
		.amdhsa_reserve_vcc 1
		.amdhsa_reserve_flat_scratch 0
		.amdhsa_float_round_mode_32 0
		.amdhsa_float_round_mode_16_64 0
		.amdhsa_float_denorm_mode_32 3
		.amdhsa_float_denorm_mode_16_64 3
		.amdhsa_dx10_clamp 1
		.amdhsa_ieee_mode 1
		.amdhsa_fp16_overflow 0
		.amdhsa_tg_split 0
		.amdhsa_exception_fp_ieee_invalid_op 0
		.amdhsa_exception_fp_denorm_src 0
		.amdhsa_exception_fp_ieee_div_zero 0
		.amdhsa_exception_fp_ieee_overflow 0
		.amdhsa_exception_fp_ieee_underflow 0
		.amdhsa_exception_fp_ieee_inexact 0
		.amdhsa_exception_int_div_zero 0
	.end_amdhsa_kernel
	.section	.text._ZN12_GLOBAL__N_121softmax_warp_backwardIN3c104HalfES2_fLi4ELb1ELb0ELi64EEEvPT0_PKT_S7_iiiPKb,"axG",@progbits,_ZN12_GLOBAL__N_121softmax_warp_backwardIN3c104HalfES2_fLi4ELb1ELb0ELi64EEEvPT0_PKT_S7_iiiPKb,comdat
.Lfunc_end260:
	.size	_ZN12_GLOBAL__N_121softmax_warp_backwardIN3c104HalfES2_fLi4ELb1ELb0ELi64EEEvPT0_PKT_S7_iiiPKb, .Lfunc_end260-_ZN12_GLOBAL__N_121softmax_warp_backwardIN3c104HalfES2_fLi4ELb1ELb0ELi64EEEvPT0_PKT_S7_iiiPKb
                                        ; -- End function
	.section	.AMDGPU.csdata,"",@progbits
; Kernel info:
; codeLenInByte = 864
; NumSgprs: 20
; NumVgprs: 14
; NumAgprs: 0
; TotalNumVgprs: 14
; ScratchSize: 0
; MemoryBound: 0
; FloatMode: 240
; IeeeMode: 1
; LDSByteSize: 0 bytes/workgroup (compile time only)
; SGPRBlocks: 2
; VGPRBlocks: 1
; NumSGPRsForWavesPerEU: 20
; NumVGPRsForWavesPerEU: 14
; AccumOffset: 16
; Occupancy: 8
; WaveLimiterHint : 0
; COMPUTE_PGM_RSRC2:SCRATCH_EN: 0
; COMPUTE_PGM_RSRC2:USER_SGPR: 6
; COMPUTE_PGM_RSRC2:TRAP_HANDLER: 0
; COMPUTE_PGM_RSRC2:TGID_X_EN: 1
; COMPUTE_PGM_RSRC2:TGID_Y_EN: 0
; COMPUTE_PGM_RSRC2:TGID_Z_EN: 0
; COMPUTE_PGM_RSRC2:TIDIG_COMP_CNT: 1
; COMPUTE_PGM_RSRC3_GFX90A:ACCUM_OFFSET: 3
; COMPUTE_PGM_RSRC3_GFX90A:TG_SPLIT: 0
	.section	.text._ZN12_GLOBAL__N_121softmax_warp_backwardIN3c104HalfES2_fLi4ELb1ELb0ELi32EEEvPT0_PKT_S7_iiiPKb,"axG",@progbits,_ZN12_GLOBAL__N_121softmax_warp_backwardIN3c104HalfES2_fLi4ELb1ELb0ELi32EEEvPT0_PKT_S7_iiiPKb,comdat
	.globl	_ZN12_GLOBAL__N_121softmax_warp_backwardIN3c104HalfES2_fLi4ELb1ELb0ELi32EEEvPT0_PKT_S7_iiiPKb ; -- Begin function _ZN12_GLOBAL__N_121softmax_warp_backwardIN3c104HalfES2_fLi4ELb1ELb0ELi32EEEvPT0_PKT_S7_iiiPKb
	.p2align	8
	.type	_ZN12_GLOBAL__N_121softmax_warp_backwardIN3c104HalfES2_fLi4ELb1ELb0ELi32EEEvPT0_PKT_S7_iiiPKb,@function
_ZN12_GLOBAL__N_121softmax_warp_backwardIN3c104HalfES2_fLi4ELb1ELb0ELi32EEEvPT0_PKT_S7_iiiPKb: ; @_ZN12_GLOBAL__N_121softmax_warp_backwardIN3c104HalfES2_fLi4ELb1ELb0ELi32EEEvPT0_PKT_S7_iiiPKb
; %bb.0:
	s_load_dword s2, s[4:5], 0x3c
	s_load_dwordx4 s[8:11], s[4:5], 0x18
	s_load_dwordx4 s[12:15], s[4:5], 0x0
	s_load_dwordx2 s[0:1], s[4:5], 0x10
	v_bfe_u32 v1, v0, 10, 10
	s_waitcnt lgkmcnt(0)
	s_lshr_b32 s2, s2, 16
	s_mul_i32 s6, s6, s2
	v_add_lshl_u32 v1, s6, v1, 1
	v_and_b32_e32 v0, 15, v0
	v_mad_u64_u32 v[2:3], s[2:3], v1, s9, v[0:1]
	v_ashrrev_i32_e32 v3, 31, v2
	v_lshlrev_b64 v[2:3], 1, v[2:3]
	v_sub_u32_e32 v8, s8, v1
	v_mov_b32_e32 v1, s15
	v_add_co_u32_e32 v4, vcc, s14, v2
	v_addc_co_u32_e32 v5, vcc, v1, v3, vcc
	v_mov_b32_e32 v1, s1
	v_add_co_u32_e32 v6, vcc, s0, v2
	v_addc_co_u32_e32 v7, vcc, v1, v3, vcc
	v_cmp_gt_i32_e32 vcc, s10, v0
	v_cmp_lt_i32_e64 s[0:1], 0, v8
	s_and_b64 s[4:5], vcc, s[0:1]
	v_mov_b32_e32 v1, 0
	v_mov_b32_e32 v0, 0
	;; [unrolled: 1-line block ×3, first 2 shown]
	s_and_saveexec_b64 s[2:3], s[4:5]
	s_cbranch_execz .LBB261_2
; %bb.1:
	global_load_ushort v0, v[4:5], off
	global_load_ushort v9, v[6:7], off
	s_waitcnt vmcnt(1)
	v_cvt_f32_f16_e32 v0, v0
	s_waitcnt vmcnt(0)
	v_cvt_f32_f16_e32 v10, v9
.LBB261_2:
	s_or_b64 exec, exec, s[2:3]
	v_cmp_lt_i32_e64 s[2:3], 1, v8
	s_and_b64 s[2:3], vcc, s[2:3]
	s_mov_b32 s11, 0
	v_mov_b32_e32 v9, 0
	s_and_saveexec_b64 s[4:5], s[2:3]
	s_cbranch_execz .LBB261_4
; %bb.3:
	s_lshl_b64 s[6:7], s[10:11], 1
	v_mov_b32_e32 v1, s7
	v_add_co_u32_e64 v4, s[2:3], s6, v4
	v_addc_co_u32_e64 v5, s[2:3], v5, v1, s[2:3]
	global_load_ushort v9, v[4:5], off
	v_add_co_u32_e64 v4, s[2:3], s6, v6
	v_addc_co_u32_e64 v5, s[2:3], v7, v1, s[2:3]
	global_load_ushort v4, v[4:5], off
	s_waitcnt vmcnt(1)
	v_cvt_f32_f16_e32 v1, v9
	s_waitcnt vmcnt(0)
	v_cvt_f32_f16_e32 v9, v4
.LBB261_4:
	s_or_b64 exec, exec, s[4:5]
	v_mbcnt_lo_u32_b32 v6, -1, 0
	v_mbcnt_hi_u32_b32 v11, -1, v6
	v_and_b32_e32 v6, 0x70, v11
	v_add_u32_e32 v12, 16, v6
	v_xor_b32_e32 v6, 8, v11
	v_cmp_lt_i32_e64 s[2:3], v6, v12
	v_cndmask_b32_e64 v6, v11, v6, s[2:3]
	v_pk_add_f32 v[4:5], v[0:1], 0 op_sel_hi:[1,0]
	v_lshlrev_b32_e32 v7, 2, v6
	ds_bpermute_b32 v6, v7, v4
	ds_bpermute_b32 v7, v7, v5
	v_xor_b32_e32 v13, 4, v11
	v_cmp_lt_i32_e64 s[2:3], v13, v12
	v_cndmask_b32_e64 v13, v11, v13, s[2:3]
	v_lshlrev_b32_e32 v13, 2, v13
	s_waitcnt lgkmcnt(0)
	v_pk_add_f32 v[4:5], v[4:5], v[6:7]
	ds_bpermute_b32 v6, v13, v4
	ds_bpermute_b32 v7, v13, v5
	v_xor_b32_e32 v13, 2, v11
	v_cmp_lt_i32_e64 s[2:3], v13, v12
	v_cndmask_b32_e64 v13, v11, v13, s[2:3]
	v_lshlrev_b32_e32 v13, 2, v13
	s_waitcnt lgkmcnt(0)
	v_pk_add_f32 v[4:5], v[4:5], v[6:7]
	ds_bpermute_b32 v6, v13, v4
	ds_bpermute_b32 v7, v13, v5
	v_xor_b32_e32 v13, 1, v11
	v_cmp_lt_i32_e64 s[2:3], v13, v12
	v_cndmask_b32_e64 v11, v11, v13, s[2:3]
	v_lshlrev_b32_e32 v11, 2, v11
	s_waitcnt lgkmcnt(0)
	v_pk_add_f32 v[4:5], v[4:5], v[6:7]
	ds_bpermute_b32 v6, v11, v4
	ds_bpermute_b32 v7, v11, v5
	s_and_saveexec_b64 s[2:3], s[0:1]
	s_cbranch_execz .LBB261_10
; %bb.5:
	v_mov_b32_e32 v11, s13
	v_add_co_u32_e64 v2, s[0:1], s12, v2
	v_addc_co_u32_e64 v3, s[0:1], v11, v3, s[0:1]
	s_waitcnt lgkmcnt(0)
	v_pk_add_f32 v[4:5], v[4:5], v[6:7]
	s_and_saveexec_b64 s[2:3], vcc
	s_cbranch_execz .LBB261_7
; %bb.6:
	v_mul_f32_e32 v6, 0x3fb8aa3b, v10
	s_mov_b32 s0, 0x3fb8aa3b
	v_rndne_f32_e32 v7, v6
	v_sub_f32_e32 v11, v6, v7
	v_fma_f32 v6, v10, s0, -v6
	v_fmac_f32_e32 v6, 0x32a5705f, v10
	v_add_f32_e32 v6, v11, v6
	v_exp_f32_e32 v6, v6
	v_cvt_i32_f32_e32 v7, v7
	s_mov_b32 s0, 0xc2ce8ed0
	v_cmp_ngt_f32_e64 s[0:1], s0, v10
	v_ldexp_f32 v6, v6, v7
	v_cndmask_b32_e64 v6, 0, v6, s[0:1]
	s_mov_b32 s0, 0x42b17218
	v_mov_b32_e32 v7, 0x7f800000
	v_cmp_nlt_f32_e64 s[0:1], s0, v10
	v_cndmask_b32_e64 v6, v7, v6, s[0:1]
	v_fma_mixlo_f16 v0, -v4, v6, v0
	global_store_short v[2:3], v0, off
.LBB261_7:
	s_or_b64 exec, exec, s[2:3]
	v_cmp_ne_u32_e64 s[0:1], 1, v8
	s_and_b64 exec, exec, s[0:1]
	s_cbranch_execz .LBB261_10
; %bb.8:
	s_and_b64 exec, exec, vcc
	s_cbranch_execz .LBB261_10
; %bb.9:
	v_mul_f32_e32 v0, 0x3fb8aa3b, v9
	s_mov_b32 s0, 0x3fb8aa3b
	v_rndne_f32_e32 v4, v0
	v_sub_f32_e32 v6, v0, v4
	v_fma_f32 v0, v9, s0, -v0
	v_fmac_f32_e32 v0, 0x32a5705f, v9
	v_add_f32_e32 v0, v6, v0
	v_exp_f32_e32 v0, v0
	v_cvt_i32_f32_e32 v4, v4
	s_mov_b32 s0, 0xc2ce8ed0
	v_cmp_ngt_f32_e32 vcc, s0, v9
	s_mov_b32 s0, 0x42b17218
	v_ldexp_f32 v0, v0, v4
	v_cndmask_b32_e32 v0, 0, v0, vcc
	v_mov_b32_e32 v4, 0x7f800000
	v_cmp_nlt_f32_e32 vcc, s0, v9
	v_cndmask_b32_e32 v0, v4, v0, vcc
	s_lshl_b64 s[0:1], s[10:11], 1
	v_fma_mixlo_f16 v4, -v5, v0, v1
	v_mov_b32_e32 v1, s1
	v_add_co_u32_e32 v0, vcc, s0, v2
	v_addc_co_u32_e32 v1, vcc, v3, v1, vcc
	global_store_short v[0:1], v4, off
.LBB261_10:
	s_endpgm
	.section	.rodata,"a",@progbits
	.p2align	6, 0x0
	.amdhsa_kernel _ZN12_GLOBAL__N_121softmax_warp_backwardIN3c104HalfES2_fLi4ELb1ELb0ELi32EEEvPT0_PKT_S7_iiiPKb
		.amdhsa_group_segment_fixed_size 0
		.amdhsa_private_segment_fixed_size 0
		.amdhsa_kernarg_size 304
		.amdhsa_user_sgpr_count 6
		.amdhsa_user_sgpr_private_segment_buffer 1
		.amdhsa_user_sgpr_dispatch_ptr 0
		.amdhsa_user_sgpr_queue_ptr 0
		.amdhsa_user_sgpr_kernarg_segment_ptr 1
		.amdhsa_user_sgpr_dispatch_id 0
		.amdhsa_user_sgpr_flat_scratch_init 0
		.amdhsa_user_sgpr_kernarg_preload_length 0
		.amdhsa_user_sgpr_kernarg_preload_offset 0
		.amdhsa_user_sgpr_private_segment_size 0
		.amdhsa_uses_dynamic_stack 0
		.amdhsa_system_sgpr_private_segment_wavefront_offset 0
		.amdhsa_system_sgpr_workgroup_id_x 1
		.amdhsa_system_sgpr_workgroup_id_y 0
		.amdhsa_system_sgpr_workgroup_id_z 0
		.amdhsa_system_sgpr_workgroup_info 0
		.amdhsa_system_vgpr_workitem_id 1
		.amdhsa_next_free_vgpr 14
		.amdhsa_next_free_sgpr 16
		.amdhsa_accum_offset 16
		.amdhsa_reserve_vcc 1
		.amdhsa_reserve_flat_scratch 0
		.amdhsa_float_round_mode_32 0
		.amdhsa_float_round_mode_16_64 0
		.amdhsa_float_denorm_mode_32 3
		.amdhsa_float_denorm_mode_16_64 3
		.amdhsa_dx10_clamp 1
		.amdhsa_ieee_mode 1
		.amdhsa_fp16_overflow 0
		.amdhsa_tg_split 0
		.amdhsa_exception_fp_ieee_invalid_op 0
		.amdhsa_exception_fp_denorm_src 0
		.amdhsa_exception_fp_ieee_div_zero 0
		.amdhsa_exception_fp_ieee_overflow 0
		.amdhsa_exception_fp_ieee_underflow 0
		.amdhsa_exception_fp_ieee_inexact 0
		.amdhsa_exception_int_div_zero 0
	.end_amdhsa_kernel
	.section	.text._ZN12_GLOBAL__N_121softmax_warp_backwardIN3c104HalfES2_fLi4ELb1ELb0ELi32EEEvPT0_PKT_S7_iiiPKb,"axG",@progbits,_ZN12_GLOBAL__N_121softmax_warp_backwardIN3c104HalfES2_fLi4ELb1ELb0ELi32EEEvPT0_PKT_S7_iiiPKb,comdat
.Lfunc_end261:
	.size	_ZN12_GLOBAL__N_121softmax_warp_backwardIN3c104HalfES2_fLi4ELb1ELb0ELi32EEEvPT0_PKT_S7_iiiPKb, .Lfunc_end261-_ZN12_GLOBAL__N_121softmax_warp_backwardIN3c104HalfES2_fLi4ELb1ELb0ELi32EEEvPT0_PKT_S7_iiiPKb
                                        ; -- End function
	.section	.AMDGPU.csdata,"",@progbits
; Kernel info:
; codeLenInByte = 864
; NumSgprs: 20
; NumVgprs: 14
; NumAgprs: 0
; TotalNumVgprs: 14
; ScratchSize: 0
; MemoryBound: 0
; FloatMode: 240
; IeeeMode: 1
; LDSByteSize: 0 bytes/workgroup (compile time only)
; SGPRBlocks: 2
; VGPRBlocks: 1
; NumSGPRsForWavesPerEU: 20
; NumVGPRsForWavesPerEU: 14
; AccumOffset: 16
; Occupancy: 8
; WaveLimiterHint : 0
; COMPUTE_PGM_RSRC2:SCRATCH_EN: 0
; COMPUTE_PGM_RSRC2:USER_SGPR: 6
; COMPUTE_PGM_RSRC2:TRAP_HANDLER: 0
; COMPUTE_PGM_RSRC2:TGID_X_EN: 1
; COMPUTE_PGM_RSRC2:TGID_Y_EN: 0
; COMPUTE_PGM_RSRC2:TGID_Z_EN: 0
; COMPUTE_PGM_RSRC2:TIDIG_COMP_CNT: 1
; COMPUTE_PGM_RSRC3_GFX90A:ACCUM_OFFSET: 3
; COMPUTE_PGM_RSRC3_GFX90A:TG_SPLIT: 0
	.section	.text._ZN12_GLOBAL__N_121softmax_warp_backwardIN3c104HalfES2_fLi5ELb1ELb0ELi64EEEvPT0_PKT_S7_iiiPKb,"axG",@progbits,_ZN12_GLOBAL__N_121softmax_warp_backwardIN3c104HalfES2_fLi5ELb1ELb0ELi64EEEvPT0_PKT_S7_iiiPKb,comdat
	.globl	_ZN12_GLOBAL__N_121softmax_warp_backwardIN3c104HalfES2_fLi5ELb1ELb0ELi64EEEvPT0_PKT_S7_iiiPKb ; -- Begin function _ZN12_GLOBAL__N_121softmax_warp_backwardIN3c104HalfES2_fLi5ELb1ELb0ELi64EEEvPT0_PKT_S7_iiiPKb
	.p2align	8
	.type	_ZN12_GLOBAL__N_121softmax_warp_backwardIN3c104HalfES2_fLi5ELb1ELb0ELi64EEEvPT0_PKT_S7_iiiPKb,@function
_ZN12_GLOBAL__N_121softmax_warp_backwardIN3c104HalfES2_fLi5ELb1ELb0ELi64EEEvPT0_PKT_S7_iiiPKb: ; @_ZN12_GLOBAL__N_121softmax_warp_backwardIN3c104HalfES2_fLi5ELb1ELb0ELi64EEEvPT0_PKT_S7_iiiPKb
; %bb.0:
	s_load_dword s2, s[4:5], 0x3c
	s_load_dwordx4 s[8:11], s[4:5], 0x18
	s_load_dwordx4 s[12:15], s[4:5], 0x0
	s_load_dwordx2 s[0:1], s[4:5], 0x10
	v_bfe_u32 v1, v0, 10, 10
	s_waitcnt lgkmcnt(0)
	s_lshr_b32 s2, s2, 16
	s_mul_i32 s6, s6, s2
	v_add_lshl_u32 v1, s6, v1, 1
	v_and_b32_e32 v0, 31, v0
	v_mad_u64_u32 v[2:3], s[2:3], v1, s9, v[0:1]
	v_ashrrev_i32_e32 v3, 31, v2
	v_lshlrev_b64 v[2:3], 1, v[2:3]
	v_sub_u32_e32 v8, s8, v1
	v_mov_b32_e32 v1, s15
	v_add_co_u32_e32 v4, vcc, s14, v2
	v_addc_co_u32_e32 v5, vcc, v1, v3, vcc
	v_mov_b32_e32 v1, s1
	v_add_co_u32_e32 v6, vcc, s0, v2
	v_addc_co_u32_e32 v7, vcc, v1, v3, vcc
	v_cmp_gt_i32_e32 vcc, s10, v0
	v_cmp_lt_i32_e64 s[0:1], 0, v8
	s_and_b64 s[4:5], vcc, s[0:1]
	v_mov_b32_e32 v1, 0
	v_mov_b32_e32 v0, 0
	;; [unrolled: 1-line block ×3, first 2 shown]
	s_and_saveexec_b64 s[2:3], s[4:5]
	s_cbranch_execz .LBB262_2
; %bb.1:
	global_load_ushort v0, v[4:5], off
	global_load_ushort v9, v[6:7], off
	s_waitcnt vmcnt(1)
	v_cvt_f32_f16_e32 v0, v0
	s_waitcnt vmcnt(0)
	v_cvt_f32_f16_e32 v10, v9
.LBB262_2:
	s_or_b64 exec, exec, s[2:3]
	v_cmp_lt_i32_e64 s[2:3], 1, v8
	s_and_b64 s[2:3], vcc, s[2:3]
	s_mov_b32 s11, 0
	v_mov_b32_e32 v9, 0
	s_and_saveexec_b64 s[4:5], s[2:3]
	s_cbranch_execz .LBB262_4
; %bb.3:
	s_lshl_b64 s[6:7], s[10:11], 1
	v_mov_b32_e32 v1, s7
	v_add_co_u32_e64 v4, s[2:3], s6, v4
	v_addc_co_u32_e64 v5, s[2:3], v5, v1, s[2:3]
	global_load_ushort v9, v[4:5], off
	v_add_co_u32_e64 v4, s[2:3], s6, v6
	v_addc_co_u32_e64 v5, s[2:3], v7, v1, s[2:3]
	global_load_ushort v4, v[4:5], off
	s_waitcnt vmcnt(1)
	v_cvt_f32_f16_e32 v1, v9
	s_waitcnt vmcnt(0)
	v_cvt_f32_f16_e32 v9, v4
.LBB262_4:
	s_or_b64 exec, exec, s[4:5]
	v_mbcnt_lo_u32_b32 v6, -1, 0
	v_mbcnt_hi_u32_b32 v11, -1, v6
	v_and_b32_e32 v6, 0x60, v11
	v_add_u32_e32 v12, 32, v6
	v_xor_b32_e32 v6, 16, v11
	v_cmp_lt_i32_e64 s[2:3], v6, v12
	v_cndmask_b32_e64 v6, v11, v6, s[2:3]
	v_pk_add_f32 v[4:5], v[0:1], 0 op_sel_hi:[1,0]
	v_lshlrev_b32_e32 v7, 2, v6
	ds_bpermute_b32 v6, v7, v4
	ds_bpermute_b32 v7, v7, v5
	v_xor_b32_e32 v13, 8, v11
	v_cmp_lt_i32_e64 s[2:3], v13, v12
	v_cndmask_b32_e64 v13, v11, v13, s[2:3]
	v_lshlrev_b32_e32 v13, 2, v13
	s_waitcnt lgkmcnt(0)
	v_pk_add_f32 v[4:5], v[4:5], v[6:7]
	ds_bpermute_b32 v6, v13, v4
	ds_bpermute_b32 v7, v13, v5
	v_xor_b32_e32 v13, 4, v11
	v_cmp_lt_i32_e64 s[2:3], v13, v12
	v_cndmask_b32_e64 v13, v11, v13, s[2:3]
	v_lshlrev_b32_e32 v13, 2, v13
	s_waitcnt lgkmcnt(0)
	v_pk_add_f32 v[4:5], v[4:5], v[6:7]
	ds_bpermute_b32 v6, v13, v4
	ds_bpermute_b32 v7, v13, v5
	v_xor_b32_e32 v13, 2, v11
	v_cmp_lt_i32_e64 s[2:3], v13, v12
	v_cndmask_b32_e64 v13, v11, v13, s[2:3]
	v_lshlrev_b32_e32 v13, 2, v13
	s_waitcnt lgkmcnt(0)
	v_pk_add_f32 v[4:5], v[4:5], v[6:7]
	ds_bpermute_b32 v6, v13, v4
	ds_bpermute_b32 v7, v13, v5
	v_xor_b32_e32 v13, 1, v11
	v_cmp_lt_i32_e64 s[2:3], v13, v12
	v_cndmask_b32_e64 v11, v11, v13, s[2:3]
	v_lshlrev_b32_e32 v11, 2, v11
	s_waitcnt lgkmcnt(0)
	v_pk_add_f32 v[4:5], v[4:5], v[6:7]
	ds_bpermute_b32 v6, v11, v4
	ds_bpermute_b32 v7, v11, v5
	s_and_saveexec_b64 s[2:3], s[0:1]
	s_cbranch_execz .LBB262_10
; %bb.5:
	v_mov_b32_e32 v11, s13
	v_add_co_u32_e64 v2, s[0:1], s12, v2
	v_addc_co_u32_e64 v3, s[0:1], v11, v3, s[0:1]
	s_waitcnt lgkmcnt(0)
	v_pk_add_f32 v[4:5], v[4:5], v[6:7]
	s_and_saveexec_b64 s[2:3], vcc
	s_cbranch_execz .LBB262_7
; %bb.6:
	v_mul_f32_e32 v6, 0x3fb8aa3b, v10
	s_mov_b32 s0, 0x3fb8aa3b
	v_rndne_f32_e32 v7, v6
	v_sub_f32_e32 v11, v6, v7
	v_fma_f32 v6, v10, s0, -v6
	v_fmac_f32_e32 v6, 0x32a5705f, v10
	v_add_f32_e32 v6, v11, v6
	v_exp_f32_e32 v6, v6
	v_cvt_i32_f32_e32 v7, v7
	s_mov_b32 s0, 0xc2ce8ed0
	v_cmp_ngt_f32_e64 s[0:1], s0, v10
	v_ldexp_f32 v6, v6, v7
	v_cndmask_b32_e64 v6, 0, v6, s[0:1]
	s_mov_b32 s0, 0x42b17218
	v_mov_b32_e32 v7, 0x7f800000
	v_cmp_nlt_f32_e64 s[0:1], s0, v10
	v_cndmask_b32_e64 v6, v7, v6, s[0:1]
	v_fma_mixlo_f16 v0, -v4, v6, v0
	global_store_short v[2:3], v0, off
.LBB262_7:
	s_or_b64 exec, exec, s[2:3]
	v_cmp_ne_u32_e64 s[0:1], 1, v8
	s_and_b64 exec, exec, s[0:1]
	s_cbranch_execz .LBB262_10
; %bb.8:
	s_and_b64 exec, exec, vcc
	s_cbranch_execz .LBB262_10
; %bb.9:
	v_mul_f32_e32 v0, 0x3fb8aa3b, v9
	s_mov_b32 s0, 0x3fb8aa3b
	v_rndne_f32_e32 v4, v0
	v_sub_f32_e32 v6, v0, v4
	v_fma_f32 v0, v9, s0, -v0
	v_fmac_f32_e32 v0, 0x32a5705f, v9
	v_add_f32_e32 v0, v6, v0
	v_exp_f32_e32 v0, v0
	v_cvt_i32_f32_e32 v4, v4
	s_mov_b32 s0, 0xc2ce8ed0
	v_cmp_ngt_f32_e32 vcc, s0, v9
	s_mov_b32 s0, 0x42b17218
	v_ldexp_f32 v0, v0, v4
	v_cndmask_b32_e32 v0, 0, v0, vcc
	v_mov_b32_e32 v4, 0x7f800000
	v_cmp_nlt_f32_e32 vcc, s0, v9
	v_cndmask_b32_e32 v0, v4, v0, vcc
	s_lshl_b64 s[0:1], s[10:11], 1
	v_fma_mixlo_f16 v4, -v5, v0, v1
	v_mov_b32_e32 v1, s1
	v_add_co_u32_e32 v0, vcc, s0, v2
	v_addc_co_u32_e32 v1, vcc, v3, v1, vcc
	global_store_short v[0:1], v4, off
.LBB262_10:
	s_endpgm
	.section	.rodata,"a",@progbits
	.p2align	6, 0x0
	.amdhsa_kernel _ZN12_GLOBAL__N_121softmax_warp_backwardIN3c104HalfES2_fLi5ELb1ELb0ELi64EEEvPT0_PKT_S7_iiiPKb
		.amdhsa_group_segment_fixed_size 0
		.amdhsa_private_segment_fixed_size 0
		.amdhsa_kernarg_size 304
		.amdhsa_user_sgpr_count 6
		.amdhsa_user_sgpr_private_segment_buffer 1
		.amdhsa_user_sgpr_dispatch_ptr 0
		.amdhsa_user_sgpr_queue_ptr 0
		.amdhsa_user_sgpr_kernarg_segment_ptr 1
		.amdhsa_user_sgpr_dispatch_id 0
		.amdhsa_user_sgpr_flat_scratch_init 0
		.amdhsa_user_sgpr_kernarg_preload_length 0
		.amdhsa_user_sgpr_kernarg_preload_offset 0
		.amdhsa_user_sgpr_private_segment_size 0
		.amdhsa_uses_dynamic_stack 0
		.amdhsa_system_sgpr_private_segment_wavefront_offset 0
		.amdhsa_system_sgpr_workgroup_id_x 1
		.amdhsa_system_sgpr_workgroup_id_y 0
		.amdhsa_system_sgpr_workgroup_id_z 0
		.amdhsa_system_sgpr_workgroup_info 0
		.amdhsa_system_vgpr_workitem_id 1
		.amdhsa_next_free_vgpr 14
		.amdhsa_next_free_sgpr 16
		.amdhsa_accum_offset 16
		.amdhsa_reserve_vcc 1
		.amdhsa_reserve_flat_scratch 0
		.amdhsa_float_round_mode_32 0
		.amdhsa_float_round_mode_16_64 0
		.amdhsa_float_denorm_mode_32 3
		.amdhsa_float_denorm_mode_16_64 3
		.amdhsa_dx10_clamp 1
		.amdhsa_ieee_mode 1
		.amdhsa_fp16_overflow 0
		.amdhsa_tg_split 0
		.amdhsa_exception_fp_ieee_invalid_op 0
		.amdhsa_exception_fp_denorm_src 0
		.amdhsa_exception_fp_ieee_div_zero 0
		.amdhsa_exception_fp_ieee_overflow 0
		.amdhsa_exception_fp_ieee_underflow 0
		.amdhsa_exception_fp_ieee_inexact 0
		.amdhsa_exception_int_div_zero 0
	.end_amdhsa_kernel
	.section	.text._ZN12_GLOBAL__N_121softmax_warp_backwardIN3c104HalfES2_fLi5ELb1ELb0ELi64EEEvPT0_PKT_S7_iiiPKb,"axG",@progbits,_ZN12_GLOBAL__N_121softmax_warp_backwardIN3c104HalfES2_fLi5ELb1ELb0ELi64EEEvPT0_PKT_S7_iiiPKb,comdat
.Lfunc_end262:
	.size	_ZN12_GLOBAL__N_121softmax_warp_backwardIN3c104HalfES2_fLi5ELb1ELb0ELi64EEEvPT0_PKT_S7_iiiPKb, .Lfunc_end262-_ZN12_GLOBAL__N_121softmax_warp_backwardIN3c104HalfES2_fLi5ELb1ELb0ELi64EEEvPT0_PKT_S7_iiiPKb
                                        ; -- End function
	.section	.AMDGPU.csdata,"",@progbits
; Kernel info:
; codeLenInByte = 916
; NumSgprs: 20
; NumVgprs: 14
; NumAgprs: 0
; TotalNumVgprs: 14
; ScratchSize: 0
; MemoryBound: 0
; FloatMode: 240
; IeeeMode: 1
; LDSByteSize: 0 bytes/workgroup (compile time only)
; SGPRBlocks: 2
; VGPRBlocks: 1
; NumSGPRsForWavesPerEU: 20
; NumVGPRsForWavesPerEU: 14
; AccumOffset: 16
; Occupancy: 8
; WaveLimiterHint : 0
; COMPUTE_PGM_RSRC2:SCRATCH_EN: 0
; COMPUTE_PGM_RSRC2:USER_SGPR: 6
; COMPUTE_PGM_RSRC2:TRAP_HANDLER: 0
; COMPUTE_PGM_RSRC2:TGID_X_EN: 1
; COMPUTE_PGM_RSRC2:TGID_Y_EN: 0
; COMPUTE_PGM_RSRC2:TGID_Z_EN: 0
; COMPUTE_PGM_RSRC2:TIDIG_COMP_CNT: 1
; COMPUTE_PGM_RSRC3_GFX90A:ACCUM_OFFSET: 3
; COMPUTE_PGM_RSRC3_GFX90A:TG_SPLIT: 0
	.section	.text._ZN12_GLOBAL__N_121softmax_warp_backwardIN3c104HalfES2_fLi5ELb1ELb0ELi32EEEvPT0_PKT_S7_iiiPKb,"axG",@progbits,_ZN12_GLOBAL__N_121softmax_warp_backwardIN3c104HalfES2_fLi5ELb1ELb0ELi32EEEvPT0_PKT_S7_iiiPKb,comdat
	.globl	_ZN12_GLOBAL__N_121softmax_warp_backwardIN3c104HalfES2_fLi5ELb1ELb0ELi32EEEvPT0_PKT_S7_iiiPKb ; -- Begin function _ZN12_GLOBAL__N_121softmax_warp_backwardIN3c104HalfES2_fLi5ELb1ELb0ELi32EEEvPT0_PKT_S7_iiiPKb
	.p2align	8
	.type	_ZN12_GLOBAL__N_121softmax_warp_backwardIN3c104HalfES2_fLi5ELb1ELb0ELi32EEEvPT0_PKT_S7_iiiPKb,@function
_ZN12_GLOBAL__N_121softmax_warp_backwardIN3c104HalfES2_fLi5ELb1ELb0ELi32EEEvPT0_PKT_S7_iiiPKb: ; @_ZN12_GLOBAL__N_121softmax_warp_backwardIN3c104HalfES2_fLi5ELb1ELb0ELi32EEEvPT0_PKT_S7_iiiPKb
; %bb.0:
	s_load_dword s2, s[4:5], 0x3c
	s_load_dwordx4 s[8:11], s[4:5], 0x18
	s_load_dwordx4 s[12:15], s[4:5], 0x0
	s_load_dwordx2 s[0:1], s[4:5], 0x10
	v_bfe_u32 v1, v0, 10, 10
	s_waitcnt lgkmcnt(0)
	s_lshr_b32 s2, s2, 16
	s_mul_i32 s6, s6, s2
	v_add_lshl_u32 v1, s6, v1, 1
	v_and_b32_e32 v0, 31, v0
	v_mad_u64_u32 v[2:3], s[2:3], v1, s9, v[0:1]
	v_ashrrev_i32_e32 v3, 31, v2
	v_lshlrev_b64 v[2:3], 1, v[2:3]
	v_sub_u32_e32 v8, s8, v1
	v_mov_b32_e32 v1, s15
	v_add_co_u32_e32 v4, vcc, s14, v2
	v_addc_co_u32_e32 v5, vcc, v1, v3, vcc
	v_mov_b32_e32 v1, s1
	v_add_co_u32_e32 v6, vcc, s0, v2
	v_addc_co_u32_e32 v7, vcc, v1, v3, vcc
	v_cmp_gt_i32_e32 vcc, s10, v0
	v_cmp_lt_i32_e64 s[0:1], 0, v8
	s_and_b64 s[4:5], vcc, s[0:1]
	v_mov_b32_e32 v1, 0
	v_mov_b32_e32 v0, 0
	;; [unrolled: 1-line block ×3, first 2 shown]
	s_and_saveexec_b64 s[2:3], s[4:5]
	s_cbranch_execz .LBB263_2
; %bb.1:
	global_load_ushort v0, v[4:5], off
	global_load_ushort v9, v[6:7], off
	s_waitcnt vmcnt(1)
	v_cvt_f32_f16_e32 v0, v0
	s_waitcnt vmcnt(0)
	v_cvt_f32_f16_e32 v10, v9
.LBB263_2:
	s_or_b64 exec, exec, s[2:3]
	v_cmp_lt_i32_e64 s[2:3], 1, v8
	s_and_b64 s[2:3], vcc, s[2:3]
	s_mov_b32 s11, 0
	v_mov_b32_e32 v9, 0
	s_and_saveexec_b64 s[4:5], s[2:3]
	s_cbranch_execz .LBB263_4
; %bb.3:
	s_lshl_b64 s[6:7], s[10:11], 1
	v_mov_b32_e32 v1, s7
	v_add_co_u32_e64 v4, s[2:3], s6, v4
	v_addc_co_u32_e64 v5, s[2:3], v5, v1, s[2:3]
	global_load_ushort v9, v[4:5], off
	v_add_co_u32_e64 v4, s[2:3], s6, v6
	v_addc_co_u32_e64 v5, s[2:3], v7, v1, s[2:3]
	global_load_ushort v4, v[4:5], off
	s_waitcnt vmcnt(1)
	v_cvt_f32_f16_e32 v1, v9
	s_waitcnt vmcnt(0)
	v_cvt_f32_f16_e32 v9, v4
.LBB263_4:
	s_or_b64 exec, exec, s[4:5]
	v_mbcnt_lo_u32_b32 v6, -1, 0
	v_mbcnt_hi_u32_b32 v11, -1, v6
	v_and_b32_e32 v6, 0x60, v11
	v_add_u32_e32 v12, 32, v6
	v_xor_b32_e32 v6, 16, v11
	v_cmp_lt_i32_e64 s[2:3], v6, v12
	v_cndmask_b32_e64 v6, v11, v6, s[2:3]
	v_pk_add_f32 v[4:5], v[0:1], 0 op_sel_hi:[1,0]
	v_lshlrev_b32_e32 v7, 2, v6
	ds_bpermute_b32 v6, v7, v4
	ds_bpermute_b32 v7, v7, v5
	v_xor_b32_e32 v13, 8, v11
	v_cmp_lt_i32_e64 s[2:3], v13, v12
	v_cndmask_b32_e64 v13, v11, v13, s[2:3]
	v_lshlrev_b32_e32 v13, 2, v13
	s_waitcnt lgkmcnt(0)
	v_pk_add_f32 v[4:5], v[4:5], v[6:7]
	ds_bpermute_b32 v6, v13, v4
	ds_bpermute_b32 v7, v13, v5
	v_xor_b32_e32 v13, 4, v11
	v_cmp_lt_i32_e64 s[2:3], v13, v12
	v_cndmask_b32_e64 v13, v11, v13, s[2:3]
	v_lshlrev_b32_e32 v13, 2, v13
	s_waitcnt lgkmcnt(0)
	v_pk_add_f32 v[4:5], v[4:5], v[6:7]
	ds_bpermute_b32 v6, v13, v4
	ds_bpermute_b32 v7, v13, v5
	v_xor_b32_e32 v13, 2, v11
	v_cmp_lt_i32_e64 s[2:3], v13, v12
	v_cndmask_b32_e64 v13, v11, v13, s[2:3]
	v_lshlrev_b32_e32 v13, 2, v13
	s_waitcnt lgkmcnt(0)
	v_pk_add_f32 v[4:5], v[4:5], v[6:7]
	ds_bpermute_b32 v6, v13, v4
	ds_bpermute_b32 v7, v13, v5
	v_xor_b32_e32 v13, 1, v11
	v_cmp_lt_i32_e64 s[2:3], v13, v12
	v_cndmask_b32_e64 v11, v11, v13, s[2:3]
	v_lshlrev_b32_e32 v11, 2, v11
	s_waitcnt lgkmcnt(0)
	v_pk_add_f32 v[4:5], v[4:5], v[6:7]
	ds_bpermute_b32 v6, v11, v4
	ds_bpermute_b32 v7, v11, v5
	s_and_saveexec_b64 s[2:3], s[0:1]
	s_cbranch_execz .LBB263_10
; %bb.5:
	v_mov_b32_e32 v11, s13
	v_add_co_u32_e64 v2, s[0:1], s12, v2
	v_addc_co_u32_e64 v3, s[0:1], v11, v3, s[0:1]
	s_waitcnt lgkmcnt(0)
	v_pk_add_f32 v[4:5], v[4:5], v[6:7]
	s_and_saveexec_b64 s[2:3], vcc
	s_cbranch_execz .LBB263_7
; %bb.6:
	v_mul_f32_e32 v6, 0x3fb8aa3b, v10
	s_mov_b32 s0, 0x3fb8aa3b
	v_rndne_f32_e32 v7, v6
	v_sub_f32_e32 v11, v6, v7
	v_fma_f32 v6, v10, s0, -v6
	v_fmac_f32_e32 v6, 0x32a5705f, v10
	v_add_f32_e32 v6, v11, v6
	v_exp_f32_e32 v6, v6
	v_cvt_i32_f32_e32 v7, v7
	s_mov_b32 s0, 0xc2ce8ed0
	v_cmp_ngt_f32_e64 s[0:1], s0, v10
	v_ldexp_f32 v6, v6, v7
	v_cndmask_b32_e64 v6, 0, v6, s[0:1]
	s_mov_b32 s0, 0x42b17218
	v_mov_b32_e32 v7, 0x7f800000
	v_cmp_nlt_f32_e64 s[0:1], s0, v10
	v_cndmask_b32_e64 v6, v7, v6, s[0:1]
	v_fma_mixlo_f16 v0, -v4, v6, v0
	global_store_short v[2:3], v0, off
.LBB263_7:
	s_or_b64 exec, exec, s[2:3]
	v_cmp_ne_u32_e64 s[0:1], 1, v8
	s_and_b64 exec, exec, s[0:1]
	s_cbranch_execz .LBB263_10
; %bb.8:
	s_and_b64 exec, exec, vcc
	s_cbranch_execz .LBB263_10
; %bb.9:
	v_mul_f32_e32 v0, 0x3fb8aa3b, v9
	s_mov_b32 s0, 0x3fb8aa3b
	v_rndne_f32_e32 v4, v0
	v_sub_f32_e32 v6, v0, v4
	v_fma_f32 v0, v9, s0, -v0
	v_fmac_f32_e32 v0, 0x32a5705f, v9
	v_add_f32_e32 v0, v6, v0
	v_exp_f32_e32 v0, v0
	v_cvt_i32_f32_e32 v4, v4
	s_mov_b32 s0, 0xc2ce8ed0
	v_cmp_ngt_f32_e32 vcc, s0, v9
	s_mov_b32 s0, 0x42b17218
	v_ldexp_f32 v0, v0, v4
	v_cndmask_b32_e32 v0, 0, v0, vcc
	v_mov_b32_e32 v4, 0x7f800000
	v_cmp_nlt_f32_e32 vcc, s0, v9
	v_cndmask_b32_e32 v0, v4, v0, vcc
	s_lshl_b64 s[0:1], s[10:11], 1
	v_fma_mixlo_f16 v4, -v5, v0, v1
	v_mov_b32_e32 v1, s1
	v_add_co_u32_e32 v0, vcc, s0, v2
	v_addc_co_u32_e32 v1, vcc, v3, v1, vcc
	global_store_short v[0:1], v4, off
.LBB263_10:
	s_endpgm
	.section	.rodata,"a",@progbits
	.p2align	6, 0x0
	.amdhsa_kernel _ZN12_GLOBAL__N_121softmax_warp_backwardIN3c104HalfES2_fLi5ELb1ELb0ELi32EEEvPT0_PKT_S7_iiiPKb
		.amdhsa_group_segment_fixed_size 0
		.amdhsa_private_segment_fixed_size 0
		.amdhsa_kernarg_size 304
		.amdhsa_user_sgpr_count 6
		.amdhsa_user_sgpr_private_segment_buffer 1
		.amdhsa_user_sgpr_dispatch_ptr 0
		.amdhsa_user_sgpr_queue_ptr 0
		.amdhsa_user_sgpr_kernarg_segment_ptr 1
		.amdhsa_user_sgpr_dispatch_id 0
		.amdhsa_user_sgpr_flat_scratch_init 0
		.amdhsa_user_sgpr_kernarg_preload_length 0
		.amdhsa_user_sgpr_kernarg_preload_offset 0
		.amdhsa_user_sgpr_private_segment_size 0
		.amdhsa_uses_dynamic_stack 0
		.amdhsa_system_sgpr_private_segment_wavefront_offset 0
		.amdhsa_system_sgpr_workgroup_id_x 1
		.amdhsa_system_sgpr_workgroup_id_y 0
		.amdhsa_system_sgpr_workgroup_id_z 0
		.amdhsa_system_sgpr_workgroup_info 0
		.amdhsa_system_vgpr_workitem_id 1
		.amdhsa_next_free_vgpr 14
		.amdhsa_next_free_sgpr 16
		.amdhsa_accum_offset 16
		.amdhsa_reserve_vcc 1
		.amdhsa_reserve_flat_scratch 0
		.amdhsa_float_round_mode_32 0
		.amdhsa_float_round_mode_16_64 0
		.amdhsa_float_denorm_mode_32 3
		.amdhsa_float_denorm_mode_16_64 3
		.amdhsa_dx10_clamp 1
		.amdhsa_ieee_mode 1
		.amdhsa_fp16_overflow 0
		.amdhsa_tg_split 0
		.amdhsa_exception_fp_ieee_invalid_op 0
		.amdhsa_exception_fp_denorm_src 0
		.amdhsa_exception_fp_ieee_div_zero 0
		.amdhsa_exception_fp_ieee_overflow 0
		.amdhsa_exception_fp_ieee_underflow 0
		.amdhsa_exception_fp_ieee_inexact 0
		.amdhsa_exception_int_div_zero 0
	.end_amdhsa_kernel
	.section	.text._ZN12_GLOBAL__N_121softmax_warp_backwardIN3c104HalfES2_fLi5ELb1ELb0ELi32EEEvPT0_PKT_S7_iiiPKb,"axG",@progbits,_ZN12_GLOBAL__N_121softmax_warp_backwardIN3c104HalfES2_fLi5ELb1ELb0ELi32EEEvPT0_PKT_S7_iiiPKb,comdat
.Lfunc_end263:
	.size	_ZN12_GLOBAL__N_121softmax_warp_backwardIN3c104HalfES2_fLi5ELb1ELb0ELi32EEEvPT0_PKT_S7_iiiPKb, .Lfunc_end263-_ZN12_GLOBAL__N_121softmax_warp_backwardIN3c104HalfES2_fLi5ELb1ELb0ELi32EEEvPT0_PKT_S7_iiiPKb
                                        ; -- End function
	.section	.AMDGPU.csdata,"",@progbits
; Kernel info:
; codeLenInByte = 916
; NumSgprs: 20
; NumVgprs: 14
; NumAgprs: 0
; TotalNumVgprs: 14
; ScratchSize: 0
; MemoryBound: 0
; FloatMode: 240
; IeeeMode: 1
; LDSByteSize: 0 bytes/workgroup (compile time only)
; SGPRBlocks: 2
; VGPRBlocks: 1
; NumSGPRsForWavesPerEU: 20
; NumVGPRsForWavesPerEU: 14
; AccumOffset: 16
; Occupancy: 8
; WaveLimiterHint : 0
; COMPUTE_PGM_RSRC2:SCRATCH_EN: 0
; COMPUTE_PGM_RSRC2:USER_SGPR: 6
; COMPUTE_PGM_RSRC2:TRAP_HANDLER: 0
; COMPUTE_PGM_RSRC2:TGID_X_EN: 1
; COMPUTE_PGM_RSRC2:TGID_Y_EN: 0
; COMPUTE_PGM_RSRC2:TGID_Z_EN: 0
; COMPUTE_PGM_RSRC2:TIDIG_COMP_CNT: 1
; COMPUTE_PGM_RSRC3_GFX90A:ACCUM_OFFSET: 3
; COMPUTE_PGM_RSRC3_GFX90A:TG_SPLIT: 0
	.section	.text._ZN12_GLOBAL__N_121softmax_warp_backwardIN3c104HalfES2_fLi6ELb1ELb0ELi64EEEvPT0_PKT_S7_iiiPKb,"axG",@progbits,_ZN12_GLOBAL__N_121softmax_warp_backwardIN3c104HalfES2_fLi6ELb1ELb0ELi64EEEvPT0_PKT_S7_iiiPKb,comdat
	.globl	_ZN12_GLOBAL__N_121softmax_warp_backwardIN3c104HalfES2_fLi6ELb1ELb0ELi64EEEvPT0_PKT_S7_iiiPKb ; -- Begin function _ZN12_GLOBAL__N_121softmax_warp_backwardIN3c104HalfES2_fLi6ELb1ELb0ELi64EEEvPT0_PKT_S7_iiiPKb
	.p2align	8
	.type	_ZN12_GLOBAL__N_121softmax_warp_backwardIN3c104HalfES2_fLi6ELb1ELb0ELi64EEEvPT0_PKT_S7_iiiPKb,@function
_ZN12_GLOBAL__N_121softmax_warp_backwardIN3c104HalfES2_fLi6ELb1ELb0ELi64EEEvPT0_PKT_S7_iiiPKb: ; @_ZN12_GLOBAL__N_121softmax_warp_backwardIN3c104HalfES2_fLi6ELb1ELb0ELi64EEEvPT0_PKT_S7_iiiPKb
; %bb.0:
	s_load_dword s2, s[4:5], 0x3c
	s_load_dwordx4 s[8:11], s[4:5], 0x18
	s_load_dwordx4 s[12:15], s[4:5], 0x0
	s_load_dwordx2 s[0:1], s[4:5], 0x10
	v_bfe_u32 v1, v0, 10, 10
	s_waitcnt lgkmcnt(0)
	s_lshr_b32 s2, s2, 16
	s_mul_i32 s6, s6, s2
	v_add_lshl_u32 v1, s6, v1, 1
	v_and_b32_e32 v0, 63, v0
	v_mad_u64_u32 v[2:3], s[2:3], v1, s9, v[0:1]
	v_ashrrev_i32_e32 v3, 31, v2
	v_lshlrev_b64 v[2:3], 1, v[2:3]
	v_sub_u32_e32 v8, s8, v1
	v_mov_b32_e32 v1, s15
	v_add_co_u32_e32 v4, vcc, s14, v2
	v_addc_co_u32_e32 v5, vcc, v1, v3, vcc
	v_mov_b32_e32 v1, s1
	v_add_co_u32_e32 v6, vcc, s0, v2
	v_addc_co_u32_e32 v7, vcc, v1, v3, vcc
	v_cmp_gt_i32_e32 vcc, s10, v0
	v_cmp_lt_i32_e64 s[0:1], 0, v8
	s_and_b64 s[4:5], vcc, s[0:1]
	v_mov_b32_e32 v1, 0
	v_mov_b32_e32 v0, 0
	;; [unrolled: 1-line block ×3, first 2 shown]
	s_and_saveexec_b64 s[2:3], s[4:5]
	s_cbranch_execz .LBB264_2
; %bb.1:
	global_load_ushort v0, v[4:5], off
	global_load_ushort v9, v[6:7], off
	s_waitcnt vmcnt(1)
	v_cvt_f32_f16_e32 v0, v0
	s_waitcnt vmcnt(0)
	v_cvt_f32_f16_e32 v10, v9
.LBB264_2:
	s_or_b64 exec, exec, s[2:3]
	v_cmp_lt_i32_e64 s[2:3], 1, v8
	s_and_b64 s[2:3], vcc, s[2:3]
	s_mov_b32 s11, 0
	v_mov_b32_e32 v9, 0
	s_and_saveexec_b64 s[4:5], s[2:3]
	s_cbranch_execz .LBB264_4
; %bb.3:
	s_lshl_b64 s[6:7], s[10:11], 1
	v_mov_b32_e32 v1, s7
	v_add_co_u32_e64 v4, s[2:3], s6, v4
	v_addc_co_u32_e64 v5, s[2:3], v5, v1, s[2:3]
	global_load_ushort v9, v[4:5], off
	v_add_co_u32_e64 v4, s[2:3], s6, v6
	v_addc_co_u32_e64 v5, s[2:3], v7, v1, s[2:3]
	global_load_ushort v4, v[4:5], off
	s_waitcnt vmcnt(1)
	v_cvt_f32_f16_e32 v1, v9
	s_waitcnt vmcnt(0)
	v_cvt_f32_f16_e32 v9, v4
.LBB264_4:
	s_or_b64 exec, exec, s[4:5]
	v_mbcnt_lo_u32_b32 v6, -1, 0
	v_mbcnt_hi_u32_b32 v11, -1, v6
	v_and_b32_e32 v6, 64, v11
	v_add_u32_e32 v12, 64, v6
	v_xor_b32_e32 v6, 32, v11
	v_cmp_lt_i32_e64 s[2:3], v6, v12
	v_cndmask_b32_e64 v6, v11, v6, s[2:3]
	v_pk_add_f32 v[4:5], v[0:1], 0 op_sel_hi:[1,0]
	v_lshlrev_b32_e32 v7, 2, v6
	ds_bpermute_b32 v6, v7, v4
	ds_bpermute_b32 v7, v7, v5
	v_xor_b32_e32 v13, 16, v11
	v_cmp_lt_i32_e64 s[2:3], v13, v12
	v_cndmask_b32_e64 v13, v11, v13, s[2:3]
	v_lshlrev_b32_e32 v13, 2, v13
	s_waitcnt lgkmcnt(0)
	v_pk_add_f32 v[4:5], v[4:5], v[6:7]
	ds_bpermute_b32 v6, v13, v4
	ds_bpermute_b32 v7, v13, v5
	v_xor_b32_e32 v13, 8, v11
	v_cmp_lt_i32_e64 s[2:3], v13, v12
	v_cndmask_b32_e64 v13, v11, v13, s[2:3]
	v_lshlrev_b32_e32 v13, 2, v13
	s_waitcnt lgkmcnt(0)
	v_pk_add_f32 v[4:5], v[4:5], v[6:7]
	;; [unrolled: 8-line block ×5, first 2 shown]
	ds_bpermute_b32 v6, v11, v4
	ds_bpermute_b32 v7, v11, v5
	s_and_saveexec_b64 s[2:3], s[0:1]
	s_cbranch_execz .LBB264_10
; %bb.5:
	v_mov_b32_e32 v11, s13
	v_add_co_u32_e64 v2, s[0:1], s12, v2
	v_addc_co_u32_e64 v3, s[0:1], v11, v3, s[0:1]
	s_waitcnt lgkmcnt(0)
	v_pk_add_f32 v[4:5], v[4:5], v[6:7]
	s_and_saveexec_b64 s[2:3], vcc
	s_cbranch_execz .LBB264_7
; %bb.6:
	v_mul_f32_e32 v6, 0x3fb8aa3b, v10
	s_mov_b32 s0, 0x3fb8aa3b
	v_rndne_f32_e32 v7, v6
	v_sub_f32_e32 v11, v6, v7
	v_fma_f32 v6, v10, s0, -v6
	v_fmac_f32_e32 v6, 0x32a5705f, v10
	v_add_f32_e32 v6, v11, v6
	v_exp_f32_e32 v6, v6
	v_cvt_i32_f32_e32 v7, v7
	s_mov_b32 s0, 0xc2ce8ed0
	v_cmp_ngt_f32_e64 s[0:1], s0, v10
	v_ldexp_f32 v6, v6, v7
	v_cndmask_b32_e64 v6, 0, v6, s[0:1]
	s_mov_b32 s0, 0x42b17218
	v_mov_b32_e32 v7, 0x7f800000
	v_cmp_nlt_f32_e64 s[0:1], s0, v10
	v_cndmask_b32_e64 v6, v7, v6, s[0:1]
	v_fma_mixlo_f16 v0, -v4, v6, v0
	global_store_short v[2:3], v0, off
.LBB264_7:
	s_or_b64 exec, exec, s[2:3]
	v_cmp_ne_u32_e64 s[0:1], 1, v8
	s_and_b64 exec, exec, s[0:1]
	s_cbranch_execz .LBB264_10
; %bb.8:
	s_and_b64 exec, exec, vcc
	s_cbranch_execz .LBB264_10
; %bb.9:
	v_mul_f32_e32 v0, 0x3fb8aa3b, v9
	s_mov_b32 s0, 0x3fb8aa3b
	v_rndne_f32_e32 v4, v0
	v_sub_f32_e32 v6, v0, v4
	v_fma_f32 v0, v9, s0, -v0
	v_fmac_f32_e32 v0, 0x32a5705f, v9
	v_add_f32_e32 v0, v6, v0
	v_exp_f32_e32 v0, v0
	v_cvt_i32_f32_e32 v4, v4
	s_mov_b32 s0, 0xc2ce8ed0
	v_cmp_ngt_f32_e32 vcc, s0, v9
	s_mov_b32 s0, 0x42b17218
	v_ldexp_f32 v0, v0, v4
	v_cndmask_b32_e32 v0, 0, v0, vcc
	v_mov_b32_e32 v4, 0x7f800000
	v_cmp_nlt_f32_e32 vcc, s0, v9
	v_cndmask_b32_e32 v0, v4, v0, vcc
	s_lshl_b64 s[0:1], s[10:11], 1
	v_fma_mixlo_f16 v4, -v5, v0, v1
	v_mov_b32_e32 v1, s1
	v_add_co_u32_e32 v0, vcc, s0, v2
	v_addc_co_u32_e32 v1, vcc, v3, v1, vcc
	global_store_short v[0:1], v4, off
.LBB264_10:
	s_endpgm
	.section	.rodata,"a",@progbits
	.p2align	6, 0x0
	.amdhsa_kernel _ZN12_GLOBAL__N_121softmax_warp_backwardIN3c104HalfES2_fLi6ELb1ELb0ELi64EEEvPT0_PKT_S7_iiiPKb
		.amdhsa_group_segment_fixed_size 0
		.amdhsa_private_segment_fixed_size 0
		.amdhsa_kernarg_size 304
		.amdhsa_user_sgpr_count 6
		.amdhsa_user_sgpr_private_segment_buffer 1
		.amdhsa_user_sgpr_dispatch_ptr 0
		.amdhsa_user_sgpr_queue_ptr 0
		.amdhsa_user_sgpr_kernarg_segment_ptr 1
		.amdhsa_user_sgpr_dispatch_id 0
		.amdhsa_user_sgpr_flat_scratch_init 0
		.amdhsa_user_sgpr_kernarg_preload_length 0
		.amdhsa_user_sgpr_kernarg_preload_offset 0
		.amdhsa_user_sgpr_private_segment_size 0
		.amdhsa_uses_dynamic_stack 0
		.amdhsa_system_sgpr_private_segment_wavefront_offset 0
		.amdhsa_system_sgpr_workgroup_id_x 1
		.amdhsa_system_sgpr_workgroup_id_y 0
		.amdhsa_system_sgpr_workgroup_id_z 0
		.amdhsa_system_sgpr_workgroup_info 0
		.amdhsa_system_vgpr_workitem_id 1
		.amdhsa_next_free_vgpr 14
		.amdhsa_next_free_sgpr 16
		.amdhsa_accum_offset 16
		.amdhsa_reserve_vcc 1
		.amdhsa_reserve_flat_scratch 0
		.amdhsa_float_round_mode_32 0
		.amdhsa_float_round_mode_16_64 0
		.amdhsa_float_denorm_mode_32 3
		.amdhsa_float_denorm_mode_16_64 3
		.amdhsa_dx10_clamp 1
		.amdhsa_ieee_mode 1
		.amdhsa_fp16_overflow 0
		.amdhsa_tg_split 0
		.amdhsa_exception_fp_ieee_invalid_op 0
		.amdhsa_exception_fp_denorm_src 0
		.amdhsa_exception_fp_ieee_div_zero 0
		.amdhsa_exception_fp_ieee_overflow 0
		.amdhsa_exception_fp_ieee_underflow 0
		.amdhsa_exception_fp_ieee_inexact 0
		.amdhsa_exception_int_div_zero 0
	.end_amdhsa_kernel
	.section	.text._ZN12_GLOBAL__N_121softmax_warp_backwardIN3c104HalfES2_fLi6ELb1ELb0ELi64EEEvPT0_PKT_S7_iiiPKb,"axG",@progbits,_ZN12_GLOBAL__N_121softmax_warp_backwardIN3c104HalfES2_fLi6ELb1ELb0ELi64EEEvPT0_PKT_S7_iiiPKb,comdat
.Lfunc_end264:
	.size	_ZN12_GLOBAL__N_121softmax_warp_backwardIN3c104HalfES2_fLi6ELb1ELb0ELi64EEEvPT0_PKT_S7_iiiPKb, .Lfunc_end264-_ZN12_GLOBAL__N_121softmax_warp_backwardIN3c104HalfES2_fLi6ELb1ELb0ELi64EEEvPT0_PKT_S7_iiiPKb
                                        ; -- End function
	.section	.AMDGPU.csdata,"",@progbits
; Kernel info:
; codeLenInByte = 964
; NumSgprs: 20
; NumVgprs: 14
; NumAgprs: 0
; TotalNumVgprs: 14
; ScratchSize: 0
; MemoryBound: 0
; FloatMode: 240
; IeeeMode: 1
; LDSByteSize: 0 bytes/workgroup (compile time only)
; SGPRBlocks: 2
; VGPRBlocks: 1
; NumSGPRsForWavesPerEU: 20
; NumVGPRsForWavesPerEU: 14
; AccumOffset: 16
; Occupancy: 8
; WaveLimiterHint : 0
; COMPUTE_PGM_RSRC2:SCRATCH_EN: 0
; COMPUTE_PGM_RSRC2:USER_SGPR: 6
; COMPUTE_PGM_RSRC2:TRAP_HANDLER: 0
; COMPUTE_PGM_RSRC2:TGID_X_EN: 1
; COMPUTE_PGM_RSRC2:TGID_Y_EN: 0
; COMPUTE_PGM_RSRC2:TGID_Z_EN: 0
; COMPUTE_PGM_RSRC2:TIDIG_COMP_CNT: 1
; COMPUTE_PGM_RSRC3_GFX90A:ACCUM_OFFSET: 3
; COMPUTE_PGM_RSRC3_GFX90A:TG_SPLIT: 0
	.section	.text._ZN12_GLOBAL__N_121softmax_warp_backwardIN3c104HalfES2_fLi6ELb1ELb0ELi32EEEvPT0_PKT_S7_iiiPKb,"axG",@progbits,_ZN12_GLOBAL__N_121softmax_warp_backwardIN3c104HalfES2_fLi6ELb1ELb0ELi32EEEvPT0_PKT_S7_iiiPKb,comdat
	.globl	_ZN12_GLOBAL__N_121softmax_warp_backwardIN3c104HalfES2_fLi6ELb1ELb0ELi32EEEvPT0_PKT_S7_iiiPKb ; -- Begin function _ZN12_GLOBAL__N_121softmax_warp_backwardIN3c104HalfES2_fLi6ELb1ELb0ELi32EEEvPT0_PKT_S7_iiiPKb
	.p2align	8
	.type	_ZN12_GLOBAL__N_121softmax_warp_backwardIN3c104HalfES2_fLi6ELb1ELb0ELi32EEEvPT0_PKT_S7_iiiPKb,@function
_ZN12_GLOBAL__N_121softmax_warp_backwardIN3c104HalfES2_fLi6ELb1ELb0ELi32EEEvPT0_PKT_S7_iiiPKb: ; @_ZN12_GLOBAL__N_121softmax_warp_backwardIN3c104HalfES2_fLi6ELb1ELb0ELi32EEEvPT0_PKT_S7_iiiPKb
; %bb.0:
	s_load_dword s2, s[4:5], 0x3c
	s_load_dwordx4 s[8:11], s[4:5], 0x18
	s_load_dwordx4 s[12:15], s[4:5], 0x0
	s_load_dwordx2 s[0:1], s[4:5], 0x10
	v_bfe_u32 v1, v0, 10, 10
	s_waitcnt lgkmcnt(0)
	s_lshr_b32 s2, s2, 16
	s_mul_i32 s6, s6, s2
	v_add_lshl_u32 v1, s6, v1, 1
	v_sub_u32_e32 v11, s8, v1
	v_and_b32_e32 v10, 31, v0
	v_mad_u64_u32 v[0:1], s[2:3], v1, s9, v[10:11]
	v_ashrrev_i32_e32 v1, 31, v0
	v_lshlrev_b64 v[4:5], 1, v[0:1]
	v_mov_b32_e32 v0, s15
	v_add_co_u32_e32 v6, vcc, s14, v4
	v_addc_co_u32_e32 v7, vcc, v0, v5, vcc
	v_mov_b32_e32 v0, s1
	v_add_co_u32_e32 v8, vcc, s0, v4
	v_cmp_lt_i32_e64 s[2:3], 0, v11
	v_cmp_gt_i32_e64 s[0:1], s10, v10
	v_addc_co_u32_e32 v9, vcc, v0, v5, vcc
	s_and_b64 s[6:7], s[2:3], s[0:1]
	v_mov_b32_e32 v0, 0
	v_mov_b32_e32 v2, 0
	;; [unrolled: 1-line block ×3, first 2 shown]
	s_and_saveexec_b64 s[4:5], s[6:7]
	s_cbranch_execz .LBB265_2
; %bb.1:
	global_load_ushort v1, v[6:7], off
	global_load_ushort v3, v[8:9], off
	s_waitcnt vmcnt(1)
	v_cvt_f32_f16_e32 v2, v1
	s_waitcnt vmcnt(0)
	v_cvt_f32_f16_e32 v14, v3
.LBB265_2:
	s_or_b64 exec, exec, s[4:5]
	v_or_b32_e32 v1, 32, v10
	v_cmp_gt_i32_e32 vcc, s10, v1
	s_and_b64 s[6:7], s[2:3], vcc
	v_mov_b32_e32 v13, 0
	s_and_saveexec_b64 s[4:5], s[6:7]
	s_cbranch_execz .LBB265_4
; %bb.3:
	global_load_ushort v0, v[6:7], off offset:64
	global_load_ushort v1, v[8:9], off offset:64
	s_waitcnt vmcnt(1)
	v_cvt_f32_f16_e32 v0, v0
	s_waitcnt vmcnt(0)
	v_cvt_f32_f16_e32 v13, v1
.LBB265_4:
	s_or_b64 exec, exec, s[4:5]
	v_cmp_lt_i32_e64 s[4:5], 1, v11
	s_and_b64 s[6:7], s[4:5], s[0:1]
	s_mov_b32 s11, 0
	v_mov_b32_e32 v1, 0
	v_mov_b32_e32 v3, 0
	;; [unrolled: 1-line block ×3, first 2 shown]
	s_and_saveexec_b64 s[8:9], s[6:7]
	s_cbranch_execz .LBB265_6
; %bb.5:
	s_lshl_b64 s[14:15], s[10:11], 1
	v_mov_b32_e32 v3, s15
	v_add_co_u32_e64 v16, s[6:7], s14, v6
	v_addc_co_u32_e64 v17, s[6:7], v7, v3, s[6:7]
	global_load_ushort v10, v[16:17], off
	v_add_co_u32_e64 v16, s[6:7], s14, v8
	v_addc_co_u32_e64 v17, s[6:7], v9, v3, s[6:7]
	global_load_ushort v12, v[16:17], off
	s_waitcnt vmcnt(1)
	v_cvt_f32_f16_e32 v3, v10
	s_waitcnt vmcnt(0)
	v_cvt_f32_f16_e32 v12, v12
.LBB265_6:
	s_or_b64 exec, exec, s[8:9]
	s_and_b64 s[4:5], s[4:5], vcc
	v_mov_b32_e32 v10, 0
	s_and_saveexec_b64 s[6:7], s[4:5]
	s_cbranch_execz .LBB265_8
; %bb.7:
	s_lshl_b64 s[8:9], s[10:11], 1
	v_mov_b32_e32 v1, s9
	v_add_co_u32_e64 v6, s[4:5], s8, v6
	v_addc_co_u32_e64 v7, s[4:5], v7, v1, s[4:5]
	global_load_ushort v10, v[6:7], off offset:64
	v_add_co_u32_e64 v6, s[4:5], s8, v8
	v_addc_co_u32_e64 v7, s[4:5], v9, v1, s[4:5]
	global_load_ushort v6, v[6:7], off offset:64
	s_waitcnt vmcnt(1)
	v_cvt_f32_f16_e32 v1, v10
	s_waitcnt vmcnt(0)
	v_cvt_f32_f16_e32 v10, v6
.LBB265_8:
	s_or_b64 exec, exec, s[6:7]
	v_mbcnt_lo_u32_b32 v8, -1, 0
	v_mbcnt_hi_u32_b32 v15, -1, v8
	v_and_b32_e32 v8, 0x60, v15
	v_add_u32_e32 v16, 32, v8
	v_xor_b32_e32 v8, 16, v15
	v_cmp_lt_i32_e64 s[4:5], v8, v16
	v_pk_add_f32 v[6:7], v[2:3], 0 op_sel_hi:[1,0]
	v_cndmask_b32_e64 v8, v15, v8, s[4:5]
	v_lshlrev_b32_e32 v9, 2, v8
	v_pk_add_f32 v[6:7], v[6:7], v[0:1]
	ds_bpermute_b32 v8, v9, v6
	ds_bpermute_b32 v9, v9, v7
	v_xor_b32_e32 v17, 8, v15
	v_cmp_lt_i32_e64 s[4:5], v17, v16
	v_cndmask_b32_e64 v17, v15, v17, s[4:5]
	v_lshlrev_b32_e32 v17, 2, v17
	s_waitcnt lgkmcnt(0)
	v_pk_add_f32 v[6:7], v[6:7], v[8:9]
	ds_bpermute_b32 v8, v17, v6
	ds_bpermute_b32 v9, v17, v7
	v_xor_b32_e32 v17, 4, v15
	v_cmp_lt_i32_e64 s[4:5], v17, v16
	v_cndmask_b32_e64 v17, v15, v17, s[4:5]
	v_lshlrev_b32_e32 v17, 2, v17
	s_waitcnt lgkmcnt(0)
	;; [unrolled: 8-line block ×4, first 2 shown]
	v_pk_add_f32 v[6:7], v[6:7], v[8:9]
	ds_bpermute_b32 v8, v15, v6
	ds_bpermute_b32 v9, v15, v7
	s_and_saveexec_b64 s[4:5], s[2:3]
	s_cbranch_execz .LBB265_12
; %bb.9:
	v_mov_b32_e32 v15, s13
	v_add_co_u32_e64 v4, s[2:3], s12, v4
	v_addc_co_u32_e64 v5, s[2:3], v15, v5, s[2:3]
	s_waitcnt lgkmcnt(0)
	v_pk_add_f32 v[6:7], v[6:7], v[8:9]
	s_and_saveexec_b64 s[4:5], s[0:1]
	s_cbranch_execnz .LBB265_13
; %bb.10:
	s_or_b64 exec, exec, s[4:5]
	s_and_saveexec_b64 s[4:5], vcc
	s_cbranch_execnz .LBB265_14
.LBB265_11:
	s_or_b64 exec, exec, s[4:5]
	v_cmp_ne_u32_e64 s[2:3], 1, v11
	s_and_b64 exec, exec, s[2:3]
	s_cbranch_execnz .LBB265_15
.LBB265_12:
	s_endpgm
.LBB265_13:
	v_mul_f32_e32 v8, 0x3fb8aa3b, v14
	s_mov_b32 s2, 0x3fb8aa3b
	v_rndne_f32_e32 v9, v8
	v_sub_f32_e32 v15, v8, v9
	v_fma_f32 v8, v14, s2, -v8
	v_fmac_f32_e32 v8, 0x32a5705f, v14
	v_add_f32_e32 v8, v15, v8
	v_exp_f32_e32 v8, v8
	v_cvt_i32_f32_e32 v9, v9
	s_mov_b32 s2, 0xc2ce8ed0
	v_cmp_ngt_f32_e64 s[2:3], s2, v14
	v_ldexp_f32 v8, v8, v9
	v_cndmask_b32_e64 v8, 0, v8, s[2:3]
	s_mov_b32 s2, 0x42b17218
	v_mov_b32_e32 v9, 0x7f800000
	v_cmp_nlt_f32_e64 s[2:3], s2, v14
	v_cndmask_b32_e64 v8, v9, v8, s[2:3]
	v_fma_mixlo_f16 v2, -v6, v8, v2
	global_store_short v[4:5], v2, off
	s_or_b64 exec, exec, s[4:5]
	s_and_saveexec_b64 s[4:5], vcc
	s_cbranch_execz .LBB265_11
.LBB265_14:
	v_mul_f32_e32 v2, 0x3fb8aa3b, v13
	s_mov_b32 s2, 0x3fb8aa3b
	v_rndne_f32_e32 v8, v2
	v_sub_f32_e32 v9, v2, v8
	v_fma_f32 v2, v13, s2, -v2
	v_fmac_f32_e32 v2, 0x32a5705f, v13
	v_add_f32_e32 v2, v9, v2
	v_exp_f32_e32 v2, v2
	v_cvt_i32_f32_e32 v8, v8
	s_mov_b32 s2, 0xc2ce8ed0
	v_cmp_ngt_f32_e64 s[2:3], s2, v13
	v_ldexp_f32 v2, v2, v8
	v_cndmask_b32_e64 v2, 0, v2, s[2:3]
	s_mov_b32 s2, 0x42b17218
	v_mov_b32_e32 v8, 0x7f800000
	v_cmp_nlt_f32_e64 s[2:3], s2, v13
	v_cndmask_b32_e64 v2, v8, v2, s[2:3]
	v_fma_mixlo_f16 v0, -v6, v2, v0
	global_store_short v[4:5], v0, off offset:64
	s_or_b64 exec, exec, s[4:5]
	v_cmp_ne_u32_e64 s[2:3], 1, v11
	s_and_b64 exec, exec, s[2:3]
	s_cbranch_execz .LBB265_12
.LBB265_15:
	s_and_saveexec_b64 s[2:3], s[0:1]
	s_cbranch_execz .LBB265_17
; %bb.16:
	v_mul_f32_e32 v0, 0x3fb8aa3b, v12
	s_mov_b32 s0, 0x3fb8aa3b
	v_rndne_f32_e32 v2, v0
	v_sub_f32_e32 v6, v0, v2
	v_fma_f32 v0, v12, s0, -v0
	v_fmac_f32_e32 v0, 0x32a5705f, v12
	v_add_f32_e32 v0, v6, v0
	v_exp_f32_e32 v0, v0
	v_cvt_i32_f32_e32 v2, v2
	s_mov_b32 s0, 0xc2ce8ed0
	v_cmp_ngt_f32_e64 s[0:1], s0, v12
	v_ldexp_f32 v0, v0, v2
	v_cndmask_b32_e64 v0, 0, v0, s[0:1]
	s_mov_b32 s0, 0x42b17218
	v_mov_b32_e32 v2, 0x7f800000
	v_cmp_nlt_f32_e64 s[0:1], s0, v12
	v_cndmask_b32_e64 v0, v2, v0, s[0:1]
	s_lshl_b64 s[0:1], s[10:11], 1
	v_fma_mixlo_f16 v0, -v7, v0, v3
	v_mov_b32_e32 v3, s1
	v_add_co_u32_e64 v2, s[0:1], s0, v4
	v_addc_co_u32_e64 v3, s[0:1], v5, v3, s[0:1]
	global_store_short v[2:3], v0, off
.LBB265_17:
	s_or_b64 exec, exec, s[2:3]
	s_and_b64 exec, exec, vcc
	s_cbranch_execz .LBB265_12
; %bb.18:
	v_mul_f32_e32 v0, 0x3fb8aa3b, v10
	s_mov_b32 s0, 0x3fb8aa3b
	v_rndne_f32_e32 v2, v0
	v_sub_f32_e32 v3, v0, v2
	v_fma_f32 v0, v10, s0, -v0
	v_fmac_f32_e32 v0, 0x32a5705f, v10
	v_add_f32_e32 v0, v3, v0
	v_exp_f32_e32 v0, v0
	v_cvt_i32_f32_e32 v2, v2
	s_mov_b32 s0, 0xc2ce8ed0
	v_cmp_ngt_f32_e32 vcc, s0, v10
	s_mov_b32 s0, 0x42b17218
	v_ldexp_f32 v0, v0, v2
	v_cndmask_b32_e32 v0, 0, v0, vcc
	v_mov_b32_e32 v2, 0x7f800000
	v_cmp_nlt_f32_e32 vcc, s0, v10
	s_ashr_i32 s11, s10, 31
	v_cndmask_b32_e32 v0, v2, v0, vcc
	s_lshl_b64 s[0:1], s[10:11], 1
	v_fma_mixlo_f16 v2, -v7, v0, v1
	v_mov_b32_e32 v1, s1
	v_add_co_u32_e32 v0, vcc, s0, v4
	v_addc_co_u32_e32 v1, vcc, v5, v1, vcc
	global_store_short v[0:1], v2, off offset:64
	s_endpgm
	.section	.rodata,"a",@progbits
	.p2align	6, 0x0
	.amdhsa_kernel _ZN12_GLOBAL__N_121softmax_warp_backwardIN3c104HalfES2_fLi6ELb1ELb0ELi32EEEvPT0_PKT_S7_iiiPKb
		.amdhsa_group_segment_fixed_size 0
		.amdhsa_private_segment_fixed_size 0
		.amdhsa_kernarg_size 304
		.amdhsa_user_sgpr_count 6
		.amdhsa_user_sgpr_private_segment_buffer 1
		.amdhsa_user_sgpr_dispatch_ptr 0
		.amdhsa_user_sgpr_queue_ptr 0
		.amdhsa_user_sgpr_kernarg_segment_ptr 1
		.amdhsa_user_sgpr_dispatch_id 0
		.amdhsa_user_sgpr_flat_scratch_init 0
		.amdhsa_user_sgpr_kernarg_preload_length 0
		.amdhsa_user_sgpr_kernarg_preload_offset 0
		.amdhsa_user_sgpr_private_segment_size 0
		.amdhsa_uses_dynamic_stack 0
		.amdhsa_system_sgpr_private_segment_wavefront_offset 0
		.amdhsa_system_sgpr_workgroup_id_x 1
		.amdhsa_system_sgpr_workgroup_id_y 0
		.amdhsa_system_sgpr_workgroup_id_z 0
		.amdhsa_system_sgpr_workgroup_info 0
		.amdhsa_system_vgpr_workitem_id 1
		.amdhsa_next_free_vgpr 18
		.amdhsa_next_free_sgpr 16
		.amdhsa_accum_offset 20
		.amdhsa_reserve_vcc 1
		.amdhsa_reserve_flat_scratch 0
		.amdhsa_float_round_mode_32 0
		.amdhsa_float_round_mode_16_64 0
		.amdhsa_float_denorm_mode_32 3
		.amdhsa_float_denorm_mode_16_64 3
		.amdhsa_dx10_clamp 1
		.amdhsa_ieee_mode 1
		.amdhsa_fp16_overflow 0
		.amdhsa_tg_split 0
		.amdhsa_exception_fp_ieee_invalid_op 0
		.amdhsa_exception_fp_denorm_src 0
		.amdhsa_exception_fp_ieee_div_zero 0
		.amdhsa_exception_fp_ieee_overflow 0
		.amdhsa_exception_fp_ieee_underflow 0
		.amdhsa_exception_fp_ieee_inexact 0
		.amdhsa_exception_int_div_zero 0
	.end_amdhsa_kernel
	.section	.text._ZN12_GLOBAL__N_121softmax_warp_backwardIN3c104HalfES2_fLi6ELb1ELb0ELi32EEEvPT0_PKT_S7_iiiPKb,"axG",@progbits,_ZN12_GLOBAL__N_121softmax_warp_backwardIN3c104HalfES2_fLi6ELb1ELb0ELi32EEEvPT0_PKT_S7_iiiPKb,comdat
.Lfunc_end265:
	.size	_ZN12_GLOBAL__N_121softmax_warp_backwardIN3c104HalfES2_fLi6ELb1ELb0ELi32EEEvPT0_PKT_S7_iiiPKb, .Lfunc_end265-_ZN12_GLOBAL__N_121softmax_warp_backwardIN3c104HalfES2_fLi6ELb1ELb0ELi32EEEvPT0_PKT_S7_iiiPKb
                                        ; -- End function
	.section	.AMDGPU.csdata,"",@progbits
; Kernel info:
; codeLenInByte = 1440
; NumSgprs: 20
; NumVgprs: 18
; NumAgprs: 0
; TotalNumVgprs: 18
; ScratchSize: 0
; MemoryBound: 0
; FloatMode: 240
; IeeeMode: 1
; LDSByteSize: 0 bytes/workgroup (compile time only)
; SGPRBlocks: 2
; VGPRBlocks: 2
; NumSGPRsForWavesPerEU: 20
; NumVGPRsForWavesPerEU: 18
; AccumOffset: 20
; Occupancy: 8
; WaveLimiterHint : 0
; COMPUTE_PGM_RSRC2:SCRATCH_EN: 0
; COMPUTE_PGM_RSRC2:USER_SGPR: 6
; COMPUTE_PGM_RSRC2:TRAP_HANDLER: 0
; COMPUTE_PGM_RSRC2:TGID_X_EN: 1
; COMPUTE_PGM_RSRC2:TGID_Y_EN: 0
; COMPUTE_PGM_RSRC2:TGID_Z_EN: 0
; COMPUTE_PGM_RSRC2:TIDIG_COMP_CNT: 1
; COMPUTE_PGM_RSRC3_GFX90A:ACCUM_OFFSET: 4
; COMPUTE_PGM_RSRC3_GFX90A:TG_SPLIT: 0
	.section	.text._ZN12_GLOBAL__N_121softmax_warp_backwardIN3c104HalfES2_fLi7ELb1ELb0ELi64EEEvPT0_PKT_S7_iiiPKb,"axG",@progbits,_ZN12_GLOBAL__N_121softmax_warp_backwardIN3c104HalfES2_fLi7ELb1ELb0ELi64EEEvPT0_PKT_S7_iiiPKb,comdat
	.globl	_ZN12_GLOBAL__N_121softmax_warp_backwardIN3c104HalfES2_fLi7ELb1ELb0ELi64EEEvPT0_PKT_S7_iiiPKb ; -- Begin function _ZN12_GLOBAL__N_121softmax_warp_backwardIN3c104HalfES2_fLi7ELb1ELb0ELi64EEEvPT0_PKT_S7_iiiPKb
	.p2align	8
	.type	_ZN12_GLOBAL__N_121softmax_warp_backwardIN3c104HalfES2_fLi7ELb1ELb0ELi64EEEvPT0_PKT_S7_iiiPKb,@function
_ZN12_GLOBAL__N_121softmax_warp_backwardIN3c104HalfES2_fLi7ELb1ELb0ELi64EEEvPT0_PKT_S7_iiiPKb: ; @_ZN12_GLOBAL__N_121softmax_warp_backwardIN3c104HalfES2_fLi7ELb1ELb0ELi64EEEvPT0_PKT_S7_iiiPKb
; %bb.0:
	s_load_dword s2, s[4:5], 0x3c
	s_load_dwordx4 s[8:11], s[4:5], 0x18
	s_load_dwordx4 s[12:15], s[4:5], 0x0
	s_load_dwordx2 s[0:1], s[4:5], 0x10
	v_bfe_u32 v1, v0, 10, 10
	s_waitcnt lgkmcnt(0)
	s_lshr_b32 s2, s2, 16
	s_mul_i32 s6, s6, s2
	v_add_lshl_u32 v1, s6, v1, 1
	v_sub_u32_e32 v11, s8, v1
	v_and_b32_e32 v10, 63, v0
	v_mad_u64_u32 v[0:1], s[2:3], v1, s9, v[10:11]
	v_ashrrev_i32_e32 v1, 31, v0
	v_lshlrev_b64 v[4:5], 1, v[0:1]
	v_mov_b32_e32 v0, s15
	v_add_co_u32_e32 v6, vcc, s14, v4
	v_addc_co_u32_e32 v7, vcc, v0, v5, vcc
	v_mov_b32_e32 v0, s1
	v_add_co_u32_e32 v8, vcc, s0, v4
	v_cmp_lt_i32_e64 s[2:3], 0, v11
	v_cmp_gt_i32_e64 s[0:1], s10, v10
	v_addc_co_u32_e32 v9, vcc, v0, v5, vcc
	s_and_b64 s[6:7], s[2:3], s[0:1]
	v_mov_b32_e32 v0, 0
	v_mov_b32_e32 v2, 0
	;; [unrolled: 1-line block ×3, first 2 shown]
	s_and_saveexec_b64 s[4:5], s[6:7]
	s_cbranch_execz .LBB266_2
; %bb.1:
	global_load_ushort v1, v[6:7], off
	global_load_ushort v3, v[8:9], off
	s_waitcnt vmcnt(1)
	v_cvt_f32_f16_e32 v2, v1
	s_waitcnt vmcnt(0)
	v_cvt_f32_f16_e32 v14, v3
.LBB266_2:
	s_or_b64 exec, exec, s[4:5]
	v_or_b32_e32 v1, 64, v10
	v_cmp_gt_i32_e32 vcc, s10, v1
	s_and_b64 s[6:7], s[2:3], vcc
	v_mov_b32_e32 v13, 0
	s_and_saveexec_b64 s[4:5], s[6:7]
	s_cbranch_execz .LBB266_4
; %bb.3:
	global_load_ushort v0, v[6:7], off offset:128
	global_load_ushort v1, v[8:9], off offset:128
	s_waitcnt vmcnt(1)
	v_cvt_f32_f16_e32 v0, v0
	s_waitcnt vmcnt(0)
	v_cvt_f32_f16_e32 v13, v1
.LBB266_4:
	s_or_b64 exec, exec, s[4:5]
	v_cmp_lt_i32_e64 s[4:5], 1, v11
	s_and_b64 s[6:7], s[4:5], s[0:1]
	s_mov_b32 s11, 0
	v_mov_b32_e32 v1, 0
	v_mov_b32_e32 v3, 0
	;; [unrolled: 1-line block ×3, first 2 shown]
	s_and_saveexec_b64 s[8:9], s[6:7]
	s_cbranch_execz .LBB266_6
; %bb.5:
	s_lshl_b64 s[14:15], s[10:11], 1
	v_mov_b32_e32 v3, s15
	v_add_co_u32_e64 v16, s[6:7], s14, v6
	v_addc_co_u32_e64 v17, s[6:7], v7, v3, s[6:7]
	global_load_ushort v10, v[16:17], off
	v_add_co_u32_e64 v16, s[6:7], s14, v8
	v_addc_co_u32_e64 v17, s[6:7], v9, v3, s[6:7]
	global_load_ushort v12, v[16:17], off
	s_waitcnt vmcnt(1)
	v_cvt_f32_f16_e32 v3, v10
	s_waitcnt vmcnt(0)
	v_cvt_f32_f16_e32 v12, v12
.LBB266_6:
	s_or_b64 exec, exec, s[8:9]
	s_and_b64 s[4:5], s[4:5], vcc
	v_mov_b32_e32 v10, 0
	s_and_saveexec_b64 s[6:7], s[4:5]
	s_cbranch_execz .LBB266_8
; %bb.7:
	s_lshl_b64 s[8:9], s[10:11], 1
	v_mov_b32_e32 v1, s9
	v_add_co_u32_e64 v6, s[4:5], s8, v6
	v_addc_co_u32_e64 v7, s[4:5], v7, v1, s[4:5]
	global_load_ushort v10, v[6:7], off offset:128
	v_add_co_u32_e64 v6, s[4:5], s8, v8
	v_addc_co_u32_e64 v7, s[4:5], v9, v1, s[4:5]
	global_load_ushort v6, v[6:7], off offset:128
	s_waitcnt vmcnt(1)
	v_cvt_f32_f16_e32 v1, v10
	s_waitcnt vmcnt(0)
	v_cvt_f32_f16_e32 v10, v6
.LBB266_8:
	s_or_b64 exec, exec, s[6:7]
	v_mbcnt_lo_u32_b32 v8, -1, 0
	v_mbcnt_hi_u32_b32 v15, -1, v8
	v_and_b32_e32 v8, 64, v15
	v_add_u32_e32 v16, 64, v8
	v_xor_b32_e32 v8, 32, v15
	v_cmp_lt_i32_e64 s[4:5], v8, v16
	v_pk_add_f32 v[6:7], v[2:3], 0 op_sel_hi:[1,0]
	v_cndmask_b32_e64 v8, v15, v8, s[4:5]
	v_lshlrev_b32_e32 v9, 2, v8
	v_pk_add_f32 v[6:7], v[6:7], v[0:1]
	ds_bpermute_b32 v8, v9, v6
	ds_bpermute_b32 v9, v9, v7
	v_xor_b32_e32 v17, 16, v15
	v_cmp_lt_i32_e64 s[4:5], v17, v16
	v_cndmask_b32_e64 v17, v15, v17, s[4:5]
	v_lshlrev_b32_e32 v17, 2, v17
	s_waitcnt lgkmcnt(0)
	v_pk_add_f32 v[6:7], v[6:7], v[8:9]
	ds_bpermute_b32 v8, v17, v6
	ds_bpermute_b32 v9, v17, v7
	v_xor_b32_e32 v17, 8, v15
	v_cmp_lt_i32_e64 s[4:5], v17, v16
	v_cndmask_b32_e64 v17, v15, v17, s[4:5]
	v_lshlrev_b32_e32 v17, 2, v17
	s_waitcnt lgkmcnt(0)
	;; [unrolled: 8-line block ×5, first 2 shown]
	v_pk_add_f32 v[6:7], v[6:7], v[8:9]
	ds_bpermute_b32 v8, v15, v6
	ds_bpermute_b32 v9, v15, v7
	s_and_saveexec_b64 s[4:5], s[2:3]
	s_cbranch_execz .LBB266_12
; %bb.9:
	v_mov_b32_e32 v15, s13
	v_add_co_u32_e64 v4, s[2:3], s12, v4
	v_addc_co_u32_e64 v5, s[2:3], v15, v5, s[2:3]
	s_waitcnt lgkmcnt(0)
	v_pk_add_f32 v[6:7], v[6:7], v[8:9]
	s_and_saveexec_b64 s[4:5], s[0:1]
	s_cbranch_execnz .LBB266_13
; %bb.10:
	s_or_b64 exec, exec, s[4:5]
	s_and_saveexec_b64 s[4:5], vcc
	s_cbranch_execnz .LBB266_14
.LBB266_11:
	s_or_b64 exec, exec, s[4:5]
	v_cmp_ne_u32_e64 s[2:3], 1, v11
	s_and_b64 exec, exec, s[2:3]
	s_cbranch_execnz .LBB266_15
.LBB266_12:
	s_endpgm
.LBB266_13:
	v_mul_f32_e32 v8, 0x3fb8aa3b, v14
	s_mov_b32 s2, 0x3fb8aa3b
	v_rndne_f32_e32 v9, v8
	v_sub_f32_e32 v15, v8, v9
	v_fma_f32 v8, v14, s2, -v8
	v_fmac_f32_e32 v8, 0x32a5705f, v14
	v_add_f32_e32 v8, v15, v8
	v_exp_f32_e32 v8, v8
	v_cvt_i32_f32_e32 v9, v9
	s_mov_b32 s2, 0xc2ce8ed0
	v_cmp_ngt_f32_e64 s[2:3], s2, v14
	v_ldexp_f32 v8, v8, v9
	v_cndmask_b32_e64 v8, 0, v8, s[2:3]
	s_mov_b32 s2, 0x42b17218
	v_mov_b32_e32 v9, 0x7f800000
	v_cmp_nlt_f32_e64 s[2:3], s2, v14
	v_cndmask_b32_e64 v8, v9, v8, s[2:3]
	v_fma_mixlo_f16 v2, -v6, v8, v2
	global_store_short v[4:5], v2, off
	s_or_b64 exec, exec, s[4:5]
	s_and_saveexec_b64 s[4:5], vcc
	s_cbranch_execz .LBB266_11
.LBB266_14:
	v_mul_f32_e32 v2, 0x3fb8aa3b, v13
	s_mov_b32 s2, 0x3fb8aa3b
	v_rndne_f32_e32 v8, v2
	v_sub_f32_e32 v9, v2, v8
	v_fma_f32 v2, v13, s2, -v2
	v_fmac_f32_e32 v2, 0x32a5705f, v13
	v_add_f32_e32 v2, v9, v2
	v_exp_f32_e32 v2, v2
	v_cvt_i32_f32_e32 v8, v8
	s_mov_b32 s2, 0xc2ce8ed0
	v_cmp_ngt_f32_e64 s[2:3], s2, v13
	v_ldexp_f32 v2, v2, v8
	v_cndmask_b32_e64 v2, 0, v2, s[2:3]
	s_mov_b32 s2, 0x42b17218
	v_mov_b32_e32 v8, 0x7f800000
	v_cmp_nlt_f32_e64 s[2:3], s2, v13
	v_cndmask_b32_e64 v2, v8, v2, s[2:3]
	v_fma_mixlo_f16 v0, -v6, v2, v0
	global_store_short v[4:5], v0, off offset:128
	s_or_b64 exec, exec, s[4:5]
	v_cmp_ne_u32_e64 s[2:3], 1, v11
	s_and_b64 exec, exec, s[2:3]
	s_cbranch_execz .LBB266_12
.LBB266_15:
	s_and_saveexec_b64 s[2:3], s[0:1]
	s_cbranch_execz .LBB266_17
; %bb.16:
	v_mul_f32_e32 v0, 0x3fb8aa3b, v12
	s_mov_b32 s0, 0x3fb8aa3b
	v_rndne_f32_e32 v2, v0
	v_sub_f32_e32 v6, v0, v2
	v_fma_f32 v0, v12, s0, -v0
	v_fmac_f32_e32 v0, 0x32a5705f, v12
	v_add_f32_e32 v0, v6, v0
	v_exp_f32_e32 v0, v0
	v_cvt_i32_f32_e32 v2, v2
	s_mov_b32 s0, 0xc2ce8ed0
	v_cmp_ngt_f32_e64 s[0:1], s0, v12
	v_ldexp_f32 v0, v0, v2
	v_cndmask_b32_e64 v0, 0, v0, s[0:1]
	s_mov_b32 s0, 0x42b17218
	v_mov_b32_e32 v2, 0x7f800000
	v_cmp_nlt_f32_e64 s[0:1], s0, v12
	v_cndmask_b32_e64 v0, v2, v0, s[0:1]
	s_lshl_b64 s[0:1], s[10:11], 1
	v_fma_mixlo_f16 v0, -v7, v0, v3
	v_mov_b32_e32 v3, s1
	v_add_co_u32_e64 v2, s[0:1], s0, v4
	v_addc_co_u32_e64 v3, s[0:1], v5, v3, s[0:1]
	global_store_short v[2:3], v0, off
.LBB266_17:
	s_or_b64 exec, exec, s[2:3]
	s_and_b64 exec, exec, vcc
	s_cbranch_execz .LBB266_12
; %bb.18:
	v_mul_f32_e32 v0, 0x3fb8aa3b, v10
	s_mov_b32 s0, 0x3fb8aa3b
	v_rndne_f32_e32 v2, v0
	v_sub_f32_e32 v3, v0, v2
	v_fma_f32 v0, v10, s0, -v0
	v_fmac_f32_e32 v0, 0x32a5705f, v10
	v_add_f32_e32 v0, v3, v0
	v_exp_f32_e32 v0, v0
	v_cvt_i32_f32_e32 v2, v2
	s_mov_b32 s0, 0xc2ce8ed0
	v_cmp_ngt_f32_e32 vcc, s0, v10
	s_mov_b32 s0, 0x42b17218
	v_ldexp_f32 v0, v0, v2
	v_cndmask_b32_e32 v0, 0, v0, vcc
	v_mov_b32_e32 v2, 0x7f800000
	v_cmp_nlt_f32_e32 vcc, s0, v10
	s_ashr_i32 s11, s10, 31
	v_cndmask_b32_e32 v0, v2, v0, vcc
	s_lshl_b64 s[0:1], s[10:11], 1
	v_fma_mixlo_f16 v2, -v7, v0, v1
	v_mov_b32_e32 v1, s1
	v_add_co_u32_e32 v0, vcc, s0, v4
	v_addc_co_u32_e32 v1, vcc, v5, v1, vcc
	global_store_short v[0:1], v2, off offset:128
	s_endpgm
	.section	.rodata,"a",@progbits
	.p2align	6, 0x0
	.amdhsa_kernel _ZN12_GLOBAL__N_121softmax_warp_backwardIN3c104HalfES2_fLi7ELb1ELb0ELi64EEEvPT0_PKT_S7_iiiPKb
		.amdhsa_group_segment_fixed_size 0
		.amdhsa_private_segment_fixed_size 0
		.amdhsa_kernarg_size 304
		.amdhsa_user_sgpr_count 6
		.amdhsa_user_sgpr_private_segment_buffer 1
		.amdhsa_user_sgpr_dispatch_ptr 0
		.amdhsa_user_sgpr_queue_ptr 0
		.amdhsa_user_sgpr_kernarg_segment_ptr 1
		.amdhsa_user_sgpr_dispatch_id 0
		.amdhsa_user_sgpr_flat_scratch_init 0
		.amdhsa_user_sgpr_kernarg_preload_length 0
		.amdhsa_user_sgpr_kernarg_preload_offset 0
		.amdhsa_user_sgpr_private_segment_size 0
		.amdhsa_uses_dynamic_stack 0
		.amdhsa_system_sgpr_private_segment_wavefront_offset 0
		.amdhsa_system_sgpr_workgroup_id_x 1
		.amdhsa_system_sgpr_workgroup_id_y 0
		.amdhsa_system_sgpr_workgroup_id_z 0
		.amdhsa_system_sgpr_workgroup_info 0
		.amdhsa_system_vgpr_workitem_id 1
		.amdhsa_next_free_vgpr 18
		.amdhsa_next_free_sgpr 16
		.amdhsa_accum_offset 20
		.amdhsa_reserve_vcc 1
		.amdhsa_reserve_flat_scratch 0
		.amdhsa_float_round_mode_32 0
		.amdhsa_float_round_mode_16_64 0
		.amdhsa_float_denorm_mode_32 3
		.amdhsa_float_denorm_mode_16_64 3
		.amdhsa_dx10_clamp 1
		.amdhsa_ieee_mode 1
		.amdhsa_fp16_overflow 0
		.amdhsa_tg_split 0
		.amdhsa_exception_fp_ieee_invalid_op 0
		.amdhsa_exception_fp_denorm_src 0
		.amdhsa_exception_fp_ieee_div_zero 0
		.amdhsa_exception_fp_ieee_overflow 0
		.amdhsa_exception_fp_ieee_underflow 0
		.amdhsa_exception_fp_ieee_inexact 0
		.amdhsa_exception_int_div_zero 0
	.end_amdhsa_kernel
	.section	.text._ZN12_GLOBAL__N_121softmax_warp_backwardIN3c104HalfES2_fLi7ELb1ELb0ELi64EEEvPT0_PKT_S7_iiiPKb,"axG",@progbits,_ZN12_GLOBAL__N_121softmax_warp_backwardIN3c104HalfES2_fLi7ELb1ELb0ELi64EEEvPT0_PKT_S7_iiiPKb,comdat
.Lfunc_end266:
	.size	_ZN12_GLOBAL__N_121softmax_warp_backwardIN3c104HalfES2_fLi7ELb1ELb0ELi64EEEvPT0_PKT_S7_iiiPKb, .Lfunc_end266-_ZN12_GLOBAL__N_121softmax_warp_backwardIN3c104HalfES2_fLi7ELb1ELb0ELi64EEEvPT0_PKT_S7_iiiPKb
                                        ; -- End function
	.section	.AMDGPU.csdata,"",@progbits
; Kernel info:
; codeLenInByte = 1488
; NumSgprs: 20
; NumVgprs: 18
; NumAgprs: 0
; TotalNumVgprs: 18
; ScratchSize: 0
; MemoryBound: 0
; FloatMode: 240
; IeeeMode: 1
; LDSByteSize: 0 bytes/workgroup (compile time only)
; SGPRBlocks: 2
; VGPRBlocks: 2
; NumSGPRsForWavesPerEU: 20
; NumVGPRsForWavesPerEU: 18
; AccumOffset: 20
; Occupancy: 8
; WaveLimiterHint : 0
; COMPUTE_PGM_RSRC2:SCRATCH_EN: 0
; COMPUTE_PGM_RSRC2:USER_SGPR: 6
; COMPUTE_PGM_RSRC2:TRAP_HANDLER: 0
; COMPUTE_PGM_RSRC2:TGID_X_EN: 1
; COMPUTE_PGM_RSRC2:TGID_Y_EN: 0
; COMPUTE_PGM_RSRC2:TGID_Z_EN: 0
; COMPUTE_PGM_RSRC2:TIDIG_COMP_CNT: 1
; COMPUTE_PGM_RSRC3_GFX90A:ACCUM_OFFSET: 4
; COMPUTE_PGM_RSRC3_GFX90A:TG_SPLIT: 0
	.section	.text._ZN12_GLOBAL__N_121softmax_warp_backwardIN3c104HalfES2_fLi7ELb1ELb0ELi32EEEvPT0_PKT_S7_iiiPKb,"axG",@progbits,_ZN12_GLOBAL__N_121softmax_warp_backwardIN3c104HalfES2_fLi7ELb1ELb0ELi32EEEvPT0_PKT_S7_iiiPKb,comdat
	.globl	_ZN12_GLOBAL__N_121softmax_warp_backwardIN3c104HalfES2_fLi7ELb1ELb0ELi32EEEvPT0_PKT_S7_iiiPKb ; -- Begin function _ZN12_GLOBAL__N_121softmax_warp_backwardIN3c104HalfES2_fLi7ELb1ELb0ELi32EEEvPT0_PKT_S7_iiiPKb
	.p2align	8
	.type	_ZN12_GLOBAL__N_121softmax_warp_backwardIN3c104HalfES2_fLi7ELb1ELb0ELi32EEEvPT0_PKT_S7_iiiPKb,@function
_ZN12_GLOBAL__N_121softmax_warp_backwardIN3c104HalfES2_fLi7ELb1ELb0ELi32EEEvPT0_PKT_S7_iiiPKb: ; @_ZN12_GLOBAL__N_121softmax_warp_backwardIN3c104HalfES2_fLi7ELb1ELb0ELi32EEEvPT0_PKT_S7_iiiPKb
; %bb.0:
	s_load_dword s2, s[4:5], 0x3c
	s_load_dwordx4 s[12:15], s[4:5], 0x18
	s_load_dwordx4 s[16:19], s[4:5], 0x0
	s_load_dwordx2 s[0:1], s[4:5], 0x10
	v_bfe_u32 v1, v0, 10, 10
	s_waitcnt lgkmcnt(0)
	s_lshr_b32 s2, s2, 16
	s_mul_i32 s6, s6, s2
	v_add_lshl_u32 v1, s6, v1, 1
	v_and_b32_e32 v14, 31, v0
	v_sub_u32_e32 v16, s12, v1
	v_mad_u64_u32 v[0:1], s[2:3], v1, s13, v[14:15]
	v_ashrrev_i32_e32 v1, 31, v0
	v_lshlrev_b64 v[8:9], 1, v[0:1]
	v_mov_b32_e32 v0, s19
	v_add_co_u32_e32 v10, vcc, s18, v8
	v_addc_co_u32_e32 v11, vcc, v0, v9, vcc
	v_mov_b32_e32 v0, s1
	v_add_co_u32_e32 v12, vcc, s0, v8
	v_cmp_lt_i32_e64 s[6:7], 0, v16
	v_cmp_gt_i32_e64 s[4:5], s14, v14
	v_addc_co_u32_e32 v13, vcc, v0, v9, vcc
	s_and_b64 s[2:3], s[6:7], s[4:5]
	v_mov_b32_e32 v2, 0
	v_mov_b32_e32 v6, 0
	;; [unrolled: 1-line block ×3, first 2 shown]
	s_and_saveexec_b64 s[0:1], s[2:3]
	s_cbranch_execz .LBB267_2
; %bb.1:
	global_load_ushort v0, v[10:11], off
	global_load_ushort v1, v[12:13], off
	s_waitcnt vmcnt(1)
	v_cvt_f32_f16_e32 v6, v0
	s_waitcnt vmcnt(0)
	v_cvt_f32_f16_e32 v24, v1
.LBB267_2:
	s_or_b64 exec, exec, s[0:1]
	v_or_b32_e32 v0, 32, v14
	v_cmp_gt_i32_e64 s[2:3], s14, v0
	s_and_b64 s[8:9], s[6:7], s[2:3]
	v_mov_b32_e32 v23, 0
	s_and_saveexec_b64 s[0:1], s[8:9]
	s_cbranch_execz .LBB267_4
; %bb.3:
	global_load_ushort v0, v[10:11], off offset:64
	global_load_ushort v1, v[12:13], off offset:64
	s_waitcnt vmcnt(1)
	v_cvt_f32_f16_e32 v2, v0
	s_waitcnt vmcnt(0)
	v_cvt_f32_f16_e32 v23, v1
.LBB267_4:
	s_or_b64 exec, exec, s[0:1]
	v_or_b32_e32 v0, 64, v14
	v_cmp_gt_i32_e64 s[0:1], s14, v0
	s_and_b64 s[10:11], s[6:7], s[0:1]
	v_mov_b32_e32 v0, 0
	v_mov_b32_e32 v4, 0
	;; [unrolled: 1-line block ×3, first 2 shown]
	s_and_saveexec_b64 s[8:9], s[10:11]
	s_cbranch_execz .LBB267_6
; %bb.5:
	global_load_ushort v1, v[10:11], off offset:128
	global_load_ushort v3, v[12:13], off offset:128
	s_waitcnt vmcnt(1)
	v_cvt_f32_f16_e32 v4, v1
	s_waitcnt vmcnt(0)
	v_cvt_f32_f16_e32 v22, v3
.LBB267_6:
	s_or_b64 exec, exec, s[8:9]
	v_or_b32_e32 v1, 0x60, v14
	v_cmp_gt_i32_e32 vcc, s14, v1
	s_and_b64 s[10:11], s[6:7], vcc
	v_mov_b32_e32 v20, 0
	s_and_saveexec_b64 s[8:9], s[10:11]
	s_cbranch_execz .LBB267_8
; %bb.7:
	global_load_ushort v0, v[10:11], off offset:192
	global_load_ushort v1, v[12:13], off offset:192
	s_waitcnt vmcnt(1)
	v_cvt_f32_f16_e32 v0, v0
	s_waitcnt vmcnt(0)
	v_cvt_f32_f16_e32 v20, v1
.LBB267_8:
	s_or_b64 exec, exec, s[8:9]
	v_cmp_lt_i32_e64 s[8:9], 1, v16
	s_and_b64 s[10:11], s[8:9], s[4:5]
	s_mov_b32 s15, 0
	v_mov_b32_e32 v3, 0
	v_mov_b32_e32 v7, 0
	;; [unrolled: 1-line block ×3, first 2 shown]
	s_and_saveexec_b64 s[12:13], s[10:11]
	s_cbranch_execz .LBB267_10
; %bb.9:
	s_lshl_b64 s[18:19], s[14:15], 1
	v_mov_b32_e32 v1, s19
	v_add_co_u32_e64 v14, s[10:11], s18, v10
	v_addc_co_u32_e64 v15, s[10:11], v11, v1, s[10:11]
	global_load_ushort v5, v[14:15], off
	v_add_co_u32_e64 v14, s[10:11], s18, v12
	v_addc_co_u32_e64 v15, s[10:11], v13, v1, s[10:11]
	global_load_ushort v1, v[14:15], off
	s_waitcnt vmcnt(1)
	v_cvt_f32_f16_e32 v7, v5
	s_waitcnt vmcnt(0)
	v_cvt_f32_f16_e32 v17, v1
.LBB267_10:
	s_or_b64 exec, exec, s[12:13]
	s_and_b64 s[10:11], s[8:9], s[2:3]
	v_mov_b32_e32 v18, 0
	s_and_saveexec_b64 s[12:13], s[10:11]
	s_cbranch_execz .LBB267_12
; %bb.11:
	s_lshl_b64 s[18:19], s[14:15], 1
	v_mov_b32_e32 v1, s19
	v_add_co_u32_e64 v14, s[10:11], s18, v10
	v_addc_co_u32_e64 v15, s[10:11], v11, v1, s[10:11]
	global_load_ushort v3, v[14:15], off offset:64
	v_add_co_u32_e64 v14, s[10:11], s18, v12
	v_addc_co_u32_e64 v15, s[10:11], v13, v1, s[10:11]
	global_load_ushort v1, v[14:15], off offset:64
	s_waitcnt vmcnt(1)
	v_cvt_f32_f16_e32 v3, v3
	s_waitcnt vmcnt(0)
	v_cvt_f32_f16_e32 v18, v1
.LBB267_12:
	s_or_b64 exec, exec, s[12:13]
	s_and_b64 s[10:11], s[8:9], s[0:1]
	v_mov_b32_e32 v1, 0
	v_mov_b32_e32 v5, 0
	;; [unrolled: 1-line block ×3, first 2 shown]
	s_and_saveexec_b64 s[12:13], s[10:11]
	s_cbranch_execz .LBB267_14
; %bb.13:
	s_lshl_b64 s[18:19], s[14:15], 1
	v_mov_b32_e32 v5, s19
	v_add_co_u32_e64 v14, s[10:11], s18, v10
	v_addc_co_u32_e64 v15, s[10:11], v11, v5, s[10:11]
	global_load_ushort v19, v[14:15], off offset:128
	v_add_co_u32_e64 v14, s[10:11], s18, v12
	v_addc_co_u32_e64 v15, s[10:11], v13, v5, s[10:11]
	global_load_ushort v14, v[14:15], off offset:128
	s_waitcnt vmcnt(1)
	v_cvt_f32_f16_e32 v5, v19
	s_waitcnt vmcnt(0)
	v_cvt_f32_f16_e32 v19, v14
.LBB267_14:
	s_or_b64 exec, exec, s[12:13]
	s_and_b64 s[8:9], s[8:9], vcc
	v_mov_b32_e32 v21, 0
	s_and_saveexec_b64 s[10:11], s[8:9]
	s_cbranch_execz .LBB267_16
; %bb.15:
	s_lshl_b64 s[12:13], s[14:15], 1
	v_mov_b32_e32 v1, s13
	v_add_co_u32_e64 v10, s[8:9], s12, v10
	v_addc_co_u32_e64 v11, s[8:9], v11, v1, s[8:9]
	global_load_ushort v14, v[10:11], off offset:192
	v_add_co_u32_e64 v10, s[8:9], s12, v12
	v_addc_co_u32_e64 v11, s[8:9], v13, v1, s[8:9]
	global_load_ushort v10, v[10:11], off offset:192
	s_waitcnt vmcnt(1)
	v_cvt_f32_f16_e32 v1, v14
	s_waitcnt vmcnt(0)
	v_cvt_f32_f16_e32 v21, v10
.LBB267_16:
	s_or_b64 exec, exec, s[10:11]
	v_mbcnt_lo_u32_b32 v12, -1, 0
	v_mbcnt_hi_u32_b32 v14, -1, v12
	v_and_b32_e32 v12, 0x60, v14
	v_pk_add_f32 v[10:11], v[6:7], 0 op_sel_hi:[1,0]
	v_add_u32_e32 v15, 32, v12
	v_xor_b32_e32 v12, 16, v14
	v_cmp_lt_i32_e64 s[8:9], v12, v15
	v_pk_add_f32 v[10:11], v[10:11], v[2:3]
	v_cndmask_b32_e64 v12, v14, v12, s[8:9]
	v_pk_add_f32 v[10:11], v[10:11], v[4:5]
	v_lshlrev_b32_e32 v13, 2, v12
	v_pk_add_f32 v[10:11], v[10:11], v[0:1]
	ds_bpermute_b32 v12, v13, v10
	ds_bpermute_b32 v13, v13, v11
	v_xor_b32_e32 v25, 8, v14
	v_cmp_lt_i32_e64 s[8:9], v25, v15
	v_cndmask_b32_e64 v25, v14, v25, s[8:9]
	v_lshlrev_b32_e32 v25, 2, v25
	s_waitcnt lgkmcnt(0)
	v_pk_add_f32 v[10:11], v[10:11], v[12:13]
	ds_bpermute_b32 v12, v25, v10
	ds_bpermute_b32 v13, v25, v11
	v_xor_b32_e32 v25, 4, v14
	v_cmp_lt_i32_e64 s[8:9], v25, v15
	v_cndmask_b32_e64 v25, v14, v25, s[8:9]
	v_lshlrev_b32_e32 v25, 2, v25
	s_waitcnt lgkmcnt(0)
	;; [unrolled: 8-line block ×4, first 2 shown]
	v_pk_add_f32 v[12:13], v[10:11], v[12:13]
	ds_bpermute_b32 v14, v15, v12
	ds_bpermute_b32 v15, v15, v13
	s_and_saveexec_b64 s[8:9], s[6:7]
	s_cbranch_execz .LBB267_22
; %bb.17:
	v_mov_b32_e32 v11, s17
	v_add_co_u32_e64 v10, s[6:7], s16, v8
	v_addc_co_u32_e64 v11, s[6:7], v11, v9, s[6:7]
	s_waitcnt lgkmcnt(0)
	v_pk_add_f32 v[8:9], v[12:13], v[14:15]
	s_and_saveexec_b64 s[8:9], s[4:5]
	s_cbranch_execnz .LBB267_23
; %bb.18:
	s_or_b64 exec, exec, s[8:9]
	s_and_saveexec_b64 s[8:9], s[2:3]
	s_cbranch_execnz .LBB267_24
.LBB267_19:
	s_or_b64 exec, exec, s[8:9]
	s_and_saveexec_b64 s[8:9], s[0:1]
	s_cbranch_execnz .LBB267_25
.LBB267_20:
	s_or_b64 exec, exec, s[8:9]
	s_and_saveexec_b64 s[8:9], vcc
	s_cbranch_execnz .LBB267_26
.LBB267_21:
	s_or_b64 exec, exec, s[8:9]
	v_cmp_ne_u32_e64 s[6:7], 1, v16
	s_and_b64 exec, exec, s[6:7]
	s_cbranch_execnz .LBB267_27
.LBB267_22:
	s_endpgm
.LBB267_23:
	v_mul_f32_e32 v12, 0x3fb8aa3b, v24
	s_mov_b32 s6, 0x3fb8aa3b
	v_rndne_f32_e32 v13, v12
	v_sub_f32_e32 v14, v12, v13
	v_fma_f32 v12, v24, s6, -v12
	v_fmac_f32_e32 v12, 0x32a5705f, v24
	v_add_f32_e32 v12, v14, v12
	v_exp_f32_e32 v12, v12
	v_cvt_i32_f32_e32 v13, v13
	s_mov_b32 s6, 0xc2ce8ed0
	v_cmp_ngt_f32_e64 s[6:7], s6, v24
	v_ldexp_f32 v12, v12, v13
	v_cndmask_b32_e64 v12, 0, v12, s[6:7]
	s_mov_b32 s6, 0x42b17218
	v_mov_b32_e32 v13, 0x7f800000
	v_cmp_nlt_f32_e64 s[6:7], s6, v24
	v_cndmask_b32_e64 v12, v13, v12, s[6:7]
	v_fma_mixlo_f16 v6, -v8, v12, v6
	global_store_short v[10:11], v6, off
	s_or_b64 exec, exec, s[8:9]
	s_and_saveexec_b64 s[8:9], s[2:3]
	s_cbranch_execz .LBB267_19
.LBB267_24:
	v_mul_f32_e32 v6, 0x3fb8aa3b, v23
	s_mov_b32 s6, 0x3fb8aa3b
	v_rndne_f32_e32 v12, v6
	v_sub_f32_e32 v13, v6, v12
	v_fma_f32 v6, v23, s6, -v6
	v_fmac_f32_e32 v6, 0x32a5705f, v23
	v_add_f32_e32 v6, v13, v6
	v_exp_f32_e32 v6, v6
	v_cvt_i32_f32_e32 v12, v12
	s_mov_b32 s6, 0xc2ce8ed0
	v_cmp_ngt_f32_e64 s[6:7], s6, v23
	v_ldexp_f32 v6, v6, v12
	v_cndmask_b32_e64 v6, 0, v6, s[6:7]
	s_mov_b32 s6, 0x42b17218
	v_mov_b32_e32 v12, 0x7f800000
	v_cmp_nlt_f32_e64 s[6:7], s6, v23
	v_cndmask_b32_e64 v6, v12, v6, s[6:7]
	v_fma_mixlo_f16 v2, -v8, v6, v2
	global_store_short v[10:11], v2, off offset:64
	s_or_b64 exec, exec, s[8:9]
	s_and_saveexec_b64 s[8:9], s[0:1]
	s_cbranch_execz .LBB267_20
.LBB267_25:
	v_mul_f32_e32 v2, 0x3fb8aa3b, v22
	s_mov_b32 s6, 0x3fb8aa3b
	v_rndne_f32_e32 v6, v2
	v_sub_f32_e32 v12, v2, v6
	v_fma_f32 v2, v22, s6, -v2
	v_fmac_f32_e32 v2, 0x32a5705f, v22
	v_add_f32_e32 v2, v12, v2
	v_exp_f32_e32 v2, v2
	v_cvt_i32_f32_e32 v6, v6
	s_mov_b32 s6, 0xc2ce8ed0
	v_cmp_ngt_f32_e64 s[6:7], s6, v22
	v_ldexp_f32 v2, v2, v6
	v_cndmask_b32_e64 v2, 0, v2, s[6:7]
	s_mov_b32 s6, 0x42b17218
	v_mov_b32_e32 v6, 0x7f800000
	v_cmp_nlt_f32_e64 s[6:7], s6, v22
	v_cndmask_b32_e64 v2, v6, v2, s[6:7]
	v_fma_mixlo_f16 v2, -v8, v2, v4
	global_store_short v[10:11], v2, off offset:128
	s_or_b64 exec, exec, s[8:9]
	s_and_saveexec_b64 s[8:9], vcc
	s_cbranch_execz .LBB267_21
.LBB267_26:
	v_mul_f32_e32 v2, 0x3fb8aa3b, v20
	s_mov_b32 s6, 0x3fb8aa3b
	v_rndne_f32_e32 v4, v2
	v_sub_f32_e32 v6, v2, v4
	v_fma_f32 v2, v20, s6, -v2
	v_fmac_f32_e32 v2, 0x32a5705f, v20
	v_add_f32_e32 v2, v6, v2
	v_exp_f32_e32 v2, v2
	v_cvt_i32_f32_e32 v4, v4
	s_mov_b32 s6, 0xc2ce8ed0
	v_cmp_ngt_f32_e64 s[6:7], s6, v20
	v_ldexp_f32 v2, v2, v4
	v_cndmask_b32_e64 v2, 0, v2, s[6:7]
	s_mov_b32 s6, 0x42b17218
	v_mov_b32_e32 v4, 0x7f800000
	v_cmp_nlt_f32_e64 s[6:7], s6, v20
	v_cndmask_b32_e64 v2, v4, v2, s[6:7]
	v_fma_mixlo_f16 v0, -v8, v2, v0
	global_store_short v[10:11], v0, off offset:192
	s_or_b64 exec, exec, s[8:9]
	v_cmp_ne_u32_e64 s[6:7], 1, v16
	s_and_b64 exec, exec, s[6:7]
	s_cbranch_execz .LBB267_22
.LBB267_27:
	s_ashr_i32 s15, s14, 31
	s_lshl_b64 s[6:7], s[14:15], 1
	v_mov_b32_e32 v0, s7
	v_add_co_u32_e64 v10, s[6:7], s6, v10
	v_addc_co_u32_e64 v11, s[6:7], v11, v0, s[6:7]
	s_and_saveexec_b64 s[6:7], s[4:5]
	s_cbranch_execnz .LBB267_31
; %bb.28:
	s_or_b64 exec, exec, s[6:7]
	s_and_saveexec_b64 s[4:5], s[2:3]
	s_cbranch_execnz .LBB267_32
.LBB267_29:
	s_or_b64 exec, exec, s[4:5]
	s_and_saveexec_b64 s[2:3], s[0:1]
	s_cbranch_execnz .LBB267_33
.LBB267_30:
	s_or_b64 exec, exec, s[2:3]
	s_and_b64 exec, exec, vcc
	s_cbranch_execz .LBB267_22
	s_branch .LBB267_34
.LBB267_31:
	v_mul_f32_e32 v0, 0x3fb8aa3b, v17
	s_mov_b32 s4, 0x3fb8aa3b
	v_rndne_f32_e32 v2, v0
	v_sub_f32_e32 v4, v0, v2
	v_fma_f32 v0, v17, s4, -v0
	v_fmac_f32_e32 v0, 0x32a5705f, v17
	v_add_f32_e32 v0, v4, v0
	v_exp_f32_e32 v0, v0
	v_cvt_i32_f32_e32 v2, v2
	s_mov_b32 s4, 0xc2ce8ed0
	v_cmp_ngt_f32_e64 s[4:5], s4, v17
	v_ldexp_f32 v0, v0, v2
	v_cndmask_b32_e64 v0, 0, v0, s[4:5]
	s_mov_b32 s4, 0x42b17218
	v_mov_b32_e32 v2, 0x7f800000
	v_cmp_nlt_f32_e64 s[4:5], s4, v17
	v_cndmask_b32_e64 v0, v2, v0, s[4:5]
	v_fma_mixlo_f16 v0, -v9, v0, v7
	global_store_short v[10:11], v0, off
	s_or_b64 exec, exec, s[6:7]
	s_and_saveexec_b64 s[4:5], s[2:3]
	s_cbranch_execz .LBB267_29
.LBB267_32:
	v_mul_f32_e32 v0, 0x3fb8aa3b, v18
	s_mov_b32 s2, 0x3fb8aa3b
	v_rndne_f32_e32 v2, v0
	v_sub_f32_e32 v4, v0, v2
	v_fma_f32 v0, v18, s2, -v0
	v_fmac_f32_e32 v0, 0x32a5705f, v18
	v_add_f32_e32 v0, v4, v0
	v_exp_f32_e32 v0, v0
	v_cvt_i32_f32_e32 v2, v2
	s_mov_b32 s2, 0xc2ce8ed0
	v_cmp_ngt_f32_e64 s[2:3], s2, v18
	v_ldexp_f32 v0, v0, v2
	v_cndmask_b32_e64 v0, 0, v0, s[2:3]
	s_mov_b32 s2, 0x42b17218
	v_mov_b32_e32 v2, 0x7f800000
	v_cmp_nlt_f32_e64 s[2:3], s2, v18
	v_cndmask_b32_e64 v0, v2, v0, s[2:3]
	v_fma_mixlo_f16 v0, -v9, v0, v3
	global_store_short v[10:11], v0, off offset:64
	s_or_b64 exec, exec, s[4:5]
	s_and_saveexec_b64 s[2:3], s[0:1]
	s_cbranch_execz .LBB267_30
.LBB267_33:
	v_mul_f32_e32 v0, 0x3fb8aa3b, v19
	s_mov_b32 s0, 0x3fb8aa3b
	v_rndne_f32_e32 v2, v0
	v_sub_f32_e32 v3, v0, v2
	v_fma_f32 v0, v19, s0, -v0
	v_fmac_f32_e32 v0, 0x32a5705f, v19
	v_add_f32_e32 v0, v3, v0
	v_exp_f32_e32 v0, v0
	v_cvt_i32_f32_e32 v2, v2
	s_mov_b32 s0, 0xc2ce8ed0
	v_cmp_ngt_f32_e64 s[0:1], s0, v19
	v_ldexp_f32 v0, v0, v2
	v_cndmask_b32_e64 v0, 0, v0, s[0:1]
	s_mov_b32 s0, 0x42b17218
	v_mov_b32_e32 v2, 0x7f800000
	v_cmp_nlt_f32_e64 s[0:1], s0, v19
	v_cndmask_b32_e64 v0, v2, v0, s[0:1]
	v_fma_mixlo_f16 v0, -v9, v0, v5
	global_store_short v[10:11], v0, off offset:128
	s_or_b64 exec, exec, s[2:3]
	s_and_b64 exec, exec, vcc
	s_cbranch_execz .LBB267_22
.LBB267_34:
	v_mul_f32_e32 v0, 0x3fb8aa3b, v21
	s_mov_b32 s0, 0x3fb8aa3b
	v_rndne_f32_e32 v2, v0
	v_sub_f32_e32 v3, v0, v2
	v_fma_f32 v0, v21, s0, -v0
	v_fmac_f32_e32 v0, 0x32a5705f, v21
	v_add_f32_e32 v0, v3, v0
	v_exp_f32_e32 v0, v0
	v_cvt_i32_f32_e32 v2, v2
	s_mov_b32 s0, 0xc2ce8ed0
	v_cmp_ngt_f32_e32 vcc, s0, v21
	s_mov_b32 s0, 0x42b17218
	v_ldexp_f32 v0, v0, v2
	v_cndmask_b32_e32 v0, 0, v0, vcc
	v_mov_b32_e32 v2, 0x7f800000
	v_cmp_nlt_f32_e32 vcc, s0, v21
	v_cndmask_b32_e32 v0, v2, v0, vcc
	v_fma_mixlo_f16 v0, -v9, v0, v1
	global_store_short v[10:11], v0, off offset:192
	s_endpgm
	.section	.rodata,"a",@progbits
	.p2align	6, 0x0
	.amdhsa_kernel _ZN12_GLOBAL__N_121softmax_warp_backwardIN3c104HalfES2_fLi7ELb1ELb0ELi32EEEvPT0_PKT_S7_iiiPKb
		.amdhsa_group_segment_fixed_size 0
		.amdhsa_private_segment_fixed_size 0
		.amdhsa_kernarg_size 304
		.amdhsa_user_sgpr_count 6
		.amdhsa_user_sgpr_private_segment_buffer 1
		.amdhsa_user_sgpr_dispatch_ptr 0
		.amdhsa_user_sgpr_queue_ptr 0
		.amdhsa_user_sgpr_kernarg_segment_ptr 1
		.amdhsa_user_sgpr_dispatch_id 0
		.amdhsa_user_sgpr_flat_scratch_init 0
		.amdhsa_user_sgpr_kernarg_preload_length 0
		.amdhsa_user_sgpr_kernarg_preload_offset 0
		.amdhsa_user_sgpr_private_segment_size 0
		.amdhsa_uses_dynamic_stack 0
		.amdhsa_system_sgpr_private_segment_wavefront_offset 0
		.amdhsa_system_sgpr_workgroup_id_x 1
		.amdhsa_system_sgpr_workgroup_id_y 0
		.amdhsa_system_sgpr_workgroup_id_z 0
		.amdhsa_system_sgpr_workgroup_info 0
		.amdhsa_system_vgpr_workitem_id 1
		.amdhsa_next_free_vgpr 26
		.amdhsa_next_free_sgpr 20
		.amdhsa_accum_offset 28
		.amdhsa_reserve_vcc 1
		.amdhsa_reserve_flat_scratch 0
		.amdhsa_float_round_mode_32 0
		.amdhsa_float_round_mode_16_64 0
		.amdhsa_float_denorm_mode_32 3
		.amdhsa_float_denorm_mode_16_64 3
		.amdhsa_dx10_clamp 1
		.amdhsa_ieee_mode 1
		.amdhsa_fp16_overflow 0
		.amdhsa_tg_split 0
		.amdhsa_exception_fp_ieee_invalid_op 0
		.amdhsa_exception_fp_denorm_src 0
		.amdhsa_exception_fp_ieee_div_zero 0
		.amdhsa_exception_fp_ieee_overflow 0
		.amdhsa_exception_fp_ieee_underflow 0
		.amdhsa_exception_fp_ieee_inexact 0
		.amdhsa_exception_int_div_zero 0
	.end_amdhsa_kernel
	.section	.text._ZN12_GLOBAL__N_121softmax_warp_backwardIN3c104HalfES2_fLi7ELb1ELb0ELi32EEEvPT0_PKT_S7_iiiPKb,"axG",@progbits,_ZN12_GLOBAL__N_121softmax_warp_backwardIN3c104HalfES2_fLi7ELb1ELb0ELi32EEEvPT0_PKT_S7_iiiPKb,comdat
.Lfunc_end267:
	.size	_ZN12_GLOBAL__N_121softmax_warp_backwardIN3c104HalfES2_fLi7ELb1ELb0ELi32EEEvPT0_PKT_S7_iiiPKb, .Lfunc_end267-_ZN12_GLOBAL__N_121softmax_warp_backwardIN3c104HalfES2_fLi7ELb1ELb0ELi32EEEvPT0_PKT_S7_iiiPKb
                                        ; -- End function
	.section	.AMDGPU.csdata,"",@progbits
; Kernel info:
; codeLenInByte = 2412
; NumSgprs: 24
; NumVgprs: 26
; NumAgprs: 0
; TotalNumVgprs: 26
; ScratchSize: 0
; MemoryBound: 0
; FloatMode: 240
; IeeeMode: 1
; LDSByteSize: 0 bytes/workgroup (compile time only)
; SGPRBlocks: 2
; VGPRBlocks: 3
; NumSGPRsForWavesPerEU: 24
; NumVGPRsForWavesPerEU: 26
; AccumOffset: 28
; Occupancy: 8
; WaveLimiterHint : 0
; COMPUTE_PGM_RSRC2:SCRATCH_EN: 0
; COMPUTE_PGM_RSRC2:USER_SGPR: 6
; COMPUTE_PGM_RSRC2:TRAP_HANDLER: 0
; COMPUTE_PGM_RSRC2:TGID_X_EN: 1
; COMPUTE_PGM_RSRC2:TGID_Y_EN: 0
; COMPUTE_PGM_RSRC2:TGID_Z_EN: 0
; COMPUTE_PGM_RSRC2:TIDIG_COMP_CNT: 1
; COMPUTE_PGM_RSRC3_GFX90A:ACCUM_OFFSET: 6
; COMPUTE_PGM_RSRC3_GFX90A:TG_SPLIT: 0
	.section	.text._ZN12_GLOBAL__N_121softmax_warp_backwardIN3c104HalfES2_fLi8ELb1ELb0ELi64EEEvPT0_PKT_S7_iiiPKb,"axG",@progbits,_ZN12_GLOBAL__N_121softmax_warp_backwardIN3c104HalfES2_fLi8ELb1ELb0ELi64EEEvPT0_PKT_S7_iiiPKb,comdat
	.globl	_ZN12_GLOBAL__N_121softmax_warp_backwardIN3c104HalfES2_fLi8ELb1ELb0ELi64EEEvPT0_PKT_S7_iiiPKb ; -- Begin function _ZN12_GLOBAL__N_121softmax_warp_backwardIN3c104HalfES2_fLi8ELb1ELb0ELi64EEEvPT0_PKT_S7_iiiPKb
	.p2align	8
	.type	_ZN12_GLOBAL__N_121softmax_warp_backwardIN3c104HalfES2_fLi8ELb1ELb0ELi64EEEvPT0_PKT_S7_iiiPKb,@function
_ZN12_GLOBAL__N_121softmax_warp_backwardIN3c104HalfES2_fLi8ELb1ELb0ELi64EEEvPT0_PKT_S7_iiiPKb: ; @_ZN12_GLOBAL__N_121softmax_warp_backwardIN3c104HalfES2_fLi8ELb1ELb0ELi64EEEvPT0_PKT_S7_iiiPKb
; %bb.0:
	s_load_dword s2, s[4:5], 0x3c
	s_load_dwordx4 s[12:15], s[4:5], 0x18
	s_load_dwordx4 s[8:11], s[4:5], 0x0
	s_load_dwordx2 s[0:1], s[4:5], 0x10
	v_bfe_u32 v1, v0, 10, 10
	s_waitcnt lgkmcnt(0)
	s_lshr_b32 s2, s2, 16
	s_mul_i32 s6, s6, s2
	v_add_u32_e32 v1, s6, v1
	v_and_b32_e32 v6, 63, v0
	v_sub_u32_e32 v14, s12, v1
	v_mad_u64_u32 v[0:1], s[2:3], v1, s13, v[6:7]
	v_ashrrev_i32_e32 v1, 31, v0
	v_lshlrev_b64 v[0:1], 1, v[0:1]
	v_mov_b32_e32 v3, s11
	v_add_co_u32_e32 v2, vcc, s10, v0
	v_addc_co_u32_e32 v3, vcc, v3, v1, vcc
	v_mov_b32_e32 v5, s1
	v_add_co_u32_e32 v4, vcc, s0, v0
	v_cmp_lt_i32_e64 s[6:7], 0, v14
	v_cmp_gt_i32_e64 s[4:5], s14, v6
	v_addc_co_u32_e32 v5, vcc, v5, v1, vcc
	s_and_b64 s[2:3], s[6:7], s[4:5]
	v_mov_b32_e32 v8, 0
	v_mov_b32_e32 v12, 0
	;; [unrolled: 1-line block ×3, first 2 shown]
	s_and_saveexec_b64 s[0:1], s[2:3]
	s_cbranch_execz .LBB268_2
; %bb.1:
	global_load_ushort v7, v[2:3], off
	global_load_ushort v9, v[4:5], off
	s_waitcnt vmcnt(1)
	v_cvt_f32_f16_e32 v12, v7
	s_waitcnt vmcnt(0)
	v_cvt_f32_f16_e32 v13, v9
.LBB268_2:
	s_or_b64 exec, exec, s[0:1]
	v_or_b32_e32 v7, 64, v6
	v_cmp_gt_i32_e64 s[2:3], s14, v7
	s_and_b64 s[10:11], s[6:7], s[2:3]
	v_mov_b32_e32 v11, 0
	s_and_saveexec_b64 s[0:1], s[10:11]
	s_cbranch_execz .LBB268_4
; %bb.3:
	global_load_ushort v7, v[2:3], off offset:128
	global_load_ushort v9, v[4:5], off offset:128
	s_waitcnt vmcnt(1)
	v_cvt_f32_f16_e32 v8, v7
	s_waitcnt vmcnt(0)
	v_cvt_f32_f16_e32 v11, v9
.LBB268_4:
	s_or_b64 exec, exec, s[0:1]
	v_or_b32_e32 v7, 0x80, v6
	v_cmp_gt_i32_e64 s[0:1], s14, v7
	s_and_b64 s[12:13], s[6:7], s[0:1]
	v_mov_b32_e32 v7, 0
	v_mov_b32_e32 v9, 0
	;; [unrolled: 1-line block ×3, first 2 shown]
	s_and_saveexec_b64 s[10:11], s[12:13]
	s_cbranch_execz .LBB268_6
; %bb.5:
	global_load_ushort v9, v[2:3], off offset:256
	global_load_ushort v10, v[4:5], off offset:256
	s_waitcnt vmcnt(1)
	v_cvt_f32_f16_e32 v9, v9
	s_waitcnt vmcnt(0)
	v_cvt_f32_f16_e32 v10, v10
.LBB268_6:
	s_or_b64 exec, exec, s[10:11]
	v_or_b32_e32 v6, 0xc0, v6
	v_cmp_gt_i32_e32 vcc, s14, v6
	s_and_b64 s[10:11], s[6:7], vcc
	v_mov_b32_e32 v6, 0
	s_and_saveexec_b64 s[6:7], s[10:11]
	s_cbranch_execz .LBB268_8
; %bb.7:
	global_load_ushort v6, v[2:3], off offset:384
	global_load_ushort v15, v[4:5], off offset:384
	s_waitcnt vmcnt(1)
	v_cvt_f32_f16_e32 v7, v6
	s_waitcnt vmcnt(0)
	v_cvt_f32_f16_e32 v6, v15
.LBB268_8:
	s_or_b64 exec, exec, s[6:7]
	v_mbcnt_lo_u32_b32 v3, -1, 0
	v_mbcnt_hi_u32_b32 v3, -1, v3
	v_and_b32_e32 v4, 64, v3
	v_add_f32_e32 v2, 0, v12
	v_add_u32_e32 v4, 64, v4
	v_xor_b32_e32 v5, 32, v3
	v_add_f32_e32 v2, v2, v8
	v_cmp_lt_i32_e64 s[6:7], v5, v4
	v_add_f32_e32 v2, v2, v9
	v_cndmask_b32_e64 v5, v3, v5, s[6:7]
	v_add_f32_e32 v2, v2, v7
	v_lshlrev_b32_e32 v5, 2, v5
	ds_bpermute_b32 v5, v5, v2
	s_waitcnt lgkmcnt(0)
	v_add_f32_e32 v2, v2, v5
	v_xor_b32_e32 v5, 16, v3
	v_cmp_lt_i32_e64 s[6:7], v5, v4
	v_cndmask_b32_e64 v5, v3, v5, s[6:7]
	v_lshlrev_b32_e32 v5, 2, v5
	ds_bpermute_b32 v5, v5, v2
	s_waitcnt lgkmcnt(0)
	v_add_f32_e32 v2, v2, v5
	v_xor_b32_e32 v5, 8, v3
	v_cmp_lt_i32_e64 s[6:7], v5, v4
	v_cndmask_b32_e64 v5, v3, v5, s[6:7]
	;; [unrolled: 7-line block ×5, first 2 shown]
	v_lshlrev_b32_e32 v3, 2, v3
	ds_bpermute_b32 v3, v3, v2
	v_cmp_lt_i32_e64 s[6:7], 0, v14
	s_and_saveexec_b64 s[10:11], s[6:7]
	s_cbranch_execz .LBB268_14
; %bb.9:
	v_mov_b32_e32 v4, s9
	v_add_co_u32_e64 v0, s[6:7], s8, v0
	v_addc_co_u32_e64 v1, s[6:7], v4, v1, s[6:7]
	s_waitcnt lgkmcnt(0)
	v_add_f32_e32 v2, v2, v3
	s_and_saveexec_b64 s[6:7], s[4:5]
	s_cbranch_execnz .LBB268_15
; %bb.10:
	s_or_b64 exec, exec, s[6:7]
	s_and_saveexec_b64 s[4:5], s[2:3]
	s_cbranch_execnz .LBB268_16
.LBB268_11:
	s_or_b64 exec, exec, s[4:5]
	s_and_saveexec_b64 s[2:3], s[0:1]
	s_cbranch_execnz .LBB268_17
.LBB268_12:
	s_or_b64 exec, exec, s[2:3]
	s_and_b64 exec, exec, vcc
	s_cbranch_execz .LBB268_14
.LBB268_13:
	v_mul_f32_e32 v3, 0x3fb8aa3b, v6
	s_mov_b32 s0, 0x3fb8aa3b
	v_rndne_f32_e32 v4, v3
	v_sub_f32_e32 v5, v3, v4
	v_fma_f32 v3, v6, s0, -v3
	v_fmac_f32_e32 v3, 0x32a5705f, v6
	v_add_f32_e32 v3, v5, v3
	v_exp_f32_e32 v3, v3
	v_cvt_i32_f32_e32 v4, v4
	s_mov_b32 s0, 0xc2ce8ed0
	v_cmp_ngt_f32_e32 vcc, s0, v6
	s_mov_b32 s0, 0x42b17218
	v_ldexp_f32 v3, v3, v4
	v_cndmask_b32_e32 v3, 0, v3, vcc
	v_mov_b32_e32 v4, 0x7f800000
	v_cmp_nlt_f32_e32 vcc, s0, v6
	v_cndmask_b32_e32 v3, v4, v3, vcc
	v_fma_mixlo_f16 v2, -v2, v3, v7
	global_store_short v[0:1], v2, off offset:384
.LBB268_14:
	s_endpgm
.LBB268_15:
	v_mul_f32_e32 v3, 0x3fb8aa3b, v13
	s_mov_b32 s4, 0x3fb8aa3b
	v_rndne_f32_e32 v4, v3
	v_sub_f32_e32 v5, v3, v4
	v_fma_f32 v3, v13, s4, -v3
	v_fmac_f32_e32 v3, 0x32a5705f, v13
	v_add_f32_e32 v3, v5, v3
	v_exp_f32_e32 v3, v3
	v_cvt_i32_f32_e32 v4, v4
	s_mov_b32 s4, 0xc2ce8ed0
	v_cmp_ngt_f32_e64 s[4:5], s4, v13
	v_ldexp_f32 v3, v3, v4
	v_cndmask_b32_e64 v3, 0, v3, s[4:5]
	s_mov_b32 s4, 0x42b17218
	v_mov_b32_e32 v4, 0x7f800000
	v_cmp_nlt_f32_e64 s[4:5], s4, v13
	v_cndmask_b32_e64 v3, v4, v3, s[4:5]
	v_fma_mixlo_f16 v3, -v2, v3, v12
	global_store_short v[0:1], v3, off
	s_or_b64 exec, exec, s[6:7]
	s_and_saveexec_b64 s[4:5], s[2:3]
	s_cbranch_execz .LBB268_11
.LBB268_16:
	v_mul_f32_e32 v3, 0x3fb8aa3b, v11
	s_mov_b32 s2, 0x3fb8aa3b
	v_rndne_f32_e32 v4, v3
	v_sub_f32_e32 v5, v3, v4
	v_fma_f32 v3, v11, s2, -v3
	v_fmac_f32_e32 v3, 0x32a5705f, v11
	v_add_f32_e32 v3, v5, v3
	v_exp_f32_e32 v3, v3
	v_cvt_i32_f32_e32 v4, v4
	s_mov_b32 s2, 0xc2ce8ed0
	v_cmp_ngt_f32_e64 s[2:3], s2, v11
	v_ldexp_f32 v3, v3, v4
	v_cndmask_b32_e64 v3, 0, v3, s[2:3]
	s_mov_b32 s2, 0x42b17218
	v_mov_b32_e32 v4, 0x7f800000
	v_cmp_nlt_f32_e64 s[2:3], s2, v11
	v_cndmask_b32_e64 v3, v4, v3, s[2:3]
	v_fma_mixlo_f16 v3, -v2, v3, v8
	global_store_short v[0:1], v3, off offset:128
	s_or_b64 exec, exec, s[4:5]
	s_and_saveexec_b64 s[2:3], s[0:1]
	s_cbranch_execz .LBB268_12
.LBB268_17:
	v_mul_f32_e32 v3, 0x3fb8aa3b, v10
	s_mov_b32 s0, 0x3fb8aa3b
	v_rndne_f32_e32 v4, v3
	v_sub_f32_e32 v5, v3, v4
	v_fma_f32 v3, v10, s0, -v3
	v_fmac_f32_e32 v3, 0x32a5705f, v10
	v_add_f32_e32 v3, v5, v3
	v_exp_f32_e32 v3, v3
	v_cvt_i32_f32_e32 v4, v4
	s_mov_b32 s0, 0xc2ce8ed0
	v_cmp_ngt_f32_e64 s[0:1], s0, v10
	v_ldexp_f32 v3, v3, v4
	v_cndmask_b32_e64 v3, 0, v3, s[0:1]
	s_mov_b32 s0, 0x42b17218
	v_mov_b32_e32 v4, 0x7f800000
	v_cmp_nlt_f32_e64 s[0:1], s0, v10
	v_cndmask_b32_e64 v3, v4, v3, s[0:1]
	v_fma_mixlo_f16 v3, -v2, v3, v9
	global_store_short v[0:1], v3, off offset:256
	s_or_b64 exec, exec, s[2:3]
	s_and_b64 exec, exec, vcc
	s_cbranch_execnz .LBB268_13
	s_branch .LBB268_14
	.section	.rodata,"a",@progbits
	.p2align	6, 0x0
	.amdhsa_kernel _ZN12_GLOBAL__N_121softmax_warp_backwardIN3c104HalfES2_fLi8ELb1ELb0ELi64EEEvPT0_PKT_S7_iiiPKb
		.amdhsa_group_segment_fixed_size 0
		.amdhsa_private_segment_fixed_size 0
		.amdhsa_kernarg_size 304
		.amdhsa_user_sgpr_count 6
		.amdhsa_user_sgpr_private_segment_buffer 1
		.amdhsa_user_sgpr_dispatch_ptr 0
		.amdhsa_user_sgpr_queue_ptr 0
		.amdhsa_user_sgpr_kernarg_segment_ptr 1
		.amdhsa_user_sgpr_dispatch_id 0
		.amdhsa_user_sgpr_flat_scratch_init 0
		.amdhsa_user_sgpr_kernarg_preload_length 0
		.amdhsa_user_sgpr_kernarg_preload_offset 0
		.amdhsa_user_sgpr_private_segment_size 0
		.amdhsa_uses_dynamic_stack 0
		.amdhsa_system_sgpr_private_segment_wavefront_offset 0
		.amdhsa_system_sgpr_workgroup_id_x 1
		.amdhsa_system_sgpr_workgroup_id_y 0
		.amdhsa_system_sgpr_workgroup_id_z 0
		.amdhsa_system_sgpr_workgroup_info 0
		.amdhsa_system_vgpr_workitem_id 1
		.amdhsa_next_free_vgpr 16
		.amdhsa_next_free_sgpr 16
		.amdhsa_accum_offset 16
		.amdhsa_reserve_vcc 1
		.amdhsa_reserve_flat_scratch 0
		.amdhsa_float_round_mode_32 0
		.amdhsa_float_round_mode_16_64 0
		.amdhsa_float_denorm_mode_32 3
		.amdhsa_float_denorm_mode_16_64 3
		.amdhsa_dx10_clamp 1
		.amdhsa_ieee_mode 1
		.amdhsa_fp16_overflow 0
		.amdhsa_tg_split 0
		.amdhsa_exception_fp_ieee_invalid_op 0
		.amdhsa_exception_fp_denorm_src 0
		.amdhsa_exception_fp_ieee_div_zero 0
		.amdhsa_exception_fp_ieee_overflow 0
		.amdhsa_exception_fp_ieee_underflow 0
		.amdhsa_exception_fp_ieee_inexact 0
		.amdhsa_exception_int_div_zero 0
	.end_amdhsa_kernel
	.section	.text._ZN12_GLOBAL__N_121softmax_warp_backwardIN3c104HalfES2_fLi8ELb1ELb0ELi64EEEvPT0_PKT_S7_iiiPKb,"axG",@progbits,_ZN12_GLOBAL__N_121softmax_warp_backwardIN3c104HalfES2_fLi8ELb1ELb0ELi64EEEvPT0_PKT_S7_iiiPKb,comdat
.Lfunc_end268:
	.size	_ZN12_GLOBAL__N_121softmax_warp_backwardIN3c104HalfES2_fLi8ELb1ELb0ELi64EEEvPT0_PKT_S7_iiiPKb, .Lfunc_end268-_ZN12_GLOBAL__N_121softmax_warp_backwardIN3c104HalfES2_fLi8ELb1ELb0ELi64EEEvPT0_PKT_S7_iiiPKb
                                        ; -- End function
	.section	.AMDGPU.csdata,"",@progbits
; Kernel info:
; codeLenInByte = 1304
; NumSgprs: 20
; NumVgprs: 16
; NumAgprs: 0
; TotalNumVgprs: 16
; ScratchSize: 0
; MemoryBound: 0
; FloatMode: 240
; IeeeMode: 1
; LDSByteSize: 0 bytes/workgroup (compile time only)
; SGPRBlocks: 2
; VGPRBlocks: 1
; NumSGPRsForWavesPerEU: 20
; NumVGPRsForWavesPerEU: 16
; AccumOffset: 16
; Occupancy: 8
; WaveLimiterHint : 0
; COMPUTE_PGM_RSRC2:SCRATCH_EN: 0
; COMPUTE_PGM_RSRC2:USER_SGPR: 6
; COMPUTE_PGM_RSRC2:TRAP_HANDLER: 0
; COMPUTE_PGM_RSRC2:TGID_X_EN: 1
; COMPUTE_PGM_RSRC2:TGID_Y_EN: 0
; COMPUTE_PGM_RSRC2:TGID_Z_EN: 0
; COMPUTE_PGM_RSRC2:TIDIG_COMP_CNT: 1
; COMPUTE_PGM_RSRC3_GFX90A:ACCUM_OFFSET: 3
; COMPUTE_PGM_RSRC3_GFX90A:TG_SPLIT: 0
	.section	.text._ZN12_GLOBAL__N_121softmax_warp_backwardIN3c104HalfES2_fLi8ELb1ELb0ELi32EEEvPT0_PKT_S7_iiiPKb,"axG",@progbits,_ZN12_GLOBAL__N_121softmax_warp_backwardIN3c104HalfES2_fLi8ELb1ELb0ELi32EEEvPT0_PKT_S7_iiiPKb,comdat
	.globl	_ZN12_GLOBAL__N_121softmax_warp_backwardIN3c104HalfES2_fLi8ELb1ELb0ELi32EEEvPT0_PKT_S7_iiiPKb ; -- Begin function _ZN12_GLOBAL__N_121softmax_warp_backwardIN3c104HalfES2_fLi8ELb1ELb0ELi32EEEvPT0_PKT_S7_iiiPKb
	.p2align	8
	.type	_ZN12_GLOBAL__N_121softmax_warp_backwardIN3c104HalfES2_fLi8ELb1ELb0ELi32EEEvPT0_PKT_S7_iiiPKb,@function
_ZN12_GLOBAL__N_121softmax_warp_backwardIN3c104HalfES2_fLi8ELb1ELb0ELi32EEEvPT0_PKT_S7_iiiPKb: ; @_ZN12_GLOBAL__N_121softmax_warp_backwardIN3c104HalfES2_fLi8ELb1ELb0ELi32EEEvPT0_PKT_S7_iiiPKb
; %bb.0:
	s_load_dword s2, s[4:5], 0x3c
	s_load_dwordx4 s[20:23], s[4:5], 0x18
	s_load_dwordx4 s[16:19], s[4:5], 0x0
	s_load_dwordx2 s[0:1], s[4:5], 0x10
	v_bfe_u32 v1, v0, 10, 10
	s_waitcnt lgkmcnt(0)
	s_lshr_b32 s2, s2, 16
	s_mul_i32 s6, s6, s2
	v_add_u32_e32 v1, s6, v1
	v_and_b32_e32 v6, 31, v0
	v_sub_u32_e32 v22, s20, v1
	v_mad_u64_u32 v[0:1], s[2:3], v1, s21, v[6:7]
	v_ashrrev_i32_e32 v1, 31, v0
	v_lshlrev_b64 v[0:1], 1, v[0:1]
	v_mov_b32_e32 v3, s19
	v_add_co_u32_e32 v2, vcc, s18, v0
	v_addc_co_u32_e32 v3, vcc, v3, v1, vcc
	v_mov_b32_e32 v5, s1
	v_add_co_u32_e32 v4, vcc, s0, v0
	v_cmp_lt_i32_e64 s[14:15], 0, v22
	v_cmp_gt_i32_e64 s[12:13], s22, v6
	v_addc_co_u32_e32 v5, vcc, v5, v1, vcc
	s_and_b64 s[2:3], s[14:15], s[12:13]
	v_mov_b32_e32 v12, 0
	v_mov_b32_e32 v20, 0
	;; [unrolled: 1-line block ×3, first 2 shown]
	s_and_saveexec_b64 s[0:1], s[2:3]
	s_cbranch_execz .LBB269_2
; %bb.1:
	global_load_ushort v7, v[2:3], off
	global_load_ushort v8, v[4:5], off
	s_waitcnt vmcnt(1)
	v_cvt_f32_f16_e32 v20, v7
	s_waitcnt vmcnt(0)
	v_cvt_f32_f16_e32 v21, v8
.LBB269_2:
	s_or_b64 exec, exec, s[0:1]
	v_or_b32_e32 v7, 32, v6
	v_cmp_gt_i32_e64 s[10:11], s22, v7
	s_and_b64 s[2:3], s[14:15], s[10:11]
	v_mov_b32_e32 v19, 0
	s_and_saveexec_b64 s[0:1], s[2:3]
	s_cbranch_execz .LBB269_4
; %bb.3:
	global_load_ushort v7, v[2:3], off offset:64
	global_load_ushort v8, v[4:5], off offset:64
	s_waitcnt vmcnt(1)
	v_cvt_f32_f16_e32 v12, v7
	s_waitcnt vmcnt(0)
	v_cvt_f32_f16_e32 v19, v8
.LBB269_4:
	s_or_b64 exec, exec, s[0:1]
	v_or_b32_e32 v7, 64, v6
	v_cmp_gt_i32_e64 s[8:9], s22, v7
	s_and_b64 s[2:3], s[14:15], s[8:9]
	v_mov_b32_e32 v9, 0
	v_mov_b32_e32 v17, 0
	v_mov_b32_e32 v18, 0
	s_and_saveexec_b64 s[0:1], s[2:3]
	s_cbranch_execz .LBB269_6
; %bb.5:
	global_load_ushort v7, v[2:3], off offset:128
	global_load_ushort v8, v[4:5], off offset:128
	s_waitcnt vmcnt(1)
	v_cvt_f32_f16_e32 v17, v7
	s_waitcnt vmcnt(0)
	v_cvt_f32_f16_e32 v18, v8
.LBB269_6:
	s_or_b64 exec, exec, s[0:1]
	v_or_b32_e32 v7, 0x60, v6
	v_cmp_gt_i32_e64 s[6:7], s22, v7
	s_and_b64 s[2:3], s[14:15], s[6:7]
	v_mov_b32_e32 v16, 0
	s_and_saveexec_b64 s[0:1], s[2:3]
	s_cbranch_execz .LBB269_8
; %bb.7:
	global_load_ushort v7, v[2:3], off offset:192
	global_load_ushort v8, v[4:5], off offset:192
	s_waitcnt vmcnt(1)
	v_cvt_f32_f16_e32 v9, v7
	s_waitcnt vmcnt(0)
	v_cvt_f32_f16_e32 v16, v8
.LBB269_8:
	s_or_b64 exec, exec, s[0:1]
	v_or_b32_e32 v7, 0x80, v6
	v_cmp_gt_i32_e64 s[4:5], s22, v7
	s_and_b64 s[2:3], s[14:15], s[4:5]
	v_mov_b32_e32 v8, 0
	v_mov_b32_e32 v14, 0
	v_mov_b32_e32 v15, 0
	s_and_saveexec_b64 s[0:1], s[2:3]
	s_cbranch_execz .LBB269_10
; %bb.9:
	global_load_ushort v7, v[2:3], off offset:256
	global_load_ushort v10, v[4:5], off offset:256
	s_waitcnt vmcnt(1)
	v_cvt_f32_f16_e32 v14, v7
	s_waitcnt vmcnt(0)
	v_cvt_f32_f16_e32 v15, v10
.LBB269_10:
	;; [unrolled: 32-line block ×3, first 2 shown]
	s_or_b64 exec, exec, s[18:19]
	v_or_b32_e32 v6, 0xe0, v6
	v_cmp_gt_i32_e32 vcc, s22, v6
	s_and_b64 s[18:19], s[14:15], vcc
	v_mov_b32_e32 v6, 0
	s_and_saveexec_b64 s[14:15], s[18:19]
	s_cbranch_execz .LBB269_16
; %bb.15:
	global_load_ushort v6, v[2:3], off offset:448
	global_load_ushort v23, v[4:5], off offset:448
	s_waitcnt vmcnt(1)
	v_cvt_f32_f16_e32 v7, v6
	s_waitcnt vmcnt(0)
	v_cvt_f32_f16_e32 v6, v23
.LBB269_16:
	s_or_b64 exec, exec, s[14:15]
	v_add_f32_e32 v2, 0, v20
	v_add_f32_e32 v2, v2, v12
	v_mbcnt_lo_u32_b32 v3, -1, 0
	v_add_f32_e32 v2, v2, v17
	v_mbcnt_hi_u32_b32 v3, -1, v3
	v_add_f32_e32 v2, v2, v9
	v_and_b32_e32 v4, 0x60, v3
	v_add_f32_e32 v2, v2, v14
	v_add_u32_e32 v4, 32, v4
	v_xor_b32_e32 v5, 16, v3
	v_add_f32_e32 v2, v2, v8
	v_cmp_lt_i32_e64 s[14:15], v5, v4
	v_add_f32_e32 v2, v2, v10
	v_cndmask_b32_e64 v5, v3, v5, s[14:15]
	v_add_f32_e32 v2, v2, v7
	v_lshlrev_b32_e32 v5, 2, v5
	ds_bpermute_b32 v5, v5, v2
	s_waitcnt lgkmcnt(0)
	v_add_f32_e32 v2, v2, v5
	v_xor_b32_e32 v5, 8, v3
	v_cmp_lt_i32_e64 s[14:15], v5, v4
	v_cndmask_b32_e64 v5, v3, v5, s[14:15]
	v_lshlrev_b32_e32 v5, 2, v5
	ds_bpermute_b32 v5, v5, v2
	s_waitcnt lgkmcnt(0)
	v_add_f32_e32 v2, v2, v5
	v_xor_b32_e32 v5, 4, v3
	v_cmp_lt_i32_e64 s[14:15], v5, v4
	v_cndmask_b32_e64 v5, v3, v5, s[14:15]
	;; [unrolled: 7-line block ×4, first 2 shown]
	v_lshlrev_b32_e32 v3, 2, v3
	ds_bpermute_b32 v3, v3, v2
	v_cmp_lt_i32_e64 s[14:15], 0, v22
	s_and_saveexec_b64 s[18:19], s[14:15]
	s_cbranch_execz .LBB269_26
; %bb.17:
	v_mov_b32_e32 v4, s17
	v_add_co_u32_e64 v0, s[14:15], s16, v0
	v_addc_co_u32_e64 v1, s[14:15], v4, v1, s[14:15]
	s_waitcnt lgkmcnt(0)
	v_add_f32_e32 v2, v2, v3
	s_and_saveexec_b64 s[14:15], s[12:13]
	s_cbranch_execnz .LBB269_27
; %bb.18:
	s_or_b64 exec, exec, s[14:15]
	s_and_saveexec_b64 s[12:13], s[10:11]
	s_cbranch_execnz .LBB269_28
.LBB269_19:
	s_or_b64 exec, exec, s[12:13]
	s_and_saveexec_b64 s[10:11], s[8:9]
	s_cbranch_execnz .LBB269_29
.LBB269_20:
	s_or_b64 exec, exec, s[10:11]
	s_and_saveexec_b64 s[8:9], s[6:7]
	s_cbranch_execnz .LBB269_30
.LBB269_21:
	s_or_b64 exec, exec, s[8:9]
	s_and_saveexec_b64 s[6:7], s[4:5]
	s_cbranch_execnz .LBB269_31
.LBB269_22:
	s_or_b64 exec, exec, s[6:7]
	s_and_saveexec_b64 s[4:5], s[2:3]
	s_cbranch_execnz .LBB269_32
.LBB269_23:
	s_or_b64 exec, exec, s[4:5]
	s_and_saveexec_b64 s[2:3], s[0:1]
	s_cbranch_execnz .LBB269_33
.LBB269_24:
	s_or_b64 exec, exec, s[2:3]
	s_and_b64 exec, exec, vcc
	s_cbranch_execz .LBB269_26
.LBB269_25:
	v_mul_f32_e32 v3, 0x3fb8aa3b, v6
	s_mov_b32 s0, 0x3fb8aa3b
	v_rndne_f32_e32 v4, v3
	v_sub_f32_e32 v5, v3, v4
	v_fma_f32 v3, v6, s0, -v3
	v_fmac_f32_e32 v3, 0x32a5705f, v6
	v_add_f32_e32 v3, v5, v3
	v_exp_f32_e32 v3, v3
	v_cvt_i32_f32_e32 v4, v4
	s_mov_b32 s0, 0xc2ce8ed0
	v_cmp_ngt_f32_e32 vcc, s0, v6
	s_mov_b32 s0, 0x42b17218
	v_ldexp_f32 v3, v3, v4
	v_cndmask_b32_e32 v3, 0, v3, vcc
	v_mov_b32_e32 v4, 0x7f800000
	v_cmp_nlt_f32_e32 vcc, s0, v6
	v_cndmask_b32_e32 v3, v4, v3, vcc
	v_fma_mixlo_f16 v2, -v2, v3, v7
	global_store_short v[0:1], v2, off offset:448
.LBB269_26:
	s_endpgm
.LBB269_27:
	v_mul_f32_e32 v3, 0x3fb8aa3b, v21
	s_mov_b32 s12, 0x3fb8aa3b
	v_rndne_f32_e32 v4, v3
	v_sub_f32_e32 v5, v3, v4
	v_fma_f32 v3, v21, s12, -v3
	v_fmac_f32_e32 v3, 0x32a5705f, v21
	v_add_f32_e32 v3, v5, v3
	v_exp_f32_e32 v3, v3
	v_cvt_i32_f32_e32 v4, v4
	s_mov_b32 s12, 0xc2ce8ed0
	v_cmp_ngt_f32_e64 s[12:13], s12, v21
	v_ldexp_f32 v3, v3, v4
	v_cndmask_b32_e64 v3, 0, v3, s[12:13]
	s_mov_b32 s12, 0x42b17218
	v_mov_b32_e32 v4, 0x7f800000
	v_cmp_nlt_f32_e64 s[12:13], s12, v21
	v_cndmask_b32_e64 v3, v4, v3, s[12:13]
	v_fma_mixlo_f16 v3, -v2, v3, v20
	global_store_short v[0:1], v3, off
	s_or_b64 exec, exec, s[14:15]
	s_and_saveexec_b64 s[12:13], s[10:11]
	s_cbranch_execz .LBB269_19
.LBB269_28:
	v_mul_f32_e32 v3, 0x3fb8aa3b, v19
	s_mov_b32 s10, 0x3fb8aa3b
	v_rndne_f32_e32 v4, v3
	v_sub_f32_e32 v5, v3, v4
	v_fma_f32 v3, v19, s10, -v3
	v_fmac_f32_e32 v3, 0x32a5705f, v19
	v_add_f32_e32 v3, v5, v3
	v_exp_f32_e32 v3, v3
	v_cvt_i32_f32_e32 v4, v4
	s_mov_b32 s10, 0xc2ce8ed0
	v_cmp_ngt_f32_e64 s[10:11], s10, v19
	v_ldexp_f32 v3, v3, v4
	v_cndmask_b32_e64 v3, 0, v3, s[10:11]
	s_mov_b32 s10, 0x42b17218
	v_mov_b32_e32 v4, 0x7f800000
	v_cmp_nlt_f32_e64 s[10:11], s10, v19
	v_cndmask_b32_e64 v3, v4, v3, s[10:11]
	v_fma_mixlo_f16 v3, -v2, v3, v12
	global_store_short v[0:1], v3, off offset:64
	s_or_b64 exec, exec, s[12:13]
	s_and_saveexec_b64 s[10:11], s[8:9]
	s_cbranch_execz .LBB269_20
.LBB269_29:
	v_mul_f32_e32 v3, 0x3fb8aa3b, v18
	s_mov_b32 s8, 0x3fb8aa3b
	v_rndne_f32_e32 v4, v3
	v_sub_f32_e32 v5, v3, v4
	v_fma_f32 v3, v18, s8, -v3
	v_fmac_f32_e32 v3, 0x32a5705f, v18
	v_add_f32_e32 v3, v5, v3
	v_exp_f32_e32 v3, v3
	v_cvt_i32_f32_e32 v4, v4
	s_mov_b32 s8, 0xc2ce8ed0
	v_cmp_ngt_f32_e64 s[8:9], s8, v18
	v_ldexp_f32 v3, v3, v4
	v_cndmask_b32_e64 v3, 0, v3, s[8:9]
	s_mov_b32 s8, 0x42b17218
	v_mov_b32_e32 v4, 0x7f800000
	v_cmp_nlt_f32_e64 s[8:9], s8, v18
	v_cndmask_b32_e64 v3, v4, v3, s[8:9]
	v_fma_mixlo_f16 v3, -v2, v3, v17
	global_store_short v[0:1], v3, off offset:128
	s_or_b64 exec, exec, s[10:11]
	s_and_saveexec_b64 s[8:9], s[6:7]
	s_cbranch_execz .LBB269_21
.LBB269_30:
	v_mul_f32_e32 v3, 0x3fb8aa3b, v16
	s_mov_b32 s6, 0x3fb8aa3b
	v_rndne_f32_e32 v4, v3
	v_sub_f32_e32 v5, v3, v4
	v_fma_f32 v3, v16, s6, -v3
	v_fmac_f32_e32 v3, 0x32a5705f, v16
	v_add_f32_e32 v3, v5, v3
	v_exp_f32_e32 v3, v3
	v_cvt_i32_f32_e32 v4, v4
	s_mov_b32 s6, 0xc2ce8ed0
	v_cmp_ngt_f32_e64 s[6:7], s6, v16
	v_ldexp_f32 v3, v3, v4
	v_cndmask_b32_e64 v3, 0, v3, s[6:7]
	s_mov_b32 s6, 0x42b17218
	v_mov_b32_e32 v4, 0x7f800000
	v_cmp_nlt_f32_e64 s[6:7], s6, v16
	v_cndmask_b32_e64 v3, v4, v3, s[6:7]
	v_fma_mixlo_f16 v3, -v2, v3, v9
	global_store_short v[0:1], v3, off offset:192
	s_or_b64 exec, exec, s[8:9]
	s_and_saveexec_b64 s[6:7], s[4:5]
	s_cbranch_execz .LBB269_22
.LBB269_31:
	v_mul_f32_e32 v3, 0x3fb8aa3b, v15
	s_mov_b32 s4, 0x3fb8aa3b
	v_rndne_f32_e32 v4, v3
	v_sub_f32_e32 v5, v3, v4
	v_fma_f32 v3, v15, s4, -v3
	v_fmac_f32_e32 v3, 0x32a5705f, v15
	v_add_f32_e32 v3, v5, v3
	v_exp_f32_e32 v3, v3
	v_cvt_i32_f32_e32 v4, v4
	s_mov_b32 s4, 0xc2ce8ed0
	v_cmp_ngt_f32_e64 s[4:5], s4, v15
	v_ldexp_f32 v3, v3, v4
	v_cndmask_b32_e64 v3, 0, v3, s[4:5]
	s_mov_b32 s4, 0x42b17218
	v_mov_b32_e32 v4, 0x7f800000
	v_cmp_nlt_f32_e64 s[4:5], s4, v15
	v_cndmask_b32_e64 v3, v4, v3, s[4:5]
	v_fma_mixlo_f16 v3, -v2, v3, v14
	global_store_short v[0:1], v3, off offset:256
	s_or_b64 exec, exec, s[6:7]
	s_and_saveexec_b64 s[4:5], s[2:3]
	s_cbranch_execz .LBB269_23
.LBB269_32:
	v_mul_f32_e32 v3, 0x3fb8aa3b, v13
	s_mov_b32 s2, 0x3fb8aa3b
	v_rndne_f32_e32 v4, v3
	v_sub_f32_e32 v5, v3, v4
	v_fma_f32 v3, v13, s2, -v3
	v_fmac_f32_e32 v3, 0x32a5705f, v13
	v_add_f32_e32 v3, v5, v3
	v_exp_f32_e32 v3, v3
	v_cvt_i32_f32_e32 v4, v4
	s_mov_b32 s2, 0xc2ce8ed0
	v_cmp_ngt_f32_e64 s[2:3], s2, v13
	v_ldexp_f32 v3, v3, v4
	v_cndmask_b32_e64 v3, 0, v3, s[2:3]
	s_mov_b32 s2, 0x42b17218
	v_mov_b32_e32 v4, 0x7f800000
	v_cmp_nlt_f32_e64 s[2:3], s2, v13
	v_cndmask_b32_e64 v3, v4, v3, s[2:3]
	v_fma_mixlo_f16 v3, -v2, v3, v8
	global_store_short v[0:1], v3, off offset:320
	s_or_b64 exec, exec, s[4:5]
	s_and_saveexec_b64 s[2:3], s[0:1]
	s_cbranch_execz .LBB269_24
.LBB269_33:
	v_mul_f32_e32 v3, 0x3fb8aa3b, v11
	s_mov_b32 s0, 0x3fb8aa3b
	v_rndne_f32_e32 v4, v3
	v_sub_f32_e32 v5, v3, v4
	v_fma_f32 v3, v11, s0, -v3
	v_fmac_f32_e32 v3, 0x32a5705f, v11
	v_add_f32_e32 v3, v5, v3
	v_exp_f32_e32 v3, v3
	v_cvt_i32_f32_e32 v4, v4
	s_mov_b32 s0, 0xc2ce8ed0
	v_cmp_ngt_f32_e64 s[0:1], s0, v11
	v_ldexp_f32 v3, v3, v4
	v_cndmask_b32_e64 v3, 0, v3, s[0:1]
	s_mov_b32 s0, 0x42b17218
	v_mov_b32_e32 v4, 0x7f800000
	v_cmp_nlt_f32_e64 s[0:1], s0, v11
	v_cndmask_b32_e64 v3, v4, v3, s[0:1]
	v_fma_mixlo_f16 v3, -v2, v3, v10
	global_store_short v[0:1], v3, off offset:384
	s_or_b64 exec, exec, s[2:3]
	s_and_b64 exec, exec, vcc
	s_cbranch_execnz .LBB269_25
	s_branch .LBB269_26
	.section	.rodata,"a",@progbits
	.p2align	6, 0x0
	.amdhsa_kernel _ZN12_GLOBAL__N_121softmax_warp_backwardIN3c104HalfES2_fLi8ELb1ELb0ELi32EEEvPT0_PKT_S7_iiiPKb
		.amdhsa_group_segment_fixed_size 0
		.amdhsa_private_segment_fixed_size 0
		.amdhsa_kernarg_size 304
		.amdhsa_user_sgpr_count 6
		.amdhsa_user_sgpr_private_segment_buffer 1
		.amdhsa_user_sgpr_dispatch_ptr 0
		.amdhsa_user_sgpr_queue_ptr 0
		.amdhsa_user_sgpr_kernarg_segment_ptr 1
		.amdhsa_user_sgpr_dispatch_id 0
		.amdhsa_user_sgpr_flat_scratch_init 0
		.amdhsa_user_sgpr_kernarg_preload_length 0
		.amdhsa_user_sgpr_kernarg_preload_offset 0
		.amdhsa_user_sgpr_private_segment_size 0
		.amdhsa_uses_dynamic_stack 0
		.amdhsa_system_sgpr_private_segment_wavefront_offset 0
		.amdhsa_system_sgpr_workgroup_id_x 1
		.amdhsa_system_sgpr_workgroup_id_y 0
		.amdhsa_system_sgpr_workgroup_id_z 0
		.amdhsa_system_sgpr_workgroup_info 0
		.amdhsa_system_vgpr_workitem_id 1
		.amdhsa_next_free_vgpr 24
		.amdhsa_next_free_sgpr 24
		.amdhsa_accum_offset 24
		.amdhsa_reserve_vcc 1
		.amdhsa_reserve_flat_scratch 0
		.amdhsa_float_round_mode_32 0
		.amdhsa_float_round_mode_16_64 0
		.amdhsa_float_denorm_mode_32 3
		.amdhsa_float_denorm_mode_16_64 3
		.amdhsa_dx10_clamp 1
		.amdhsa_ieee_mode 1
		.amdhsa_fp16_overflow 0
		.amdhsa_tg_split 0
		.amdhsa_exception_fp_ieee_invalid_op 0
		.amdhsa_exception_fp_denorm_src 0
		.amdhsa_exception_fp_ieee_div_zero 0
		.amdhsa_exception_fp_ieee_overflow 0
		.amdhsa_exception_fp_ieee_underflow 0
		.amdhsa_exception_fp_ieee_inexact 0
		.amdhsa_exception_int_div_zero 0
	.end_amdhsa_kernel
	.section	.text._ZN12_GLOBAL__N_121softmax_warp_backwardIN3c104HalfES2_fLi8ELb1ELb0ELi32EEEvPT0_PKT_S7_iiiPKb,"axG",@progbits,_ZN12_GLOBAL__N_121softmax_warp_backwardIN3c104HalfES2_fLi8ELb1ELb0ELi32EEEvPT0_PKT_S7_iiiPKb,comdat
.Lfunc_end269:
	.size	_ZN12_GLOBAL__N_121softmax_warp_backwardIN3c104HalfES2_fLi8ELb1ELb0ELi32EEEvPT0_PKT_S7_iiiPKb, .Lfunc_end269-_ZN12_GLOBAL__N_121softmax_warp_backwardIN3c104HalfES2_fLi8ELb1ELb0ELi32EEEvPT0_PKT_S7_iiiPKb
                                        ; -- End function
	.section	.AMDGPU.csdata,"",@progbits
; Kernel info:
; codeLenInByte = 2192
; NumSgprs: 28
; NumVgprs: 24
; NumAgprs: 0
; TotalNumVgprs: 24
; ScratchSize: 0
; MemoryBound: 0
; FloatMode: 240
; IeeeMode: 1
; LDSByteSize: 0 bytes/workgroup (compile time only)
; SGPRBlocks: 3
; VGPRBlocks: 2
; NumSGPRsForWavesPerEU: 28
; NumVGPRsForWavesPerEU: 24
; AccumOffset: 24
; Occupancy: 8
; WaveLimiterHint : 0
; COMPUTE_PGM_RSRC2:SCRATCH_EN: 0
; COMPUTE_PGM_RSRC2:USER_SGPR: 6
; COMPUTE_PGM_RSRC2:TRAP_HANDLER: 0
; COMPUTE_PGM_RSRC2:TGID_X_EN: 1
; COMPUTE_PGM_RSRC2:TGID_Y_EN: 0
; COMPUTE_PGM_RSRC2:TGID_Z_EN: 0
; COMPUTE_PGM_RSRC2:TIDIG_COMP_CNT: 1
; COMPUTE_PGM_RSRC3_GFX90A:ACCUM_OFFSET: 5
; COMPUTE_PGM_RSRC3_GFX90A:TG_SPLIT: 0
	.section	.text._ZN12_GLOBAL__N_121softmax_warp_backwardIN3c104HalfES2_fLi9ELb1ELb0ELi64EEEvPT0_PKT_S7_iiiPKb,"axG",@progbits,_ZN12_GLOBAL__N_121softmax_warp_backwardIN3c104HalfES2_fLi9ELb1ELb0ELi64EEEvPT0_PKT_S7_iiiPKb,comdat
	.globl	_ZN12_GLOBAL__N_121softmax_warp_backwardIN3c104HalfES2_fLi9ELb1ELb0ELi64EEEvPT0_PKT_S7_iiiPKb ; -- Begin function _ZN12_GLOBAL__N_121softmax_warp_backwardIN3c104HalfES2_fLi9ELb1ELb0ELi64EEEvPT0_PKT_S7_iiiPKb
	.p2align	8
	.type	_ZN12_GLOBAL__N_121softmax_warp_backwardIN3c104HalfES2_fLi9ELb1ELb0ELi64EEEvPT0_PKT_S7_iiiPKb,@function
_ZN12_GLOBAL__N_121softmax_warp_backwardIN3c104HalfES2_fLi9ELb1ELb0ELi64EEEvPT0_PKT_S7_iiiPKb: ; @_ZN12_GLOBAL__N_121softmax_warp_backwardIN3c104HalfES2_fLi9ELb1ELb0ELi64EEEvPT0_PKT_S7_iiiPKb
; %bb.0:
	s_load_dword s2, s[4:5], 0x3c
	s_load_dwordx4 s[20:23], s[4:5], 0x18
	s_load_dwordx4 s[16:19], s[4:5], 0x0
	s_load_dwordx2 s[0:1], s[4:5], 0x10
	v_bfe_u32 v1, v0, 10, 10
	s_waitcnt lgkmcnt(0)
	s_lshr_b32 s2, s2, 16
	s_mul_i32 s6, s6, s2
	v_add_u32_e32 v1, s6, v1
	v_and_b32_e32 v6, 63, v0
	v_sub_u32_e32 v22, s20, v1
	v_mad_u64_u32 v[0:1], s[2:3], v1, s21, v[6:7]
	v_ashrrev_i32_e32 v1, 31, v0
	v_lshlrev_b64 v[0:1], 1, v[0:1]
	v_mov_b32_e32 v3, s19
	v_add_co_u32_e32 v2, vcc, s18, v0
	v_addc_co_u32_e32 v3, vcc, v3, v1, vcc
	v_mov_b32_e32 v5, s1
	v_add_co_u32_e32 v4, vcc, s0, v0
	v_cmp_lt_i32_e64 s[14:15], 0, v22
	v_cmp_gt_i32_e64 s[12:13], s22, v6
	v_addc_co_u32_e32 v5, vcc, v5, v1, vcc
	s_and_b64 s[2:3], s[14:15], s[12:13]
	v_mov_b32_e32 v12, 0
	v_mov_b32_e32 v20, 0
	;; [unrolled: 1-line block ×3, first 2 shown]
	s_and_saveexec_b64 s[0:1], s[2:3]
	s_cbranch_execz .LBB270_2
; %bb.1:
	global_load_ushort v7, v[2:3], off
	global_load_ushort v8, v[4:5], off
	s_waitcnt vmcnt(1)
	v_cvt_f32_f16_e32 v20, v7
	s_waitcnt vmcnt(0)
	v_cvt_f32_f16_e32 v21, v8
.LBB270_2:
	s_or_b64 exec, exec, s[0:1]
	v_or_b32_e32 v7, 64, v6
	v_cmp_gt_i32_e64 s[10:11], s22, v7
	s_and_b64 s[2:3], s[14:15], s[10:11]
	v_mov_b32_e32 v19, 0
	s_and_saveexec_b64 s[0:1], s[2:3]
	s_cbranch_execz .LBB270_4
; %bb.3:
	global_load_ushort v7, v[2:3], off offset:128
	global_load_ushort v8, v[4:5], off offset:128
	s_waitcnt vmcnt(1)
	v_cvt_f32_f16_e32 v12, v7
	s_waitcnt vmcnt(0)
	v_cvt_f32_f16_e32 v19, v8
.LBB270_4:
	s_or_b64 exec, exec, s[0:1]
	v_or_b32_e32 v7, 0x80, v6
	v_cmp_gt_i32_e64 s[8:9], s22, v7
	s_and_b64 s[2:3], s[14:15], s[8:9]
	v_mov_b32_e32 v9, 0
	v_mov_b32_e32 v17, 0
	v_mov_b32_e32 v18, 0
	s_and_saveexec_b64 s[0:1], s[2:3]
	s_cbranch_execz .LBB270_6
; %bb.5:
	global_load_ushort v7, v[2:3], off offset:256
	global_load_ushort v8, v[4:5], off offset:256
	s_waitcnt vmcnt(1)
	v_cvt_f32_f16_e32 v17, v7
	s_waitcnt vmcnt(0)
	v_cvt_f32_f16_e32 v18, v8
.LBB270_6:
	s_or_b64 exec, exec, s[0:1]
	v_or_b32_e32 v7, 0xc0, v6
	v_cmp_gt_i32_e64 s[6:7], s22, v7
	s_and_b64 s[2:3], s[14:15], s[6:7]
	v_mov_b32_e32 v16, 0
	s_and_saveexec_b64 s[0:1], s[2:3]
	s_cbranch_execz .LBB270_8
; %bb.7:
	global_load_ushort v7, v[2:3], off offset:384
	global_load_ushort v8, v[4:5], off offset:384
	s_waitcnt vmcnt(1)
	v_cvt_f32_f16_e32 v9, v7
	s_waitcnt vmcnt(0)
	v_cvt_f32_f16_e32 v16, v8
.LBB270_8:
	s_or_b64 exec, exec, s[0:1]
	v_or_b32_e32 v7, 0x100, v6
	v_cmp_gt_i32_e64 s[4:5], s22, v7
	s_and_b64 s[2:3], s[14:15], s[4:5]
	v_mov_b32_e32 v8, 0
	v_mov_b32_e32 v14, 0
	v_mov_b32_e32 v15, 0
	s_and_saveexec_b64 s[0:1], s[2:3]
	s_cbranch_execz .LBB270_10
; %bb.9:
	global_load_ushort v7, v[2:3], off offset:512
	global_load_ushort v10, v[4:5], off offset:512
	s_waitcnt vmcnt(1)
	v_cvt_f32_f16_e32 v14, v7
	s_waitcnt vmcnt(0)
	v_cvt_f32_f16_e32 v15, v10
.LBB270_10:
	;; [unrolled: 32-line block ×3, first 2 shown]
	s_or_b64 exec, exec, s[18:19]
	v_or_b32_e32 v6, 0x1c0, v6
	v_cmp_gt_i32_e32 vcc, s22, v6
	s_and_b64 s[18:19], s[14:15], vcc
	v_mov_b32_e32 v6, 0
	s_and_saveexec_b64 s[14:15], s[18:19]
	s_cbranch_execz .LBB270_16
; %bb.15:
	global_load_ushort v6, v[2:3], off offset:896
	global_load_ushort v23, v[4:5], off offset:896
	s_waitcnt vmcnt(1)
	v_cvt_f32_f16_e32 v7, v6
	s_waitcnt vmcnt(0)
	v_cvt_f32_f16_e32 v6, v23
.LBB270_16:
	s_or_b64 exec, exec, s[14:15]
	v_add_f32_e32 v2, 0, v20
	v_add_f32_e32 v2, v2, v12
	v_mbcnt_lo_u32_b32 v3, -1, 0
	v_add_f32_e32 v2, v2, v17
	v_mbcnt_hi_u32_b32 v3, -1, v3
	v_add_f32_e32 v2, v2, v9
	v_and_b32_e32 v4, 64, v3
	v_add_f32_e32 v2, v2, v14
	v_add_u32_e32 v4, 64, v4
	v_xor_b32_e32 v5, 32, v3
	v_add_f32_e32 v2, v2, v8
	v_cmp_lt_i32_e64 s[14:15], v5, v4
	v_add_f32_e32 v2, v2, v10
	v_cndmask_b32_e64 v5, v3, v5, s[14:15]
	v_add_f32_e32 v2, v2, v7
	v_lshlrev_b32_e32 v5, 2, v5
	ds_bpermute_b32 v5, v5, v2
	s_waitcnt lgkmcnt(0)
	v_add_f32_e32 v2, v2, v5
	v_xor_b32_e32 v5, 16, v3
	v_cmp_lt_i32_e64 s[14:15], v5, v4
	v_cndmask_b32_e64 v5, v3, v5, s[14:15]
	v_lshlrev_b32_e32 v5, 2, v5
	ds_bpermute_b32 v5, v5, v2
	s_waitcnt lgkmcnt(0)
	v_add_f32_e32 v2, v2, v5
	v_xor_b32_e32 v5, 8, v3
	v_cmp_lt_i32_e64 s[14:15], v5, v4
	v_cndmask_b32_e64 v5, v3, v5, s[14:15]
	;; [unrolled: 7-line block ×5, first 2 shown]
	v_lshlrev_b32_e32 v3, 2, v3
	ds_bpermute_b32 v3, v3, v2
	v_cmp_lt_i32_e64 s[14:15], 0, v22
	s_and_saveexec_b64 s[18:19], s[14:15]
	s_cbranch_execz .LBB270_26
; %bb.17:
	v_mov_b32_e32 v4, s17
	v_add_co_u32_e64 v0, s[14:15], s16, v0
	v_addc_co_u32_e64 v1, s[14:15], v4, v1, s[14:15]
	s_waitcnt lgkmcnt(0)
	v_add_f32_e32 v2, v2, v3
	s_and_saveexec_b64 s[14:15], s[12:13]
	s_cbranch_execnz .LBB270_27
; %bb.18:
	s_or_b64 exec, exec, s[14:15]
	s_and_saveexec_b64 s[12:13], s[10:11]
	s_cbranch_execnz .LBB270_28
.LBB270_19:
	s_or_b64 exec, exec, s[12:13]
	s_and_saveexec_b64 s[10:11], s[8:9]
	s_cbranch_execnz .LBB270_29
.LBB270_20:
	s_or_b64 exec, exec, s[10:11]
	s_and_saveexec_b64 s[8:9], s[6:7]
	s_cbranch_execnz .LBB270_30
.LBB270_21:
	s_or_b64 exec, exec, s[8:9]
	s_and_saveexec_b64 s[6:7], s[4:5]
	s_cbranch_execnz .LBB270_31
.LBB270_22:
	s_or_b64 exec, exec, s[6:7]
	s_and_saveexec_b64 s[4:5], s[2:3]
	s_cbranch_execnz .LBB270_32
.LBB270_23:
	s_or_b64 exec, exec, s[4:5]
	s_and_saveexec_b64 s[2:3], s[0:1]
	s_cbranch_execnz .LBB270_33
.LBB270_24:
	s_or_b64 exec, exec, s[2:3]
	s_and_b64 exec, exec, vcc
	s_cbranch_execz .LBB270_26
.LBB270_25:
	v_mul_f32_e32 v3, 0x3fb8aa3b, v6
	s_mov_b32 s0, 0x3fb8aa3b
	v_rndne_f32_e32 v4, v3
	v_sub_f32_e32 v5, v3, v4
	v_fma_f32 v3, v6, s0, -v3
	v_fmac_f32_e32 v3, 0x32a5705f, v6
	v_add_f32_e32 v3, v5, v3
	v_exp_f32_e32 v3, v3
	v_cvt_i32_f32_e32 v4, v4
	s_mov_b32 s0, 0xc2ce8ed0
	v_cmp_ngt_f32_e32 vcc, s0, v6
	s_mov_b32 s0, 0x42b17218
	v_ldexp_f32 v3, v3, v4
	v_cndmask_b32_e32 v3, 0, v3, vcc
	v_mov_b32_e32 v4, 0x7f800000
	v_cmp_nlt_f32_e32 vcc, s0, v6
	v_cndmask_b32_e32 v3, v4, v3, vcc
	v_fma_mixlo_f16 v2, -v2, v3, v7
	global_store_short v[0:1], v2, off offset:896
.LBB270_26:
	s_endpgm
.LBB270_27:
	v_mul_f32_e32 v3, 0x3fb8aa3b, v21
	s_mov_b32 s12, 0x3fb8aa3b
	v_rndne_f32_e32 v4, v3
	v_sub_f32_e32 v5, v3, v4
	v_fma_f32 v3, v21, s12, -v3
	v_fmac_f32_e32 v3, 0x32a5705f, v21
	v_add_f32_e32 v3, v5, v3
	v_exp_f32_e32 v3, v3
	v_cvt_i32_f32_e32 v4, v4
	s_mov_b32 s12, 0xc2ce8ed0
	v_cmp_ngt_f32_e64 s[12:13], s12, v21
	v_ldexp_f32 v3, v3, v4
	v_cndmask_b32_e64 v3, 0, v3, s[12:13]
	s_mov_b32 s12, 0x42b17218
	v_mov_b32_e32 v4, 0x7f800000
	v_cmp_nlt_f32_e64 s[12:13], s12, v21
	v_cndmask_b32_e64 v3, v4, v3, s[12:13]
	v_fma_mixlo_f16 v3, -v2, v3, v20
	global_store_short v[0:1], v3, off
	s_or_b64 exec, exec, s[14:15]
	s_and_saveexec_b64 s[12:13], s[10:11]
	s_cbranch_execz .LBB270_19
.LBB270_28:
	v_mul_f32_e32 v3, 0x3fb8aa3b, v19
	s_mov_b32 s10, 0x3fb8aa3b
	v_rndne_f32_e32 v4, v3
	v_sub_f32_e32 v5, v3, v4
	v_fma_f32 v3, v19, s10, -v3
	v_fmac_f32_e32 v3, 0x32a5705f, v19
	v_add_f32_e32 v3, v5, v3
	v_exp_f32_e32 v3, v3
	v_cvt_i32_f32_e32 v4, v4
	s_mov_b32 s10, 0xc2ce8ed0
	v_cmp_ngt_f32_e64 s[10:11], s10, v19
	v_ldexp_f32 v3, v3, v4
	v_cndmask_b32_e64 v3, 0, v3, s[10:11]
	s_mov_b32 s10, 0x42b17218
	v_mov_b32_e32 v4, 0x7f800000
	v_cmp_nlt_f32_e64 s[10:11], s10, v19
	v_cndmask_b32_e64 v3, v4, v3, s[10:11]
	v_fma_mixlo_f16 v3, -v2, v3, v12
	global_store_short v[0:1], v3, off offset:128
	s_or_b64 exec, exec, s[12:13]
	s_and_saveexec_b64 s[10:11], s[8:9]
	s_cbranch_execz .LBB270_20
.LBB270_29:
	v_mul_f32_e32 v3, 0x3fb8aa3b, v18
	s_mov_b32 s8, 0x3fb8aa3b
	v_rndne_f32_e32 v4, v3
	v_sub_f32_e32 v5, v3, v4
	v_fma_f32 v3, v18, s8, -v3
	v_fmac_f32_e32 v3, 0x32a5705f, v18
	v_add_f32_e32 v3, v5, v3
	v_exp_f32_e32 v3, v3
	v_cvt_i32_f32_e32 v4, v4
	s_mov_b32 s8, 0xc2ce8ed0
	v_cmp_ngt_f32_e64 s[8:9], s8, v18
	v_ldexp_f32 v3, v3, v4
	v_cndmask_b32_e64 v3, 0, v3, s[8:9]
	s_mov_b32 s8, 0x42b17218
	v_mov_b32_e32 v4, 0x7f800000
	v_cmp_nlt_f32_e64 s[8:9], s8, v18
	v_cndmask_b32_e64 v3, v4, v3, s[8:9]
	v_fma_mixlo_f16 v3, -v2, v3, v17
	global_store_short v[0:1], v3, off offset:256
	s_or_b64 exec, exec, s[10:11]
	s_and_saveexec_b64 s[8:9], s[6:7]
	s_cbranch_execz .LBB270_21
.LBB270_30:
	v_mul_f32_e32 v3, 0x3fb8aa3b, v16
	s_mov_b32 s6, 0x3fb8aa3b
	v_rndne_f32_e32 v4, v3
	v_sub_f32_e32 v5, v3, v4
	v_fma_f32 v3, v16, s6, -v3
	v_fmac_f32_e32 v3, 0x32a5705f, v16
	v_add_f32_e32 v3, v5, v3
	v_exp_f32_e32 v3, v3
	v_cvt_i32_f32_e32 v4, v4
	s_mov_b32 s6, 0xc2ce8ed0
	v_cmp_ngt_f32_e64 s[6:7], s6, v16
	v_ldexp_f32 v3, v3, v4
	v_cndmask_b32_e64 v3, 0, v3, s[6:7]
	s_mov_b32 s6, 0x42b17218
	v_mov_b32_e32 v4, 0x7f800000
	v_cmp_nlt_f32_e64 s[6:7], s6, v16
	v_cndmask_b32_e64 v3, v4, v3, s[6:7]
	v_fma_mixlo_f16 v3, -v2, v3, v9
	global_store_short v[0:1], v3, off offset:384
	s_or_b64 exec, exec, s[8:9]
	s_and_saveexec_b64 s[6:7], s[4:5]
	s_cbranch_execz .LBB270_22
.LBB270_31:
	v_mul_f32_e32 v3, 0x3fb8aa3b, v15
	s_mov_b32 s4, 0x3fb8aa3b
	v_rndne_f32_e32 v4, v3
	v_sub_f32_e32 v5, v3, v4
	v_fma_f32 v3, v15, s4, -v3
	v_fmac_f32_e32 v3, 0x32a5705f, v15
	v_add_f32_e32 v3, v5, v3
	v_exp_f32_e32 v3, v3
	v_cvt_i32_f32_e32 v4, v4
	s_mov_b32 s4, 0xc2ce8ed0
	v_cmp_ngt_f32_e64 s[4:5], s4, v15
	v_ldexp_f32 v3, v3, v4
	v_cndmask_b32_e64 v3, 0, v3, s[4:5]
	s_mov_b32 s4, 0x42b17218
	v_mov_b32_e32 v4, 0x7f800000
	v_cmp_nlt_f32_e64 s[4:5], s4, v15
	v_cndmask_b32_e64 v3, v4, v3, s[4:5]
	v_fma_mixlo_f16 v3, -v2, v3, v14
	global_store_short v[0:1], v3, off offset:512
	s_or_b64 exec, exec, s[6:7]
	s_and_saveexec_b64 s[4:5], s[2:3]
	s_cbranch_execz .LBB270_23
.LBB270_32:
	v_mul_f32_e32 v3, 0x3fb8aa3b, v13
	s_mov_b32 s2, 0x3fb8aa3b
	v_rndne_f32_e32 v4, v3
	v_sub_f32_e32 v5, v3, v4
	v_fma_f32 v3, v13, s2, -v3
	v_fmac_f32_e32 v3, 0x32a5705f, v13
	v_add_f32_e32 v3, v5, v3
	v_exp_f32_e32 v3, v3
	v_cvt_i32_f32_e32 v4, v4
	s_mov_b32 s2, 0xc2ce8ed0
	v_cmp_ngt_f32_e64 s[2:3], s2, v13
	v_ldexp_f32 v3, v3, v4
	v_cndmask_b32_e64 v3, 0, v3, s[2:3]
	s_mov_b32 s2, 0x42b17218
	v_mov_b32_e32 v4, 0x7f800000
	v_cmp_nlt_f32_e64 s[2:3], s2, v13
	v_cndmask_b32_e64 v3, v4, v3, s[2:3]
	v_fma_mixlo_f16 v3, -v2, v3, v8
	global_store_short v[0:1], v3, off offset:640
	s_or_b64 exec, exec, s[4:5]
	s_and_saveexec_b64 s[2:3], s[0:1]
	s_cbranch_execz .LBB270_24
.LBB270_33:
	v_mul_f32_e32 v3, 0x3fb8aa3b, v11
	s_mov_b32 s0, 0x3fb8aa3b
	v_rndne_f32_e32 v4, v3
	v_sub_f32_e32 v5, v3, v4
	v_fma_f32 v3, v11, s0, -v3
	v_fmac_f32_e32 v3, 0x32a5705f, v11
	v_add_f32_e32 v3, v5, v3
	v_exp_f32_e32 v3, v3
	v_cvt_i32_f32_e32 v4, v4
	s_mov_b32 s0, 0xc2ce8ed0
	v_cmp_ngt_f32_e64 s[0:1], s0, v11
	v_ldexp_f32 v3, v3, v4
	v_cndmask_b32_e64 v3, 0, v3, s[0:1]
	s_mov_b32 s0, 0x42b17218
	v_mov_b32_e32 v4, 0x7f800000
	v_cmp_nlt_f32_e64 s[0:1], s0, v11
	v_cndmask_b32_e64 v3, v4, v3, s[0:1]
	v_fma_mixlo_f16 v3, -v2, v3, v10
	global_store_short v[0:1], v3, off offset:768
	s_or_b64 exec, exec, s[2:3]
	s_and_b64 exec, exec, vcc
	s_cbranch_execnz .LBB270_25
	s_branch .LBB270_26
	.section	.rodata,"a",@progbits
	.p2align	6, 0x0
	.amdhsa_kernel _ZN12_GLOBAL__N_121softmax_warp_backwardIN3c104HalfES2_fLi9ELb1ELb0ELi64EEEvPT0_PKT_S7_iiiPKb
		.amdhsa_group_segment_fixed_size 0
		.amdhsa_private_segment_fixed_size 0
		.amdhsa_kernarg_size 304
		.amdhsa_user_sgpr_count 6
		.amdhsa_user_sgpr_private_segment_buffer 1
		.amdhsa_user_sgpr_dispatch_ptr 0
		.amdhsa_user_sgpr_queue_ptr 0
		.amdhsa_user_sgpr_kernarg_segment_ptr 1
		.amdhsa_user_sgpr_dispatch_id 0
		.amdhsa_user_sgpr_flat_scratch_init 0
		.amdhsa_user_sgpr_kernarg_preload_length 0
		.amdhsa_user_sgpr_kernarg_preload_offset 0
		.amdhsa_user_sgpr_private_segment_size 0
		.amdhsa_uses_dynamic_stack 0
		.amdhsa_system_sgpr_private_segment_wavefront_offset 0
		.amdhsa_system_sgpr_workgroup_id_x 1
		.amdhsa_system_sgpr_workgroup_id_y 0
		.amdhsa_system_sgpr_workgroup_id_z 0
		.amdhsa_system_sgpr_workgroup_info 0
		.amdhsa_system_vgpr_workitem_id 1
		.amdhsa_next_free_vgpr 24
		.amdhsa_next_free_sgpr 24
		.amdhsa_accum_offset 24
		.amdhsa_reserve_vcc 1
		.amdhsa_reserve_flat_scratch 0
		.amdhsa_float_round_mode_32 0
		.amdhsa_float_round_mode_16_64 0
		.amdhsa_float_denorm_mode_32 3
		.amdhsa_float_denorm_mode_16_64 3
		.amdhsa_dx10_clamp 1
		.amdhsa_ieee_mode 1
		.amdhsa_fp16_overflow 0
		.amdhsa_tg_split 0
		.amdhsa_exception_fp_ieee_invalid_op 0
		.amdhsa_exception_fp_denorm_src 0
		.amdhsa_exception_fp_ieee_div_zero 0
		.amdhsa_exception_fp_ieee_overflow 0
		.amdhsa_exception_fp_ieee_underflow 0
		.amdhsa_exception_fp_ieee_inexact 0
		.amdhsa_exception_int_div_zero 0
	.end_amdhsa_kernel
	.section	.text._ZN12_GLOBAL__N_121softmax_warp_backwardIN3c104HalfES2_fLi9ELb1ELb0ELi64EEEvPT0_PKT_S7_iiiPKb,"axG",@progbits,_ZN12_GLOBAL__N_121softmax_warp_backwardIN3c104HalfES2_fLi9ELb1ELb0ELi64EEEvPT0_PKT_S7_iiiPKb,comdat
.Lfunc_end270:
	.size	_ZN12_GLOBAL__N_121softmax_warp_backwardIN3c104HalfES2_fLi9ELb1ELb0ELi64EEEvPT0_PKT_S7_iiiPKb, .Lfunc_end270-_ZN12_GLOBAL__N_121softmax_warp_backwardIN3c104HalfES2_fLi9ELb1ELb0ELi64EEEvPT0_PKT_S7_iiiPKb
                                        ; -- End function
	.section	.AMDGPU.csdata,"",@progbits
; Kernel info:
; codeLenInByte = 2232
; NumSgprs: 28
; NumVgprs: 24
; NumAgprs: 0
; TotalNumVgprs: 24
; ScratchSize: 0
; MemoryBound: 0
; FloatMode: 240
; IeeeMode: 1
; LDSByteSize: 0 bytes/workgroup (compile time only)
; SGPRBlocks: 3
; VGPRBlocks: 2
; NumSGPRsForWavesPerEU: 28
; NumVGPRsForWavesPerEU: 24
; AccumOffset: 24
; Occupancy: 8
; WaveLimiterHint : 0
; COMPUTE_PGM_RSRC2:SCRATCH_EN: 0
; COMPUTE_PGM_RSRC2:USER_SGPR: 6
; COMPUTE_PGM_RSRC2:TRAP_HANDLER: 0
; COMPUTE_PGM_RSRC2:TGID_X_EN: 1
; COMPUTE_PGM_RSRC2:TGID_Y_EN: 0
; COMPUTE_PGM_RSRC2:TGID_Z_EN: 0
; COMPUTE_PGM_RSRC2:TIDIG_COMP_CNT: 1
; COMPUTE_PGM_RSRC3_GFX90A:ACCUM_OFFSET: 5
; COMPUTE_PGM_RSRC3_GFX90A:TG_SPLIT: 0
	.section	.text._ZN12_GLOBAL__N_121softmax_warp_backwardIN3c104HalfES2_fLi9ELb1ELb0ELi32EEEvPT0_PKT_S7_iiiPKb,"axG",@progbits,_ZN12_GLOBAL__N_121softmax_warp_backwardIN3c104HalfES2_fLi9ELb1ELb0ELi32EEEvPT0_PKT_S7_iiiPKb,comdat
	.globl	_ZN12_GLOBAL__N_121softmax_warp_backwardIN3c104HalfES2_fLi9ELb1ELb0ELi32EEEvPT0_PKT_S7_iiiPKb ; -- Begin function _ZN12_GLOBAL__N_121softmax_warp_backwardIN3c104HalfES2_fLi9ELb1ELb0ELi32EEEvPT0_PKT_S7_iiiPKb
	.p2align	8
	.type	_ZN12_GLOBAL__N_121softmax_warp_backwardIN3c104HalfES2_fLi9ELb1ELb0ELi32EEEvPT0_PKT_S7_iiiPKb,@function
_ZN12_GLOBAL__N_121softmax_warp_backwardIN3c104HalfES2_fLi9ELb1ELb0ELi32EEEvPT0_PKT_S7_iiiPKb: ; @_ZN12_GLOBAL__N_121softmax_warp_backwardIN3c104HalfES2_fLi9ELb1ELb0ELi32EEEvPT0_PKT_S7_iiiPKb
; %bb.0:
	s_load_dword s2, s[4:5], 0x3c
	s_load_dwordx4 s[40:43], s[4:5], 0x18
	s_load_dwordx4 s[36:39], s[4:5], 0x0
	s_load_dwordx2 s[0:1], s[4:5], 0x10
	v_bfe_u32 v1, v0, 10, 10
	s_waitcnt lgkmcnt(0)
	s_lshr_b32 s2, s2, 16
	s_mul_i32 s6, s6, s2
	v_add_u32_e32 v1, s6, v1
	v_and_b32_e32 v6, 31, v0
	v_sub_u32_e32 v38, s40, v1
	v_mad_u64_u32 v[0:1], s[2:3], v1, s41, v[6:7]
	v_ashrrev_i32_e32 v1, 31, v0
	v_lshlrev_b64 v[0:1], 1, v[0:1]
	v_mov_b32_e32 v3, s39
	v_add_co_u32_e32 v2, vcc, s38, v0
	v_addc_co_u32_e32 v3, vcc, v3, v1, vcc
	v_mov_b32_e32 v5, s1
	v_add_co_u32_e32 v4, vcc, s0, v0
	v_cmp_lt_i32_e64 s[30:31], 0, v38
	v_cmp_gt_i32_e64 s[28:29], s42, v6
	v_addc_co_u32_e32 v5, vcc, v5, v1, vcc
	s_and_b64 s[2:3], s[30:31], s[28:29]
	v_mov_b32_e32 v28, 0
	v_mov_b32_e32 v36, 0
	;; [unrolled: 1-line block ×3, first 2 shown]
	s_and_saveexec_b64 s[0:1], s[2:3]
	s_cbranch_execz .LBB271_2
; %bb.1:
	global_load_ushort v7, v[2:3], off
	global_load_ushort v8, v[4:5], off
	s_waitcnt vmcnt(1)
	v_cvt_f32_f16_e32 v36, v7
	s_waitcnt vmcnt(0)
	v_cvt_f32_f16_e32 v37, v8
.LBB271_2:
	s_or_b64 exec, exec, s[0:1]
	v_or_b32_e32 v7, 32, v6
	v_cmp_gt_i32_e64 s[26:27], s42, v7
	s_and_b64 s[2:3], s[30:31], s[26:27]
	v_mov_b32_e32 v35, 0
	s_and_saveexec_b64 s[0:1], s[2:3]
	s_cbranch_execz .LBB271_4
; %bb.3:
	global_load_ushort v7, v[2:3], off offset:64
	global_load_ushort v8, v[4:5], off offset:64
	s_waitcnt vmcnt(1)
	v_cvt_f32_f16_e32 v28, v7
	s_waitcnt vmcnt(0)
	v_cvt_f32_f16_e32 v35, v8
.LBB271_4:
	s_or_b64 exec, exec, s[0:1]
	v_or_b32_e32 v7, 64, v6
	v_cmp_gt_i32_e64 s[24:25], s42, v7
	s_and_b64 s[2:3], s[30:31], s[24:25]
	v_mov_b32_e32 v24, 0
	v_mov_b32_e32 v33, 0
	v_mov_b32_e32 v34, 0
	s_and_saveexec_b64 s[0:1], s[2:3]
	s_cbranch_execz .LBB271_6
; %bb.5:
	global_load_ushort v7, v[2:3], off offset:128
	global_load_ushort v8, v[4:5], off offset:128
	s_waitcnt vmcnt(1)
	v_cvt_f32_f16_e32 v33, v7
	s_waitcnt vmcnt(0)
	v_cvt_f32_f16_e32 v34, v8
.LBB271_6:
	s_or_b64 exec, exec, s[0:1]
	v_or_b32_e32 v7, 0x60, v6
	v_cmp_gt_i32_e64 s[22:23], s42, v7
	s_and_b64 s[2:3], s[30:31], s[22:23]
	v_mov_b32_e32 v32, 0
	s_and_saveexec_b64 s[0:1], s[2:3]
	s_cbranch_execz .LBB271_8
; %bb.7:
	global_load_ushort v7, v[2:3], off offset:192
	global_load_ushort v8, v[4:5], off offset:192
	s_waitcnt vmcnt(1)
	v_cvt_f32_f16_e32 v24, v7
	s_waitcnt vmcnt(0)
	v_cvt_f32_f16_e32 v32, v8
.LBB271_8:
	s_or_b64 exec, exec, s[0:1]
	v_or_b32_e32 v7, 0x80, v6
	v_cmp_gt_i32_e64 s[20:21], s42, v7
	s_and_b64 s[2:3], s[30:31], s[20:21]
	v_mov_b32_e32 v20, 0
	v_mov_b32_e32 v30, 0
	v_mov_b32_e32 v31, 0
	s_and_saveexec_b64 s[0:1], s[2:3]
	s_cbranch_execz .LBB271_10
; %bb.9:
	global_load_ushort v7, v[2:3], off offset:256
	global_load_ushort v8, v[4:5], off offset:256
	s_waitcnt vmcnt(1)
	v_cvt_f32_f16_e32 v30, v7
	s_waitcnt vmcnt(0)
	v_cvt_f32_f16_e32 v31, v8
.LBB271_10:
	s_or_b64 exec, exec, s[0:1]
	v_or_b32_e32 v7, 0xa0, v6
	v_cmp_gt_i32_e64 s[18:19], s42, v7
	s_and_b64 s[2:3], s[30:31], s[18:19]
	v_mov_b32_e32 v29, 0
	s_and_saveexec_b64 s[0:1], s[2:3]
	s_cbranch_execz .LBB271_12
; %bb.11:
	global_load_ushort v7, v[2:3], off offset:320
	global_load_ushort v8, v[4:5], off offset:320
	s_waitcnt vmcnt(1)
	v_cvt_f32_f16_e32 v20, v7
	s_waitcnt vmcnt(0)
	v_cvt_f32_f16_e32 v29, v8
.LBB271_12:
	s_or_b64 exec, exec, s[0:1]
	v_or_b32_e32 v7, 0xc0, v6
	v_cmp_gt_i32_e64 s[16:17], s42, v7
	s_and_b64 s[2:3], s[30:31], s[16:17]
	v_mov_b32_e32 v16, 0
	v_mov_b32_e32 v26, 0
	v_mov_b32_e32 v27, 0
	s_and_saveexec_b64 s[0:1], s[2:3]
	s_cbranch_execz .LBB271_14
; %bb.13:
	global_load_ushort v7, v[2:3], off offset:384
	global_load_ushort v8, v[4:5], off offset:384
	s_waitcnt vmcnt(1)
	v_cvt_f32_f16_e32 v26, v7
	s_waitcnt vmcnt(0)
	v_cvt_f32_f16_e32 v27, v8
.LBB271_14:
	s_or_b64 exec, exec, s[0:1]
	v_or_b32_e32 v7, 0xe0, v6
	v_cmp_gt_i32_e64 s[14:15], s42, v7
	s_and_b64 s[2:3], s[30:31], s[14:15]
	v_mov_b32_e32 v25, 0
	s_and_saveexec_b64 s[0:1], s[2:3]
	s_cbranch_execz .LBB271_16
; %bb.15:
	global_load_ushort v7, v[2:3], off offset:448
	global_load_ushort v8, v[4:5], off offset:448
	s_waitcnt vmcnt(1)
	v_cvt_f32_f16_e32 v16, v7
	s_waitcnt vmcnt(0)
	v_cvt_f32_f16_e32 v25, v8
.LBB271_16:
	s_or_b64 exec, exec, s[0:1]
	v_or_b32_e32 v7, 0x100, v6
	v_cmp_gt_i32_e64 s[12:13], s42, v7
	s_and_b64 s[2:3], s[30:31], s[12:13]
	v_mov_b32_e32 v12, 0
	v_mov_b32_e32 v22, 0
	v_mov_b32_e32 v23, 0
	s_and_saveexec_b64 s[0:1], s[2:3]
	s_cbranch_execz .LBB271_18
; %bb.17:
	global_load_ushort v7, v[2:3], off offset:512
	global_load_ushort v8, v[4:5], off offset:512
	s_waitcnt vmcnt(1)
	v_cvt_f32_f16_e32 v22, v7
	s_waitcnt vmcnt(0)
	v_cvt_f32_f16_e32 v23, v8
.LBB271_18:
	s_or_b64 exec, exec, s[0:1]
	v_or_b32_e32 v7, 0x120, v6
	v_cmp_gt_i32_e64 s[10:11], s42, v7
	s_and_b64 s[2:3], s[30:31], s[10:11]
	v_mov_b32_e32 v21, 0
	s_and_saveexec_b64 s[0:1], s[2:3]
	s_cbranch_execz .LBB271_20
; %bb.19:
	global_load_ushort v7, v[2:3], off offset:576
	global_load_ushort v8, v[4:5], off offset:576
	s_waitcnt vmcnt(1)
	v_cvt_f32_f16_e32 v12, v7
	s_waitcnt vmcnt(0)
	v_cvt_f32_f16_e32 v21, v8
.LBB271_20:
	s_or_b64 exec, exec, s[0:1]
	v_or_b32_e32 v7, 0x140, v6
	v_cmp_gt_i32_e64 s[8:9], s42, v7
	s_and_b64 s[2:3], s[30:31], s[8:9]
	v_mov_b32_e32 v9, 0
	v_mov_b32_e32 v18, 0
	v_mov_b32_e32 v19, 0
	s_and_saveexec_b64 s[0:1], s[2:3]
	s_cbranch_execz .LBB271_22
; %bb.21:
	global_load_ushort v7, v[2:3], off offset:640
	global_load_ushort v8, v[4:5], off offset:640
	s_waitcnt vmcnt(1)
	v_cvt_f32_f16_e32 v18, v7
	s_waitcnt vmcnt(0)
	v_cvt_f32_f16_e32 v19, v8
.LBB271_22:
	s_or_b64 exec, exec, s[0:1]
	v_or_b32_e32 v7, 0x160, v6
	v_cmp_gt_i32_e64 s[6:7], s42, v7
	s_and_b64 s[2:3], s[30:31], s[6:7]
	v_mov_b32_e32 v17, 0
	s_and_saveexec_b64 s[0:1], s[2:3]
	s_cbranch_execz .LBB271_24
; %bb.23:
	global_load_ushort v7, v[2:3], off offset:704
	global_load_ushort v8, v[4:5], off offset:704
	s_waitcnt vmcnt(1)
	v_cvt_f32_f16_e32 v9, v7
	s_waitcnt vmcnt(0)
	v_cvt_f32_f16_e32 v17, v8
.LBB271_24:
	s_or_b64 exec, exec, s[0:1]
	v_or_b32_e32 v7, 0x180, v6
	v_cmp_gt_i32_e64 s[4:5], s42, v7
	s_and_b64 s[2:3], s[30:31], s[4:5]
	v_mov_b32_e32 v8, 0
	v_mov_b32_e32 v14, 0
	v_mov_b32_e32 v15, 0
	s_and_saveexec_b64 s[0:1], s[2:3]
	s_cbranch_execz .LBB271_26
; %bb.25:
	global_load_ushort v7, v[2:3], off offset:768
	global_load_ushort v10, v[4:5], off offset:768
	s_waitcnt vmcnt(1)
	v_cvt_f32_f16_e32 v14, v7
	s_waitcnt vmcnt(0)
	v_cvt_f32_f16_e32 v15, v10
.LBB271_26:
	s_or_b64 exec, exec, s[0:1]
	v_or_b32_e32 v7, 0x1a0, v6
	v_cmp_gt_i32_e64 s[2:3], s42, v7
	s_and_b64 s[34:35], s[30:31], s[2:3]
	v_mov_b32_e32 v13, 0
	s_and_saveexec_b64 s[0:1], s[34:35]
	s_cbranch_execz .LBB271_28
; %bb.27:
	global_load_ushort v7, v[2:3], off offset:832
	global_load_ushort v10, v[4:5], off offset:832
	s_waitcnt vmcnt(1)
	v_cvt_f32_f16_e32 v8, v7
	s_waitcnt vmcnt(0)
	v_cvt_f32_f16_e32 v13, v10
.LBB271_28:
	s_or_b64 exec, exec, s[0:1]
	v_or_b32_e32 v7, 0x1c0, v6
	v_cmp_gt_i32_e64 s[0:1], s42, v7
	s_and_b64 s[38:39], s[30:31], s[0:1]
	v_mov_b32_e32 v7, 0
	v_mov_b32_e32 v10, 0
	v_mov_b32_e32 v11, 0
	s_and_saveexec_b64 s[34:35], s[38:39]
	s_cbranch_execz .LBB271_30
; %bb.29:
	global_load_ushort v10, v[2:3], off offset:896
	global_load_ushort v11, v[4:5], off offset:896
	s_waitcnt vmcnt(1)
	v_cvt_f32_f16_e32 v10, v10
	s_waitcnt vmcnt(0)
	v_cvt_f32_f16_e32 v11, v11
.LBB271_30:
	s_or_b64 exec, exec, s[34:35]
	v_or_b32_e32 v6, 0x1e0, v6
	v_cmp_gt_i32_e32 vcc, s42, v6
	s_and_b64 s[34:35], s[30:31], vcc
	v_mov_b32_e32 v6, 0
	s_and_saveexec_b64 s[30:31], s[34:35]
	s_cbranch_execz .LBB271_32
; %bb.31:
	global_load_ushort v6, v[2:3], off offset:960
	global_load_ushort v39, v[4:5], off offset:960
	s_waitcnt vmcnt(1)
	v_cvt_f32_f16_e32 v7, v6
	s_waitcnt vmcnt(0)
	v_cvt_f32_f16_e32 v6, v39
.LBB271_32:
	s_or_b64 exec, exec, s[30:31]
	v_add_f32_e32 v2, 0, v36
	v_add_f32_e32 v2, v2, v28
	;; [unrolled: 1-line block ×10, first 2 shown]
	v_mbcnt_lo_u32_b32 v3, -1, 0
	v_add_f32_e32 v2, v2, v18
	v_mbcnt_hi_u32_b32 v3, -1, v3
	v_add_f32_e32 v2, v2, v9
	v_and_b32_e32 v4, 0x60, v3
	v_add_f32_e32 v2, v2, v14
	v_add_u32_e32 v4, 32, v4
	v_xor_b32_e32 v5, 16, v3
	v_add_f32_e32 v2, v2, v8
	v_cmp_lt_i32_e64 s[30:31], v5, v4
	v_add_f32_e32 v2, v2, v10
	v_cndmask_b32_e64 v5, v3, v5, s[30:31]
	v_add_f32_e32 v2, v2, v7
	v_lshlrev_b32_e32 v5, 2, v5
	ds_bpermute_b32 v5, v5, v2
	s_waitcnt lgkmcnt(0)
	v_add_f32_e32 v2, v2, v5
	v_xor_b32_e32 v5, 8, v3
	v_cmp_lt_i32_e64 s[30:31], v5, v4
	v_cndmask_b32_e64 v5, v3, v5, s[30:31]
	v_lshlrev_b32_e32 v5, 2, v5
	ds_bpermute_b32 v5, v5, v2
	s_waitcnt lgkmcnt(0)
	v_add_f32_e32 v2, v2, v5
	v_xor_b32_e32 v5, 4, v3
	v_cmp_lt_i32_e64 s[30:31], v5, v4
	v_cndmask_b32_e64 v5, v3, v5, s[30:31]
	;; [unrolled: 7-line block ×4, first 2 shown]
	v_lshlrev_b32_e32 v3, 2, v3
	ds_bpermute_b32 v3, v3, v2
	v_cmp_lt_i32_e64 s[30:31], 0, v38
	s_and_saveexec_b64 s[34:35], s[30:31]
	s_cbranch_execz .LBB271_50
; %bb.33:
	v_mov_b32_e32 v4, s37
	v_add_co_u32_e64 v0, s[30:31], s36, v0
	v_addc_co_u32_e64 v1, s[30:31], v4, v1, s[30:31]
	s_waitcnt lgkmcnt(0)
	v_add_f32_e32 v2, v2, v3
	s_and_saveexec_b64 s[30:31], s[28:29]
	s_cbranch_execnz .LBB271_51
; %bb.34:
	s_or_b64 exec, exec, s[30:31]
	s_and_saveexec_b64 s[28:29], s[26:27]
	s_cbranch_execnz .LBB271_52
.LBB271_35:
	s_or_b64 exec, exec, s[28:29]
	s_and_saveexec_b64 s[26:27], s[24:25]
	s_cbranch_execnz .LBB271_53
.LBB271_36:
	s_or_b64 exec, exec, s[26:27]
	s_and_saveexec_b64 s[24:25], s[22:23]
	s_cbranch_execnz .LBB271_54
.LBB271_37:
	s_or_b64 exec, exec, s[24:25]
	s_and_saveexec_b64 s[22:23], s[20:21]
	s_cbranch_execnz .LBB271_55
.LBB271_38:
	s_or_b64 exec, exec, s[22:23]
	s_and_saveexec_b64 s[20:21], s[18:19]
	s_cbranch_execnz .LBB271_56
.LBB271_39:
	s_or_b64 exec, exec, s[20:21]
	s_and_saveexec_b64 s[18:19], s[16:17]
	s_cbranch_execnz .LBB271_57
.LBB271_40:
	s_or_b64 exec, exec, s[18:19]
	s_and_saveexec_b64 s[16:17], s[14:15]
	s_cbranch_execnz .LBB271_58
.LBB271_41:
	s_or_b64 exec, exec, s[16:17]
	s_and_saveexec_b64 s[14:15], s[12:13]
	s_cbranch_execnz .LBB271_59
.LBB271_42:
	s_or_b64 exec, exec, s[14:15]
	s_and_saveexec_b64 s[12:13], s[10:11]
	s_cbranch_execnz .LBB271_60
.LBB271_43:
	s_or_b64 exec, exec, s[12:13]
	s_and_saveexec_b64 s[10:11], s[8:9]
	s_cbranch_execnz .LBB271_61
.LBB271_44:
	s_or_b64 exec, exec, s[10:11]
	s_and_saveexec_b64 s[8:9], s[6:7]
	s_cbranch_execnz .LBB271_62
.LBB271_45:
	s_or_b64 exec, exec, s[8:9]
	s_and_saveexec_b64 s[6:7], s[4:5]
	s_cbranch_execnz .LBB271_63
.LBB271_46:
	s_or_b64 exec, exec, s[6:7]
	s_and_saveexec_b64 s[4:5], s[2:3]
	s_cbranch_execnz .LBB271_64
.LBB271_47:
	s_or_b64 exec, exec, s[4:5]
	s_and_saveexec_b64 s[2:3], s[0:1]
	s_cbranch_execnz .LBB271_65
.LBB271_48:
	s_or_b64 exec, exec, s[2:3]
	s_and_b64 exec, exec, vcc
	s_cbranch_execz .LBB271_50
.LBB271_49:
	v_mul_f32_e32 v3, 0x3fb8aa3b, v6
	s_mov_b32 s0, 0x3fb8aa3b
	v_rndne_f32_e32 v4, v3
	v_sub_f32_e32 v5, v3, v4
	v_fma_f32 v3, v6, s0, -v3
	v_fmac_f32_e32 v3, 0x32a5705f, v6
	v_add_f32_e32 v3, v5, v3
	v_exp_f32_e32 v3, v3
	v_cvt_i32_f32_e32 v4, v4
	s_mov_b32 s0, 0xc2ce8ed0
	v_cmp_ngt_f32_e32 vcc, s0, v6
	s_mov_b32 s0, 0x42b17218
	v_ldexp_f32 v3, v3, v4
	v_cndmask_b32_e32 v3, 0, v3, vcc
	v_mov_b32_e32 v4, 0x7f800000
	v_cmp_nlt_f32_e32 vcc, s0, v6
	v_cndmask_b32_e32 v3, v4, v3, vcc
	v_fma_mixlo_f16 v2, -v2, v3, v7
	global_store_short v[0:1], v2, off offset:960
.LBB271_50:
	s_endpgm
.LBB271_51:
	v_mul_f32_e32 v3, 0x3fb8aa3b, v37
	s_mov_b32 s28, 0x3fb8aa3b
	v_rndne_f32_e32 v4, v3
	v_sub_f32_e32 v5, v3, v4
	v_fma_f32 v3, v37, s28, -v3
	v_fmac_f32_e32 v3, 0x32a5705f, v37
	v_add_f32_e32 v3, v5, v3
	v_exp_f32_e32 v3, v3
	v_cvt_i32_f32_e32 v4, v4
	s_mov_b32 s28, 0xc2ce8ed0
	v_cmp_ngt_f32_e64 s[28:29], s28, v37
	v_ldexp_f32 v3, v3, v4
	v_cndmask_b32_e64 v3, 0, v3, s[28:29]
	s_mov_b32 s28, 0x42b17218
	v_mov_b32_e32 v4, 0x7f800000
	v_cmp_nlt_f32_e64 s[28:29], s28, v37
	v_cndmask_b32_e64 v3, v4, v3, s[28:29]
	v_fma_mixlo_f16 v3, -v2, v3, v36
	global_store_short v[0:1], v3, off
	s_or_b64 exec, exec, s[30:31]
	s_and_saveexec_b64 s[28:29], s[26:27]
	s_cbranch_execz .LBB271_35
.LBB271_52:
	v_mul_f32_e32 v3, 0x3fb8aa3b, v35
	s_mov_b32 s26, 0x3fb8aa3b
	v_rndne_f32_e32 v4, v3
	v_sub_f32_e32 v5, v3, v4
	v_fma_f32 v3, v35, s26, -v3
	v_fmac_f32_e32 v3, 0x32a5705f, v35
	v_add_f32_e32 v3, v5, v3
	v_exp_f32_e32 v3, v3
	v_cvt_i32_f32_e32 v4, v4
	s_mov_b32 s26, 0xc2ce8ed0
	v_cmp_ngt_f32_e64 s[26:27], s26, v35
	v_ldexp_f32 v3, v3, v4
	v_cndmask_b32_e64 v3, 0, v3, s[26:27]
	s_mov_b32 s26, 0x42b17218
	v_mov_b32_e32 v4, 0x7f800000
	v_cmp_nlt_f32_e64 s[26:27], s26, v35
	v_cndmask_b32_e64 v3, v4, v3, s[26:27]
	v_fma_mixlo_f16 v3, -v2, v3, v28
	global_store_short v[0:1], v3, off offset:64
	s_or_b64 exec, exec, s[28:29]
	s_and_saveexec_b64 s[26:27], s[24:25]
	s_cbranch_execz .LBB271_36
.LBB271_53:
	v_mul_f32_e32 v3, 0x3fb8aa3b, v34
	s_mov_b32 s24, 0x3fb8aa3b
	v_rndne_f32_e32 v4, v3
	v_sub_f32_e32 v5, v3, v4
	v_fma_f32 v3, v34, s24, -v3
	v_fmac_f32_e32 v3, 0x32a5705f, v34
	v_add_f32_e32 v3, v5, v3
	v_exp_f32_e32 v3, v3
	v_cvt_i32_f32_e32 v4, v4
	s_mov_b32 s24, 0xc2ce8ed0
	v_cmp_ngt_f32_e64 s[24:25], s24, v34
	v_ldexp_f32 v3, v3, v4
	v_cndmask_b32_e64 v3, 0, v3, s[24:25]
	s_mov_b32 s24, 0x42b17218
	v_mov_b32_e32 v4, 0x7f800000
	v_cmp_nlt_f32_e64 s[24:25], s24, v34
	v_cndmask_b32_e64 v3, v4, v3, s[24:25]
	v_fma_mixlo_f16 v3, -v2, v3, v33
	global_store_short v[0:1], v3, off offset:128
	s_or_b64 exec, exec, s[26:27]
	s_and_saveexec_b64 s[24:25], s[22:23]
	s_cbranch_execz .LBB271_37
.LBB271_54:
	v_mul_f32_e32 v3, 0x3fb8aa3b, v32
	s_mov_b32 s22, 0x3fb8aa3b
	v_rndne_f32_e32 v4, v3
	v_sub_f32_e32 v5, v3, v4
	v_fma_f32 v3, v32, s22, -v3
	v_fmac_f32_e32 v3, 0x32a5705f, v32
	v_add_f32_e32 v3, v5, v3
	v_exp_f32_e32 v3, v3
	v_cvt_i32_f32_e32 v4, v4
	s_mov_b32 s22, 0xc2ce8ed0
	v_cmp_ngt_f32_e64 s[22:23], s22, v32
	v_ldexp_f32 v3, v3, v4
	v_cndmask_b32_e64 v3, 0, v3, s[22:23]
	s_mov_b32 s22, 0x42b17218
	v_mov_b32_e32 v4, 0x7f800000
	v_cmp_nlt_f32_e64 s[22:23], s22, v32
	v_cndmask_b32_e64 v3, v4, v3, s[22:23]
	v_fma_mixlo_f16 v3, -v2, v3, v24
	global_store_short v[0:1], v3, off offset:192
	s_or_b64 exec, exec, s[24:25]
	s_and_saveexec_b64 s[22:23], s[20:21]
	s_cbranch_execz .LBB271_38
.LBB271_55:
	v_mul_f32_e32 v3, 0x3fb8aa3b, v31
	s_mov_b32 s20, 0x3fb8aa3b
	v_rndne_f32_e32 v4, v3
	v_sub_f32_e32 v5, v3, v4
	v_fma_f32 v3, v31, s20, -v3
	v_fmac_f32_e32 v3, 0x32a5705f, v31
	v_add_f32_e32 v3, v5, v3
	v_exp_f32_e32 v3, v3
	v_cvt_i32_f32_e32 v4, v4
	s_mov_b32 s20, 0xc2ce8ed0
	v_cmp_ngt_f32_e64 s[20:21], s20, v31
	v_ldexp_f32 v3, v3, v4
	v_cndmask_b32_e64 v3, 0, v3, s[20:21]
	s_mov_b32 s20, 0x42b17218
	v_mov_b32_e32 v4, 0x7f800000
	v_cmp_nlt_f32_e64 s[20:21], s20, v31
	v_cndmask_b32_e64 v3, v4, v3, s[20:21]
	v_fma_mixlo_f16 v3, -v2, v3, v30
	global_store_short v[0:1], v3, off offset:256
	s_or_b64 exec, exec, s[22:23]
	s_and_saveexec_b64 s[20:21], s[18:19]
	s_cbranch_execz .LBB271_39
.LBB271_56:
	v_mul_f32_e32 v3, 0x3fb8aa3b, v29
	s_mov_b32 s18, 0x3fb8aa3b
	v_rndne_f32_e32 v4, v3
	v_sub_f32_e32 v5, v3, v4
	v_fma_f32 v3, v29, s18, -v3
	v_fmac_f32_e32 v3, 0x32a5705f, v29
	v_add_f32_e32 v3, v5, v3
	v_exp_f32_e32 v3, v3
	v_cvt_i32_f32_e32 v4, v4
	s_mov_b32 s18, 0xc2ce8ed0
	v_cmp_ngt_f32_e64 s[18:19], s18, v29
	v_ldexp_f32 v3, v3, v4
	v_cndmask_b32_e64 v3, 0, v3, s[18:19]
	s_mov_b32 s18, 0x42b17218
	v_mov_b32_e32 v4, 0x7f800000
	v_cmp_nlt_f32_e64 s[18:19], s18, v29
	v_cndmask_b32_e64 v3, v4, v3, s[18:19]
	v_fma_mixlo_f16 v3, -v2, v3, v20
	global_store_short v[0:1], v3, off offset:320
	s_or_b64 exec, exec, s[20:21]
	s_and_saveexec_b64 s[18:19], s[16:17]
	s_cbranch_execz .LBB271_40
.LBB271_57:
	v_mul_f32_e32 v3, 0x3fb8aa3b, v27
	s_mov_b32 s16, 0x3fb8aa3b
	v_rndne_f32_e32 v4, v3
	v_sub_f32_e32 v5, v3, v4
	v_fma_f32 v3, v27, s16, -v3
	v_fmac_f32_e32 v3, 0x32a5705f, v27
	v_add_f32_e32 v3, v5, v3
	v_exp_f32_e32 v3, v3
	v_cvt_i32_f32_e32 v4, v4
	s_mov_b32 s16, 0xc2ce8ed0
	v_cmp_ngt_f32_e64 s[16:17], s16, v27
	v_ldexp_f32 v3, v3, v4
	v_cndmask_b32_e64 v3, 0, v3, s[16:17]
	s_mov_b32 s16, 0x42b17218
	v_mov_b32_e32 v4, 0x7f800000
	v_cmp_nlt_f32_e64 s[16:17], s16, v27
	v_cndmask_b32_e64 v3, v4, v3, s[16:17]
	v_fma_mixlo_f16 v3, -v2, v3, v26
	global_store_short v[0:1], v3, off offset:384
	s_or_b64 exec, exec, s[18:19]
	s_and_saveexec_b64 s[16:17], s[14:15]
	s_cbranch_execz .LBB271_41
.LBB271_58:
	v_mul_f32_e32 v3, 0x3fb8aa3b, v25
	s_mov_b32 s14, 0x3fb8aa3b
	v_rndne_f32_e32 v4, v3
	v_sub_f32_e32 v5, v3, v4
	v_fma_f32 v3, v25, s14, -v3
	v_fmac_f32_e32 v3, 0x32a5705f, v25
	v_add_f32_e32 v3, v5, v3
	v_exp_f32_e32 v3, v3
	v_cvt_i32_f32_e32 v4, v4
	s_mov_b32 s14, 0xc2ce8ed0
	v_cmp_ngt_f32_e64 s[14:15], s14, v25
	v_ldexp_f32 v3, v3, v4
	v_cndmask_b32_e64 v3, 0, v3, s[14:15]
	s_mov_b32 s14, 0x42b17218
	v_mov_b32_e32 v4, 0x7f800000
	v_cmp_nlt_f32_e64 s[14:15], s14, v25
	v_cndmask_b32_e64 v3, v4, v3, s[14:15]
	v_fma_mixlo_f16 v3, -v2, v3, v16
	global_store_short v[0:1], v3, off offset:448
	s_or_b64 exec, exec, s[16:17]
	s_and_saveexec_b64 s[14:15], s[12:13]
	s_cbranch_execz .LBB271_42
.LBB271_59:
	v_mul_f32_e32 v3, 0x3fb8aa3b, v23
	s_mov_b32 s12, 0x3fb8aa3b
	v_rndne_f32_e32 v4, v3
	v_sub_f32_e32 v5, v3, v4
	v_fma_f32 v3, v23, s12, -v3
	v_fmac_f32_e32 v3, 0x32a5705f, v23
	v_add_f32_e32 v3, v5, v3
	v_exp_f32_e32 v3, v3
	v_cvt_i32_f32_e32 v4, v4
	s_mov_b32 s12, 0xc2ce8ed0
	v_cmp_ngt_f32_e64 s[12:13], s12, v23
	v_ldexp_f32 v3, v3, v4
	v_cndmask_b32_e64 v3, 0, v3, s[12:13]
	s_mov_b32 s12, 0x42b17218
	v_mov_b32_e32 v4, 0x7f800000
	v_cmp_nlt_f32_e64 s[12:13], s12, v23
	v_cndmask_b32_e64 v3, v4, v3, s[12:13]
	v_fma_mixlo_f16 v3, -v2, v3, v22
	global_store_short v[0:1], v3, off offset:512
	s_or_b64 exec, exec, s[14:15]
	s_and_saveexec_b64 s[12:13], s[10:11]
	s_cbranch_execz .LBB271_43
.LBB271_60:
	v_mul_f32_e32 v3, 0x3fb8aa3b, v21
	s_mov_b32 s10, 0x3fb8aa3b
	v_rndne_f32_e32 v4, v3
	v_sub_f32_e32 v5, v3, v4
	v_fma_f32 v3, v21, s10, -v3
	v_fmac_f32_e32 v3, 0x32a5705f, v21
	v_add_f32_e32 v3, v5, v3
	v_exp_f32_e32 v3, v3
	v_cvt_i32_f32_e32 v4, v4
	s_mov_b32 s10, 0xc2ce8ed0
	v_cmp_ngt_f32_e64 s[10:11], s10, v21
	v_ldexp_f32 v3, v3, v4
	v_cndmask_b32_e64 v3, 0, v3, s[10:11]
	s_mov_b32 s10, 0x42b17218
	v_mov_b32_e32 v4, 0x7f800000
	v_cmp_nlt_f32_e64 s[10:11], s10, v21
	v_cndmask_b32_e64 v3, v4, v3, s[10:11]
	v_fma_mixlo_f16 v3, -v2, v3, v12
	global_store_short v[0:1], v3, off offset:576
	s_or_b64 exec, exec, s[12:13]
	s_and_saveexec_b64 s[10:11], s[8:9]
	s_cbranch_execz .LBB271_44
.LBB271_61:
	v_mul_f32_e32 v3, 0x3fb8aa3b, v19
	s_mov_b32 s8, 0x3fb8aa3b
	v_rndne_f32_e32 v4, v3
	v_sub_f32_e32 v5, v3, v4
	v_fma_f32 v3, v19, s8, -v3
	v_fmac_f32_e32 v3, 0x32a5705f, v19
	v_add_f32_e32 v3, v5, v3
	v_exp_f32_e32 v3, v3
	v_cvt_i32_f32_e32 v4, v4
	s_mov_b32 s8, 0xc2ce8ed0
	v_cmp_ngt_f32_e64 s[8:9], s8, v19
	v_ldexp_f32 v3, v3, v4
	v_cndmask_b32_e64 v3, 0, v3, s[8:9]
	s_mov_b32 s8, 0x42b17218
	v_mov_b32_e32 v4, 0x7f800000
	v_cmp_nlt_f32_e64 s[8:9], s8, v19
	v_cndmask_b32_e64 v3, v4, v3, s[8:9]
	v_fma_mixlo_f16 v3, -v2, v3, v18
	global_store_short v[0:1], v3, off offset:640
	s_or_b64 exec, exec, s[10:11]
	s_and_saveexec_b64 s[8:9], s[6:7]
	s_cbranch_execz .LBB271_45
.LBB271_62:
	v_mul_f32_e32 v3, 0x3fb8aa3b, v17
	s_mov_b32 s6, 0x3fb8aa3b
	v_rndne_f32_e32 v4, v3
	v_sub_f32_e32 v5, v3, v4
	v_fma_f32 v3, v17, s6, -v3
	v_fmac_f32_e32 v3, 0x32a5705f, v17
	v_add_f32_e32 v3, v5, v3
	v_exp_f32_e32 v3, v3
	v_cvt_i32_f32_e32 v4, v4
	s_mov_b32 s6, 0xc2ce8ed0
	v_cmp_ngt_f32_e64 s[6:7], s6, v17
	v_ldexp_f32 v3, v3, v4
	v_cndmask_b32_e64 v3, 0, v3, s[6:7]
	s_mov_b32 s6, 0x42b17218
	v_mov_b32_e32 v4, 0x7f800000
	v_cmp_nlt_f32_e64 s[6:7], s6, v17
	v_cndmask_b32_e64 v3, v4, v3, s[6:7]
	v_fma_mixlo_f16 v3, -v2, v3, v9
	global_store_short v[0:1], v3, off offset:704
	s_or_b64 exec, exec, s[8:9]
	s_and_saveexec_b64 s[6:7], s[4:5]
	s_cbranch_execz .LBB271_46
.LBB271_63:
	v_mul_f32_e32 v3, 0x3fb8aa3b, v15
	s_mov_b32 s4, 0x3fb8aa3b
	v_rndne_f32_e32 v4, v3
	v_sub_f32_e32 v5, v3, v4
	v_fma_f32 v3, v15, s4, -v3
	v_fmac_f32_e32 v3, 0x32a5705f, v15
	v_add_f32_e32 v3, v5, v3
	v_exp_f32_e32 v3, v3
	v_cvt_i32_f32_e32 v4, v4
	s_mov_b32 s4, 0xc2ce8ed0
	v_cmp_ngt_f32_e64 s[4:5], s4, v15
	v_ldexp_f32 v3, v3, v4
	v_cndmask_b32_e64 v3, 0, v3, s[4:5]
	s_mov_b32 s4, 0x42b17218
	v_mov_b32_e32 v4, 0x7f800000
	v_cmp_nlt_f32_e64 s[4:5], s4, v15
	v_cndmask_b32_e64 v3, v4, v3, s[4:5]
	v_fma_mixlo_f16 v3, -v2, v3, v14
	global_store_short v[0:1], v3, off offset:768
	s_or_b64 exec, exec, s[6:7]
	s_and_saveexec_b64 s[4:5], s[2:3]
	s_cbranch_execz .LBB271_47
.LBB271_64:
	v_mul_f32_e32 v3, 0x3fb8aa3b, v13
	s_mov_b32 s2, 0x3fb8aa3b
	v_rndne_f32_e32 v4, v3
	v_sub_f32_e32 v5, v3, v4
	v_fma_f32 v3, v13, s2, -v3
	v_fmac_f32_e32 v3, 0x32a5705f, v13
	v_add_f32_e32 v3, v5, v3
	v_exp_f32_e32 v3, v3
	v_cvt_i32_f32_e32 v4, v4
	s_mov_b32 s2, 0xc2ce8ed0
	v_cmp_ngt_f32_e64 s[2:3], s2, v13
	v_ldexp_f32 v3, v3, v4
	v_cndmask_b32_e64 v3, 0, v3, s[2:3]
	s_mov_b32 s2, 0x42b17218
	v_mov_b32_e32 v4, 0x7f800000
	v_cmp_nlt_f32_e64 s[2:3], s2, v13
	v_cndmask_b32_e64 v3, v4, v3, s[2:3]
	v_fma_mixlo_f16 v3, -v2, v3, v8
	global_store_short v[0:1], v3, off offset:832
	s_or_b64 exec, exec, s[4:5]
	s_and_saveexec_b64 s[2:3], s[0:1]
	s_cbranch_execz .LBB271_48
.LBB271_65:
	v_mul_f32_e32 v3, 0x3fb8aa3b, v11
	s_mov_b32 s0, 0x3fb8aa3b
	v_rndne_f32_e32 v4, v3
	v_sub_f32_e32 v5, v3, v4
	v_fma_f32 v3, v11, s0, -v3
	v_fmac_f32_e32 v3, 0x32a5705f, v11
	v_add_f32_e32 v3, v5, v3
	v_exp_f32_e32 v3, v3
	v_cvt_i32_f32_e32 v4, v4
	s_mov_b32 s0, 0xc2ce8ed0
	v_cmp_ngt_f32_e64 s[0:1], s0, v11
	v_ldexp_f32 v3, v3, v4
	v_cndmask_b32_e64 v3, 0, v3, s[0:1]
	s_mov_b32 s0, 0x42b17218
	v_mov_b32_e32 v4, 0x7f800000
	v_cmp_nlt_f32_e64 s[0:1], s0, v11
	v_cndmask_b32_e64 v3, v4, v3, s[0:1]
	v_fma_mixlo_f16 v3, -v2, v3, v10
	global_store_short v[0:1], v3, off offset:896
	s_or_b64 exec, exec, s[2:3]
	s_and_b64 exec, exec, vcc
	s_cbranch_execnz .LBB271_49
	s_branch .LBB271_50
	.section	.rodata,"a",@progbits
	.p2align	6, 0x0
	.amdhsa_kernel _ZN12_GLOBAL__N_121softmax_warp_backwardIN3c104HalfES2_fLi9ELb1ELb0ELi32EEEvPT0_PKT_S7_iiiPKb
		.amdhsa_group_segment_fixed_size 0
		.amdhsa_private_segment_fixed_size 0
		.amdhsa_kernarg_size 304
		.amdhsa_user_sgpr_count 6
		.amdhsa_user_sgpr_private_segment_buffer 1
		.amdhsa_user_sgpr_dispatch_ptr 0
		.amdhsa_user_sgpr_queue_ptr 0
		.amdhsa_user_sgpr_kernarg_segment_ptr 1
		.amdhsa_user_sgpr_dispatch_id 0
		.amdhsa_user_sgpr_flat_scratch_init 0
		.amdhsa_user_sgpr_kernarg_preload_length 0
		.amdhsa_user_sgpr_kernarg_preload_offset 0
		.amdhsa_user_sgpr_private_segment_size 0
		.amdhsa_uses_dynamic_stack 0
		.amdhsa_system_sgpr_private_segment_wavefront_offset 0
		.amdhsa_system_sgpr_workgroup_id_x 1
		.amdhsa_system_sgpr_workgroup_id_y 0
		.amdhsa_system_sgpr_workgroup_id_z 0
		.amdhsa_system_sgpr_workgroup_info 0
		.amdhsa_system_vgpr_workitem_id 1
		.amdhsa_next_free_vgpr 40
		.amdhsa_next_free_sgpr 44
		.amdhsa_accum_offset 40
		.amdhsa_reserve_vcc 1
		.amdhsa_reserve_flat_scratch 0
		.amdhsa_float_round_mode_32 0
		.amdhsa_float_round_mode_16_64 0
		.amdhsa_float_denorm_mode_32 3
		.amdhsa_float_denorm_mode_16_64 3
		.amdhsa_dx10_clamp 1
		.amdhsa_ieee_mode 1
		.amdhsa_fp16_overflow 0
		.amdhsa_tg_split 0
		.amdhsa_exception_fp_ieee_invalid_op 0
		.amdhsa_exception_fp_denorm_src 0
		.amdhsa_exception_fp_ieee_div_zero 0
		.amdhsa_exception_fp_ieee_overflow 0
		.amdhsa_exception_fp_ieee_underflow 0
		.amdhsa_exception_fp_ieee_inexact 0
		.amdhsa_exception_int_div_zero 0
	.end_amdhsa_kernel
	.section	.text._ZN12_GLOBAL__N_121softmax_warp_backwardIN3c104HalfES2_fLi9ELb1ELb0ELi32EEEvPT0_PKT_S7_iiiPKb,"axG",@progbits,_ZN12_GLOBAL__N_121softmax_warp_backwardIN3c104HalfES2_fLi9ELb1ELb0ELi32EEEvPT0_PKT_S7_iiiPKb,comdat
.Lfunc_end271:
	.size	_ZN12_GLOBAL__N_121softmax_warp_backwardIN3c104HalfES2_fLi9ELb1ELb0ELi32EEEvPT0_PKT_S7_iiiPKb, .Lfunc_end271-_ZN12_GLOBAL__N_121softmax_warp_backwardIN3c104HalfES2_fLi9ELb1ELb0ELi32EEEvPT0_PKT_S7_iiiPKb
                                        ; -- End function
	.section	.AMDGPU.csdata,"",@progbits
; Kernel info:
; codeLenInByte = 4048
; NumSgprs: 48
; NumVgprs: 40
; NumAgprs: 0
; TotalNumVgprs: 40
; ScratchSize: 0
; MemoryBound: 0
; FloatMode: 240
; IeeeMode: 1
; LDSByteSize: 0 bytes/workgroup (compile time only)
; SGPRBlocks: 5
; VGPRBlocks: 4
; NumSGPRsForWavesPerEU: 48
; NumVGPRsForWavesPerEU: 40
; AccumOffset: 40
; Occupancy: 8
; WaveLimiterHint : 0
; COMPUTE_PGM_RSRC2:SCRATCH_EN: 0
; COMPUTE_PGM_RSRC2:USER_SGPR: 6
; COMPUTE_PGM_RSRC2:TRAP_HANDLER: 0
; COMPUTE_PGM_RSRC2:TGID_X_EN: 1
; COMPUTE_PGM_RSRC2:TGID_Y_EN: 0
; COMPUTE_PGM_RSRC2:TGID_Z_EN: 0
; COMPUTE_PGM_RSRC2:TIDIG_COMP_CNT: 1
; COMPUTE_PGM_RSRC3_GFX90A:ACCUM_OFFSET: 9
; COMPUTE_PGM_RSRC3_GFX90A:TG_SPLIT: 0
	.section	.text._ZN12_GLOBAL__N_121softmax_warp_backwardIN3c104HalfES2_fLi10ELb1ELb0ELi64EEEvPT0_PKT_S7_iiiPKb,"axG",@progbits,_ZN12_GLOBAL__N_121softmax_warp_backwardIN3c104HalfES2_fLi10ELb1ELb0ELi64EEEvPT0_PKT_S7_iiiPKb,comdat
	.globl	_ZN12_GLOBAL__N_121softmax_warp_backwardIN3c104HalfES2_fLi10ELb1ELb0ELi64EEEvPT0_PKT_S7_iiiPKb ; -- Begin function _ZN12_GLOBAL__N_121softmax_warp_backwardIN3c104HalfES2_fLi10ELb1ELb0ELi64EEEvPT0_PKT_S7_iiiPKb
	.p2align	8
	.type	_ZN12_GLOBAL__N_121softmax_warp_backwardIN3c104HalfES2_fLi10ELb1ELb0ELi64EEEvPT0_PKT_S7_iiiPKb,@function
_ZN12_GLOBAL__N_121softmax_warp_backwardIN3c104HalfES2_fLi10ELb1ELb0ELi64EEEvPT0_PKT_S7_iiiPKb: ; @_ZN12_GLOBAL__N_121softmax_warp_backwardIN3c104HalfES2_fLi10ELb1ELb0ELi64EEEvPT0_PKT_S7_iiiPKb
; %bb.0:
	s_load_dword s2, s[4:5], 0x3c
	s_load_dwordx4 s[40:43], s[4:5], 0x18
	s_load_dwordx4 s[36:39], s[4:5], 0x0
	s_load_dwordx2 s[0:1], s[4:5], 0x10
	v_bfe_u32 v1, v0, 10, 10
	s_waitcnt lgkmcnt(0)
	s_lshr_b32 s2, s2, 16
	s_mul_i32 s6, s6, s2
	v_and_b32_e32 v9, 0x3ff, v0
	v_add_u32_e32 v1, s6, v1
	v_and_b32_e32 v6, 63, v9
	v_sub_u32_e32 v38, s40, v1
	v_mad_u64_u32 v[0:1], s[2:3], v1, s41, v[6:7]
	v_ashrrev_i32_e32 v1, 31, v0
	v_lshlrev_b64 v[0:1], 1, v[0:1]
	v_mov_b32_e32 v3, s39
	v_add_co_u32_e32 v2, vcc, s38, v0
	v_addc_co_u32_e32 v3, vcc, v3, v1, vcc
	v_mov_b32_e32 v5, s1
	v_add_co_u32_e32 v4, vcc, s0, v0
	v_cmp_lt_i32_e64 s[30:31], 0, v38
	v_cmp_gt_i32_e64 s[28:29], s42, v6
	v_addc_co_u32_e32 v5, vcc, v5, v1, vcc
	s_and_b64 s[2:3], s[30:31], s[28:29]
	v_mov_b32_e32 v28, 0
	v_mov_b32_e32 v36, 0
	;; [unrolled: 1-line block ×3, first 2 shown]
	s_and_saveexec_b64 s[0:1], s[2:3]
	s_cbranch_execz .LBB272_2
; %bb.1:
	global_load_ushort v7, v[2:3], off
	global_load_ushort v8, v[4:5], off
	s_waitcnt vmcnt(1)
	v_cvt_f32_f16_e32 v36, v7
	s_waitcnt vmcnt(0)
	v_cvt_f32_f16_e32 v37, v8
.LBB272_2:
	s_or_b64 exec, exec, s[0:1]
	v_or_b32_e32 v7, 64, v6
	v_cmp_gt_i32_e64 s[26:27], s42, v7
	s_and_b64 s[2:3], s[30:31], s[26:27]
	v_mov_b32_e32 v35, 0
	s_and_saveexec_b64 s[0:1], s[2:3]
	s_cbranch_execz .LBB272_4
; %bb.3:
	global_load_ushort v7, v[2:3], off offset:128
	global_load_ushort v8, v[4:5], off offset:128
	s_waitcnt vmcnt(1)
	v_cvt_f32_f16_e32 v28, v7
	s_waitcnt vmcnt(0)
	v_cvt_f32_f16_e32 v35, v8
.LBB272_4:
	s_or_b64 exec, exec, s[0:1]
	v_or_b32_e32 v7, 0x80, v6
	v_cmp_gt_i32_e64 s[24:25], s42, v7
	s_and_b64 s[2:3], s[30:31], s[24:25]
	v_mov_b32_e32 v24, 0
	v_mov_b32_e32 v33, 0
	v_mov_b32_e32 v34, 0
	s_and_saveexec_b64 s[0:1], s[2:3]
	s_cbranch_execz .LBB272_6
; %bb.5:
	global_load_ushort v7, v[2:3], off offset:256
	global_load_ushort v8, v[4:5], off offset:256
	s_waitcnt vmcnt(1)
	v_cvt_f32_f16_e32 v33, v7
	s_waitcnt vmcnt(0)
	v_cvt_f32_f16_e32 v34, v8
.LBB272_6:
	s_or_b64 exec, exec, s[0:1]
	v_or_b32_e32 v7, 0xc0, v6
	v_cmp_gt_i32_e64 s[22:23], s42, v7
	s_and_b64 s[2:3], s[30:31], s[22:23]
	v_mov_b32_e32 v32, 0
	s_and_saveexec_b64 s[0:1], s[2:3]
	s_cbranch_execz .LBB272_8
; %bb.7:
	global_load_ushort v7, v[2:3], off offset:384
	global_load_ushort v8, v[4:5], off offset:384
	s_waitcnt vmcnt(1)
	v_cvt_f32_f16_e32 v24, v7
	s_waitcnt vmcnt(0)
	v_cvt_f32_f16_e32 v32, v8
.LBB272_8:
	s_or_b64 exec, exec, s[0:1]
	v_or_b32_e32 v7, 0x100, v6
	v_cmp_gt_i32_e64 s[20:21], s42, v7
	s_and_b64 s[2:3], s[30:31], s[20:21]
	v_mov_b32_e32 v20, 0
	v_mov_b32_e32 v30, 0
	v_mov_b32_e32 v31, 0
	s_and_saveexec_b64 s[0:1], s[2:3]
	s_cbranch_execz .LBB272_10
; %bb.9:
	global_load_ushort v7, v[2:3], off offset:512
	global_load_ushort v8, v[4:5], off offset:512
	s_waitcnt vmcnt(1)
	v_cvt_f32_f16_e32 v30, v7
	s_waitcnt vmcnt(0)
	v_cvt_f32_f16_e32 v31, v8
.LBB272_10:
	;; [unrolled: 32-line block ×7, first 2 shown]
	s_or_b64 exec, exec, s[34:35]
	v_or_b32_e32 v9, 0x3c0, v9
	v_cmp_gt_i32_e32 vcc, s42, v9
	s_and_b64 s[34:35], s[30:31], vcc
	v_mov_b32_e32 v9, 0
	s_and_saveexec_b64 s[30:31], s[34:35]
	s_cbranch_execz .LBB272_32
; %bb.31:
	global_load_ushort v6, v[2:3], off offset:1920
	global_load_ushort v9, v[4:5], off offset:1920
	s_waitcnt vmcnt(1)
	v_cvt_f32_f16_e32 v6, v6
	s_waitcnt vmcnt(0)
	v_cvt_f32_f16_e32 v9, v9
.LBB272_32:
	s_or_b64 exec, exec, s[30:31]
	v_add_f32_e32 v2, 0, v36
	v_add_f32_e32 v2, v2, v28
	;; [unrolled: 1-line block ×10, first 2 shown]
	v_mbcnt_lo_u32_b32 v3, -1, 0
	v_add_f32_e32 v2, v2, v18
	v_mbcnt_hi_u32_b32 v3, -1, v3
	v_add_f32_e32 v2, v2, v8
	v_and_b32_e32 v4, 64, v3
	v_add_f32_e32 v2, v2, v14
	v_add_u32_e32 v4, 64, v4
	v_xor_b32_e32 v5, 32, v3
	v_add_f32_e32 v2, v2, v7
	v_cmp_lt_i32_e64 s[30:31], v5, v4
	v_add_f32_e32 v2, v2, v10
	v_cndmask_b32_e64 v5, v3, v5, s[30:31]
	v_add_f32_e32 v2, v2, v6
	v_lshlrev_b32_e32 v5, 2, v5
	ds_bpermute_b32 v5, v5, v2
	s_waitcnt lgkmcnt(0)
	v_add_f32_e32 v2, v2, v5
	v_xor_b32_e32 v5, 16, v3
	v_cmp_lt_i32_e64 s[30:31], v5, v4
	v_cndmask_b32_e64 v5, v3, v5, s[30:31]
	v_lshlrev_b32_e32 v5, 2, v5
	ds_bpermute_b32 v5, v5, v2
	s_waitcnt lgkmcnt(0)
	v_add_f32_e32 v2, v2, v5
	v_xor_b32_e32 v5, 8, v3
	v_cmp_lt_i32_e64 s[30:31], v5, v4
	v_cndmask_b32_e64 v5, v3, v5, s[30:31]
	;; [unrolled: 7-line block ×5, first 2 shown]
	v_lshlrev_b32_e32 v3, 2, v3
	ds_bpermute_b32 v3, v3, v2
	v_cmp_lt_i32_e64 s[30:31], 0, v38
	s_and_saveexec_b64 s[34:35], s[30:31]
	s_cbranch_execz .LBB272_50
; %bb.33:
	v_mov_b32_e32 v4, s37
	v_add_co_u32_e64 v0, s[30:31], s36, v0
	v_addc_co_u32_e64 v1, s[30:31], v4, v1, s[30:31]
	s_waitcnt lgkmcnt(0)
	v_add_f32_e32 v2, v2, v3
	s_and_saveexec_b64 s[30:31], s[28:29]
	s_cbranch_execnz .LBB272_51
; %bb.34:
	s_or_b64 exec, exec, s[30:31]
	s_and_saveexec_b64 s[28:29], s[26:27]
	s_cbranch_execnz .LBB272_52
.LBB272_35:
	s_or_b64 exec, exec, s[28:29]
	s_and_saveexec_b64 s[26:27], s[24:25]
	s_cbranch_execnz .LBB272_53
.LBB272_36:
	s_or_b64 exec, exec, s[26:27]
	s_and_saveexec_b64 s[24:25], s[22:23]
	s_cbranch_execnz .LBB272_54
.LBB272_37:
	s_or_b64 exec, exec, s[24:25]
	s_and_saveexec_b64 s[22:23], s[20:21]
	s_cbranch_execnz .LBB272_55
.LBB272_38:
	s_or_b64 exec, exec, s[22:23]
	s_and_saveexec_b64 s[20:21], s[18:19]
	s_cbranch_execnz .LBB272_56
.LBB272_39:
	s_or_b64 exec, exec, s[20:21]
	s_and_saveexec_b64 s[18:19], s[16:17]
	s_cbranch_execnz .LBB272_57
.LBB272_40:
	s_or_b64 exec, exec, s[18:19]
	s_and_saveexec_b64 s[16:17], s[14:15]
	s_cbranch_execnz .LBB272_58
.LBB272_41:
	s_or_b64 exec, exec, s[16:17]
	s_and_saveexec_b64 s[14:15], s[12:13]
	s_cbranch_execnz .LBB272_59
.LBB272_42:
	s_or_b64 exec, exec, s[14:15]
	s_and_saveexec_b64 s[12:13], s[10:11]
	s_cbranch_execnz .LBB272_60
.LBB272_43:
	s_or_b64 exec, exec, s[12:13]
	s_and_saveexec_b64 s[10:11], s[8:9]
	s_cbranch_execnz .LBB272_61
.LBB272_44:
	s_or_b64 exec, exec, s[10:11]
	s_and_saveexec_b64 s[8:9], s[6:7]
	s_cbranch_execnz .LBB272_62
.LBB272_45:
	s_or_b64 exec, exec, s[8:9]
	s_and_saveexec_b64 s[6:7], s[4:5]
	s_cbranch_execnz .LBB272_63
.LBB272_46:
	s_or_b64 exec, exec, s[6:7]
	s_and_saveexec_b64 s[4:5], s[2:3]
	s_cbranch_execnz .LBB272_64
.LBB272_47:
	s_or_b64 exec, exec, s[4:5]
	s_and_saveexec_b64 s[2:3], s[0:1]
	s_cbranch_execnz .LBB272_65
.LBB272_48:
	s_or_b64 exec, exec, s[2:3]
	s_and_b64 exec, exec, vcc
	s_cbranch_execz .LBB272_50
.LBB272_49:
	v_mul_f32_e32 v3, 0x3fb8aa3b, v9
	s_mov_b32 s0, 0x3fb8aa3b
	v_rndne_f32_e32 v4, v3
	v_sub_f32_e32 v5, v3, v4
	v_fma_f32 v3, v9, s0, -v3
	v_fmac_f32_e32 v3, 0x32a5705f, v9
	v_add_f32_e32 v3, v5, v3
	v_exp_f32_e32 v3, v3
	v_cvt_i32_f32_e32 v4, v4
	s_mov_b32 s0, 0xc2ce8ed0
	v_cmp_ngt_f32_e32 vcc, s0, v9
	s_mov_b32 s0, 0x42b17218
	v_ldexp_f32 v3, v3, v4
	v_cndmask_b32_e32 v3, 0, v3, vcc
	v_mov_b32_e32 v4, 0x7f800000
	v_cmp_nlt_f32_e32 vcc, s0, v9
	v_cndmask_b32_e32 v3, v4, v3, vcc
	v_fma_mixlo_f16 v2, -v2, v3, v6
	global_store_short v[0:1], v2, off offset:1920
.LBB272_50:
	s_endpgm
.LBB272_51:
	v_mul_f32_e32 v3, 0x3fb8aa3b, v37
	s_mov_b32 s28, 0x3fb8aa3b
	v_rndne_f32_e32 v4, v3
	v_sub_f32_e32 v5, v3, v4
	v_fma_f32 v3, v37, s28, -v3
	v_fmac_f32_e32 v3, 0x32a5705f, v37
	v_add_f32_e32 v3, v5, v3
	v_exp_f32_e32 v3, v3
	v_cvt_i32_f32_e32 v4, v4
	s_mov_b32 s28, 0xc2ce8ed0
	v_cmp_ngt_f32_e64 s[28:29], s28, v37
	v_ldexp_f32 v3, v3, v4
	v_cndmask_b32_e64 v3, 0, v3, s[28:29]
	s_mov_b32 s28, 0x42b17218
	v_mov_b32_e32 v4, 0x7f800000
	v_cmp_nlt_f32_e64 s[28:29], s28, v37
	v_cndmask_b32_e64 v3, v4, v3, s[28:29]
	v_fma_mixlo_f16 v3, -v2, v3, v36
	global_store_short v[0:1], v3, off
	s_or_b64 exec, exec, s[30:31]
	s_and_saveexec_b64 s[28:29], s[26:27]
	s_cbranch_execz .LBB272_35
.LBB272_52:
	v_mul_f32_e32 v3, 0x3fb8aa3b, v35
	s_mov_b32 s26, 0x3fb8aa3b
	v_rndne_f32_e32 v4, v3
	v_sub_f32_e32 v5, v3, v4
	v_fma_f32 v3, v35, s26, -v3
	v_fmac_f32_e32 v3, 0x32a5705f, v35
	v_add_f32_e32 v3, v5, v3
	v_exp_f32_e32 v3, v3
	v_cvt_i32_f32_e32 v4, v4
	s_mov_b32 s26, 0xc2ce8ed0
	v_cmp_ngt_f32_e64 s[26:27], s26, v35
	v_ldexp_f32 v3, v3, v4
	v_cndmask_b32_e64 v3, 0, v3, s[26:27]
	s_mov_b32 s26, 0x42b17218
	v_mov_b32_e32 v4, 0x7f800000
	v_cmp_nlt_f32_e64 s[26:27], s26, v35
	v_cndmask_b32_e64 v3, v4, v3, s[26:27]
	v_fma_mixlo_f16 v3, -v2, v3, v28
	global_store_short v[0:1], v3, off offset:128
	s_or_b64 exec, exec, s[28:29]
	s_and_saveexec_b64 s[26:27], s[24:25]
	s_cbranch_execz .LBB272_36
.LBB272_53:
	v_mul_f32_e32 v3, 0x3fb8aa3b, v34
	s_mov_b32 s24, 0x3fb8aa3b
	v_rndne_f32_e32 v4, v3
	v_sub_f32_e32 v5, v3, v4
	v_fma_f32 v3, v34, s24, -v3
	v_fmac_f32_e32 v3, 0x32a5705f, v34
	v_add_f32_e32 v3, v5, v3
	v_exp_f32_e32 v3, v3
	v_cvt_i32_f32_e32 v4, v4
	s_mov_b32 s24, 0xc2ce8ed0
	v_cmp_ngt_f32_e64 s[24:25], s24, v34
	v_ldexp_f32 v3, v3, v4
	v_cndmask_b32_e64 v3, 0, v3, s[24:25]
	s_mov_b32 s24, 0x42b17218
	v_mov_b32_e32 v4, 0x7f800000
	v_cmp_nlt_f32_e64 s[24:25], s24, v34
	v_cndmask_b32_e64 v3, v4, v3, s[24:25]
	v_fma_mixlo_f16 v3, -v2, v3, v33
	global_store_short v[0:1], v3, off offset:256
	s_or_b64 exec, exec, s[26:27]
	s_and_saveexec_b64 s[24:25], s[22:23]
	s_cbranch_execz .LBB272_37
.LBB272_54:
	v_mul_f32_e32 v3, 0x3fb8aa3b, v32
	s_mov_b32 s22, 0x3fb8aa3b
	v_rndne_f32_e32 v4, v3
	v_sub_f32_e32 v5, v3, v4
	v_fma_f32 v3, v32, s22, -v3
	v_fmac_f32_e32 v3, 0x32a5705f, v32
	v_add_f32_e32 v3, v5, v3
	v_exp_f32_e32 v3, v3
	v_cvt_i32_f32_e32 v4, v4
	s_mov_b32 s22, 0xc2ce8ed0
	v_cmp_ngt_f32_e64 s[22:23], s22, v32
	v_ldexp_f32 v3, v3, v4
	v_cndmask_b32_e64 v3, 0, v3, s[22:23]
	s_mov_b32 s22, 0x42b17218
	v_mov_b32_e32 v4, 0x7f800000
	v_cmp_nlt_f32_e64 s[22:23], s22, v32
	v_cndmask_b32_e64 v3, v4, v3, s[22:23]
	v_fma_mixlo_f16 v3, -v2, v3, v24
	global_store_short v[0:1], v3, off offset:384
	s_or_b64 exec, exec, s[24:25]
	s_and_saveexec_b64 s[22:23], s[20:21]
	s_cbranch_execz .LBB272_38
.LBB272_55:
	v_mul_f32_e32 v3, 0x3fb8aa3b, v31
	s_mov_b32 s20, 0x3fb8aa3b
	v_rndne_f32_e32 v4, v3
	v_sub_f32_e32 v5, v3, v4
	v_fma_f32 v3, v31, s20, -v3
	v_fmac_f32_e32 v3, 0x32a5705f, v31
	v_add_f32_e32 v3, v5, v3
	v_exp_f32_e32 v3, v3
	v_cvt_i32_f32_e32 v4, v4
	s_mov_b32 s20, 0xc2ce8ed0
	v_cmp_ngt_f32_e64 s[20:21], s20, v31
	v_ldexp_f32 v3, v3, v4
	v_cndmask_b32_e64 v3, 0, v3, s[20:21]
	s_mov_b32 s20, 0x42b17218
	v_mov_b32_e32 v4, 0x7f800000
	v_cmp_nlt_f32_e64 s[20:21], s20, v31
	v_cndmask_b32_e64 v3, v4, v3, s[20:21]
	v_fma_mixlo_f16 v3, -v2, v3, v30
	global_store_short v[0:1], v3, off offset:512
	s_or_b64 exec, exec, s[22:23]
	s_and_saveexec_b64 s[20:21], s[18:19]
	s_cbranch_execz .LBB272_39
.LBB272_56:
	v_mul_f32_e32 v3, 0x3fb8aa3b, v29
	s_mov_b32 s18, 0x3fb8aa3b
	v_rndne_f32_e32 v4, v3
	v_sub_f32_e32 v5, v3, v4
	v_fma_f32 v3, v29, s18, -v3
	v_fmac_f32_e32 v3, 0x32a5705f, v29
	v_add_f32_e32 v3, v5, v3
	v_exp_f32_e32 v3, v3
	v_cvt_i32_f32_e32 v4, v4
	s_mov_b32 s18, 0xc2ce8ed0
	v_cmp_ngt_f32_e64 s[18:19], s18, v29
	v_ldexp_f32 v3, v3, v4
	v_cndmask_b32_e64 v3, 0, v3, s[18:19]
	s_mov_b32 s18, 0x42b17218
	v_mov_b32_e32 v4, 0x7f800000
	v_cmp_nlt_f32_e64 s[18:19], s18, v29
	v_cndmask_b32_e64 v3, v4, v3, s[18:19]
	v_fma_mixlo_f16 v3, -v2, v3, v20
	global_store_short v[0:1], v3, off offset:640
	s_or_b64 exec, exec, s[20:21]
	s_and_saveexec_b64 s[18:19], s[16:17]
	s_cbranch_execz .LBB272_40
.LBB272_57:
	v_mul_f32_e32 v3, 0x3fb8aa3b, v27
	s_mov_b32 s16, 0x3fb8aa3b
	v_rndne_f32_e32 v4, v3
	v_sub_f32_e32 v5, v3, v4
	v_fma_f32 v3, v27, s16, -v3
	v_fmac_f32_e32 v3, 0x32a5705f, v27
	v_add_f32_e32 v3, v5, v3
	v_exp_f32_e32 v3, v3
	v_cvt_i32_f32_e32 v4, v4
	s_mov_b32 s16, 0xc2ce8ed0
	v_cmp_ngt_f32_e64 s[16:17], s16, v27
	v_ldexp_f32 v3, v3, v4
	v_cndmask_b32_e64 v3, 0, v3, s[16:17]
	s_mov_b32 s16, 0x42b17218
	v_mov_b32_e32 v4, 0x7f800000
	v_cmp_nlt_f32_e64 s[16:17], s16, v27
	v_cndmask_b32_e64 v3, v4, v3, s[16:17]
	v_fma_mixlo_f16 v3, -v2, v3, v26
	global_store_short v[0:1], v3, off offset:768
	s_or_b64 exec, exec, s[18:19]
	s_and_saveexec_b64 s[16:17], s[14:15]
	s_cbranch_execz .LBB272_41
.LBB272_58:
	v_mul_f32_e32 v3, 0x3fb8aa3b, v25
	s_mov_b32 s14, 0x3fb8aa3b
	v_rndne_f32_e32 v4, v3
	v_sub_f32_e32 v5, v3, v4
	v_fma_f32 v3, v25, s14, -v3
	v_fmac_f32_e32 v3, 0x32a5705f, v25
	v_add_f32_e32 v3, v5, v3
	v_exp_f32_e32 v3, v3
	v_cvt_i32_f32_e32 v4, v4
	s_mov_b32 s14, 0xc2ce8ed0
	v_cmp_ngt_f32_e64 s[14:15], s14, v25
	v_ldexp_f32 v3, v3, v4
	v_cndmask_b32_e64 v3, 0, v3, s[14:15]
	s_mov_b32 s14, 0x42b17218
	v_mov_b32_e32 v4, 0x7f800000
	v_cmp_nlt_f32_e64 s[14:15], s14, v25
	v_cndmask_b32_e64 v3, v4, v3, s[14:15]
	v_fma_mixlo_f16 v3, -v2, v3, v16
	global_store_short v[0:1], v3, off offset:896
	s_or_b64 exec, exec, s[16:17]
	s_and_saveexec_b64 s[14:15], s[12:13]
	s_cbranch_execz .LBB272_42
.LBB272_59:
	v_mul_f32_e32 v3, 0x3fb8aa3b, v23
	s_mov_b32 s12, 0x3fb8aa3b
	v_rndne_f32_e32 v4, v3
	v_sub_f32_e32 v5, v3, v4
	v_fma_f32 v3, v23, s12, -v3
	v_fmac_f32_e32 v3, 0x32a5705f, v23
	v_add_f32_e32 v3, v5, v3
	v_exp_f32_e32 v3, v3
	v_cvt_i32_f32_e32 v4, v4
	s_mov_b32 s12, 0xc2ce8ed0
	v_cmp_ngt_f32_e64 s[12:13], s12, v23
	v_ldexp_f32 v3, v3, v4
	v_cndmask_b32_e64 v3, 0, v3, s[12:13]
	s_mov_b32 s12, 0x42b17218
	v_mov_b32_e32 v4, 0x7f800000
	v_cmp_nlt_f32_e64 s[12:13], s12, v23
	v_cndmask_b32_e64 v3, v4, v3, s[12:13]
	v_fma_mixlo_f16 v3, -v2, v3, v22
	global_store_short v[0:1], v3, off offset:1024
	s_or_b64 exec, exec, s[14:15]
	s_and_saveexec_b64 s[12:13], s[10:11]
	s_cbranch_execz .LBB272_43
.LBB272_60:
	v_mul_f32_e32 v3, 0x3fb8aa3b, v21
	s_mov_b32 s10, 0x3fb8aa3b
	v_rndne_f32_e32 v4, v3
	v_sub_f32_e32 v5, v3, v4
	v_fma_f32 v3, v21, s10, -v3
	v_fmac_f32_e32 v3, 0x32a5705f, v21
	v_add_f32_e32 v3, v5, v3
	v_exp_f32_e32 v3, v3
	v_cvt_i32_f32_e32 v4, v4
	s_mov_b32 s10, 0xc2ce8ed0
	v_cmp_ngt_f32_e64 s[10:11], s10, v21
	v_ldexp_f32 v3, v3, v4
	v_cndmask_b32_e64 v3, 0, v3, s[10:11]
	s_mov_b32 s10, 0x42b17218
	v_mov_b32_e32 v4, 0x7f800000
	v_cmp_nlt_f32_e64 s[10:11], s10, v21
	v_cndmask_b32_e64 v3, v4, v3, s[10:11]
	v_fma_mixlo_f16 v3, -v2, v3, v12
	global_store_short v[0:1], v3, off offset:1152
	s_or_b64 exec, exec, s[12:13]
	s_and_saveexec_b64 s[10:11], s[8:9]
	s_cbranch_execz .LBB272_44
.LBB272_61:
	v_mul_f32_e32 v3, 0x3fb8aa3b, v19
	s_mov_b32 s8, 0x3fb8aa3b
	v_rndne_f32_e32 v4, v3
	v_sub_f32_e32 v5, v3, v4
	v_fma_f32 v3, v19, s8, -v3
	v_fmac_f32_e32 v3, 0x32a5705f, v19
	v_add_f32_e32 v3, v5, v3
	v_exp_f32_e32 v3, v3
	v_cvt_i32_f32_e32 v4, v4
	s_mov_b32 s8, 0xc2ce8ed0
	v_cmp_ngt_f32_e64 s[8:9], s8, v19
	v_ldexp_f32 v3, v3, v4
	v_cndmask_b32_e64 v3, 0, v3, s[8:9]
	s_mov_b32 s8, 0x42b17218
	v_mov_b32_e32 v4, 0x7f800000
	v_cmp_nlt_f32_e64 s[8:9], s8, v19
	v_cndmask_b32_e64 v3, v4, v3, s[8:9]
	v_fma_mixlo_f16 v3, -v2, v3, v18
	global_store_short v[0:1], v3, off offset:1280
	s_or_b64 exec, exec, s[10:11]
	s_and_saveexec_b64 s[8:9], s[6:7]
	s_cbranch_execz .LBB272_45
.LBB272_62:
	v_mul_f32_e32 v3, 0x3fb8aa3b, v17
	s_mov_b32 s6, 0x3fb8aa3b
	v_rndne_f32_e32 v4, v3
	v_sub_f32_e32 v5, v3, v4
	v_fma_f32 v3, v17, s6, -v3
	v_fmac_f32_e32 v3, 0x32a5705f, v17
	v_add_f32_e32 v3, v5, v3
	v_exp_f32_e32 v3, v3
	v_cvt_i32_f32_e32 v4, v4
	s_mov_b32 s6, 0xc2ce8ed0
	v_cmp_ngt_f32_e64 s[6:7], s6, v17
	v_ldexp_f32 v3, v3, v4
	v_cndmask_b32_e64 v3, 0, v3, s[6:7]
	s_mov_b32 s6, 0x42b17218
	v_mov_b32_e32 v4, 0x7f800000
	v_cmp_nlt_f32_e64 s[6:7], s6, v17
	v_cndmask_b32_e64 v3, v4, v3, s[6:7]
	v_fma_mixlo_f16 v3, -v2, v3, v8
	global_store_short v[0:1], v3, off offset:1408
	s_or_b64 exec, exec, s[8:9]
	s_and_saveexec_b64 s[6:7], s[4:5]
	s_cbranch_execz .LBB272_46
.LBB272_63:
	v_mul_f32_e32 v3, 0x3fb8aa3b, v15
	s_mov_b32 s4, 0x3fb8aa3b
	v_rndne_f32_e32 v4, v3
	v_sub_f32_e32 v5, v3, v4
	v_fma_f32 v3, v15, s4, -v3
	v_fmac_f32_e32 v3, 0x32a5705f, v15
	v_add_f32_e32 v3, v5, v3
	v_exp_f32_e32 v3, v3
	v_cvt_i32_f32_e32 v4, v4
	s_mov_b32 s4, 0xc2ce8ed0
	v_cmp_ngt_f32_e64 s[4:5], s4, v15
	v_ldexp_f32 v3, v3, v4
	v_cndmask_b32_e64 v3, 0, v3, s[4:5]
	s_mov_b32 s4, 0x42b17218
	v_mov_b32_e32 v4, 0x7f800000
	v_cmp_nlt_f32_e64 s[4:5], s4, v15
	v_cndmask_b32_e64 v3, v4, v3, s[4:5]
	v_fma_mixlo_f16 v3, -v2, v3, v14
	global_store_short v[0:1], v3, off offset:1536
	s_or_b64 exec, exec, s[6:7]
	s_and_saveexec_b64 s[4:5], s[2:3]
	s_cbranch_execz .LBB272_47
.LBB272_64:
	v_mul_f32_e32 v3, 0x3fb8aa3b, v13
	s_mov_b32 s2, 0x3fb8aa3b
	v_rndne_f32_e32 v4, v3
	v_sub_f32_e32 v5, v3, v4
	v_fma_f32 v3, v13, s2, -v3
	v_fmac_f32_e32 v3, 0x32a5705f, v13
	v_add_f32_e32 v3, v5, v3
	v_exp_f32_e32 v3, v3
	v_cvt_i32_f32_e32 v4, v4
	s_mov_b32 s2, 0xc2ce8ed0
	v_cmp_ngt_f32_e64 s[2:3], s2, v13
	v_ldexp_f32 v3, v3, v4
	v_cndmask_b32_e64 v3, 0, v3, s[2:3]
	s_mov_b32 s2, 0x42b17218
	v_mov_b32_e32 v4, 0x7f800000
	v_cmp_nlt_f32_e64 s[2:3], s2, v13
	v_cndmask_b32_e64 v3, v4, v3, s[2:3]
	v_fma_mixlo_f16 v3, -v2, v3, v7
	global_store_short v[0:1], v3, off offset:1664
	s_or_b64 exec, exec, s[4:5]
	s_and_saveexec_b64 s[2:3], s[0:1]
	s_cbranch_execz .LBB272_48
.LBB272_65:
	v_mul_f32_e32 v3, 0x3fb8aa3b, v11
	s_mov_b32 s0, 0x3fb8aa3b
	v_rndne_f32_e32 v4, v3
	v_sub_f32_e32 v5, v3, v4
	v_fma_f32 v3, v11, s0, -v3
	v_fmac_f32_e32 v3, 0x32a5705f, v11
	v_add_f32_e32 v3, v5, v3
	v_exp_f32_e32 v3, v3
	v_cvt_i32_f32_e32 v4, v4
	s_mov_b32 s0, 0xc2ce8ed0
	v_cmp_ngt_f32_e64 s[0:1], s0, v11
	v_ldexp_f32 v3, v3, v4
	v_cndmask_b32_e64 v3, 0, v3, s[0:1]
	s_mov_b32 s0, 0x42b17218
	v_mov_b32_e32 v4, 0x7f800000
	v_cmp_nlt_f32_e64 s[0:1], s0, v11
	v_cndmask_b32_e64 v3, v4, v3, s[0:1]
	v_fma_mixlo_f16 v3, -v2, v3, v10
	global_store_short v[0:1], v3, off offset:1792
	s_or_b64 exec, exec, s[2:3]
	s_and_b64 exec, exec, vcc
	s_cbranch_execnz .LBB272_49
	s_branch .LBB272_50
	.section	.rodata,"a",@progbits
	.p2align	6, 0x0
	.amdhsa_kernel _ZN12_GLOBAL__N_121softmax_warp_backwardIN3c104HalfES2_fLi10ELb1ELb0ELi64EEEvPT0_PKT_S7_iiiPKb
		.amdhsa_group_segment_fixed_size 0
		.amdhsa_private_segment_fixed_size 0
		.amdhsa_kernarg_size 304
		.amdhsa_user_sgpr_count 6
		.amdhsa_user_sgpr_private_segment_buffer 1
		.amdhsa_user_sgpr_dispatch_ptr 0
		.amdhsa_user_sgpr_queue_ptr 0
		.amdhsa_user_sgpr_kernarg_segment_ptr 1
		.amdhsa_user_sgpr_dispatch_id 0
		.amdhsa_user_sgpr_flat_scratch_init 0
		.amdhsa_user_sgpr_kernarg_preload_length 0
		.amdhsa_user_sgpr_kernarg_preload_offset 0
		.amdhsa_user_sgpr_private_segment_size 0
		.amdhsa_uses_dynamic_stack 0
		.amdhsa_system_sgpr_private_segment_wavefront_offset 0
		.amdhsa_system_sgpr_workgroup_id_x 1
		.amdhsa_system_sgpr_workgroup_id_y 0
		.amdhsa_system_sgpr_workgroup_id_z 0
		.amdhsa_system_sgpr_workgroup_info 0
		.amdhsa_system_vgpr_workitem_id 1
		.amdhsa_next_free_vgpr 39
		.amdhsa_next_free_sgpr 44
		.amdhsa_accum_offset 40
		.amdhsa_reserve_vcc 1
		.amdhsa_reserve_flat_scratch 0
		.amdhsa_float_round_mode_32 0
		.amdhsa_float_round_mode_16_64 0
		.amdhsa_float_denorm_mode_32 3
		.amdhsa_float_denorm_mode_16_64 3
		.amdhsa_dx10_clamp 1
		.amdhsa_ieee_mode 1
		.amdhsa_fp16_overflow 0
		.amdhsa_tg_split 0
		.amdhsa_exception_fp_ieee_invalid_op 0
		.amdhsa_exception_fp_denorm_src 0
		.amdhsa_exception_fp_ieee_div_zero 0
		.amdhsa_exception_fp_ieee_overflow 0
		.amdhsa_exception_fp_ieee_underflow 0
		.amdhsa_exception_fp_ieee_inexact 0
		.amdhsa_exception_int_div_zero 0
	.end_amdhsa_kernel
	.section	.text._ZN12_GLOBAL__N_121softmax_warp_backwardIN3c104HalfES2_fLi10ELb1ELb0ELi64EEEvPT0_PKT_S7_iiiPKb,"axG",@progbits,_ZN12_GLOBAL__N_121softmax_warp_backwardIN3c104HalfES2_fLi10ELb1ELb0ELi64EEEvPT0_PKT_S7_iiiPKb,comdat
.Lfunc_end272:
	.size	_ZN12_GLOBAL__N_121softmax_warp_backwardIN3c104HalfES2_fLi10ELb1ELb0ELi64EEEvPT0_PKT_S7_iiiPKb, .Lfunc_end272-_ZN12_GLOBAL__N_121softmax_warp_backwardIN3c104HalfES2_fLi10ELb1ELb0ELi64EEEvPT0_PKT_S7_iiiPKb
                                        ; -- End function
	.section	.AMDGPU.csdata,"",@progbits
; Kernel info:
; codeLenInByte = 4096
; NumSgprs: 48
; NumVgprs: 39
; NumAgprs: 0
; TotalNumVgprs: 39
; ScratchSize: 0
; MemoryBound: 0
; FloatMode: 240
; IeeeMode: 1
; LDSByteSize: 0 bytes/workgroup (compile time only)
; SGPRBlocks: 5
; VGPRBlocks: 4
; NumSGPRsForWavesPerEU: 48
; NumVGPRsForWavesPerEU: 39
; AccumOffset: 40
; Occupancy: 8
; WaveLimiterHint : 0
; COMPUTE_PGM_RSRC2:SCRATCH_EN: 0
; COMPUTE_PGM_RSRC2:USER_SGPR: 6
; COMPUTE_PGM_RSRC2:TRAP_HANDLER: 0
; COMPUTE_PGM_RSRC2:TGID_X_EN: 1
; COMPUTE_PGM_RSRC2:TGID_Y_EN: 0
; COMPUTE_PGM_RSRC2:TGID_Z_EN: 0
; COMPUTE_PGM_RSRC2:TIDIG_COMP_CNT: 1
; COMPUTE_PGM_RSRC3_GFX90A:ACCUM_OFFSET: 9
; COMPUTE_PGM_RSRC3_GFX90A:TG_SPLIT: 0
	.section	.text._ZN12_GLOBAL__N_121softmax_warp_backwardIN3c104HalfES2_fLi10ELb1ELb0ELi32EEEvPT0_PKT_S7_iiiPKb,"axG",@progbits,_ZN12_GLOBAL__N_121softmax_warp_backwardIN3c104HalfES2_fLi10ELb1ELb0ELi32EEEvPT0_PKT_S7_iiiPKb,comdat
	.globl	_ZN12_GLOBAL__N_121softmax_warp_backwardIN3c104HalfES2_fLi10ELb1ELb0ELi32EEEvPT0_PKT_S7_iiiPKb ; -- Begin function _ZN12_GLOBAL__N_121softmax_warp_backwardIN3c104HalfES2_fLi10ELb1ELb0ELi32EEEvPT0_PKT_S7_iiiPKb
	.p2align	8
	.type	_ZN12_GLOBAL__N_121softmax_warp_backwardIN3c104HalfES2_fLi10ELb1ELb0ELi32EEEvPT0_PKT_S7_iiiPKb,@function
_ZN12_GLOBAL__N_121softmax_warp_backwardIN3c104HalfES2_fLi10ELb1ELb0ELi32EEEvPT0_PKT_S7_iiiPKb: ; @_ZN12_GLOBAL__N_121softmax_warp_backwardIN3c104HalfES2_fLi10ELb1ELb0ELi32EEEvPT0_PKT_S7_iiiPKb
; %bb.0:
	s_load_dword s2, s[4:5], 0x3c
	s_load_dwordx4 s[64:67], s[4:5], 0x18
	s_load_dwordx4 s[68:71], s[4:5], 0x0
	s_load_dwordx2 s[0:1], s[4:5], 0x10
	v_bfe_u32 v1, v0, 10, 10
	s_waitcnt lgkmcnt(0)
	s_lshr_b32 s2, s2, 16
	s_mul_i32 s6, s6, s2
	v_and_b32_e32 v9, 0x3ff, v0
	v_add_u32_e32 v1, s6, v1
	v_and_b32_e32 v6, 31, v9
	v_sub_u32_e32 v70, s64, v1
	v_mad_u64_u32 v[0:1], s[2:3], v1, s65, v[6:7]
	v_ashrrev_i32_e32 v1, 31, v0
	v_lshlrev_b64 v[0:1], 1, v[0:1]
	v_mov_b32_e32 v3, s71
	v_add_co_u32_e32 v2, vcc, s70, v0
	v_addc_co_u32_e32 v3, vcc, v3, v1, vcc
	v_mov_b32_e32 v5, s1
	v_add_co_u32_e32 v4, vcc, s0, v0
	v_cmp_lt_i32_e64 s[64:65], 0, v70
	v_cmp_gt_i32_e64 s[62:63], s66, v6
	v_addc_co_u32_e32 v5, vcc, v5, v1, vcc
	s_and_b64 s[2:3], s[64:65], s[62:63]
	v_mov_b32_e32 v60, 0
	v_mov_b32_e32 v68, 0
	;; [unrolled: 1-line block ×3, first 2 shown]
	s_and_saveexec_b64 s[0:1], s[2:3]
	s_cbranch_execz .LBB273_2
; %bb.1:
	global_load_ushort v7, v[2:3], off
	global_load_ushort v8, v[4:5], off
	s_waitcnt vmcnt(1)
	v_cvt_f32_f16_e32 v68, v7
	s_waitcnt vmcnt(0)
	v_cvt_f32_f16_e32 v69, v8
.LBB273_2:
	s_or_b64 exec, exec, s[0:1]
	v_or_b32_e32 v7, 32, v6
	v_cmp_gt_i32_e64 s[60:61], s66, v7
	s_and_b64 s[2:3], s[64:65], s[60:61]
	v_mov_b32_e32 v67, 0
	s_and_saveexec_b64 s[0:1], s[2:3]
	s_cbranch_execz .LBB273_4
; %bb.3:
	global_load_ushort v7, v[2:3], off offset:64
	global_load_ushort v8, v[4:5], off offset:64
	s_waitcnt vmcnt(1)
	v_cvt_f32_f16_e32 v60, v7
	s_waitcnt vmcnt(0)
	v_cvt_f32_f16_e32 v67, v8
.LBB273_4:
	s_or_b64 exec, exec, s[0:1]
	v_or_b32_e32 v7, 64, v6
	v_cmp_gt_i32_e64 s[58:59], s66, v7
	s_and_b64 s[2:3], s[64:65], s[58:59]
	v_mov_b32_e32 v56, 0
	v_mov_b32_e32 v65, 0
	v_mov_b32_e32 v66, 0
	s_and_saveexec_b64 s[0:1], s[2:3]
	s_cbranch_execz .LBB273_6
; %bb.5:
	global_load_ushort v7, v[2:3], off offset:128
	global_load_ushort v8, v[4:5], off offset:128
	s_waitcnt vmcnt(1)
	v_cvt_f32_f16_e32 v65, v7
	s_waitcnt vmcnt(0)
	v_cvt_f32_f16_e32 v66, v8
.LBB273_6:
	s_or_b64 exec, exec, s[0:1]
	v_or_b32_e32 v7, 0x60, v6
	v_cmp_gt_i32_e64 s[56:57], s66, v7
	s_and_b64 s[2:3], s[64:65], s[56:57]
	v_mov_b32_e32 v64, 0
	s_and_saveexec_b64 s[0:1], s[2:3]
	s_cbranch_execz .LBB273_8
; %bb.7:
	global_load_ushort v7, v[2:3], off offset:192
	global_load_ushort v8, v[4:5], off offset:192
	s_waitcnt vmcnt(1)
	v_cvt_f32_f16_e32 v56, v7
	s_waitcnt vmcnt(0)
	v_cvt_f32_f16_e32 v64, v8
.LBB273_8:
	s_or_b64 exec, exec, s[0:1]
	v_or_b32_e32 v7, 0x80, v6
	v_cmp_gt_i32_e64 s[54:55], s66, v7
	s_and_b64 s[2:3], s[64:65], s[54:55]
	v_mov_b32_e32 v52, 0
	v_mov_b32_e32 v62, 0
	v_mov_b32_e32 v63, 0
	s_and_saveexec_b64 s[0:1], s[2:3]
	s_cbranch_execz .LBB273_10
; %bb.9:
	global_load_ushort v7, v[2:3], off offset:256
	global_load_ushort v8, v[4:5], off offset:256
	s_waitcnt vmcnt(1)
	v_cvt_f32_f16_e32 v62, v7
	s_waitcnt vmcnt(0)
	v_cvt_f32_f16_e32 v63, v8
.LBB273_10:
	;; [unrolled: 32-line block ×15, first 2 shown]
	s_or_b64 exec, exec, s[70:71]
	v_or_b32_e32 v9, 0x3e0, v9
	v_cmp_gt_i32_e32 vcc, s66, v9
	s_and_b64 s[66:67], s[64:65], vcc
	v_mov_b32_e32 v9, 0
	s_and_saveexec_b64 s[64:65], s[66:67]
	s_cbranch_execz .LBB273_64
; %bb.63:
	global_load_ushort v2, v[2:3], off offset:1984
	s_nop 0
	global_load_ushort v3, v[4:5], off offset:1984
	s_waitcnt vmcnt(1)
	v_cvt_f32_f16_e32 v6, v2
	s_waitcnt vmcnt(0)
	v_cvt_f32_f16_e32 v9, v3
.LBB273_64:
	s_or_b64 exec, exec, s[64:65]
	v_add_f32_e32 v2, 0, v68
	v_add_f32_e32 v2, v2, v60
	;; [unrolled: 1-line block ×26, first 2 shown]
	v_mbcnt_lo_u32_b32 v3, -1, 0
	v_add_f32_e32 v2, v2, v18
	v_mbcnt_hi_u32_b32 v3, -1, v3
	v_add_f32_e32 v2, v2, v8
	v_and_b32_e32 v4, 0x60, v3
	v_add_f32_e32 v2, v2, v14
	v_add_u32_e32 v4, 32, v4
	v_xor_b32_e32 v5, 16, v3
	v_add_f32_e32 v2, v2, v7
	v_cmp_lt_i32_e64 s[64:65], v5, v4
	v_add_f32_e32 v2, v2, v10
	v_cndmask_b32_e64 v5, v3, v5, s[64:65]
	v_add_f32_e32 v2, v2, v6
	v_lshlrev_b32_e32 v5, 2, v5
	ds_bpermute_b32 v5, v5, v2
	s_waitcnt lgkmcnt(0)
	v_add_f32_e32 v2, v2, v5
	v_xor_b32_e32 v5, 8, v3
	v_cmp_lt_i32_e64 s[64:65], v5, v4
	v_cndmask_b32_e64 v5, v3, v5, s[64:65]
	v_lshlrev_b32_e32 v5, 2, v5
	ds_bpermute_b32 v5, v5, v2
	s_waitcnt lgkmcnt(0)
	v_add_f32_e32 v2, v2, v5
	v_xor_b32_e32 v5, 4, v3
	v_cmp_lt_i32_e64 s[64:65], v5, v4
	v_cndmask_b32_e64 v5, v3, v5, s[64:65]
	;; [unrolled: 7-line block ×4, first 2 shown]
	v_lshlrev_b32_e32 v3, 2, v3
	ds_bpermute_b32 v3, v3, v2
	v_cmp_lt_i32_e64 s[64:65], 0, v70
	s_and_saveexec_b64 s[66:67], s[64:65]
	s_cbranch_execz .LBB273_98
; %bb.65:
	v_mov_b32_e32 v4, s69
	v_add_co_u32_e64 v0, s[64:65], s68, v0
	v_addc_co_u32_e64 v1, s[64:65], v4, v1, s[64:65]
	s_waitcnt lgkmcnt(0)
	v_add_f32_e32 v2, v2, v3
	s_and_saveexec_b64 s[64:65], s[62:63]
	s_cbranch_execnz .LBB273_99
; %bb.66:
	s_or_b64 exec, exec, s[64:65]
	s_and_saveexec_b64 s[62:63], s[60:61]
	s_cbranch_execnz .LBB273_100
.LBB273_67:
	s_or_b64 exec, exec, s[62:63]
	s_and_saveexec_b64 s[60:61], s[58:59]
	s_cbranch_execnz .LBB273_101
.LBB273_68:
	s_or_b64 exec, exec, s[60:61]
	s_and_saveexec_b64 s[58:59], s[56:57]
	s_cbranch_execnz .LBB273_102
.LBB273_69:
	s_or_b64 exec, exec, s[58:59]
	s_and_saveexec_b64 s[56:57], s[54:55]
	s_cbranch_execnz .LBB273_103
.LBB273_70:
	s_or_b64 exec, exec, s[56:57]
	s_and_saveexec_b64 s[54:55], s[52:53]
	s_cbranch_execnz .LBB273_104
.LBB273_71:
	s_or_b64 exec, exec, s[54:55]
	s_and_saveexec_b64 s[52:53], s[50:51]
	s_cbranch_execnz .LBB273_105
.LBB273_72:
	s_or_b64 exec, exec, s[52:53]
	s_and_saveexec_b64 s[50:51], s[48:49]
	s_cbranch_execnz .LBB273_106
.LBB273_73:
	s_or_b64 exec, exec, s[50:51]
	s_and_saveexec_b64 s[48:49], s[46:47]
	s_cbranch_execnz .LBB273_107
.LBB273_74:
	s_or_b64 exec, exec, s[48:49]
	s_and_saveexec_b64 s[46:47], s[44:45]
	s_cbranch_execnz .LBB273_108
.LBB273_75:
	s_or_b64 exec, exec, s[46:47]
	s_and_saveexec_b64 s[44:45], s[42:43]
	s_cbranch_execnz .LBB273_109
.LBB273_76:
	s_or_b64 exec, exec, s[44:45]
	s_and_saveexec_b64 s[42:43], s[40:41]
	s_cbranch_execnz .LBB273_110
.LBB273_77:
	s_or_b64 exec, exec, s[42:43]
	s_and_saveexec_b64 s[40:41], s[38:39]
	s_cbranch_execnz .LBB273_111
.LBB273_78:
	s_or_b64 exec, exec, s[40:41]
	s_and_saveexec_b64 s[38:39], s[36:37]
	s_cbranch_execnz .LBB273_112
.LBB273_79:
	s_or_b64 exec, exec, s[38:39]
	s_and_saveexec_b64 s[36:37], s[34:35]
	s_cbranch_execnz .LBB273_113
.LBB273_80:
	s_or_b64 exec, exec, s[36:37]
	s_and_saveexec_b64 s[34:35], s[30:31]
	s_cbranch_execnz .LBB273_114
.LBB273_81:
	s_or_b64 exec, exec, s[34:35]
	s_and_saveexec_b64 s[30:31], s[28:29]
	s_cbranch_execnz .LBB273_115
.LBB273_82:
	s_or_b64 exec, exec, s[30:31]
	s_and_saveexec_b64 s[28:29], s[26:27]
	s_cbranch_execnz .LBB273_116
.LBB273_83:
	s_or_b64 exec, exec, s[28:29]
	s_and_saveexec_b64 s[26:27], s[24:25]
	s_cbranch_execnz .LBB273_117
.LBB273_84:
	s_or_b64 exec, exec, s[26:27]
	s_and_saveexec_b64 s[24:25], s[22:23]
	s_cbranch_execnz .LBB273_118
.LBB273_85:
	s_or_b64 exec, exec, s[24:25]
	s_and_saveexec_b64 s[22:23], s[20:21]
	s_cbranch_execnz .LBB273_119
.LBB273_86:
	s_or_b64 exec, exec, s[22:23]
	s_and_saveexec_b64 s[20:21], s[18:19]
	s_cbranch_execnz .LBB273_120
.LBB273_87:
	s_or_b64 exec, exec, s[20:21]
	s_and_saveexec_b64 s[18:19], s[16:17]
	s_cbranch_execnz .LBB273_121
.LBB273_88:
	s_or_b64 exec, exec, s[18:19]
	s_and_saveexec_b64 s[16:17], s[14:15]
	s_cbranch_execnz .LBB273_122
.LBB273_89:
	s_or_b64 exec, exec, s[16:17]
	s_and_saveexec_b64 s[14:15], s[12:13]
	s_cbranch_execnz .LBB273_123
.LBB273_90:
	s_or_b64 exec, exec, s[14:15]
	s_and_saveexec_b64 s[12:13], s[10:11]
	s_cbranch_execnz .LBB273_124
.LBB273_91:
	s_or_b64 exec, exec, s[12:13]
	s_and_saveexec_b64 s[10:11], s[8:9]
	s_cbranch_execnz .LBB273_125
.LBB273_92:
	s_or_b64 exec, exec, s[10:11]
	s_and_saveexec_b64 s[8:9], s[6:7]
	s_cbranch_execnz .LBB273_126
.LBB273_93:
	s_or_b64 exec, exec, s[8:9]
	s_and_saveexec_b64 s[6:7], s[4:5]
	s_cbranch_execnz .LBB273_127
.LBB273_94:
	s_or_b64 exec, exec, s[6:7]
	s_and_saveexec_b64 s[4:5], s[2:3]
	s_cbranch_execnz .LBB273_128
.LBB273_95:
	s_or_b64 exec, exec, s[4:5]
	s_and_saveexec_b64 s[2:3], s[0:1]
	s_cbranch_execnz .LBB273_129
.LBB273_96:
	s_or_b64 exec, exec, s[2:3]
	s_and_b64 exec, exec, vcc
	s_cbranch_execz .LBB273_98
.LBB273_97:
	v_mul_f32_e32 v3, 0x3fb8aa3b, v9
	s_mov_b32 s0, 0x3fb8aa3b
	v_rndne_f32_e32 v4, v3
	v_sub_f32_e32 v5, v3, v4
	v_fma_f32 v3, v9, s0, -v3
	v_fmac_f32_e32 v3, 0x32a5705f, v9
	v_add_f32_e32 v3, v5, v3
	v_exp_f32_e32 v3, v3
	v_cvt_i32_f32_e32 v4, v4
	s_mov_b32 s0, 0xc2ce8ed0
	v_cmp_ngt_f32_e32 vcc, s0, v9
	s_mov_b32 s0, 0x42b17218
	v_ldexp_f32 v3, v3, v4
	v_cndmask_b32_e32 v3, 0, v3, vcc
	v_mov_b32_e32 v4, 0x7f800000
	v_cmp_nlt_f32_e32 vcc, s0, v9
	v_cndmask_b32_e32 v3, v4, v3, vcc
	v_fma_mixlo_f16 v2, -v2, v3, v6
	global_store_short v[0:1], v2, off offset:1984
.LBB273_98:
	s_endpgm
.LBB273_99:
	v_mul_f32_e32 v3, 0x3fb8aa3b, v69
	s_mov_b32 s33, 0x3fb8aa3b
	v_rndne_f32_e32 v4, v3
	v_sub_f32_e32 v5, v3, v4
	v_fma_f32 v3, v69, s33, -v3
	v_fmac_f32_e32 v3, 0x32a5705f, v69
	v_add_f32_e32 v3, v5, v3
	v_exp_f32_e32 v3, v3
	v_cvt_i32_f32_e32 v4, v4
	s_mov_b32 s33, 0xc2ce8ed0
	v_cmp_ngt_f32_e64 s[62:63], s33, v69
	s_mov_b32 s33, 0x42b17218
	v_ldexp_f32 v3, v3, v4
	v_cndmask_b32_e64 v3, 0, v3, s[62:63]
	v_mov_b32_e32 v4, 0x7f800000
	v_cmp_nlt_f32_e64 s[62:63], s33, v69
	v_cndmask_b32_e64 v3, v4, v3, s[62:63]
	v_fma_mixlo_f16 v3, -v2, v3, v68
	global_store_short v[0:1], v3, off
	s_or_b64 exec, exec, s[64:65]
	s_and_saveexec_b64 s[62:63], s[60:61]
	s_cbranch_execz .LBB273_67
.LBB273_100:
	v_mul_f32_e32 v3, 0x3fb8aa3b, v67
	s_mov_b32 s33, 0x3fb8aa3b
	v_rndne_f32_e32 v4, v3
	v_sub_f32_e32 v5, v3, v4
	v_fma_f32 v3, v67, s33, -v3
	v_fmac_f32_e32 v3, 0x32a5705f, v67
	v_add_f32_e32 v3, v5, v3
	v_exp_f32_e32 v3, v3
	v_cvt_i32_f32_e32 v4, v4
	s_mov_b32 s33, 0xc2ce8ed0
	v_cmp_ngt_f32_e64 s[60:61], s33, v67
	s_mov_b32 s33, 0x42b17218
	v_ldexp_f32 v3, v3, v4
	v_cndmask_b32_e64 v3, 0, v3, s[60:61]
	v_mov_b32_e32 v4, 0x7f800000
	v_cmp_nlt_f32_e64 s[60:61], s33, v67
	v_cndmask_b32_e64 v3, v4, v3, s[60:61]
	v_fma_mixlo_f16 v3, -v2, v3, v60
	global_store_short v[0:1], v3, off offset:64
	s_or_b64 exec, exec, s[62:63]
	s_and_saveexec_b64 s[60:61], s[58:59]
	s_cbranch_execz .LBB273_68
.LBB273_101:
	v_mul_f32_e32 v3, 0x3fb8aa3b, v66
	s_mov_b32 s33, 0x3fb8aa3b
	v_rndne_f32_e32 v4, v3
	v_sub_f32_e32 v5, v3, v4
	v_fma_f32 v3, v66, s33, -v3
	v_fmac_f32_e32 v3, 0x32a5705f, v66
	v_add_f32_e32 v3, v5, v3
	v_exp_f32_e32 v3, v3
	v_cvt_i32_f32_e32 v4, v4
	s_mov_b32 s33, 0xc2ce8ed0
	v_cmp_ngt_f32_e64 s[58:59], s33, v66
	s_mov_b32 s33, 0x42b17218
	v_ldexp_f32 v3, v3, v4
	v_cndmask_b32_e64 v3, 0, v3, s[58:59]
	v_mov_b32_e32 v4, 0x7f800000
	v_cmp_nlt_f32_e64 s[58:59], s33, v66
	v_cndmask_b32_e64 v3, v4, v3, s[58:59]
	v_fma_mixlo_f16 v3, -v2, v3, v65
	global_store_short v[0:1], v3, off offset:128
	s_or_b64 exec, exec, s[60:61]
	s_and_saveexec_b64 s[58:59], s[56:57]
	s_cbranch_execz .LBB273_69
.LBB273_102:
	v_mul_f32_e32 v3, 0x3fb8aa3b, v64
	s_mov_b32 s33, 0x3fb8aa3b
	v_rndne_f32_e32 v4, v3
	v_sub_f32_e32 v5, v3, v4
	v_fma_f32 v3, v64, s33, -v3
	v_fmac_f32_e32 v3, 0x32a5705f, v64
	v_add_f32_e32 v3, v5, v3
	v_exp_f32_e32 v3, v3
	v_cvt_i32_f32_e32 v4, v4
	s_mov_b32 s33, 0xc2ce8ed0
	v_cmp_ngt_f32_e64 s[56:57], s33, v64
	s_mov_b32 s33, 0x42b17218
	v_ldexp_f32 v3, v3, v4
	v_cndmask_b32_e64 v3, 0, v3, s[56:57]
	v_mov_b32_e32 v4, 0x7f800000
	v_cmp_nlt_f32_e64 s[56:57], s33, v64
	v_cndmask_b32_e64 v3, v4, v3, s[56:57]
	v_fma_mixlo_f16 v3, -v2, v3, v56
	global_store_short v[0:1], v3, off offset:192
	s_or_b64 exec, exec, s[58:59]
	s_and_saveexec_b64 s[56:57], s[54:55]
	s_cbranch_execz .LBB273_70
.LBB273_103:
	v_mul_f32_e32 v3, 0x3fb8aa3b, v63
	s_mov_b32 s33, 0x3fb8aa3b
	v_rndne_f32_e32 v4, v3
	v_sub_f32_e32 v5, v3, v4
	v_fma_f32 v3, v63, s33, -v3
	v_fmac_f32_e32 v3, 0x32a5705f, v63
	v_add_f32_e32 v3, v5, v3
	v_exp_f32_e32 v3, v3
	v_cvt_i32_f32_e32 v4, v4
	s_mov_b32 s33, 0xc2ce8ed0
	v_cmp_ngt_f32_e64 s[54:55], s33, v63
	s_mov_b32 s33, 0x42b17218
	v_ldexp_f32 v3, v3, v4
	v_cndmask_b32_e64 v3, 0, v3, s[54:55]
	v_mov_b32_e32 v4, 0x7f800000
	v_cmp_nlt_f32_e64 s[54:55], s33, v63
	v_cndmask_b32_e64 v3, v4, v3, s[54:55]
	v_fma_mixlo_f16 v3, -v2, v3, v62
	global_store_short v[0:1], v3, off offset:256
	s_or_b64 exec, exec, s[56:57]
	s_and_saveexec_b64 s[54:55], s[52:53]
	s_cbranch_execz .LBB273_71
.LBB273_104:
	v_mul_f32_e32 v3, 0x3fb8aa3b, v61
	s_mov_b32 s33, 0x3fb8aa3b
	v_rndne_f32_e32 v4, v3
	v_sub_f32_e32 v5, v3, v4
	v_fma_f32 v3, v61, s33, -v3
	v_fmac_f32_e32 v3, 0x32a5705f, v61
	v_add_f32_e32 v3, v5, v3
	v_exp_f32_e32 v3, v3
	v_cvt_i32_f32_e32 v4, v4
	s_mov_b32 s33, 0xc2ce8ed0
	v_cmp_ngt_f32_e64 s[52:53], s33, v61
	s_mov_b32 s33, 0x42b17218
	v_ldexp_f32 v3, v3, v4
	v_cndmask_b32_e64 v3, 0, v3, s[52:53]
	v_mov_b32_e32 v4, 0x7f800000
	v_cmp_nlt_f32_e64 s[52:53], s33, v61
	v_cndmask_b32_e64 v3, v4, v3, s[52:53]
	v_fma_mixlo_f16 v3, -v2, v3, v52
	global_store_short v[0:1], v3, off offset:320
	s_or_b64 exec, exec, s[54:55]
	s_and_saveexec_b64 s[52:53], s[50:51]
	s_cbranch_execz .LBB273_72
.LBB273_105:
	v_mul_f32_e32 v3, 0x3fb8aa3b, v59
	s_mov_b32 s33, 0x3fb8aa3b
	v_rndne_f32_e32 v4, v3
	v_sub_f32_e32 v5, v3, v4
	v_fma_f32 v3, v59, s33, -v3
	v_fmac_f32_e32 v3, 0x32a5705f, v59
	v_add_f32_e32 v3, v5, v3
	v_exp_f32_e32 v3, v3
	v_cvt_i32_f32_e32 v4, v4
	s_mov_b32 s33, 0xc2ce8ed0
	v_cmp_ngt_f32_e64 s[50:51], s33, v59
	s_mov_b32 s33, 0x42b17218
	v_ldexp_f32 v3, v3, v4
	v_cndmask_b32_e64 v3, 0, v3, s[50:51]
	v_mov_b32_e32 v4, 0x7f800000
	v_cmp_nlt_f32_e64 s[50:51], s33, v59
	v_cndmask_b32_e64 v3, v4, v3, s[50:51]
	v_fma_mixlo_f16 v3, -v2, v3, v58
	global_store_short v[0:1], v3, off offset:384
	s_or_b64 exec, exec, s[52:53]
	s_and_saveexec_b64 s[50:51], s[48:49]
	s_cbranch_execz .LBB273_73
.LBB273_106:
	v_mul_f32_e32 v3, 0x3fb8aa3b, v57
	s_mov_b32 s33, 0x3fb8aa3b
	v_rndne_f32_e32 v4, v3
	v_sub_f32_e32 v5, v3, v4
	v_fma_f32 v3, v57, s33, -v3
	v_fmac_f32_e32 v3, 0x32a5705f, v57
	v_add_f32_e32 v3, v5, v3
	v_exp_f32_e32 v3, v3
	v_cvt_i32_f32_e32 v4, v4
	s_mov_b32 s33, 0xc2ce8ed0
	v_cmp_ngt_f32_e64 s[48:49], s33, v57
	s_mov_b32 s33, 0x42b17218
	v_ldexp_f32 v3, v3, v4
	v_cndmask_b32_e64 v3, 0, v3, s[48:49]
	v_mov_b32_e32 v4, 0x7f800000
	v_cmp_nlt_f32_e64 s[48:49], s33, v57
	v_cndmask_b32_e64 v3, v4, v3, s[48:49]
	v_fma_mixlo_f16 v3, -v2, v3, v48
	global_store_short v[0:1], v3, off offset:448
	s_or_b64 exec, exec, s[50:51]
	s_and_saveexec_b64 s[48:49], s[46:47]
	s_cbranch_execz .LBB273_74
.LBB273_107:
	v_mul_f32_e32 v3, 0x3fb8aa3b, v55
	s_mov_b32 s33, 0x3fb8aa3b
	v_rndne_f32_e32 v4, v3
	v_sub_f32_e32 v5, v3, v4
	v_fma_f32 v3, v55, s33, -v3
	v_fmac_f32_e32 v3, 0x32a5705f, v55
	v_add_f32_e32 v3, v5, v3
	v_exp_f32_e32 v3, v3
	v_cvt_i32_f32_e32 v4, v4
	s_mov_b32 s33, 0xc2ce8ed0
	v_cmp_ngt_f32_e64 s[46:47], s33, v55
	s_mov_b32 s33, 0x42b17218
	v_ldexp_f32 v3, v3, v4
	v_cndmask_b32_e64 v3, 0, v3, s[46:47]
	v_mov_b32_e32 v4, 0x7f800000
	v_cmp_nlt_f32_e64 s[46:47], s33, v55
	v_cndmask_b32_e64 v3, v4, v3, s[46:47]
	v_fma_mixlo_f16 v3, -v2, v3, v54
	global_store_short v[0:1], v3, off offset:512
	s_or_b64 exec, exec, s[48:49]
	s_and_saveexec_b64 s[46:47], s[44:45]
	s_cbranch_execz .LBB273_75
.LBB273_108:
	v_mul_f32_e32 v3, 0x3fb8aa3b, v53
	s_mov_b32 s33, 0x3fb8aa3b
	v_rndne_f32_e32 v4, v3
	v_sub_f32_e32 v5, v3, v4
	v_fma_f32 v3, v53, s33, -v3
	v_fmac_f32_e32 v3, 0x32a5705f, v53
	v_add_f32_e32 v3, v5, v3
	v_exp_f32_e32 v3, v3
	v_cvt_i32_f32_e32 v4, v4
	s_mov_b32 s33, 0xc2ce8ed0
	v_cmp_ngt_f32_e64 s[44:45], s33, v53
	s_mov_b32 s33, 0x42b17218
	v_ldexp_f32 v3, v3, v4
	v_cndmask_b32_e64 v3, 0, v3, s[44:45]
	v_mov_b32_e32 v4, 0x7f800000
	v_cmp_nlt_f32_e64 s[44:45], s33, v53
	v_cndmask_b32_e64 v3, v4, v3, s[44:45]
	v_fma_mixlo_f16 v3, -v2, v3, v44
	global_store_short v[0:1], v3, off offset:576
	s_or_b64 exec, exec, s[46:47]
	s_and_saveexec_b64 s[44:45], s[42:43]
	s_cbranch_execz .LBB273_76
.LBB273_109:
	v_mul_f32_e32 v3, 0x3fb8aa3b, v51
	s_mov_b32 s33, 0x3fb8aa3b
	v_rndne_f32_e32 v4, v3
	v_sub_f32_e32 v5, v3, v4
	v_fma_f32 v3, v51, s33, -v3
	v_fmac_f32_e32 v3, 0x32a5705f, v51
	v_add_f32_e32 v3, v5, v3
	v_exp_f32_e32 v3, v3
	v_cvt_i32_f32_e32 v4, v4
	s_mov_b32 s33, 0xc2ce8ed0
	v_cmp_ngt_f32_e64 s[42:43], s33, v51
	s_mov_b32 s33, 0x42b17218
	v_ldexp_f32 v3, v3, v4
	v_cndmask_b32_e64 v3, 0, v3, s[42:43]
	v_mov_b32_e32 v4, 0x7f800000
	v_cmp_nlt_f32_e64 s[42:43], s33, v51
	v_cndmask_b32_e64 v3, v4, v3, s[42:43]
	v_fma_mixlo_f16 v3, -v2, v3, v50
	global_store_short v[0:1], v3, off offset:640
	s_or_b64 exec, exec, s[44:45]
	s_and_saveexec_b64 s[42:43], s[40:41]
	s_cbranch_execz .LBB273_77
.LBB273_110:
	v_mul_f32_e32 v3, 0x3fb8aa3b, v49
	s_mov_b32 s33, 0x3fb8aa3b
	v_rndne_f32_e32 v4, v3
	v_sub_f32_e32 v5, v3, v4
	v_fma_f32 v3, v49, s33, -v3
	v_fmac_f32_e32 v3, 0x32a5705f, v49
	v_add_f32_e32 v3, v5, v3
	v_exp_f32_e32 v3, v3
	v_cvt_i32_f32_e32 v4, v4
	s_mov_b32 s33, 0xc2ce8ed0
	v_cmp_ngt_f32_e64 s[40:41], s33, v49
	s_mov_b32 s33, 0x42b17218
	v_ldexp_f32 v3, v3, v4
	v_cndmask_b32_e64 v3, 0, v3, s[40:41]
	v_mov_b32_e32 v4, 0x7f800000
	v_cmp_nlt_f32_e64 s[40:41], s33, v49
	v_cndmask_b32_e64 v3, v4, v3, s[40:41]
	v_fma_mixlo_f16 v3, -v2, v3, v40
	global_store_short v[0:1], v3, off offset:704
	s_or_b64 exec, exec, s[42:43]
	s_and_saveexec_b64 s[40:41], s[38:39]
	s_cbranch_execz .LBB273_78
.LBB273_111:
	v_mul_f32_e32 v3, 0x3fb8aa3b, v47
	s_mov_b32 s33, 0x3fb8aa3b
	v_rndne_f32_e32 v4, v3
	v_sub_f32_e32 v5, v3, v4
	v_fma_f32 v3, v47, s33, -v3
	v_fmac_f32_e32 v3, 0x32a5705f, v47
	v_add_f32_e32 v3, v5, v3
	v_exp_f32_e32 v3, v3
	v_cvt_i32_f32_e32 v4, v4
	s_mov_b32 s33, 0xc2ce8ed0
	v_cmp_ngt_f32_e64 s[38:39], s33, v47
	s_mov_b32 s33, 0x42b17218
	v_ldexp_f32 v3, v3, v4
	v_cndmask_b32_e64 v3, 0, v3, s[38:39]
	v_mov_b32_e32 v4, 0x7f800000
	v_cmp_nlt_f32_e64 s[38:39], s33, v47
	v_cndmask_b32_e64 v3, v4, v3, s[38:39]
	v_fma_mixlo_f16 v3, -v2, v3, v46
	global_store_short v[0:1], v3, off offset:768
	s_or_b64 exec, exec, s[40:41]
	s_and_saveexec_b64 s[38:39], s[36:37]
	s_cbranch_execz .LBB273_79
.LBB273_112:
	v_mul_f32_e32 v3, 0x3fb8aa3b, v45
	s_mov_b32 s33, 0x3fb8aa3b
	v_rndne_f32_e32 v4, v3
	v_sub_f32_e32 v5, v3, v4
	v_fma_f32 v3, v45, s33, -v3
	v_fmac_f32_e32 v3, 0x32a5705f, v45
	v_add_f32_e32 v3, v5, v3
	v_exp_f32_e32 v3, v3
	v_cvt_i32_f32_e32 v4, v4
	s_mov_b32 s33, 0xc2ce8ed0
	v_cmp_ngt_f32_e64 s[36:37], s33, v45
	s_mov_b32 s33, 0x42b17218
	v_ldexp_f32 v3, v3, v4
	v_cndmask_b32_e64 v3, 0, v3, s[36:37]
	v_mov_b32_e32 v4, 0x7f800000
	v_cmp_nlt_f32_e64 s[36:37], s33, v45
	v_cndmask_b32_e64 v3, v4, v3, s[36:37]
	v_fma_mixlo_f16 v3, -v2, v3, v36
	global_store_short v[0:1], v3, off offset:832
	s_or_b64 exec, exec, s[38:39]
	s_and_saveexec_b64 s[36:37], s[34:35]
	s_cbranch_execz .LBB273_80
.LBB273_113:
	v_mul_f32_e32 v3, 0x3fb8aa3b, v43
	s_mov_b32 s33, 0x3fb8aa3b
	v_rndne_f32_e32 v4, v3
	v_sub_f32_e32 v5, v3, v4
	v_fma_f32 v3, v43, s33, -v3
	v_fmac_f32_e32 v3, 0x32a5705f, v43
	v_add_f32_e32 v3, v5, v3
	v_exp_f32_e32 v3, v3
	v_cvt_i32_f32_e32 v4, v4
	s_mov_b32 s33, 0xc2ce8ed0
	v_cmp_ngt_f32_e64 s[34:35], s33, v43
	s_mov_b32 s33, 0x42b17218
	v_ldexp_f32 v3, v3, v4
	v_cndmask_b32_e64 v3, 0, v3, s[34:35]
	v_mov_b32_e32 v4, 0x7f800000
	v_cmp_nlt_f32_e64 s[34:35], s33, v43
	v_cndmask_b32_e64 v3, v4, v3, s[34:35]
	v_fma_mixlo_f16 v3, -v2, v3, v42
	global_store_short v[0:1], v3, off offset:896
	s_or_b64 exec, exec, s[36:37]
	s_and_saveexec_b64 s[34:35], s[30:31]
	s_cbranch_execz .LBB273_81
.LBB273_114:
	v_mul_f32_e32 v3, 0x3fb8aa3b, v41
	s_mov_b32 s30, 0x3fb8aa3b
	v_rndne_f32_e32 v4, v3
	v_sub_f32_e32 v5, v3, v4
	v_fma_f32 v3, v41, s30, -v3
	v_fmac_f32_e32 v3, 0x32a5705f, v41
	v_add_f32_e32 v3, v5, v3
	v_exp_f32_e32 v3, v3
	v_cvt_i32_f32_e32 v4, v4
	s_mov_b32 s30, 0xc2ce8ed0
	v_cmp_ngt_f32_e64 s[30:31], s30, v41
	v_ldexp_f32 v3, v3, v4
	v_cndmask_b32_e64 v3, 0, v3, s[30:31]
	s_mov_b32 s30, 0x42b17218
	v_mov_b32_e32 v4, 0x7f800000
	v_cmp_nlt_f32_e64 s[30:31], s30, v41
	v_cndmask_b32_e64 v3, v4, v3, s[30:31]
	v_fma_mixlo_f16 v3, -v2, v3, v32
	global_store_short v[0:1], v3, off offset:960
	s_or_b64 exec, exec, s[34:35]
	s_and_saveexec_b64 s[30:31], s[28:29]
	s_cbranch_execz .LBB273_82
.LBB273_115:
	v_mul_f32_e32 v3, 0x3fb8aa3b, v39
	s_mov_b32 s28, 0x3fb8aa3b
	v_rndne_f32_e32 v4, v3
	v_sub_f32_e32 v5, v3, v4
	v_fma_f32 v3, v39, s28, -v3
	v_fmac_f32_e32 v3, 0x32a5705f, v39
	v_add_f32_e32 v3, v5, v3
	v_exp_f32_e32 v3, v3
	v_cvt_i32_f32_e32 v4, v4
	s_mov_b32 s28, 0xc2ce8ed0
	v_cmp_ngt_f32_e64 s[28:29], s28, v39
	v_ldexp_f32 v3, v3, v4
	v_cndmask_b32_e64 v3, 0, v3, s[28:29]
	s_mov_b32 s28, 0x42b17218
	v_mov_b32_e32 v4, 0x7f800000
	v_cmp_nlt_f32_e64 s[28:29], s28, v39
	v_cndmask_b32_e64 v3, v4, v3, s[28:29]
	v_fma_mixlo_f16 v3, -v2, v3, v38
	global_store_short v[0:1], v3, off offset:1024
	s_or_b64 exec, exec, s[30:31]
	s_and_saveexec_b64 s[28:29], s[26:27]
	s_cbranch_execz .LBB273_83
.LBB273_116:
	v_mul_f32_e32 v3, 0x3fb8aa3b, v37
	s_mov_b32 s26, 0x3fb8aa3b
	v_rndne_f32_e32 v4, v3
	v_sub_f32_e32 v5, v3, v4
	v_fma_f32 v3, v37, s26, -v3
	v_fmac_f32_e32 v3, 0x32a5705f, v37
	v_add_f32_e32 v3, v5, v3
	v_exp_f32_e32 v3, v3
	v_cvt_i32_f32_e32 v4, v4
	s_mov_b32 s26, 0xc2ce8ed0
	v_cmp_ngt_f32_e64 s[26:27], s26, v37
	v_ldexp_f32 v3, v3, v4
	v_cndmask_b32_e64 v3, 0, v3, s[26:27]
	s_mov_b32 s26, 0x42b17218
	v_mov_b32_e32 v4, 0x7f800000
	v_cmp_nlt_f32_e64 s[26:27], s26, v37
	v_cndmask_b32_e64 v3, v4, v3, s[26:27]
	v_fma_mixlo_f16 v3, -v2, v3, v28
	global_store_short v[0:1], v3, off offset:1088
	s_or_b64 exec, exec, s[28:29]
	s_and_saveexec_b64 s[26:27], s[24:25]
	s_cbranch_execz .LBB273_84
.LBB273_117:
	v_mul_f32_e32 v3, 0x3fb8aa3b, v35
	s_mov_b32 s24, 0x3fb8aa3b
	v_rndne_f32_e32 v4, v3
	v_sub_f32_e32 v5, v3, v4
	v_fma_f32 v3, v35, s24, -v3
	v_fmac_f32_e32 v3, 0x32a5705f, v35
	v_add_f32_e32 v3, v5, v3
	v_exp_f32_e32 v3, v3
	v_cvt_i32_f32_e32 v4, v4
	s_mov_b32 s24, 0xc2ce8ed0
	v_cmp_ngt_f32_e64 s[24:25], s24, v35
	v_ldexp_f32 v3, v3, v4
	v_cndmask_b32_e64 v3, 0, v3, s[24:25]
	s_mov_b32 s24, 0x42b17218
	v_mov_b32_e32 v4, 0x7f800000
	v_cmp_nlt_f32_e64 s[24:25], s24, v35
	v_cndmask_b32_e64 v3, v4, v3, s[24:25]
	v_fma_mixlo_f16 v3, -v2, v3, v34
	global_store_short v[0:1], v3, off offset:1152
	s_or_b64 exec, exec, s[26:27]
	s_and_saveexec_b64 s[24:25], s[22:23]
	s_cbranch_execz .LBB273_85
.LBB273_118:
	v_mul_f32_e32 v3, 0x3fb8aa3b, v33
	s_mov_b32 s22, 0x3fb8aa3b
	v_rndne_f32_e32 v4, v3
	v_sub_f32_e32 v5, v3, v4
	v_fma_f32 v3, v33, s22, -v3
	v_fmac_f32_e32 v3, 0x32a5705f, v33
	v_add_f32_e32 v3, v5, v3
	v_exp_f32_e32 v3, v3
	v_cvt_i32_f32_e32 v4, v4
	s_mov_b32 s22, 0xc2ce8ed0
	v_cmp_ngt_f32_e64 s[22:23], s22, v33
	v_ldexp_f32 v3, v3, v4
	v_cndmask_b32_e64 v3, 0, v3, s[22:23]
	s_mov_b32 s22, 0x42b17218
	v_mov_b32_e32 v4, 0x7f800000
	v_cmp_nlt_f32_e64 s[22:23], s22, v33
	v_cndmask_b32_e64 v3, v4, v3, s[22:23]
	v_fma_mixlo_f16 v3, -v2, v3, v24
	global_store_short v[0:1], v3, off offset:1216
	s_or_b64 exec, exec, s[24:25]
	s_and_saveexec_b64 s[22:23], s[20:21]
	s_cbranch_execz .LBB273_86
.LBB273_119:
	v_mul_f32_e32 v3, 0x3fb8aa3b, v31
	s_mov_b32 s20, 0x3fb8aa3b
	v_rndne_f32_e32 v4, v3
	v_sub_f32_e32 v5, v3, v4
	v_fma_f32 v3, v31, s20, -v3
	v_fmac_f32_e32 v3, 0x32a5705f, v31
	v_add_f32_e32 v3, v5, v3
	v_exp_f32_e32 v3, v3
	v_cvt_i32_f32_e32 v4, v4
	s_mov_b32 s20, 0xc2ce8ed0
	v_cmp_ngt_f32_e64 s[20:21], s20, v31
	v_ldexp_f32 v3, v3, v4
	v_cndmask_b32_e64 v3, 0, v3, s[20:21]
	s_mov_b32 s20, 0x42b17218
	v_mov_b32_e32 v4, 0x7f800000
	v_cmp_nlt_f32_e64 s[20:21], s20, v31
	v_cndmask_b32_e64 v3, v4, v3, s[20:21]
	v_fma_mixlo_f16 v3, -v2, v3, v30
	global_store_short v[0:1], v3, off offset:1280
	s_or_b64 exec, exec, s[22:23]
	s_and_saveexec_b64 s[20:21], s[18:19]
	s_cbranch_execz .LBB273_87
.LBB273_120:
	v_mul_f32_e32 v3, 0x3fb8aa3b, v29
	s_mov_b32 s18, 0x3fb8aa3b
	v_rndne_f32_e32 v4, v3
	v_sub_f32_e32 v5, v3, v4
	v_fma_f32 v3, v29, s18, -v3
	v_fmac_f32_e32 v3, 0x32a5705f, v29
	v_add_f32_e32 v3, v5, v3
	v_exp_f32_e32 v3, v3
	v_cvt_i32_f32_e32 v4, v4
	s_mov_b32 s18, 0xc2ce8ed0
	v_cmp_ngt_f32_e64 s[18:19], s18, v29
	v_ldexp_f32 v3, v3, v4
	v_cndmask_b32_e64 v3, 0, v3, s[18:19]
	s_mov_b32 s18, 0x42b17218
	v_mov_b32_e32 v4, 0x7f800000
	v_cmp_nlt_f32_e64 s[18:19], s18, v29
	v_cndmask_b32_e64 v3, v4, v3, s[18:19]
	v_fma_mixlo_f16 v3, -v2, v3, v20
	global_store_short v[0:1], v3, off offset:1344
	s_or_b64 exec, exec, s[20:21]
	s_and_saveexec_b64 s[18:19], s[16:17]
	s_cbranch_execz .LBB273_88
.LBB273_121:
	v_mul_f32_e32 v3, 0x3fb8aa3b, v27
	s_mov_b32 s16, 0x3fb8aa3b
	v_rndne_f32_e32 v4, v3
	v_sub_f32_e32 v5, v3, v4
	v_fma_f32 v3, v27, s16, -v3
	v_fmac_f32_e32 v3, 0x32a5705f, v27
	v_add_f32_e32 v3, v5, v3
	v_exp_f32_e32 v3, v3
	v_cvt_i32_f32_e32 v4, v4
	s_mov_b32 s16, 0xc2ce8ed0
	v_cmp_ngt_f32_e64 s[16:17], s16, v27
	v_ldexp_f32 v3, v3, v4
	v_cndmask_b32_e64 v3, 0, v3, s[16:17]
	s_mov_b32 s16, 0x42b17218
	v_mov_b32_e32 v4, 0x7f800000
	v_cmp_nlt_f32_e64 s[16:17], s16, v27
	v_cndmask_b32_e64 v3, v4, v3, s[16:17]
	v_fma_mixlo_f16 v3, -v2, v3, v26
	global_store_short v[0:1], v3, off offset:1408
	s_or_b64 exec, exec, s[18:19]
	s_and_saveexec_b64 s[16:17], s[14:15]
	s_cbranch_execz .LBB273_89
.LBB273_122:
	v_mul_f32_e32 v3, 0x3fb8aa3b, v25
	s_mov_b32 s14, 0x3fb8aa3b
	v_rndne_f32_e32 v4, v3
	v_sub_f32_e32 v5, v3, v4
	v_fma_f32 v3, v25, s14, -v3
	v_fmac_f32_e32 v3, 0x32a5705f, v25
	v_add_f32_e32 v3, v5, v3
	v_exp_f32_e32 v3, v3
	v_cvt_i32_f32_e32 v4, v4
	s_mov_b32 s14, 0xc2ce8ed0
	v_cmp_ngt_f32_e64 s[14:15], s14, v25
	v_ldexp_f32 v3, v3, v4
	v_cndmask_b32_e64 v3, 0, v3, s[14:15]
	s_mov_b32 s14, 0x42b17218
	v_mov_b32_e32 v4, 0x7f800000
	v_cmp_nlt_f32_e64 s[14:15], s14, v25
	v_cndmask_b32_e64 v3, v4, v3, s[14:15]
	v_fma_mixlo_f16 v3, -v2, v3, v16
	global_store_short v[0:1], v3, off offset:1472
	s_or_b64 exec, exec, s[16:17]
	s_and_saveexec_b64 s[14:15], s[12:13]
	s_cbranch_execz .LBB273_90
.LBB273_123:
	v_mul_f32_e32 v3, 0x3fb8aa3b, v23
	s_mov_b32 s12, 0x3fb8aa3b
	v_rndne_f32_e32 v4, v3
	v_sub_f32_e32 v5, v3, v4
	v_fma_f32 v3, v23, s12, -v3
	v_fmac_f32_e32 v3, 0x32a5705f, v23
	v_add_f32_e32 v3, v5, v3
	v_exp_f32_e32 v3, v3
	v_cvt_i32_f32_e32 v4, v4
	s_mov_b32 s12, 0xc2ce8ed0
	v_cmp_ngt_f32_e64 s[12:13], s12, v23
	v_ldexp_f32 v3, v3, v4
	v_cndmask_b32_e64 v3, 0, v3, s[12:13]
	s_mov_b32 s12, 0x42b17218
	v_mov_b32_e32 v4, 0x7f800000
	v_cmp_nlt_f32_e64 s[12:13], s12, v23
	v_cndmask_b32_e64 v3, v4, v3, s[12:13]
	v_fma_mixlo_f16 v3, -v2, v3, v22
	global_store_short v[0:1], v3, off offset:1536
	s_or_b64 exec, exec, s[14:15]
	s_and_saveexec_b64 s[12:13], s[10:11]
	s_cbranch_execz .LBB273_91
.LBB273_124:
	v_mul_f32_e32 v3, 0x3fb8aa3b, v21
	s_mov_b32 s10, 0x3fb8aa3b
	v_rndne_f32_e32 v4, v3
	v_sub_f32_e32 v5, v3, v4
	v_fma_f32 v3, v21, s10, -v3
	v_fmac_f32_e32 v3, 0x32a5705f, v21
	v_add_f32_e32 v3, v5, v3
	v_exp_f32_e32 v3, v3
	v_cvt_i32_f32_e32 v4, v4
	s_mov_b32 s10, 0xc2ce8ed0
	v_cmp_ngt_f32_e64 s[10:11], s10, v21
	v_ldexp_f32 v3, v3, v4
	v_cndmask_b32_e64 v3, 0, v3, s[10:11]
	s_mov_b32 s10, 0x42b17218
	v_mov_b32_e32 v4, 0x7f800000
	v_cmp_nlt_f32_e64 s[10:11], s10, v21
	v_cndmask_b32_e64 v3, v4, v3, s[10:11]
	v_fma_mixlo_f16 v3, -v2, v3, v12
	global_store_short v[0:1], v3, off offset:1600
	s_or_b64 exec, exec, s[12:13]
	s_and_saveexec_b64 s[10:11], s[8:9]
	s_cbranch_execz .LBB273_92
.LBB273_125:
	v_mul_f32_e32 v3, 0x3fb8aa3b, v19
	s_mov_b32 s8, 0x3fb8aa3b
	v_rndne_f32_e32 v4, v3
	v_sub_f32_e32 v5, v3, v4
	v_fma_f32 v3, v19, s8, -v3
	v_fmac_f32_e32 v3, 0x32a5705f, v19
	v_add_f32_e32 v3, v5, v3
	v_exp_f32_e32 v3, v3
	v_cvt_i32_f32_e32 v4, v4
	s_mov_b32 s8, 0xc2ce8ed0
	v_cmp_ngt_f32_e64 s[8:9], s8, v19
	v_ldexp_f32 v3, v3, v4
	v_cndmask_b32_e64 v3, 0, v3, s[8:9]
	s_mov_b32 s8, 0x42b17218
	v_mov_b32_e32 v4, 0x7f800000
	v_cmp_nlt_f32_e64 s[8:9], s8, v19
	v_cndmask_b32_e64 v3, v4, v3, s[8:9]
	v_fma_mixlo_f16 v3, -v2, v3, v18
	global_store_short v[0:1], v3, off offset:1664
	s_or_b64 exec, exec, s[10:11]
	s_and_saveexec_b64 s[8:9], s[6:7]
	s_cbranch_execz .LBB273_93
.LBB273_126:
	v_mul_f32_e32 v3, 0x3fb8aa3b, v17
	s_mov_b32 s6, 0x3fb8aa3b
	v_rndne_f32_e32 v4, v3
	v_sub_f32_e32 v5, v3, v4
	v_fma_f32 v3, v17, s6, -v3
	v_fmac_f32_e32 v3, 0x32a5705f, v17
	v_add_f32_e32 v3, v5, v3
	v_exp_f32_e32 v3, v3
	v_cvt_i32_f32_e32 v4, v4
	s_mov_b32 s6, 0xc2ce8ed0
	v_cmp_ngt_f32_e64 s[6:7], s6, v17
	v_ldexp_f32 v3, v3, v4
	v_cndmask_b32_e64 v3, 0, v3, s[6:7]
	s_mov_b32 s6, 0x42b17218
	v_mov_b32_e32 v4, 0x7f800000
	v_cmp_nlt_f32_e64 s[6:7], s6, v17
	v_cndmask_b32_e64 v3, v4, v3, s[6:7]
	v_fma_mixlo_f16 v3, -v2, v3, v8
	global_store_short v[0:1], v3, off offset:1728
	s_or_b64 exec, exec, s[8:9]
	s_and_saveexec_b64 s[6:7], s[4:5]
	s_cbranch_execz .LBB273_94
.LBB273_127:
	v_mul_f32_e32 v3, 0x3fb8aa3b, v15
	s_mov_b32 s4, 0x3fb8aa3b
	v_rndne_f32_e32 v4, v3
	v_sub_f32_e32 v5, v3, v4
	v_fma_f32 v3, v15, s4, -v3
	v_fmac_f32_e32 v3, 0x32a5705f, v15
	v_add_f32_e32 v3, v5, v3
	v_exp_f32_e32 v3, v3
	v_cvt_i32_f32_e32 v4, v4
	s_mov_b32 s4, 0xc2ce8ed0
	v_cmp_ngt_f32_e64 s[4:5], s4, v15
	v_ldexp_f32 v3, v3, v4
	v_cndmask_b32_e64 v3, 0, v3, s[4:5]
	s_mov_b32 s4, 0x42b17218
	v_mov_b32_e32 v4, 0x7f800000
	v_cmp_nlt_f32_e64 s[4:5], s4, v15
	v_cndmask_b32_e64 v3, v4, v3, s[4:5]
	v_fma_mixlo_f16 v3, -v2, v3, v14
	global_store_short v[0:1], v3, off offset:1792
	s_or_b64 exec, exec, s[6:7]
	s_and_saveexec_b64 s[4:5], s[2:3]
	s_cbranch_execz .LBB273_95
.LBB273_128:
	v_mul_f32_e32 v3, 0x3fb8aa3b, v13
	s_mov_b32 s2, 0x3fb8aa3b
	v_rndne_f32_e32 v4, v3
	v_sub_f32_e32 v5, v3, v4
	v_fma_f32 v3, v13, s2, -v3
	v_fmac_f32_e32 v3, 0x32a5705f, v13
	v_add_f32_e32 v3, v5, v3
	v_exp_f32_e32 v3, v3
	v_cvt_i32_f32_e32 v4, v4
	s_mov_b32 s2, 0xc2ce8ed0
	v_cmp_ngt_f32_e64 s[2:3], s2, v13
	v_ldexp_f32 v3, v3, v4
	v_cndmask_b32_e64 v3, 0, v3, s[2:3]
	s_mov_b32 s2, 0x42b17218
	v_mov_b32_e32 v4, 0x7f800000
	v_cmp_nlt_f32_e64 s[2:3], s2, v13
	v_cndmask_b32_e64 v3, v4, v3, s[2:3]
	v_fma_mixlo_f16 v3, -v2, v3, v7
	global_store_short v[0:1], v3, off offset:1856
	s_or_b64 exec, exec, s[4:5]
	s_and_saveexec_b64 s[2:3], s[0:1]
	s_cbranch_execz .LBB273_96
.LBB273_129:
	v_mul_f32_e32 v3, 0x3fb8aa3b, v11
	s_mov_b32 s0, 0x3fb8aa3b
	v_rndne_f32_e32 v4, v3
	v_sub_f32_e32 v5, v3, v4
	v_fma_f32 v3, v11, s0, -v3
	v_fmac_f32_e32 v3, 0x32a5705f, v11
	v_add_f32_e32 v3, v5, v3
	v_exp_f32_e32 v3, v3
	v_cvt_i32_f32_e32 v4, v4
	s_mov_b32 s0, 0xc2ce8ed0
	v_cmp_ngt_f32_e64 s[0:1], s0, v11
	v_ldexp_f32 v3, v3, v4
	v_cndmask_b32_e64 v3, 0, v3, s[0:1]
	s_mov_b32 s0, 0x42b17218
	v_mov_b32_e32 v4, 0x7f800000
	v_cmp_nlt_f32_e64 s[0:1], s0, v11
	v_cndmask_b32_e64 v3, v4, v3, s[0:1]
	v_fma_mixlo_f16 v3, -v2, v3, v10
	global_store_short v[0:1], v3, off offset:1920
	s_or_b64 exec, exec, s[2:3]
	s_and_b64 exec, exec, vcc
	s_cbranch_execnz .LBB273_97
	s_branch .LBB273_98
	.section	.rodata,"a",@progbits
	.p2align	6, 0x0
	.amdhsa_kernel _ZN12_GLOBAL__N_121softmax_warp_backwardIN3c104HalfES2_fLi10ELb1ELb0ELi32EEEvPT0_PKT_S7_iiiPKb
		.amdhsa_group_segment_fixed_size 0
		.amdhsa_private_segment_fixed_size 0
		.amdhsa_kernarg_size 304
		.amdhsa_user_sgpr_count 6
		.amdhsa_user_sgpr_private_segment_buffer 1
		.amdhsa_user_sgpr_dispatch_ptr 0
		.amdhsa_user_sgpr_queue_ptr 0
		.amdhsa_user_sgpr_kernarg_segment_ptr 1
		.amdhsa_user_sgpr_dispatch_id 0
		.amdhsa_user_sgpr_flat_scratch_init 0
		.amdhsa_user_sgpr_kernarg_preload_length 0
		.amdhsa_user_sgpr_kernarg_preload_offset 0
		.amdhsa_user_sgpr_private_segment_size 0
		.amdhsa_uses_dynamic_stack 0
		.amdhsa_system_sgpr_private_segment_wavefront_offset 0
		.amdhsa_system_sgpr_workgroup_id_x 1
		.amdhsa_system_sgpr_workgroup_id_y 0
		.amdhsa_system_sgpr_workgroup_id_z 0
		.amdhsa_system_sgpr_workgroup_info 0
		.amdhsa_system_vgpr_workitem_id 1
		.amdhsa_next_free_vgpr 71
		.amdhsa_next_free_sgpr 74
		.amdhsa_accum_offset 72
		.amdhsa_reserve_vcc 1
		.amdhsa_reserve_flat_scratch 0
		.amdhsa_float_round_mode_32 0
		.amdhsa_float_round_mode_16_64 0
		.amdhsa_float_denorm_mode_32 3
		.amdhsa_float_denorm_mode_16_64 3
		.amdhsa_dx10_clamp 1
		.amdhsa_ieee_mode 1
		.amdhsa_fp16_overflow 0
		.amdhsa_tg_split 0
		.amdhsa_exception_fp_ieee_invalid_op 0
		.amdhsa_exception_fp_denorm_src 0
		.amdhsa_exception_fp_ieee_div_zero 0
		.amdhsa_exception_fp_ieee_overflow 0
		.amdhsa_exception_fp_ieee_underflow 0
		.amdhsa_exception_fp_ieee_inexact 0
		.amdhsa_exception_int_div_zero 0
	.end_amdhsa_kernel
	.section	.text._ZN12_GLOBAL__N_121softmax_warp_backwardIN3c104HalfES2_fLi10ELb1ELb0ELi32EEEvPT0_PKT_S7_iiiPKb,"axG",@progbits,_ZN12_GLOBAL__N_121softmax_warp_backwardIN3c104HalfES2_fLi10ELb1ELb0ELi32EEEvPT0_PKT_S7_iiiPKb,comdat
.Lfunc_end273:
	.size	_ZN12_GLOBAL__N_121softmax_warp_backwardIN3c104HalfES2_fLi10ELb1ELb0ELi32EEEvPT0_PKT_S7_iiiPKb, .Lfunc_end273-_ZN12_GLOBAL__N_121softmax_warp_backwardIN3c104HalfES2_fLi10ELb1ELb0ELi32EEEvPT0_PKT_S7_iiiPKb
                                        ; -- End function
	.section	.AMDGPU.csdata,"",@progbits
; Kernel info:
; codeLenInByte = 7772
; NumSgprs: 78
; NumVgprs: 71
; NumAgprs: 0
; TotalNumVgprs: 71
; ScratchSize: 0
; MemoryBound: 0
; FloatMode: 240
; IeeeMode: 1
; LDSByteSize: 0 bytes/workgroup (compile time only)
; SGPRBlocks: 9
; VGPRBlocks: 8
; NumSGPRsForWavesPerEU: 78
; NumVGPRsForWavesPerEU: 71
; AccumOffset: 72
; Occupancy: 7
; WaveLimiterHint : 0
; COMPUTE_PGM_RSRC2:SCRATCH_EN: 0
; COMPUTE_PGM_RSRC2:USER_SGPR: 6
; COMPUTE_PGM_RSRC2:TRAP_HANDLER: 0
; COMPUTE_PGM_RSRC2:TGID_X_EN: 1
; COMPUTE_PGM_RSRC2:TGID_Y_EN: 0
; COMPUTE_PGM_RSRC2:TGID_Z_EN: 0
; COMPUTE_PGM_RSRC2:TIDIG_COMP_CNT: 1
; COMPUTE_PGM_RSRC3_GFX90A:ACCUM_OFFSET: 17
; COMPUTE_PGM_RSRC3_GFX90A:TG_SPLIT: 0
	.section	.text._ZN2at6native12_GLOBAL__N_124cunn_SoftMaxBackwardSmemILi8EN3c104HalfEfS4_NS1_26LogSoftMaxBackwardEpilogueEEEvPT0_PKT2_SA_l,"axG",@progbits,_ZN2at6native12_GLOBAL__N_124cunn_SoftMaxBackwardSmemILi8EN3c104HalfEfS4_NS1_26LogSoftMaxBackwardEpilogueEEEvPT0_PKT2_SA_l,comdat
	.globl	_ZN2at6native12_GLOBAL__N_124cunn_SoftMaxBackwardSmemILi8EN3c104HalfEfS4_NS1_26LogSoftMaxBackwardEpilogueEEEvPT0_PKT2_SA_l ; -- Begin function _ZN2at6native12_GLOBAL__N_124cunn_SoftMaxBackwardSmemILi8EN3c104HalfEfS4_NS1_26LogSoftMaxBackwardEpilogueEEEvPT0_PKT2_SA_l
	.p2align	8
	.type	_ZN2at6native12_GLOBAL__N_124cunn_SoftMaxBackwardSmemILi8EN3c104HalfEfS4_NS1_26LogSoftMaxBackwardEpilogueEEEvPT0_PKT2_SA_l,@function
_ZN2at6native12_GLOBAL__N_124cunn_SoftMaxBackwardSmemILi8EN3c104HalfEfS4_NS1_26LogSoftMaxBackwardEpilogueEEEvPT0_PKT2_SA_l: ; @_ZN2at6native12_GLOBAL__N_124cunn_SoftMaxBackwardSmemILi8EN3c104HalfEfS4_NS1_26LogSoftMaxBackwardEpilogueEEEvPT0_PKT2_SA_l
; %bb.0:
	s_load_dwordx8 s[8:15], s[4:5], 0x0
	v_lshlrev_b32_e32 v2, 3, v0
	v_mov_b32_e32 v3, 0
	v_lshl_add_u32 v14, v0, 4, 0
	s_waitcnt lgkmcnt(0)
	s_mul_i32 s0, s6, s15
	s_mul_hi_u32 s1, s6, s14
	s_mul_i32 s2, s6, s14
	s_add_i32 s3, s1, s0
	v_cmp_gt_i64_e32 vcc, s[14:15], v[2:3]
	s_and_saveexec_b64 s[6:7], vcc
	s_cbranch_execz .LBB274_4
; %bb.1:
	s_load_dword s17, s[4:5], 0x2c
	s_lshl_b64 s[0:1], s[2:3], 1
	s_add_u32 s16, s12, s0
	s_addc_u32 s0, s13, s1
	v_lshl_add_u32 v1, v0, 4, 0
	s_waitcnt lgkmcnt(0)
	s_and_b32 s17, s17, 0xffff
	v_add_lshl_u32 v4, v0, s17, 3
	s_lshl_b32 s18, s17, 3
	s_lshl_b32 s19, s17, 4
	s_mov_b64 s[12:13], 0
	v_mov_b32_e32 v3, 0
	v_mov_b32_e32 v2, s0
	;; [unrolled: 1-line block ×3, first 2 shown]
.LBB274_2:                              ; =>This Inner Loop Header: Depth=1
	v_ashrrev_i32_e32 v7, 31, v6
	v_lshlrev_b64 v[8:9], 4, v[6:7]
	v_add_co_u32_e64 v8, s[0:1], s16, v8
	v_addc_co_u32_e64 v9, s[0:1], v2, v9, s[0:1]
	global_load_dwordx4 v[8:11], v[8:9], off
	v_ashrrev_i32_e32 v5, 31, v4
	v_cmp_le_i64_e64 s[0:1], s[14:15], v[4:5]
	v_add_u32_e32 v6, s17, v6
	v_add_u32_e32 v4, s18, v4
	s_or_b64 s[12:13], s[0:1], s[12:13]
	s_waitcnt vmcnt(0)
	v_cvt_f32_f16_e32 v5, v8
	v_cvt_f32_f16_sdwa v7, v8 dst_sel:DWORD dst_unused:UNUSED_PAD src0_sel:WORD_1
	ds_write_b128 v1, v[8:11]
	v_cvt_f32_f16_e32 v8, v9
	v_cvt_f32_f16_sdwa v9, v9 dst_sel:DWORD dst_unused:UNUSED_PAD src0_sel:WORD_1
	v_cvt_f32_f16_e32 v12, v10
	v_add_f32_e32 v3, v3, v5
	v_cvt_f32_f16_sdwa v10, v10 dst_sel:DWORD dst_unused:UNUSED_PAD src0_sel:WORD_1
	v_add_f32_e32 v3, v3, v7
	v_cvt_f32_f16_e32 v13, v11
	v_add_f32_e32 v3, v3, v8
	v_cvt_f32_f16_sdwa v11, v11 dst_sel:DWORD dst_unused:UNUSED_PAD src0_sel:WORD_1
	v_add_f32_e32 v3, v3, v9
	v_add_f32_e32 v3, v3, v12
	;; [unrolled: 1-line block ×4, first 2 shown]
	v_add_u32_e32 v1, s19, v1
	v_add_f32_e32 v3, v3, v11
	s_andn2_b64 exec, exec, s[12:13]
	s_cbranch_execnz .LBB274_2
; %bb.3:
	s_or_b64 exec, exec, s[12:13]
.LBB274_4:
	s_or_b64 exec, exec, s[6:7]
	v_mbcnt_lo_u32_b32 v1, -1, 0
	v_mbcnt_hi_u32_b32 v6, -1, v1
	v_and_b32_e32 v9, 63, v6
	v_cmp_gt_u32_e64 s[0:1], 32, v9
	v_cndmask_b32_e64 v1, 0, 1, s[0:1]
	v_lshlrev_b32_e32 v1, 5, v1
	v_add_lshl_u32 v1, v1, v6, 2
	ds_bpermute_b32 v2, v1, v3
	v_cmp_gt_u32_e64 s[0:1], 48, v9
	v_cndmask_b32_e64 v4, 0, 1, s[0:1]
	v_lshlrev_b32_e32 v4, 4, v4
	v_cmp_gt_u32_e64 s[0:1], 56, v9
	s_waitcnt lgkmcnt(0)
	v_add_f32_e32 v3, v3, v2
	v_add_lshl_u32 v2, v4, v6, 2
	ds_bpermute_b32 v4, v2, v3
	v_cndmask_b32_e64 v5, 0, 1, s[0:1]
	v_lshlrev_b32_e32 v5, 3, v5
	v_cmp_gt_u32_e64 s[0:1], 60, v9
	v_cndmask_b32_e64 v7, 0, 1, s[0:1]
	s_waitcnt lgkmcnt(0)
	v_add_f32_e32 v4, v3, v4
	v_add_lshl_u32 v3, v5, v6, 2
	ds_bpermute_b32 v5, v3, v4
	v_lshlrev_b32_e32 v7, 2, v7
	v_cmp_gt_u32_e64 s[0:1], 62, v9
	v_cndmask_b32_e64 v8, 0, 1, s[0:1]
	v_lshlrev_b32_e32 v8, 1, v8
	s_waitcnt lgkmcnt(0)
	v_add_f32_e32 v5, v4, v5
	v_add_lshl_u32 v4, v7, v6, 2
	ds_bpermute_b32 v7, v4, v5
	s_lshl_b32 s0, s14, 1
	s_add_i32 s12, s0, 0
	v_cmp_ne_u32_e64 s[0:1], 63, v9
	s_waitcnt lgkmcnt(0)
	v_add_f32_e32 v10, v5, v7
	v_add_lshl_u32 v5, v8, v6, 2
	ds_bpermute_b32 v8, v5, v10
	v_addc_co_u32_e64 v6, s[0:1], 0, v6, s[0:1]
	v_lshlrev_b32_e32 v6, 2, v6
	v_and_b32_e32 v7, 63, v0
	s_waitcnt lgkmcnt(0)
	v_add_f32_e32 v8, v10, v8
	ds_bpermute_b32 v9, v6, v8
	v_cmp_eq_u32_e64 s[0:1], 0, v7
	s_barrier
	s_waitcnt lgkmcnt(0)
	s_and_saveexec_b64 s[6:7], s[0:1]
	s_cbranch_execz .LBB274_6
; %bb.5:
	v_lshrrev_b32_e32 v10, 4, v0
	v_add_u32_e32 v10, s12, v10
	v_add_f32_e32 v8, v8, v9
	ds_write_b32 v10, v8
.LBB274_6:
	s_or_b64 exec, exec, s[6:7]
	s_waitcnt lgkmcnt(0)
	s_barrier
	s_load_dword s6, s[4:5], 0x2c
	v_mov_b32_e32 v8, 0
	s_waitcnt lgkmcnt(0)
	s_bfe_u32 s0, s6, 0xa0006
	v_cmp_gt_u32_e64 s[0:1], s0, v0
	s_and_saveexec_b64 s[4:5], s[0:1]
	s_cbranch_execnz .LBB274_14
; %bb.7:
	s_or_b64 exec, exec, s[4:5]
	v_cmp_gt_u32_e64 s[0:1], 64, v0
	s_and_saveexec_b64 s[4:5], s[0:1]
	s_cbranch_execnz .LBB274_15
.LBB274_8:
	s_or_b64 exec, exec, s[4:5]
	v_cmp_eq_u32_e64 s[0:1], 0, v0
	s_and_saveexec_b64 s[4:5], s[0:1]
	s_cbranch_execz .LBB274_10
.LBB274_9:
	v_mov_b32_e32 v1, s12
	s_waitcnt lgkmcnt(0)
	ds_write_b32 v1, v8
.LBB274_10:
	s_or_b64 exec, exec, s[4:5]
	s_waitcnt lgkmcnt(0)
	s_barrier
	s_and_saveexec_b64 s[0:1], vcc
	s_cbranch_execz .LBB274_13
; %bb.11:
	v_mov_b32_e32 v1, s12
	ds_read_b32 v6, v1
	s_and_b32 s18, s6, 0xffff
	s_lshl_b64 s[0:1], s[2:3], 1
	s_add_u32 s19, s8, s0
	s_addc_u32 s2, s9, s1
	s_add_u32 s20, s10, s0
	s_addc_u32 s0, s11, s1
	s_waitcnt lgkmcnt(0)
	v_xor_b32_e32 v10, 0x80000000, v6
	v_mov_b32_e32 v7, v6
	v_add_lshl_u32 v8, v0, s18, 3
	s_lshl_b32 s21, s18, 3
	s_lshl_b32 s22, s18, 4
	s_mov_b64 s[16:17], 0
	v_mov_b32_e32 v15, s0
	v_mov_b32_e32 v16, s2
	s_mov_b32 s23, 0x3fb8aa3b
	s_mov_b32 s24, 0x32a5705f
	;; [unrolled: 1-line block ×4, first 2 shown]
	v_mov_b32_e32 v17, 0x7f800000
	v_mov_b32_e32 v11, v10
.LBB274_12:                             ; =>This Inner Loop Header: Depth=1
	v_ashrrev_i32_e32 v1, 31, v0
	v_lshlrev_b64 v[12:13], 4, v[0:1]
	v_add_co_u32_e64 v18, s[0:1], s20, v12
	v_addc_co_u32_e64 v19, s[0:1], v15, v13, s[0:1]
	global_load_dwordx4 v[18:21], v[18:19], off
	ds_read_b128 v[2:5], v14
	v_ashrrev_i32_e32 v9, 31, v8
	v_cmp_le_i64_e32 vcc, s[14:15], v[8:9]
	v_add_co_u32_e64 v12, s[0:1], s19, v12
	s_waitcnt lgkmcnt(0)
	v_cvt_f32_f16_sdwa v23, v2 dst_sel:DWORD dst_unused:UNUSED_PAD src0_sel:WORD_1
	v_cvt_f32_f16_sdwa v25, v3 dst_sel:DWORD dst_unused:UNUSED_PAD src0_sel:WORD_1
	v_cvt_f32_f16_e32 v22, v2
	v_cvt_f32_f16_e32 v24, v3
	v_cvt_f32_f16_sdwa v3, v4 dst_sel:DWORD dst_unused:UNUSED_PAD src0_sel:WORD_1
	v_cvt_f32_f16_sdwa v27, v5 dst_sel:DWORD dst_unused:UNUSED_PAD src0_sel:WORD_1
	v_cvt_f32_f16_e32 v2, v4
	v_cvt_f32_f16_e32 v26, v5
	v_addc_co_u32_e64 v13, s[0:1], v16, v13, s[0:1]
	s_or_b64 s[16:17], vcc, s[16:17]
	v_add_u32_e32 v14, s22, v14
	v_add_u32_e32 v0, s18, v0
	;; [unrolled: 1-line block ×3, first 2 shown]
	s_waitcnt vmcnt(0)
	v_cvt_f32_f16_sdwa v1, v19 dst_sel:DWORD dst_unused:UNUSED_PAD src0_sel:WORD_1
	v_cvt_f32_f16_e32 v4, v19
	v_cvt_f32_f16_sdwa v5, v18 dst_sel:DWORD dst_unused:UNUSED_PAD src0_sel:WORD_1
	v_cvt_f32_f16_e32 v9, v18
	;; [unrolled: 2-line block ×4, first 2 shown]
	v_mul_f32_e32 v32, 0x3fb8aa3b, v9
	v_mul_f32_e32 v33, 0x3fb8aa3b, v5
	v_mul_f32_e32 v34, 0x3fb8aa3b, v4
	v_mul_f32_e32 v35, 0x3fb8aa3b, v1
	v_mul_f32_e32 v36, 0x3fb8aa3b, v31
	v_mul_f32_e32 v37, 0x3fb8aa3b, v30
	v_mul_f32_e32 v38, 0x3fb8aa3b, v29
	v_mul_f32_e32 v39, 0x3fb8aa3b, v28
	v_fma_mix_f32 v40, v18, s23, -v32 op_sel_hi:[1,0,0]
	v_rndne_f32_e32 v41, v32
	v_fma_mix_f32 v42, v18, s23, -v33 op_sel:[1,0,0] op_sel_hi:[1,0,0]
	v_rndne_f32_e32 v43, v33
	v_fma_mix_f32 v44, v19, s23, -v34 op_sel_hi:[1,0,0]
	v_rndne_f32_e32 v45, v34
	v_fma_mix_f32 v46, v19, s23, -v35 op_sel:[1,0,0] op_sel_hi:[1,0,0]
	v_rndne_f32_e32 v47, v35
	;; [unrolled: 4-line block ×4, first 2 shown]
	v_fma_mix_f32 v40, v18, s24, v40 op_sel_hi:[1,0,0]
	v_sub_f32_e32 v32, v32, v41
	v_fma_mix_f32 v18, v18, s24, v42 op_sel:[1,0,0] op_sel_hi:[1,0,0]
	v_sub_f32_e32 v33, v33, v43
	v_cvt_i32_f32_e32 v42, v43
	v_fma_mix_f32 v43, v19, s24, v44 op_sel_hi:[1,0,0]
	v_sub_f32_e32 v34, v34, v45
	v_cvt_i32_f32_e32 v44, v45
	v_fma_mix_f32 v19, v19, s24, v46 op_sel:[1,0,0] op_sel_hi:[1,0,0]
	v_sub_f32_e32 v35, v35, v47
	v_cvt_i32_f32_e32 v45, v47
	v_fma_mix_f32 v46, v20, s24, v48 op_sel_hi:[1,0,0]
	v_sub_f32_e32 v36, v36, v49
	v_cvt_i32_f32_e32 v47, v49
	v_fma_mix_f32 v20, v20, s24, v50 op_sel:[1,0,0] op_sel_hi:[1,0,0]
	v_sub_f32_e32 v37, v37, v51
	v_fma_mix_f32 v49, v21, s24, v52 op_sel_hi:[1,0,0]
	v_sub_f32_e32 v38, v38, v53
	v_fma_mix_f32 v21, v21, s24, v54 op_sel:[1,0,0] op_sel_hi:[1,0,0]
	v_sub_f32_e32 v39, v39, v55
	v_add_f32_e32 v32, v32, v40
	v_add_f32_e32 v18, v33, v18
	;; [unrolled: 1-line block ×8, first 2 shown]
	v_cvt_i32_f32_e32 v41, v41
	v_cvt_i32_f32_e32 v48, v51
	;; [unrolled: 1-line block ×4, first 2 shown]
	v_exp_f32_e32 v32, v32
	v_exp_f32_e32 v18, v18
	;; [unrolled: 1-line block ×8, first 2 shown]
	v_ldexp_f32 v32, v32, v41
	v_ldexp_f32 v18, v18, v42
	v_cmp_ngt_f32_e32 vcc, s25, v5
	v_ldexp_f32 v33, v33, v44
	v_cmp_ngt_f32_e64 s[0:1], s25, v4
	v_ldexp_f32 v19, v19, v45
	v_cmp_ngt_f32_e64 s[2:3], s25, v1
	;; [unrolled: 2-line block ×6, first 2 shown]
	v_cmp_ngt_f32_e64 s[12:13], s25, v9
	v_cndmask_b32_e64 v32, 0, v32, s[12:13]
	v_cndmask_b32_e32 v18, 0, v18, vcc
	v_cmp_nlt_f32_e32 vcc, s26, v5
	v_cndmask_b32_e64 v33, 0, v33, s[0:1]
	v_cmp_nlt_f32_e64 s[0:1], s26, v4
	v_cndmask_b32_e64 v19, 0, v19, s[2:3]
	v_cmp_nlt_f32_e64 s[2:3], s26, v1
	;; [unrolled: 2-line block ×6, first 2 shown]
	v_cmp_nlt_f32_e64 s[12:13], s26, v9
	v_cndmask_b32_e64 v4, v17, v32, s[12:13]
	v_cndmask_b32_e32 v5, v17, v18, vcc
	v_cndmask_b32_e64 v18, v17, v33, s[0:1]
	v_cndmask_b32_e64 v19, v17, v19, s[2:3]
	v_cndmask_b32_e64 v20, v17, v1, s[4:5]
	v_cndmask_b32_e64 v21, v17, v31, s[6:7]
	v_cndmask_b32_e64 v28, v17, v30, s[8:9]
	v_cndmask_b32_e64 v29, v17, v29, s[10:11]
	v_pk_fma_f32 v[18:19], v[10:11], v[18:19], v[24:25]
	v_pk_fma_f32 v[4:5], v[6:7], v[4:5], v[22:23] neg_lo:[1,0,0] neg_hi:[1,0,0]
	v_pk_fma_f32 v[22:23], v[10:11], v[28:29], v[26:27]
	v_pk_fma_f32 v[2:3], v[6:7], v[20:21], v[2:3] neg_lo:[1,0,0] neg_hi:[1,0,0]
	v_cvt_f16_f32_e32 v1, v5
	v_cvt_f16_f32_e32 v9, v19
	;; [unrolled: 1-line block ×8, first 2 shown]
	v_pack_b32_f16 v5, v19, v5
	v_pack_b32_f16 v4, v2, v3
	;; [unrolled: 1-line block ×4, first 2 shown]
	global_store_dwordx4 v[12:13], v[2:5], off
	s_andn2_b64 exec, exec, s[16:17]
	s_cbranch_execnz .LBB274_12
.LBB274_13:
	s_endpgm
.LBB274_14:
	v_lshl_add_u32 v7, v7, 2, s12
	ds_read_b32 v8, v7
	s_or_b64 exec, exec, s[4:5]
	v_cmp_gt_u32_e64 s[0:1], 64, v0
	s_and_saveexec_b64 s[4:5], s[0:1]
	s_cbranch_execz .LBB274_8
.LBB274_15:
	s_waitcnt lgkmcnt(0)
	ds_bpermute_b32 v1, v1, v8
	s_waitcnt lgkmcnt(0)
	v_add_f32_e32 v1, v8, v1
	ds_bpermute_b32 v2, v2, v1
	s_waitcnt lgkmcnt(0)
	v_add_f32_e32 v1, v1, v2
	;; [unrolled: 3-line block ×6, first 2 shown]
	s_or_b64 exec, exec, s[4:5]
	v_cmp_eq_u32_e64 s[0:1], 0, v0
	s_and_saveexec_b64 s[4:5], s[0:1]
	s_cbranch_execnz .LBB274_9
	s_branch .LBB274_10
	.section	.rodata,"a",@progbits
	.p2align	6, 0x0
	.amdhsa_kernel _ZN2at6native12_GLOBAL__N_124cunn_SoftMaxBackwardSmemILi8EN3c104HalfEfS4_NS1_26LogSoftMaxBackwardEpilogueEEEvPT0_PKT2_SA_l
		.amdhsa_group_segment_fixed_size 0
		.amdhsa_private_segment_fixed_size 0
		.amdhsa_kernarg_size 288
		.amdhsa_user_sgpr_count 6
		.amdhsa_user_sgpr_private_segment_buffer 1
		.amdhsa_user_sgpr_dispatch_ptr 0
		.amdhsa_user_sgpr_queue_ptr 0
		.amdhsa_user_sgpr_kernarg_segment_ptr 1
		.amdhsa_user_sgpr_dispatch_id 0
		.amdhsa_user_sgpr_flat_scratch_init 0
		.amdhsa_user_sgpr_kernarg_preload_length 0
		.amdhsa_user_sgpr_kernarg_preload_offset 0
		.amdhsa_user_sgpr_private_segment_size 0
		.amdhsa_uses_dynamic_stack 0
		.amdhsa_system_sgpr_private_segment_wavefront_offset 0
		.amdhsa_system_sgpr_workgroup_id_x 1
		.amdhsa_system_sgpr_workgroup_id_y 0
		.amdhsa_system_sgpr_workgroup_id_z 0
		.amdhsa_system_sgpr_workgroup_info 0
		.amdhsa_system_vgpr_workitem_id 0
		.amdhsa_next_free_vgpr 56
		.amdhsa_next_free_sgpr 27
		.amdhsa_accum_offset 56
		.amdhsa_reserve_vcc 1
		.amdhsa_reserve_flat_scratch 0
		.amdhsa_float_round_mode_32 0
		.amdhsa_float_round_mode_16_64 0
		.amdhsa_float_denorm_mode_32 3
		.amdhsa_float_denorm_mode_16_64 3
		.amdhsa_dx10_clamp 1
		.amdhsa_ieee_mode 1
		.amdhsa_fp16_overflow 0
		.amdhsa_tg_split 0
		.amdhsa_exception_fp_ieee_invalid_op 0
		.amdhsa_exception_fp_denorm_src 0
		.amdhsa_exception_fp_ieee_div_zero 0
		.amdhsa_exception_fp_ieee_overflow 0
		.amdhsa_exception_fp_ieee_underflow 0
		.amdhsa_exception_fp_ieee_inexact 0
		.amdhsa_exception_int_div_zero 0
	.end_amdhsa_kernel
	.section	.text._ZN2at6native12_GLOBAL__N_124cunn_SoftMaxBackwardSmemILi8EN3c104HalfEfS4_NS1_26LogSoftMaxBackwardEpilogueEEEvPT0_PKT2_SA_l,"axG",@progbits,_ZN2at6native12_GLOBAL__N_124cunn_SoftMaxBackwardSmemILi8EN3c104HalfEfS4_NS1_26LogSoftMaxBackwardEpilogueEEEvPT0_PKT2_SA_l,comdat
.Lfunc_end274:
	.size	_ZN2at6native12_GLOBAL__N_124cunn_SoftMaxBackwardSmemILi8EN3c104HalfEfS4_NS1_26LogSoftMaxBackwardEpilogueEEEvPT0_PKT2_SA_l, .Lfunc_end274-_ZN2at6native12_GLOBAL__N_124cunn_SoftMaxBackwardSmemILi8EN3c104HalfEfS4_NS1_26LogSoftMaxBackwardEpilogueEEEvPT0_PKT2_SA_l
                                        ; -- End function
	.section	.AMDGPU.csdata,"",@progbits
; Kernel info:
; codeLenInByte = 2000
; NumSgprs: 31
; NumVgprs: 56
; NumAgprs: 0
; TotalNumVgprs: 56
; ScratchSize: 0
; MemoryBound: 0
; FloatMode: 240
; IeeeMode: 1
; LDSByteSize: 0 bytes/workgroup (compile time only)
; SGPRBlocks: 3
; VGPRBlocks: 6
; NumSGPRsForWavesPerEU: 31
; NumVGPRsForWavesPerEU: 56
; AccumOffset: 56
; Occupancy: 8
; WaveLimiterHint : 0
; COMPUTE_PGM_RSRC2:SCRATCH_EN: 0
; COMPUTE_PGM_RSRC2:USER_SGPR: 6
; COMPUTE_PGM_RSRC2:TRAP_HANDLER: 0
; COMPUTE_PGM_RSRC2:TGID_X_EN: 1
; COMPUTE_PGM_RSRC2:TGID_Y_EN: 0
; COMPUTE_PGM_RSRC2:TGID_Z_EN: 0
; COMPUTE_PGM_RSRC2:TIDIG_COMP_CNT: 0
; COMPUTE_PGM_RSRC3_GFX90A:ACCUM_OFFSET: 13
; COMPUTE_PGM_RSRC3_GFX90A:TG_SPLIT: 0
	.section	.text._ZN2at6native12_GLOBAL__N_120cunn_SoftMaxBackwardILi8EN3c104HalfEfS4_NS1_26LogSoftMaxBackwardEpilogueEEEvPT0_PKT2_SA_l,"axG",@progbits,_ZN2at6native12_GLOBAL__N_120cunn_SoftMaxBackwardILi8EN3c104HalfEfS4_NS1_26LogSoftMaxBackwardEpilogueEEEvPT0_PKT2_SA_l,comdat
	.globl	_ZN2at6native12_GLOBAL__N_120cunn_SoftMaxBackwardILi8EN3c104HalfEfS4_NS1_26LogSoftMaxBackwardEpilogueEEEvPT0_PKT2_SA_l ; -- Begin function _ZN2at6native12_GLOBAL__N_120cunn_SoftMaxBackwardILi8EN3c104HalfEfS4_NS1_26LogSoftMaxBackwardEpilogueEEEvPT0_PKT2_SA_l
	.p2align	8
	.type	_ZN2at6native12_GLOBAL__N_120cunn_SoftMaxBackwardILi8EN3c104HalfEfS4_NS1_26LogSoftMaxBackwardEpilogueEEEvPT0_PKT2_SA_l,@function
_ZN2at6native12_GLOBAL__N_120cunn_SoftMaxBackwardILi8EN3c104HalfEfS4_NS1_26LogSoftMaxBackwardEpilogueEEEvPT0_PKT2_SA_l: ; @_ZN2at6native12_GLOBAL__N_120cunn_SoftMaxBackwardILi8EN3c104HalfEfS4_NS1_26LogSoftMaxBackwardEpilogueEEEvPT0_PKT2_SA_l
; %bb.0:
	s_load_dwordx8 s[12:19], s[4:5], 0x0
	v_mov_b32_e32 v2, 0x7ffffffe
	v_mov_b32_e32 v3, 0
	s_mov_b32 s11, 0
	s_waitcnt lgkmcnt(0)
	s_mul_i32 s1, s6, s19
	s_mul_hi_u32 s2, s6, s18
	s_mul_i32 s0, s6, s18
	s_add_i32 s1, s2, s1
	s_lshl_b64 s[8:9], s[0:1], 1
	s_add_u32 s20, s16, s8
	s_addc_u32 s21, s17, s9
	s_bfe_u32 s10, s20, 0x30001
	v_cmp_gt_i64_e64 s[0:1], s[18:19], v[2:3]
	s_cmp_lg_u32 s10, 0
	s_cselect_b64 s[2:3], -1, 0
	s_and_b64 vcc, exec, s[0:1]
	s_cbranch_vccz .LBB275_16
; %bb.1:
	v_mov_b32_e32 v1, 0
	s_and_b64 vcc, exec, s[2:3]
	s_cbranch_vccz .LBB275_39
; %bb.2:
	s_lshl_b32 s7, s10, 1
	s_sub_u32 s24, s20, s7
	s_subb_u32 s25, s21, 0
	v_cmp_le_u64_e32 vcc, s[10:11], v[0:1]
	v_mov_b32_e32 v8, v1
	s_and_saveexec_b64 s[22:23], vcc
	s_cbranch_execz .LBB275_4
; %bb.3:
	v_lshlrev_b32_e32 v2, 1, v0
	global_load_ushort v2, v2, s[24:25]
	s_waitcnt vmcnt(0)
	v_cvt_f32_f16_e32 v2, v2
	v_add_f32_e32 v8, 0, v2
.LBB275_4:
	s_or_b64 exec, exec, s[22:23]
	s_load_dword s7, s[4:5], 0x2c
	s_add_u32 s22, s10, s18
	s_addc_u32 s23, 0, s19
	s_add_u32 s26, s4, 32
	s_addc_u32 s27, s5, 0
	s_waitcnt lgkmcnt(0)
	s_and_b32 s7, s7, 0xffff
	s_sub_u32 s22, s22, s7
	s_subb_u32 s23, s23, 0
	s_lshl_b32 s7, s7, 1
	s_add_u32 s24, s24, s7
	s_addc_u32 s25, s25, 0
	s_branch .LBB275_6
.LBB275_5:
	s_add_u32 s26, s4, 32
	s_addc_u32 s27, s5, 0
	v_mov_b32_e32 v8, 0
	s_mov_b64 s[22:23], s[18:19]
	s_mov_b64 s[24:25], s[20:21]
.LBB275_6:
	s_load_dword s7, s[26:27], 0x0
	v_mov_b32_e32 v2, 0
	s_waitcnt lgkmcnt(0)
	s_cmp_lt_u32 s6, s7
	s_cselect_b32 s7, 12, 18
	s_add_u32 s26, s26, s7
	s_addc_u32 s27, s27, 0
	global_load_ushort v2, v2, s[26:27]
	s_mov_b32 s26, 0
	s_mov_b32 s27, s23
	s_waitcnt vmcnt(0)
	v_readfirstlane_b32 s7, v2
	s_and_b32 s7, 0xffff, s7
	s_lshl_b32 s7, s7, 3
	s_cmp_lg_u64 s[26:27], 0
	v_and_b32_e32 v9, 0xffff, v2
	s_cbranch_scc0 .LBB275_40
; %bb.7:
	v_cvt_f32_u32_e32 v2, s7
	v_mov_b32_e32 v3, 0x4f800000
	s_sub_u32 s28, 0, s7
	s_subb_u32 s29, 0, 0
	v_mac_f32_e32 v2, 0, v3
	v_rcp_f32_e32 v2, v2
	v_mul_f32_e32 v2, 0x5f7ffffc, v2
	v_mul_f32_e32 v3, 0x2f800000, v2
	v_trunc_f32_e32 v3, v3
	v_madmk_f32 v2, v3, 0xcf800000, v2
	v_cvt_u32_f32_e32 v3, v3
	v_cvt_u32_f32_e32 v2, v2
	v_readfirstlane_b32 s30, v3
	v_readfirstlane_b32 s31, v2
	s_mul_i32 s33, s28, s30
	s_mul_hi_u32 s35, s28, s31
	s_mul_i32 s34, s29, s31
	s_add_i32 s33, s35, s33
	s_add_i32 s33, s33, s34
	s_mul_i32 s36, s28, s31
	s_mul_hi_u32 s34, s31, s33
	s_mul_i32 s35, s31, s33
	s_mul_hi_u32 s31, s31, s36
	s_add_u32 s31, s31, s35
	s_addc_u32 s34, 0, s34
	s_mul_hi_u32 s37, s30, s36
	s_mul_i32 s36, s30, s36
	s_add_u32 s31, s31, s36
	s_mul_hi_u32 s35, s30, s33
	s_addc_u32 s31, s34, s37
	s_addc_u32 s34, s35, 0
	s_mul_i32 s33, s30, s33
	s_add_u32 s31, s31, s33
	s_addc_u32 s33, 0, s34
	v_add_co_u32_e32 v2, vcc, s31, v2
	s_cmp_lg_u64 vcc, 0
	s_addc_u32 s30, s30, s33
	v_readfirstlane_b32 s33, v2
	s_mul_i32 s31, s28, s30
	s_mul_hi_u32 s34, s28, s33
	s_add_i32 s31, s34, s31
	s_mul_i32 s29, s29, s33
	s_add_i32 s31, s31, s29
	s_mul_i32 s28, s28, s33
	s_mul_hi_u32 s34, s30, s28
	s_mul_i32 s35, s30, s28
	s_mul_i32 s37, s33, s31
	s_mul_hi_u32 s28, s33, s28
	s_mul_hi_u32 s36, s33, s31
	s_add_u32 s28, s28, s37
	s_addc_u32 s33, 0, s36
	s_add_u32 s28, s28, s35
	s_mul_hi_u32 s29, s30, s31
	s_addc_u32 s28, s33, s34
	s_addc_u32 s29, s29, 0
	s_mul_i32 s31, s30, s31
	s_add_u32 s28, s28, s31
	s_addc_u32 s29, 0, s29
	v_add_co_u32_e32 v2, vcc, s28, v2
	s_cmp_lg_u64 vcc, 0
	s_addc_u32 s28, s30, s29
	v_readfirstlane_b32 s31, v2
	s_mul_i32 s30, s22, s28
	s_mul_hi_u32 s33, s22, s31
	s_mul_hi_u32 s29, s22, s28
	s_add_u32 s30, s33, s30
	s_addc_u32 s29, 0, s29
	s_mul_hi_u32 s34, s23, s31
	s_mul_i32 s31, s23, s31
	s_add_u32 s30, s30, s31
	s_mul_hi_u32 s33, s23, s28
	s_addc_u32 s29, s29, s34
	s_addc_u32 s30, s33, 0
	s_mul_i32 s28, s23, s28
	s_add_u32 s28, s29, s28
	s_addc_u32 s29, 0, s30
	s_mul_hi_u32 s30, s7, s28
	s_mul_i32 s28, s7, s28
	s_mul_i32 s29, s7, s29
	v_mov_b32_e32 v2, s28
	s_add_i32 s30, s30, s29
	v_sub_co_u32_e32 v2, vcc, s22, v2
	s_cmp_lg_u64 vcc, 0
	s_subb_u32 s28, s23, s30
	v_subrev_co_u32_e32 v3, vcc, s7, v2
	s_cmp_lg_u64 vcc, 0
	s_subb_u32 s29, s28, 0
	v_subrev_co_u32_e32 v4, vcc, s7, v3
	s_cmp_lg_u64 vcc, 0
	s_subb_u32 s30, s29, 0
	v_cmp_le_u32_e32 vcc, s7, v3
	s_cmp_eq_u32 s29, 0
	v_cndmask_b32_e64 v5, 0, -1, vcc
	s_cselect_b64 vcc, -1, 0
	v_cndmask_b32_e32 v5, -1, v5, vcc
	v_mov_b32_e32 v6, s29
	v_mov_b32_e32 v7, s30
	v_cmp_ne_u32_e32 vcc, 0, v5
	v_cndmask_b32_e32 v5, v6, v7, vcc
	v_cndmask_b32_e32 v4, v3, v4, vcc
	v_cmp_le_u32_e32 vcc, s7, v2
	s_cmp_eq_u32 s28, 0
	v_cndmask_b32_e64 v3, 0, -1, vcc
	s_cselect_b64 vcc, -1, 0
	v_cndmask_b32_e32 v3, -1, v3, vcc
	v_mov_b32_e32 v6, s28
	v_cmp_ne_u32_e32 vcc, 0, v3
	v_cndmask_b32_e32 v3, v6, v5, vcc
	v_cndmask_b32_e32 v2, v2, v4, vcc
	s_cbranch_execnz .LBB275_9
.LBB275_8:
	v_cvt_f32_u32_e32 v2, s7
	s_sub_i32 s26, 0, s7
	v_rcp_iflag_f32_e32 v2, v2
	v_mul_f32_e32 v2, 0x4f7ffffe, v2
	v_cvt_u32_f32_e32 v2, v2
	v_mul_lo_u32 v3, s26, v2
	v_mul_hi_u32 v3, v2, v3
	v_add_u32_e32 v2, v2, v3
	v_mul_hi_u32 v2, s22, v2
	v_mul_lo_u32 v2, v2, s7
	v_sub_u32_e32 v2, s22, v2
	v_subrev_u32_e32 v3, s7, v2
	v_cmp_le_u32_e32 vcc, s7, v2
	v_cndmask_b32_e32 v2, v2, v3, vcc
	v_subrev_u32_e32 v3, s7, v2
	v_cmp_le_u32_e32 vcc, s7, v2
	v_cndmask_b32_e32 v2, v2, v3, vcc
	v_mov_b32_e32 v3, 0
.LBB275_9:
	v_mov_b32_e32 v4, s23
	v_sub_co_u32_e32 v2, vcc, s22, v2
	v_subb_co_u32_e32 v3, vcc, v4, v3, vcc
	v_lshlrev_b32_e32 v4, 4, v0
	v_mov_b32_e32 v5, s25
	v_add_co_u32_e32 v4, vcc, s24, v4
	v_addc_co_u32_e32 v5, vcc, 0, v5, vcc
	v_lshlrev_b32_e32 v10, 4, v9
	s_mov_b64 s[26:27], 0
	v_pk_mov_b32 v[6:7], v[0:1], v[0:1] op_sel:[0,1]
.LBB275_10:                             ; =>This Inner Loop Header: Depth=1
	global_load_dwordx4 v[12:15], v[4:5], off
	v_add_co_u32_e32 v6, vcc, v6, v9
	v_addc_co_u32_e32 v7, vcc, 0, v7, vcc
	v_add_co_u32_e32 v4, vcc, v4, v10
	v_addc_co_u32_e32 v5, vcc, 0, v5, vcc
	v_lshlrev_b64 v[16:17], 3, v[6:7]
	v_cmp_ge_i64_e32 vcc, v[16:17], v[2:3]
	s_or_b64 s[26:27], vcc, s[26:27]
	s_waitcnt vmcnt(0)
	v_cvt_f32_f16_e32 v1, v12
	v_cvt_f32_f16_sdwa v11, v12 dst_sel:DWORD dst_unused:UNUSED_PAD src0_sel:WORD_1
	v_cvt_f32_f16_e32 v12, v13
	v_cvt_f32_f16_sdwa v13, v13 dst_sel:DWORD dst_unused:UNUSED_PAD src0_sel:WORD_1
	v_cvt_f32_f16_e32 v16, v14
	v_add_f32_e32 v1, v8, v1
	v_cvt_f32_f16_sdwa v14, v14 dst_sel:DWORD dst_unused:UNUSED_PAD src0_sel:WORD_1
	v_add_f32_e32 v1, v1, v11
	v_cvt_f32_f16_e32 v17, v15
	v_add_f32_e32 v1, v1, v12
	v_cvt_f32_f16_sdwa v15, v15 dst_sel:DWORD dst_unused:UNUSED_PAD src0_sel:WORD_1
	v_add_f32_e32 v1, v1, v13
	v_add_f32_e32 v1, v1, v16
	;; [unrolled: 1-line block ×5, first 2 shown]
	s_andn2_b64 exec, exec, s[26:27]
	s_cbranch_execnz .LBB275_10
; %bb.11:
	s_or_b64 exec, exec, s[26:27]
	v_add_co_u32_e32 v2, vcc, v2, v0
	v_addc_co_u32_e32 v3, vcc, 0, v3, vcc
	v_cmp_gt_i64_e32 vcc, s[22:23], v[2:3]
	s_and_saveexec_b64 s[26:27], vcc
	s_cbranch_execz .LBB275_15
; %bb.12:
	s_mov_b64 s[28:29], 0
	v_mov_b32_e32 v1, s25
.LBB275_13:                             ; =>This Inner Loop Header: Depth=1
	v_lshlrev_b64 v[4:5], 1, v[2:3]
	v_add_co_u32_e32 v4, vcc, s24, v4
	v_addc_co_u32_e32 v5, vcc, v1, v5, vcc
	global_load_ushort v4, v[4:5], off
	v_add_co_u32_e32 v2, vcc, v2, v9
	v_addc_co_u32_e32 v3, vcc, 0, v3, vcc
	v_cmp_le_i64_e32 vcc, s[22:23], v[2:3]
	s_or_b64 s[28:29], vcc, s[28:29]
	s_waitcnt vmcnt(0)
	v_cvt_f32_f16_e32 v4, v4
	v_add_f32_e32 v8, v8, v4
	s_andn2_b64 exec, exec, s[28:29]
	s_cbranch_execnz .LBB275_13
; %bb.14:
	s_or_b64 exec, exec, s[28:29]
.LBB275_15:
	s_or_b64 exec, exec, s[26:27]
	s_branch .LBB275_31
.LBB275_16:
                                        ; implicit-def: $vgpr8
	s_cbranch_execz .LBB275_31
; %bb.17:
	s_and_b64 vcc, exec, s[2:3]
	s_cbranch_vccz .LBB275_41
; %bb.18:
	s_lshl_b64 s[2:3], s[10:11], 1
	s_sub_u32 s24, s20, s2
	s_subb_u32 s25, s21, s3
	s_add_i32 s7, s10, s18
	v_cmp_le_u32_e32 vcc, s10, v0
	v_cmp_gt_i32_e64 s[2:3], s7, v0
	s_and_b64 s[22:23], vcc, s[2:3]
	v_mov_b32_e32 v8, 0
	s_and_saveexec_b64 s[2:3], s[22:23]
	s_cbranch_execz .LBB275_20
; %bb.19:
	v_lshlrev_b32_e32 v1, 1, v0
	global_load_ushort v1, v1, s[24:25]
	s_waitcnt vmcnt(0)
	v_cvt_f32_f16_e32 v1, v1
	v_add_f32_e32 v8, 0, v1
.LBB275_20:
	s_or_b64 exec, exec, s[2:3]
	s_load_dword s2, s[4:5], 0x2c
	s_add_u32 s22, s4, 32
	s_addc_u32 s23, s5, 0
	s_waitcnt lgkmcnt(0)
	s_and_b32 s2, s2, 0xffff
	v_mov_b32_e32 v1, s2
	s_lshl_b32 s2, s2, 1
	v_sub_u32_e64 v1, s7, v1 clamp
	s_add_u32 s2, s24, s2
	v_readfirstlane_b32 s7, v1
	s_addc_u32 s3, s25, 0
	s_branch .LBB275_22
.LBB275_21:
	s_add_u32 s22, s4, 32
	s_addc_u32 s23, s5, 0
	v_mov_b32_e32 v8, 0
	s_mov_b32 s7, s18
	s_mov_b64 s[2:3], s[20:21]
.LBB275_22:
	s_load_dword s24, s[22:23], 0x0
	v_mov_b32_e32 v1, 0
	s_waitcnt lgkmcnt(0)
	s_cmp_lt_u32 s6, s24
	s_cselect_b32 s24, 12, 18
	s_add_u32 s22, s22, s24
	s_addc_u32 s23, s23, 0
	global_load_ushort v1, v1, s[22:23]
	s_waitcnt vmcnt(0)
	v_readfirstlane_b32 s22, v1
	s_lshl_b32 s22, s22, 3
	v_cvt_f32_u32_e32 v2, s22
	s_sub_i32 s23, 0, s22
	v_rcp_iflag_f32_e32 v2, v2
	v_mul_f32_e32 v2, 0x4f7ffffe, v2
	v_cvt_u32_f32_e32 v2, v2
	v_readfirstlane_b32 s24, v2
	s_mul_i32 s23, s23, s24
	s_mul_hi_u32 s23, s24, s23
	s_add_i32 s24, s24, s23
	s_mul_hi_u32 s23, s7, s24
	s_mul_i32 s23, s23, s22
	s_sub_i32 s23, s7, s23
	s_sub_i32 s24, s23, s22
	s_cmp_ge_u32 s23, s22
	s_cselect_b32 s23, s24, s23
	s_sub_i32 s24, s23, s22
	s_cmp_ge_u32 s23, s22
	s_cselect_b32 s22, s24, s23
	s_sub_i32 s26, s7, s22
	v_lshlrev_b32_e32 v2, 3, v0
	v_cmp_gt_i32_e32 vcc, s26, v2
	s_and_saveexec_b64 s[22:23], vcc
	s_cbranch_execz .LBB275_26
; %bb.23:
	s_mov_b64 s[24:25], 0
	v_mov_b32_e32 v4, s3
	v_mov_b32_e32 v2, v0
.LBB275_24:                             ; =>This Inner Loop Header: Depth=1
	v_ashrrev_i32_e32 v3, 31, v2
	v_lshlrev_b64 v[6:7], 4, v[2:3]
	v_add_co_u32_e32 v6, vcc, s2, v6
	v_addc_co_u32_e32 v7, vcc, v4, v7, vcc
	global_load_dwordx4 v[10:13], v[6:7], off
	v_add_u32_e32 v2, v2, v1
	v_lshlrev_b32_e32 v3, 3, v2
	v_cmp_le_i32_e32 vcc, s26, v3
	s_or_b64 s[24:25], vcc, s[24:25]
	s_waitcnt vmcnt(0)
	v_cvt_f32_f16_e32 v3, v10
	v_cvt_f32_f16_sdwa v5, v10 dst_sel:DWORD dst_unused:UNUSED_PAD src0_sel:WORD_1
	v_cvt_f32_f16_e32 v6, v11
	v_cvt_f32_f16_sdwa v7, v11 dst_sel:DWORD dst_unused:UNUSED_PAD src0_sel:WORD_1
	v_cvt_f32_f16_e32 v9, v12
	v_add_f32_e32 v3, v8, v3
	v_cvt_f32_f16_sdwa v10, v12 dst_sel:DWORD dst_unused:UNUSED_PAD src0_sel:WORD_1
	v_add_f32_e32 v3, v3, v5
	v_cvt_f32_f16_e32 v11, v13
	v_add_f32_e32 v3, v3, v6
	v_cvt_f32_f16_sdwa v12, v13 dst_sel:DWORD dst_unused:UNUSED_PAD src0_sel:WORD_1
	v_add_f32_e32 v3, v3, v7
	v_add_f32_e32 v3, v3, v9
	;; [unrolled: 1-line block ×5, first 2 shown]
	s_andn2_b64 exec, exec, s[24:25]
	s_cbranch_execnz .LBB275_24
; %bb.25:
	s_or_b64 exec, exec, s[24:25]
.LBB275_26:
	s_or_b64 exec, exec, s[22:23]
	v_add_u32_e32 v2, s26, v0
	v_cmp_gt_i32_e32 vcc, s7, v2
	s_and_saveexec_b64 s[22:23], vcc
	s_cbranch_execz .LBB275_30
; %bb.27:
	s_mov_b64 s[24:25], 0
	v_mov_b32_e32 v4, s3
.LBB275_28:                             ; =>This Inner Loop Header: Depth=1
	v_ashrrev_i32_e32 v3, 31, v2
	v_lshlrev_b64 v[6:7], 1, v[2:3]
	v_add_co_u32_e32 v6, vcc, s2, v6
	v_addc_co_u32_e32 v7, vcc, v4, v7, vcc
	global_load_ushort v3, v[6:7], off
	v_add_u32_e32 v2, v2, v1
	v_cmp_le_i32_e32 vcc, s7, v2
	s_or_b64 s[24:25], vcc, s[24:25]
	s_waitcnt vmcnt(0)
	v_cvt_f32_f16_e32 v3, v3
	v_add_f32_e32 v8, v8, v3
	s_andn2_b64 exec, exec, s[24:25]
	s_cbranch_execnz .LBB275_28
; %bb.29:
	s_or_b64 exec, exec, s[24:25]
.LBB275_30:
	s_or_b64 exec, exec, s[22:23]
.LBB275_31:
	v_lshl_add_u32 v1, v0, 2, 0
	s_barrier
	ds_write_b32 v1, v8
	s_waitcnt lgkmcnt(0)
	s_barrier
	s_load_dword s7, s[4:5], 0x2c
	s_add_u32 s28, s4, 32
	s_addc_u32 s29, s5, 0
	s_waitcnt lgkmcnt(0)
	s_bfe_u32 s4, s7, 0xa0006
	s_min_u32 s2, s4, 64
	v_cmp_gt_u32_e32 vcc, s2, v0
	s_and_saveexec_b64 s[2:3], vcc
	s_cbranch_execz .LBB275_33
; %bb.32:
	s_movk_i32 s5, 0xfc
	v_mad_u32_u24 v10, v0, s5, v1
	ds_read2_b32 v[2:3], v10 offset1:1
	ds_read2_b32 v[4:5], v10 offset0:2 offset1:3
	ds_read2_b32 v[6:7], v10 offset0:4 offset1:5
	ds_read2_b32 v[8:9], v10 offset0:6 offset1:7
	s_waitcnt lgkmcnt(3)
	v_add_f32_e32 v2, 0, v2
	v_add_f32_e32 v2, v2, v3
	s_waitcnt lgkmcnt(2)
	v_add_f32_e32 v2, v2, v4
	v_add_f32_e32 v2, v2, v5
	s_waitcnt lgkmcnt(1)
	v_add_f32_e32 v2, v2, v6
	v_add_f32_e32 v2, v2, v7
	s_waitcnt lgkmcnt(0)
	v_add_f32_e32 v4, v2, v8
	ds_read2_b32 v[2:3], v10 offset0:8 offset1:9
	v_add_f32_e32 v11, v4, v9
	ds_read2_b32 v[4:5], v10 offset0:10 offset1:11
	ds_read2_b32 v[6:7], v10 offset0:12 offset1:13
	ds_read2_b32 v[8:9], v10 offset0:14 offset1:15
	s_waitcnt lgkmcnt(3)
	v_add_f32_e32 v2, v11, v2
	v_add_f32_e32 v2, v2, v3
	s_waitcnt lgkmcnt(2)
	v_add_f32_e32 v2, v2, v4
	v_add_f32_e32 v2, v2, v5
	s_waitcnt lgkmcnt(1)
	v_add_f32_e32 v2, v2, v6
	v_add_f32_e32 v2, v2, v7
	s_waitcnt lgkmcnt(0)
	v_add_f32_e32 v4, v2, v8
	ds_read2_b32 v[2:3], v10 offset0:16 offset1:17
	v_add_f32_e32 v11, v4, v9
	;; [unrolled: 16-line block ×7, first 2 shown]
	ds_read2_b32 v[4:5], v10 offset0:58 offset1:59
	ds_read2_b32 v[6:7], v10 offset0:60 offset1:61
	;; [unrolled: 1-line block ×3, first 2 shown]
	s_waitcnt lgkmcnt(3)
	v_add_f32_e32 v2, v11, v2
	v_add_f32_e32 v2, v2, v3
	s_waitcnt lgkmcnt(2)
	v_add_f32_e32 v2, v2, v4
	v_add_f32_e32 v2, v2, v5
	;; [unrolled: 3-line block ×4, first 2 shown]
	ds_write_b32 v1, v2
.LBB275_33:
	s_or_b64 exec, exec, s[2:3]
	s_and_b32 s30, s7, 0xffff
	v_cmp_eq_u32_e32 vcc, 0, v0
	s_waitcnt lgkmcnt(0)
	s_barrier
	s_and_saveexec_b64 s[2:3], vcc
	s_cbranch_execz .LBB275_46
; %bb.34:
	s_cmp_lt_u32 s30, 64
	v_mov_b32_e32 v1, 0
	s_cbranch_scc1 .LBB275_45
; %bb.35:
	s_add_i32 s5, s4, -1
	s_cmp_lt_u32 s5, 7
	s_cbranch_scc1 .LBB275_42
; %bb.36:
	s_and_b32 s5, s4, 0x3f8
	s_mov_b32 s7, 0
	s_mov_b32 s22, 0
	v_mov_b32_e32 v1, 0
.LBB275_37:                             ; =>This Inner Loop Header: Depth=1
	v_mov_b32_e32 v8, s22
	ds_read2_b32 v[2:3], v8 offset1:1
	ds_read2_b32 v[4:5], v8 offset0:2 offset1:3
	ds_read2_b32 v[6:7], v8 offset0:4 offset1:5
	;; [unrolled: 1-line block ×3, first 2 shown]
	s_add_i32 s7, s7, 8
	s_waitcnt lgkmcnt(3)
	v_add_f32_e32 v1, v1, v2
	v_add_f32_e32 v1, v1, v3
	s_waitcnt lgkmcnt(2)
	v_add_f32_e32 v1, v1, v4
	v_add_f32_e32 v1, v1, v5
	;; [unrolled: 3-line block ×3, first 2 shown]
	s_add_i32 s22, s22, 32
	s_waitcnt lgkmcnt(0)
	v_add_f32_e32 v1, v1, v8
	s_cmp_eq_u32 s5, s7
	v_add_f32_e32 v1, v1, v9
	s_cbranch_scc0 .LBB275_37
; %bb.38:
	s_and_b32 s4, s4, 7
	s_cmp_eq_u32 s4, 0
	s_cbranch_scc0 .LBB275_43
	s_branch .LBB275_45
.LBB275_39:
                                        ; implicit-def: $sgpr24_sgpr25
                                        ; implicit-def: $sgpr22_sgpr23
                                        ; implicit-def: $vgpr8
                                        ; implicit-def: $sgpr26_sgpr27
	s_cbranch_execnz .LBB275_5
	s_branch .LBB275_6
.LBB275_40:
                                        ; implicit-def: $vgpr2_vgpr3
	s_branch .LBB275_8
.LBB275_41:
                                        ; implicit-def: $sgpr2_sgpr3
                                        ; implicit-def: $sgpr7
                                        ; implicit-def: $vgpr8
                                        ; implicit-def: $sgpr22_sgpr23
	s_cbranch_execnz .LBB275_21
	s_branch .LBB275_22
.LBB275_42:
	s_mov_b32 s5, 0
	v_mov_b32_e32 v1, 0
	s_and_b32 s4, s4, 7
	s_cmp_eq_u32 s4, 0
	s_cbranch_scc1 .LBB275_45
.LBB275_43:
	s_lshl_b32 s5, s5, 2
	s_add_i32 s5, s5, 0
.LBB275_44:                             ; =>This Inner Loop Header: Depth=1
	v_mov_b32_e32 v2, s5
	ds_read_b32 v2, v2
	s_add_i32 s5, s5, 4
	s_add_i32 s4, s4, -1
	s_cmp_lg_u32 s4, 0
	s_waitcnt lgkmcnt(0)
	v_add_f32_e32 v1, v1, v2
	s_cbranch_scc1 .LBB275_44
.LBB275_45:
	v_mov_b32_e32 v2, 0
	ds_write_b32 v2, v1
.LBB275_46:
	s_or_b64 exec, exec, s[2:3]
	s_add_u32 s24, s12, s8
	s_addc_u32 s25, s13, s9
	s_add_u32 s26, s14, s8
	v_mov_b32_e32 v1, 0
	s_mov_b32 s35, 0
	s_addc_u32 s27, s15, s9
	s_waitcnt lgkmcnt(0)
	s_barrier
	ds_read_b32 v1, v1
	s_bfe_u32 s34, s24, 0x30001
	s_bfe_u32 s2, s26, 0x30001
	s_mov_b32 s3, s35
	s_cmp_eq_u64 s[34:35], s[2:3]
	s_cselect_b64 s[2:3], -1, 0
	s_cmp_eq_u64 s[34:35], s[10:11]
	s_cselect_b64 s[4:5], -1, 0
	s_and_b64 s[2:3], s[2:3], s[4:5]
	s_waitcnt lgkmcnt(0)
	v_readfirstlane_b32 s22, v1
	s_andn2_b64 vcc, exec, s[2:3]
	s_mov_b64 s[2:3], -1
	s_cbranch_vccz .LBB275_65
; %bb.47:
	s_and_b64 vcc, exec, s[0:1]
	s_cbranch_vccz .LBB275_56
; %bb.48:
	s_lshl_b32 s7, s30, 3
	v_cvt_f32_u32_e32 v1, s7
	s_sub_i32 s3, 0, s7
	s_mov_b32 s2, 0
	v_rcp_iflag_f32_e32 v1, v1
	v_mul_f32_e32 v1, 0x4f7ffffe, v1
	v_cvt_u32_f32_e32 v2, v1
	v_mov_b32_e32 v1, 0
	v_readfirstlane_b32 s4, v2
	s_mul_i32 s3, s3, s4
	s_mul_hi_u32 s3, s4, s3
	s_add_i32 s4, s4, s3
	s_mul_hi_u32 s3, s18, s4
	s_mul_i32 s3, s3, s7
	s_sub_i32 s3, s18, s3
	s_sub_i32 s4, s3, s7
	s_cmp_ge_u32 s3, s7
	s_cselect_b32 s3, s4, s3
	s_sub_i32 s4, s3, s7
	s_cmp_ge_u32 s3, s7
	s_cselect_b32 s3, s4, s3
	s_bfe_i64 s[4:5], s[18:19], 0x200000
	s_sub_u32 s10, s4, s3
	s_subb_u32 s11, s5, 0
	v_cmp_gt_i64_e32 vcc, s[10:11], v[0:1]
	v_pk_mov_b32 v[2:3], v[0:1], v[0:1] op_sel:[0,1]
	s_and_saveexec_b64 s[36:37], vcc
	s_cbranch_execz .LBB275_52
; %bb.49:
	v_lshlrev_b64 v[2:3], 1, v[0:1]
	v_mov_b32_e32 v5, s9
	v_add_co_u32_e32 v4, vcc, s8, v2
	s_lshl_b32 s23, s30, 1
	v_addc_co_u32_e32 v5, vcc, v5, v3, vcc
	s_lshl_b32 s31, s30, 4
	s_mov_b64 s[38:39], 0
	v_mov_b32_e32 v22, s15
	v_mov_b32_e32 v23, s17
	;; [unrolled: 1-line block ×4, first 2 shown]
	s_mov_b32 s33, 0x3fb8aa3b
	s_mov_b32 s40, 0x32a5705f
	s_mov_b32 s41, 0xc2ce8ed0
	s_mov_b32 s42, 0x42b17218
	v_mov_b32_e32 v26, 0x7f800000
	v_mov_b32_e32 v27, s2
	;; [unrolled: 1-line block ×3, first 2 shown]
	v_pk_mov_b32 v[2:3], v[0:1], v[0:1] op_sel:[0,1]
.LBB275_50:                             ; =>This Inner Loop Header: Depth=1
	v_add_co_u32_e32 v8, vcc, s14, v4
	v_addc_co_u32_e32 v9, vcc, v22, v5, vcc
	v_add_co_u32_e32 v10, vcc, s16, v4
	v_addc_co_u32_e32 v11, vcc, v23, v5, vcc
	v_add_co_u32_e32 v6, vcc, s12, v4
	v_addc_co_u32_e32 v7, vcc, v25, v5, vcc
	v_add_co_u32_e32 v2, vcc, s7, v2
	v_addc_co_u32_e32 v3, vcc, v3, v27, vcc
	v_add_co_u32_e32 v4, vcc, s31, v4
	v_addc_co_u32_e32 v5, vcc, v5, v28, vcc
	v_add_co_u32_e32 v12, vcc, s23, v8
	v_addc_co_u32_e32 v13, vcc, v9, v24, vcc
	global_load_ushort v1, v[8:9], off
	global_load_ushort v29, v[10:11], off
	v_add_co_u32_e32 v10, vcc, s23, v10
	v_addc_co_u32_e32 v11, vcc, v11, v24, vcc
	v_add_co_u32_e32 v8, vcc, s23, v6
	v_addc_co_u32_e32 v9, vcc, v7, v24, vcc
	v_cmp_le_i64_e32 vcc, s[10:11], v[2:3]
	global_load_ushort v34, v[12:13], off
	global_load_ushort v35, v[10:11], off
	v_add_co_u32_e64 v12, s[2:3], s23, v12
	v_addc_co_u32_e64 v13, s[2:3], v13, v24, s[2:3]
	s_or_b64 s[38:39], vcc, s[38:39]
	v_add_co_u32_e32 v16, vcc, s23, v12
	v_add_co_u32_e64 v14, s[2:3], s23, v10
	v_addc_co_u32_e32 v17, vcc, v13, v24, vcc
	v_addc_co_u32_e64 v15, s[2:3], v11, v24, s[2:3]
	global_load_ushort v36, v[12:13], off
	global_load_ushort v37, v[14:15], off
	v_add_co_u32_e32 v14, vcc, s23, v14
	v_add_co_u32_e64 v10, s[2:3], s23, v8
	v_addc_co_u32_e32 v15, vcc, v15, v24, vcc
	v_addc_co_u32_e64 v11, s[2:3], v9, v24, s[2:3]
	v_add_co_u32_e32 v12, vcc, s23, v10
	v_addc_co_u32_e32 v13, vcc, v11, v24, vcc
	global_load_ushort v38, v[16:17], off
	global_load_ushort v39, v[14:15], off
	v_add_co_u32_e32 v16, vcc, s23, v16
	v_addc_co_u32_e32 v17, vcc, v17, v24, vcc
	v_add_co_u32_e32 v18, vcc, s23, v14
	v_addc_co_u32_e32 v19, vcc, v15, v24, vcc
	;; [unrolled: 2-line block ×4, first 2 shown]
	global_load_ushort v40, v[16:17], off
	global_load_ushort v41, v[18:19], off
	v_add_co_u32_e32 v18, vcc, s23, v18
	v_addc_co_u32_e32 v19, vcc, v19, v24, vcc
	v_add_co_u32_e32 v16, vcc, s23, v14
	v_addc_co_u32_e32 v17, vcc, v15, v24, vcc
	global_load_ushort v42, v[20:21], off
	global_load_ushort v43, v[18:19], off
	v_add_co_u32_e32 v20, vcc, s23, v20
	v_addc_co_u32_e32 v21, vcc, v21, v24, vcc
	v_add_co_u32_e32 v30, vcc, s23, v18
	v_addc_co_u32_e32 v31, vcc, v19, v24, vcc
	;; [unrolled: 2-line block ×3, first 2 shown]
	global_load_ushort v44, v[20:21], off
	global_load_ushort v45, v[30:31], off
	v_add_co_u32_e32 v32, vcc, s23, v20
	v_addc_co_u32_e32 v33, vcc, v21, v24, vcc
	v_add_co_u32_e32 v30, vcc, s23, v30
	v_addc_co_u32_e32 v31, vcc, v31, v24, vcc
	global_load_ushort v46, v[32:33], off
	global_load_ushort v47, v[30:31], off
	s_waitcnt vmcnt(15)
	v_cvt_f32_f16_e32 v30, v1
	v_add_co_u32_e32 v20, vcc, s23, v18
	s_waitcnt vmcnt(13)
	v_cvt_f32_f16_e32 v31, v34
	v_mul_f32_e32 v48, 0x3fb8aa3b, v30
	v_fma_mix_f32 v50, v1, s33, -v48 op_sel_hi:[1,0,0]
	v_rndne_f32_e32 v51, v48
	v_mul_f32_e32 v52, 0x3fb8aa3b, v31
	v_fma_mix_f32 v1, v1, s40, v50 op_sel_hi:[1,0,0]
	v_sub_f32_e32 v48, v48, v51
	v_cvt_i32_f32_e32 v50, v51
	v_fma_mix_f32 v51, v34, s33, -v52 op_sel_hi:[1,0,0]
	v_rndne_f32_e32 v54, v52
	v_add_f32_e32 v1, v48, v1
	v_fma_mix_f32 v34, v34, s40, v51 op_sel_hi:[1,0,0]
	v_sub_f32_e32 v48, v52, v54
	v_cvt_i32_f32_e32 v51, v54
	s_waitcnt vmcnt(11)
	v_cvt_f32_f16_e32 v32, v36
	v_add_f32_e32 v34, v48, v34
	v_exp_f32_e32 v1, v1
	v_exp_f32_e32 v34, v34
	v_mul_f32_e32 v55, 0x3fb8aa3b, v32
	v_fma_mix_f32 v52, v36, s33, -v55 op_sel_hi:[1,0,0]
	v_rndne_f32_e32 v54, v55
	v_fma_mix_f32 v36, v36, s40, v52 op_sel_hi:[1,0,0]
	v_sub_f32_e32 v48, v55, v54
	v_cvt_i32_f32_e32 v52, v54
	v_add_f32_e32 v36, v48, v36
	v_ldexp_f32 v1, v1, v50
	v_exp_f32_e32 v36, v36
	s_waitcnt vmcnt(9)
	v_cvt_f32_f16_e32 v33, v38
	v_ldexp_f32 v34, v34, v51
	v_addc_co_u32_e32 v21, vcc, v19, v24, vcc
	v_mul_f32_e32 v57, 0x3fb8aa3b, v33
	v_fma_mix_f32 v54, v38, s33, -v57 op_sel_hi:[1,0,0]
	v_rndne_f32_e32 v55, v57
	v_fma_mix_f32 v38, v38, s40, v54 op_sel_hi:[1,0,0]
	v_sub_f32_e32 v54, v57, v55
	v_add_f32_e32 v38, v54, v38
	v_cvt_i32_f32_e32 v55, v55
	v_exp_f32_e32 v38, v38
	v_cmp_ngt_f32_e32 vcc, s41, v30
	v_cndmask_b32_e32 v1, 0, v1, vcc
	v_cmp_ngt_f32_e32 vcc, s41, v31
	v_cmp_nlt_f32_e64 s[2:3], s42, v30
	v_cndmask_b32_e64 v1, v26, v1, s[2:3]
	s_waitcnt vmcnt(7)
	v_cvt_f32_f16_e32 v49, v40
	v_cndmask_b32_e32 v30, 0, v34, vcc
	v_ldexp_f32 v34, v36, v52
	v_cmp_ngt_f32_e32 vcc, s41, v32
	v_mul_f32_e32 v48, 0x3fb8aa3b, v49
	v_fma_mix_f32 v57, v40, s33, -v48 op_sel_hi:[1,0,0]
	v_rndne_f32_e32 v54, v48
	v_fma_mix_f32 v40, v40, s40, v57 op_sel_hi:[1,0,0]
	v_sub_f32_e32 v48, v48, v54
	s_waitcnt vmcnt(5)
	v_cvt_f32_f16_e32 v53, v42
	v_add_f32_e32 v40, v48, v40
	v_cvt_i32_f32_e32 v54, v54
	v_exp_f32_e32 v40, v40
	v_mul_f32_e32 v57, 0x3fb8aa3b, v53
	v_fma_mix_f32 v48, v42, s33, -v57 op_sel_hi:[1,0,0]
	v_fma_mix_f32 v42, v42, s40, v48 op_sel_hi:[1,0,0]
	v_rndne_f32_e32 v48, v57
	v_sub_f32_e32 v57, v57, v48
	v_add_f32_e32 v42, v57, v42
	v_cvt_i32_f32_e32 v48, v48
	v_exp_f32_e32 v42, v42
	v_cmp_nlt_f32_e64 s[2:3], s42, v31
	s_waitcnt vmcnt(3)
	v_cvt_f32_f16_e32 v56, v44
	v_fma_mixlo_f16 v1, -s22, v1, v29 op_sel_hi:[0,0,1]
	v_cndmask_b32_e64 v29, v26, v30, s[2:3]
	v_cndmask_b32_e32 v30, 0, v34, vcc
	v_mul_f32_e32 v50, 0x3fb8aa3b, v56
	v_fma_mix_f32 v57, v44, s33, -v50 op_sel_hi:[1,0,0]
	v_fma_mix_f32 v44, v44, s40, v57 op_sel_hi:[1,0,0]
	v_rndne_f32_e32 v57, v50
	v_sub_f32_e32 v50, v50, v57
	s_waitcnt vmcnt(1)
	v_cvt_f32_f16_e32 v58, v46
	v_add_f32_e32 v44, v50, v44
	v_cvt_i32_f32_e32 v57, v57
	v_exp_f32_e32 v36, v44
	v_mul_f32_e32 v51, 0x3fb8aa3b, v58
	v_fma_mix_f32 v50, v46, s33, -v51 op_sel_hi:[1,0,0]
	v_fma_mix_f32 v46, v46, s40, v50 op_sel_hi:[1,0,0]
	v_rndne_f32_e32 v50, v51
	v_sub_f32_e32 v51, v51, v50
	v_add_f32_e32 v44, v51, v46
	v_cvt_i32_f32_e32 v50, v50
	v_ldexp_f32 v31, v38, v55
	v_cmp_ngt_f32_e32 vcc, s41, v33
	v_exp_f32_e32 v34, v44
	v_cmp_nlt_f32_e64 s[2:3], s42, v32
	global_store_short v[6:7], v1, off
	v_fma_mixlo_f16 v1, -s22, v29, v35 op_sel_hi:[0,0,1]
	v_cndmask_b32_e64 v6, v26, v30, s[2:3]
	v_cndmask_b32_e32 v7, 0, v31, vcc
	v_ldexp_f32 v29, v40, v54
	v_cmp_ngt_f32_e32 vcc, s41, v49
	v_cmp_nlt_f32_e64 s[2:3], s42, v33
	global_store_short v[8:9], v1, off
	v_fma_mixlo_f16 v1, -s22, v6, v37 op_sel_hi:[0,0,1]
	v_cndmask_b32_e64 v6, v26, v7, s[2:3]
	v_cndmask_b32_e32 v7, 0, v29, vcc
	v_ldexp_f32 v8, v42, v48
	v_cmp_ngt_f32_e32 vcc, s41, v53
	;; [unrolled: 7-line block ×4, first 2 shown]
	v_cmp_nlt_f32_e64 s[2:3], s42, v56
	global_store_short v[14:15], v1, off
	v_fma_mixlo_f16 v1, -s22, v6, v43 op_sel_hi:[0,0,1]
	v_cndmask_b32_e64 v6, v26, v7, s[2:3]
	v_cndmask_b32_e32 v7, 0, v8, vcc
	v_cmp_nlt_f32_e32 vcc, s42, v58
	global_store_short v[16:17], v1, off
	v_fma_mixlo_f16 v1, -s22, v6, v45 op_sel_hi:[0,0,1]
	v_cndmask_b32_e32 v6, v26, v7, vcc
	global_store_short v[18:19], v1, off
	s_waitcnt vmcnt(7)
	v_fma_mixlo_f16 v1, -s22, v6, v47 op_sel_hi:[0,0,1]
	global_store_short v[20:21], v1, off
	s_andn2_b64 exec, exec, s[38:39]
	s_cbranch_execnz .LBB275_50
; %bb.51:
	s_or_b64 exec, exec, s[38:39]
.LBB275_52:
	s_or_b64 exec, exec, s[36:37]
	v_cmp_gt_i64_e32 vcc, s[4:5], v[2:3]
	s_and_saveexec_b64 s[2:3], vcc
	s_cbranch_execz .LBB275_55
; %bb.53:
	v_lshlrev_b64 v[4:5], 1, v[2:3]
	s_mov_b32 s23, 0
	v_mov_b32_e32 v1, s9
	v_add_co_u32_e32 v4, vcc, s8, v4
	v_addc_co_u32_e32 v1, vcc, v1, v5, vcc
	s_lshl_b32 s7, s30, 1
	s_mov_b64 s[8:9], 0
	v_mov_b32_e32 v5, s17
	v_mov_b32_e32 v6, s15
	s_mov_b32 s10, 0x3fb8aa3b
	s_mov_b32 s11, 0x32a5705f
	;; [unrolled: 1-line block ×4, first 2 shown]
	v_mov_b32_e32 v7, 0x7f800000
	v_mov_b32_e32 v8, s13
	;; [unrolled: 1-line block ×4, first 2 shown]
	s_mov_b32 s31, s23
.LBB275_54:                             ; =>This Inner Loop Header: Depth=1
	v_add_co_u32_e32 v12, vcc, s14, v4
	v_addc_co_u32_e32 v13, vcc, v6, v1, vcc
	global_load_ushort v11, v[12:13], off
	v_add_co_u32_e32 v12, vcc, s16, v4
	v_addc_co_u32_e32 v13, vcc, v5, v1, vcc
	global_load_ushort v14, v[12:13], off
	v_add_co_u32_e32 v12, vcc, s12, v4
	v_addc_co_u32_e32 v13, vcc, v8, v1, vcc
	v_add_co_u32_e32 v2, vcc, s30, v2
	v_addc_co_u32_e32 v3, vcc, v3, v9, vcc
	;; [unrolled: 2-line block ×3, first 2 shown]
	v_cmp_le_i64_e32 vcc, s[4:5], v[2:3]
	s_or_b64 s[8:9], vcc, s[8:9]
	s_waitcnt vmcnt(1)
	v_cvt_f32_f16_e32 v15, v11
	v_mul_f32_e32 v16, 0x3fb8aa3b, v15
	v_fma_mix_f32 v17, v11, s10, -v16 op_sel_hi:[1,0,0]
	v_rndne_f32_e32 v18, v16
	v_fma_mix_f32 v11, v11, s11, v17 op_sel_hi:[1,0,0]
	v_sub_f32_e32 v16, v16, v18
	v_add_f32_e32 v11, v16, v11
	v_cvt_i32_f32_e32 v17, v18
	v_exp_f32_e32 v11, v11
	v_cmp_ngt_f32_e32 vcc, s15, v15
	v_ldexp_f32 v11, v11, v17
	v_cndmask_b32_e32 v11, 0, v11, vcc
	v_cmp_nlt_f32_e32 vcc, s17, v15
	v_cndmask_b32_e32 v11, v7, v11, vcc
	s_waitcnt vmcnt(0)
	v_fma_mixlo_f16 v11, -s22, v11, v14 op_sel_hi:[0,0,1]
	global_store_short v[12:13], v11, off
	s_andn2_b64 exec, exec, s[8:9]
	s_cbranch_execnz .LBB275_54
.LBB275_55:
	s_or_b64 exec, exec, s[2:3]
	s_mov_b64 s[2:3], 0
.LBB275_56:
	s_and_b64 vcc, exec, s[2:3]
	s_cbranch_vccz .LBB275_92
; %bb.57:
	s_lshl_b32 s2, s30, 3
	v_cvt_f32_u32_e32 v1, s2
	s_sub_i32 s3, 0, s2
	v_mov_b32_e32 v2, v0
	v_rcp_iflag_f32_e32 v1, v1
	v_mul_f32_e32 v1, 0x4f7ffffe, v1
	v_cvt_u32_f32_e32 v1, v1
	v_readfirstlane_b32 s4, v1
	s_mul_i32 s3, s3, s4
	s_mul_hi_u32 s3, s4, s3
	s_add_i32 s4, s4, s3
	s_mul_hi_u32 s3, s18, s4
	s_mul_i32 s3, s3, s2
	s_sub_i32 s3, s18, s3
	s_sub_i32 s4, s3, s2
	s_cmp_ge_u32 s3, s2
	s_cselect_b32 s3, s4, s3
	s_sub_i32 s4, s3, s2
	s_cmp_ge_u32 s3, s2
	s_cselect_b32 s2, s4, s3
	s_sub_i32 s7, s18, s2
	v_cmp_gt_i32_e32 vcc, s7, v0
	s_and_saveexec_b64 s[36:37], vcc
	s_cbranch_execz .LBB275_61
; %bb.58:
	s_add_i32 s47, s30, s30
	s_add_i32 s2, s47, s30
	;; [unrolled: 1-line block ×3, first 2 shown]
	s_lshl_b32 s23, s30, 1
	s_mul_i32 s31, s30, 3
	s_lshl_b32 s33, s30, 2
	s_mul_i32 s40, s30, 5
	s_mul_i32 s41, s30, 6
	;; [unrolled: 1-line block ×3, first 2 shown]
	s_mov_b64 s[38:39], 0
	v_mov_b32_e32 v1, s27
	v_mov_b32_e32 v26, s21
	s_mov_b32 s43, 0x3fb8aa3b
	s_mov_b32 s44, 0x32a5705f
	s_mov_b32 s45, 0xc2ce8ed0
	s_mov_b32 s46, 0x42b17218
	v_mov_b32_e32 v27, 0x7f800000
	v_mov_b32_e32 v28, s25
	s_add_i32 s47, s47, s2
	v_mov_b32_e32 v3, 0
	v_mov_b32_e32 v2, v0
.LBB275_59:                             ; =>This Inner Loop Header: Depth=1
	v_lshlrev_b64 v[4:5], 1, v[2:3]
	v_add_co_u32_e32 v22, vcc, s26, v4
	v_addc_co_u32_e32 v23, vcc, v1, v5, vcc
	v_add_co_u32_e32 v24, vcc, s20, v4
	v_addc_co_u32_e32 v25, vcc, v26, v5, vcc
	v_add_u32_e32 v6, s30, v2
	v_mov_b32_e32 v7, v3
	v_add_co_u32_e32 v4, vcc, s24, v4
	v_lshlrev_b64 v[20:21], 1, v[6:7]
	v_addc_co_u32_e32 v5, vcc, v28, v5, vcc
	global_load_ushort v29, v[22:23], off
	global_load_ushort v54, v[24:25], off
	v_add_co_u32_e32 v22, vcc, s26, v20
	v_addc_co_u32_e32 v23, vcc, v1, v21, vcc
	v_add_u32_e32 v8, s23, v2
	v_mov_b32_e32 v9, v3
	v_add_co_u32_e32 v24, vcc, s20, v20
	v_add_u32_e32 v10, s31, v2
	v_mov_b32_e32 v11, v3
	v_add_u32_e32 v30, s40, v2
	v_mov_b32_e32 v31, v3
	v_lshlrev_b64 v[18:19], 1, v[8:9]
	v_addc_co_u32_e32 v25, vcc, v26, v21, vcc
	v_lshlrev_b64 v[16:17], 1, v[10:11]
	v_lshlrev_b64 v[10:11], 1, v[30:31]
	v_add_co_u32_e32 v30, vcc, s26, v18
	v_add_u32_e32 v32, s41, v2
	v_mov_b32_e32 v33, v3
	v_addc_co_u32_e32 v31, vcc, v1, v19, vcc
	v_lshlrev_b64 v[8:9], 1, v[32:33]
	v_add_co_u32_e32 v32, vcc, s20, v18
	v_addc_co_u32_e32 v33, vcc, v26, v19, vcc
	v_add_co_u32_e32 v34, vcc, s26, v16
	v_addc_co_u32_e32 v35, vcc, v1, v17, vcc
	v_add_u32_e32 v12, s33, v2
	v_mov_b32_e32 v13, v3
	v_add_co_u32_e32 v36, vcc, s20, v16
	v_lshlrev_b64 v[14:15], 1, v[12:13]
	v_addc_co_u32_e32 v37, vcc, v26, v17, vcc
	v_add_co_u32_e32 v38, vcc, s26, v14
	v_addc_co_u32_e32 v39, vcc, v1, v15, vcc
	v_add_co_u32_e32 v40, vcc, s20, v14
	;; [unrolled: 2-line block ×5, first 2 shown]
	v_addc_co_u32_e32 v47, vcc, v1, v9, vcc
	v_add_u32_e32 v2, s42, v2
	v_add_co_u32_e32 v48, vcc, s20, v8
	v_lshlrev_b64 v[12:13], 1, v[2:3]
	v_addc_co_u32_e32 v49, vcc, v26, v9, vcc
	v_add_co_u32_e32 v50, vcc, s26, v12
	v_addc_co_u32_e32 v51, vcc, v1, v13, vcc
	v_add_co_u32_e32 v52, vcc, s20, v12
	v_addc_co_u32_e32 v53, vcc, v26, v13, vcc
	v_add_u32_e32 v2, s47, v6
	v_add_co_u32_e32 v6, vcc, s24, v20
	v_addc_co_u32_e32 v7, vcc, v28, v21, vcc
	global_load_ushort v20, v[22:23], off
	global_load_ushort v21, v[30:31], off
	;; [unrolled: 1-line block ×11, first 2 shown]
                                        ; kill: killed $vgpr30 killed $vgpr31
                                        ; kill: killed $vgpr42 killed $vgpr43
                                        ; kill: killed $vgpr36 killed $vgpr37
                                        ; kill: killed $vgpr34 killed $vgpr35
                                        ; kill: killed $vgpr24 killed $vgpr25
                                        ; kill: killed $vgpr46 killed $vgpr47
                                        ; kill: killed $vgpr40 killed $vgpr41
                                        ; kill: killed $vgpr22 killed $vgpr23
                                        ; kill: killed $vgpr38 killed $vgpr39
                                        ; kill: killed $vgpr32 killed $vgpr33
                                        ; kill: killed $vgpr50 killed $vgpr51
	global_load_ushort v22, v[44:45], off
	global_load_ushort v23, v[48:49], off
	;; [unrolled: 1-line block ×3, first 2 shown]
	s_waitcnt vmcnt(15)
	v_cvt_f32_f16_e32 v25, v29
	v_add_co_u32_e32 v18, vcc, s24, v18
	v_addc_co_u32_e32 v19, vcc, v28, v19, vcc
	v_add_co_u32_e32 v16, vcc, s24, v16
	v_addc_co_u32_e32 v17, vcc, v28, v17, vcc
	v_mul_f32_e32 v37, 0x3fb8aa3b, v25
	v_add_co_u32_e32 v14, vcc, s24, v14
	v_fma_mix_f32 v38, v29, s43, -v37 op_sel_hi:[1,0,0]
	v_rndne_f32_e32 v39, v37
	v_addc_co_u32_e32 v15, vcc, v28, v15, vcc
	v_fma_mix_f32 v29, v29, s44, v38 op_sel_hi:[1,0,0]
	v_sub_f32_e32 v37, v37, v39
	v_cvt_i32_f32_e32 v38, v39
	v_add_co_u32_e32 v10, vcc, s24, v10
	v_addc_co_u32_e32 v11, vcc, v28, v11, vcc
	v_add_f32_e32 v29, v37, v29
	v_add_co_u32_e32 v8, vcc, s24, v8
	v_addc_co_u32_e32 v9, vcc, v28, v9, vcc
	v_exp_f32_e32 v29, v29
	v_add_co_u32_e32 v12, vcc, s24, v12
	v_addc_co_u32_e32 v13, vcc, v28, v13, vcc
	v_cmp_le_i32_e32 vcc, s7, v2
	s_or_b64 s[38:39], vcc, s[38:39]
	v_ldexp_f32 v29, v29, v38
	v_cmp_ngt_f32_e32 vcc, s45, v25
	v_cndmask_b32_e32 v29, 0, v29, vcc
	v_cmp_nlt_f32_e64 s[16:17], s46, v25
	v_cndmask_b32_e64 v25, v27, v29, s[16:17]
	s_waitcnt vmcnt(14)
	v_fma_mixlo_f16 v25, -s22, v25, v54 op_sel_hi:[0,0,1]
	global_store_short v[4:5], v25, off
	s_waitcnt vmcnt(14)
	v_cvt_f32_f16_e32 v30, v20
	s_waitcnt vmcnt(13)
	v_cvt_f32_f16_e32 v31, v21
	;; [unrolled: 2-line block ×7, first 2 shown]
	v_mul_f32_e32 v40, 0x3fb8aa3b, v30
	v_mul_f32_e32 v41, 0x3fb8aa3b, v31
	;; [unrolled: 1-line block ×3, first 2 shown]
	v_fma_mix_f32 v39, v20, s43, -v40 op_sel_hi:[1,0,0]
	v_rndne_f32_e32 v47, v40
	v_mul_f32_e32 v43, 0x3fb8aa3b, v33
	v_mul_f32_e32 v44, 0x3fb8aa3b, v34
	;; [unrolled: 1-line block ×3, first 2 shown]
	v_fma_mix_f32 v48, v21, s43, -v41 op_sel_hi:[1,0,0]
	v_fma_mix_f32 v50, v55, s43, -v42 op_sel_hi:[1,0,0]
	v_fma_mix_f32 v20, v20, s44, v39 op_sel_hi:[1,0,0]
	v_sub_f32_e32 v40, v40, v47
	v_mul_f32_e32 v45, 0x3fb8aa3b, v35
	v_rndne_f32_e32 v49, v41
	v_rndne_f32_e32 v37, v42
	v_fma_mix_f32 v39, v56, s43, -v43 op_sel_hi:[1,0,0]
	v_fma_mix_f32 v21, v21, s44, v48 op_sel_hi:[1,0,0]
	v_rndne_f32_e32 v48, v43
	v_fma_mix_f32 v50, v55, s44, v50 op_sel_hi:[1,0,0]
	v_fma_mix_f32 v51, v57, s43, -v44 op_sel_hi:[1,0,0]
	v_rndne_f32_e32 v52, v44
	v_fma_mix_f32 v55, v59, s43, -v46 op_sel_hi:[1,0,0]
	v_add_f32_e32 v20, v40, v20
	v_rndne_f32_e32 v40, v46
	v_fma_mix_f32 v39, v56, s44, v39 op_sel_hi:[1,0,0]
	v_fma_mix_f32 v51, v57, s44, v51 op_sel_hi:[1,0,0]
	v_fma_mix_f32 v53, v58, s43, -v45 op_sel_hi:[1,0,0]
	v_fma_mix_f32 v55, v59, s44, v55 op_sel_hi:[1,0,0]
	v_rndne_f32_e32 v56, v45
	v_sub_f32_e32 v41, v41, v49
	v_sub_f32_e32 v42, v42, v37
	;; [unrolled: 1-line block ×5, first 2 shown]
	v_fma_mix_f32 v53, v58, s44, v53 op_sel_hi:[1,0,0]
	v_sub_f32_e32 v45, v45, v56
	v_add_f32_e32 v21, v41, v21
	v_add_f32_e32 v41, v42, v50
	;; [unrolled: 1-line block ×5, first 2 shown]
	v_cvt_i32_f32_e32 v47, v47
	v_cvt_i32_f32_e32 v48, v48
	;; [unrolled: 1-line block ×3, first 2 shown]
	v_add_f32_e32 v43, v45, v53
	v_exp_f32_e32 v20, v20
	v_exp_f32_e32 v39, v39
	;; [unrolled: 1-line block ×3, first 2 shown]
	v_cvt_i32_f32_e32 v49, v49
	v_cvt_i32_f32_e32 v37, v37
	;; [unrolled: 1-line block ×4, first 2 shown]
	v_exp_f32_e32 v21, v21
	v_exp_f32_e32 v41, v41
	;; [unrolled: 1-line block ×4, first 2 shown]
	v_ldexp_f32 v20, v20, v47
	v_cmp_ngt_f32_e32 vcc, s45, v30
	v_ldexp_f32 v38, v39, v48
	v_cmp_ngt_f32_e64 s[8:9], s45, v33
	v_ldexp_f32 v40, v44, v40
	v_cmp_ngt_f32_e64 s[14:15], s45, v36
	;; [unrolled: 2-line block ×6, first 2 shown]
	v_cndmask_b32_e32 v20, 0, v20, vcc
	v_cmp_nlt_f32_e32 vcc, s46, v31
	v_cndmask_b32_e64 v31, 0, v38, s[8:9]
	v_cmp_nlt_f32_e64 s[8:9], s46, v34
	v_cndmask_b32_e64 v34, 0, v40, s[14:15]
	v_cmp_nlt_f32_e64 s[14:15], s46, v30
	v_cndmask_b32_e64 v21, 0, v21, s[2:3]
	v_cndmask_b32_e64 v29, 0, v37, s[4:5]
	v_cmp_nlt_f32_e64 s[2:3], s46, v32
	v_cmp_nlt_f32_e64 s[4:5], s46, v33
	v_cndmask_b32_e64 v32, 0, v39, s[10:11]
	v_cndmask_b32_e64 v33, 0, v41, s[12:13]
	v_cmp_nlt_f32_e64 s[10:11], s46, v35
	v_cmp_nlt_f32_e64 s[12:13], s46, v36
	v_cndmask_b32_e64 v20, v27, v20, s[14:15]
	v_cndmask_b32_e32 v21, v27, v21, vcc
	v_cndmask_b32_e64 v29, v27, v29, s[2:3]
	v_cndmask_b32_e64 v30, v27, v31, s[4:5]
	;; [unrolled: 1-line block ×5, first 2 shown]
	s_waitcnt vmcnt(7)
	v_fma_mixlo_f16 v4, -s22, v20, v60 op_sel_hi:[0,0,1]
	s_waitcnt vmcnt(6)
	v_fma_mixlo_f16 v5, -s22, v21, v61 op_sel_hi:[0,0,1]
	s_waitcnt vmcnt(5)
	v_fma_mixlo_f16 v20, -s22, v29, v62 op_sel_hi:[0,0,1]
	s_waitcnt vmcnt(4)
	v_fma_mixlo_f16 v21, -s22, v30, v63 op_sel_hi:[0,0,1]
	s_waitcnt vmcnt(3)
	v_fma_mixlo_f16 v22, -s22, v31, v22 op_sel_hi:[0,0,1]
	s_waitcnt vmcnt(2)
	v_fma_mixlo_f16 v23, -s22, v32, v23 op_sel_hi:[0,0,1]
	s_waitcnt vmcnt(1)
	v_fma_mixlo_f16 v24, -s22, v33, v24 op_sel_hi:[0,0,1]
	global_store_short v[6:7], v4, off
	global_store_short v[18:19], v5, off
	;; [unrolled: 1-line block ×7, first 2 shown]
	s_andn2_b64 exec, exec, s[38:39]
	s_cbranch_execnz .LBB275_59
; %bb.60:
	s_or_b64 exec, exec, s[38:39]
.LBB275_61:
	s_or_b64 exec, exec, s[36:37]
	v_cmp_gt_i32_e32 vcc, s18, v2
	s_and_saveexec_b64 s[4:5], vcc
	s_cbranch_execz .LBB275_64
; %bb.62:
	s_mov_b64 s[8:9], 0
	v_mov_b32_e32 v1, s21
	v_mov_b32_e32 v4, s27
	s_mov_b32 s7, 0x3fb8aa3b
	s_mov_b32 s10, 0x32a5705f
	;; [unrolled: 1-line block ×4, first 2 shown]
	v_mov_b32_e32 v5, 0x7f800000
	v_mov_b32_e32 v6, s25
.LBB275_63:                             ; =>This Inner Loop Header: Depth=1
	v_ashrrev_i32_e32 v3, 31, v2
	v_lshlrev_b64 v[8:9], 1, v[2:3]
	v_add_co_u32_e32 v10, vcc, s26, v8
	v_addc_co_u32_e32 v11, vcc, v4, v9, vcc
	global_load_ushort v3, v[10:11], off
	v_add_co_u32_e32 v10, vcc, s20, v8
	v_addc_co_u32_e32 v11, vcc, v1, v9, vcc
	global_load_ushort v7, v[10:11], off
	v_add_co_u32_e32 v8, vcc, s24, v8
	v_add_u32_e32 v2, s30, v2
	v_addc_co_u32_e32 v9, vcc, v6, v9, vcc
	v_cmp_le_i32_e32 vcc, s18, v2
	s_or_b64 s[8:9], vcc, s[8:9]
	s_waitcnt vmcnt(1)
	v_cvt_f32_f16_e32 v10, v3
	v_mul_f32_e32 v11, 0x3fb8aa3b, v10
	v_fma_mix_f32 v12, v3, s7, -v11 op_sel_hi:[1,0,0]
	v_rndne_f32_e32 v13, v11
	v_fma_mix_f32 v3, v3, s10, v12 op_sel_hi:[1,0,0]
	v_sub_f32_e32 v11, v11, v13
	v_add_f32_e32 v3, v11, v3
	v_cvt_i32_f32_e32 v12, v13
	v_exp_f32_e32 v3, v3
	v_cmp_ngt_f32_e64 s[2:3], s11, v10
	v_ldexp_f32 v3, v3, v12
	v_cndmask_b32_e64 v3, 0, v3, s[2:3]
	v_cmp_nlt_f32_e64 s[2:3], s12, v10
	v_cndmask_b32_e64 v3, v5, v3, s[2:3]
	s_waitcnt vmcnt(0)
	v_fma_mixlo_f16 v3, -s22, v3, v7 op_sel_hi:[0,0,1]
	global_store_short v[8:9], v3, off
	s_andn2_b64 exec, exec, s[8:9]
	s_cbranch_execnz .LBB275_63
.LBB275_64:
	s_or_b64 exec, exec, s[4:5]
	s_mov_b64 s[2:3], 0
.LBB275_65:
	s_andn2_b64 vcc, exec, s[2:3]
	s_cbranch_vccnz .LBB275_93
.LBB275_66:
	s_cmp_lg_u64 s[34:35], 0
	s_cselect_b64 s[4:5], -1, 0
	v_cndmask_b32_e64 v1, 0, 1, s[4:5]
	s_mov_b64 s[2:3], -1
	s_and_b64 vcc, exec, s[0:1]
	v_cmp_ne_u32_e64 s[0:1], 1, v1
	s_cbranch_vccz .LBB275_81
; %bb.67:
	v_mov_b32_e32 v1, 0
	s_and_b64 vcc, exec, s[0:1]
	s_mov_b64 s[36:37], s[18:19]
	s_mov_b64 s[38:39], s[24:25]
	;; [unrolled: 1-line block ×4, first 2 shown]
	s_cbranch_vccnz .LBB275_71
; %bb.68:
	s_lshl_b32 s2, s34, 1
	s_sub_u32 s9, s24, s2
	s_subb_u32 s10, s25, 0
	s_sub_u32 s7, s26, s2
	s_subb_u32 s8, s27, 0
	s_sub_u32 s4, s20, s2
	s_mov_b32 s31, 0
	s_subb_u32 s5, s21, 0
	v_cmp_le_u64_e32 vcc, s[34:35], v[0:1]
	s_and_saveexec_b64 s[2:3], vcc
	s_cbranch_execz .LBB275_70
; %bb.69:
	v_lshlrev_b64 v[2:3], 1, v[0:1]
	v_mov_b32_e32 v5, s8
	v_add_co_u32_e32 v4, vcc, s7, v2
	v_addc_co_u32_e32 v5, vcc, v5, v3, vcc
	global_load_ushort v6, v[4:5], off
	v_mov_b32_e32 v5, s5
	v_add_co_u32_e32 v4, vcc, s4, v2
	v_addc_co_u32_e32 v5, vcc, v5, v3, vcc
	global_load_ushort v4, v[4:5], off
	s_mov_b32 s11, 0x3fb8aa3b
	s_mov_b32 s12, 0x32a5705f
	s_mov_b32 s13, 0xc2ce8ed0
	s_waitcnt vmcnt(1)
	v_cvt_f32_f16_e32 v5, v6
	v_mul_f32_e32 v7, 0x3fb8aa3b, v5
	v_fma_mix_f32 v8, v6, s11, -v7 op_sel_hi:[1,0,0]
	v_rndne_f32_e32 v9, v7
	v_fma_mix_f32 v6, v6, s12, v8 op_sel_hi:[1,0,0]
	v_sub_f32_e32 v7, v7, v9
	v_add_f32_e32 v6, v7, v6
	v_cvt_i32_f32_e32 v8, v9
	v_exp_f32_e32 v6, v6
	s_mov_b32 s11, 0x42b17218
	v_cmp_ngt_f32_e32 vcc, s13, v5
	v_mov_b32_e32 v7, 0x7f800000
	v_ldexp_f32 v6, v6, v8
	v_cndmask_b32_e32 v6, 0, v6, vcc
	v_cmp_nlt_f32_e32 vcc, s11, v5
	v_mov_b32_e32 v9, s10
	v_cndmask_b32_e32 v5, v7, v6, vcc
	v_add_co_u32_e32 v2, vcc, s9, v2
	s_waitcnt vmcnt(0)
	v_fma_mixlo_f16 v4, -s22, v5, v4 op_sel_hi:[0,0,1]
	v_addc_co_u32_e32 v3, vcc, v9, v3, vcc
	global_store_short v[2:3], v4, off
.LBB275_70:
	s_or_b64 exec, exec, s[2:3]
	s_add_u32 s2, s34, s18
	s_addc_u32 s3, 0, s19
	v_pk_mov_b32 v[2:3], s[30:31], s[30:31] op_sel:[0,1]
	v_cmp_lt_i64_e32 vcc, s[2:3], v[2:3]
	s_and_b64 s[12:13], vcc, exec
	s_cselect_b32 s12, s2, s30
	s_cselect_b32 s11, s3, 0
	s_sub_u32 s36, s2, s12
	s_subb_u32 s37, s3, s11
	s_lshl_b32 s2, s30, 1
	s_add_u32 s38, s9, s2
	s_addc_u32 s39, s10, 0
	s_add_u32 s40, s7, s2
	s_addc_u32 s41, s8, 0
	;; [unrolled: 2-line block ×3, first 2 shown]
.LBB275_71:
	s_load_dword s2, s[28:29], 0x0
	v_mov_b32_e32 v2, 0
	s_waitcnt lgkmcnt(0)
	s_cmp_lt_u32 s6, s2
	s_cselect_b32 s2, 12, 18
	s_add_u32 s2, s28, s2
	s_addc_u32 s3, s29, 0
	global_load_ushort v4, v2, s[2:3]
	s_mov_b32 s2, 0
	s_waitcnt vmcnt(0)
	v_readfirstlane_b32 s3, v4
	s_and_b32 s3, 0xffff, s3
	s_lshl_b32 s4, s3, 3
	s_mov_b32 s3, s37
	s_cmp_lg_u64 s[2:3], 0
	s_cbranch_scc0 .LBB275_94
; %bb.72:
	v_cvt_f32_u32_e32 v2, s4
	v_cvt_f32_ubyte0_e32 v3, 0
	s_sub_u32 s5, 0, s4
	s_subb_u32 s7, 0, 0
	v_madmk_f32 v2, v3, 0x4f800000, v2
	v_rcp_f32_e32 v2, v2
	v_mul_f32_e32 v2, 0x5f7ffffc, v2
	v_mul_f32_e32 v3, 0x2f800000, v2
	v_trunc_f32_e32 v3, v3
	v_madmk_f32 v2, v3, 0xcf800000, v2
	v_cvt_u32_f32_e32 v3, v3
	v_cvt_u32_f32_e32 v2, v2
	v_readfirstlane_b32 s8, v3
	v_readfirstlane_b32 s9, v2
	s_mul_i32 s10, s5, s8
	s_mul_hi_u32 s12, s5, s9
	s_mul_i32 s11, s7, s9
	s_add_i32 s10, s12, s10
	s_add_i32 s10, s10, s11
	s_mul_i32 s13, s5, s9
	s_mul_hi_u32 s11, s9, s10
	s_mul_i32 s12, s9, s10
	s_mul_hi_u32 s9, s9, s13
	s_add_u32 s9, s9, s12
	s_addc_u32 s11, 0, s11
	s_mul_hi_u32 s14, s8, s13
	s_mul_i32 s13, s8, s13
	s_add_u32 s9, s9, s13
	s_mul_hi_u32 s12, s8, s10
	s_addc_u32 s9, s11, s14
	s_addc_u32 s11, s12, 0
	s_mul_i32 s10, s8, s10
	s_add_u32 s9, s9, s10
	s_addc_u32 s10, 0, s11
	v_add_co_u32_e32 v2, vcc, s9, v2
	s_cmp_lg_u64 vcc, 0
	s_addc_u32 s8, s8, s10
	v_readfirstlane_b32 s10, v2
	s_mul_i32 s9, s5, s8
	s_mul_hi_u32 s11, s5, s10
	s_add_i32 s9, s11, s9
	s_mul_i32 s7, s7, s10
	s_add_i32 s9, s9, s7
	s_mul_i32 s5, s5, s10
	s_mul_hi_u32 s11, s8, s5
	s_mul_i32 s12, s8, s5
	s_mul_i32 s14, s10, s9
	s_mul_hi_u32 s5, s10, s5
	s_mul_hi_u32 s13, s10, s9
	s_add_u32 s5, s5, s14
	s_addc_u32 s10, 0, s13
	s_add_u32 s5, s5, s12
	s_mul_hi_u32 s7, s8, s9
	s_addc_u32 s5, s10, s11
	s_addc_u32 s7, s7, 0
	s_mul_i32 s9, s8, s9
	s_add_u32 s5, s5, s9
	s_addc_u32 s7, 0, s7
	v_add_co_u32_e32 v2, vcc, s5, v2
	s_cmp_lg_u64 vcc, 0
	s_addc_u32 s5, s8, s7
	s_ashr_i32 s8, s37, 31
	s_add_u32 s10, s36, s8
	s_mov_b32 s9, s8
	s_addc_u32 s11, s37, s8
	s_xor_b64 s[10:11], s[10:11], s[8:9]
	v_readfirstlane_b32 s12, v2
	s_mul_i32 s9, s10, s5
	s_mul_hi_u32 s13, s10, s12
	s_mul_hi_u32 s7, s10, s5
	s_add_u32 s9, s13, s9
	s_addc_u32 s7, 0, s7
	s_mul_hi_u32 s14, s11, s12
	s_mul_i32 s12, s11, s12
	s_add_u32 s9, s9, s12
	s_mul_hi_u32 s13, s11, s5
	s_addc_u32 s7, s7, s14
	s_addc_u32 s9, s13, 0
	s_mul_i32 s5, s11, s5
	s_add_u32 s5, s7, s5
	s_addc_u32 s7, 0, s9
	s_mul_hi_u32 s9, s4, s5
	s_mul_i32 s5, s4, s5
	s_mul_i32 s7, s4, s7
	v_mov_b32_e32 v2, s5
	s_add_i32 s9, s9, s7
	v_sub_co_u32_e32 v2, vcc, s10, v2
	s_cmp_lg_u64 vcc, 0
	s_subb_u32 s5, s11, s9
	v_subrev_co_u32_e32 v3, vcc, s4, v2
	s_cmp_lg_u64 vcc, 0
	s_subb_u32 s7, s5, 0
	v_subrev_co_u32_e32 v5, vcc, s4, v3
	s_cmp_lg_u64 vcc, 0
	s_subb_u32 s9, s7, 0
	v_cmp_le_u32_e32 vcc, s4, v3
	s_cmp_eq_u32 s7, 0
	v_cndmask_b32_e64 v6, 0, -1, vcc
	s_cselect_b64 vcc, -1, 0
	v_cndmask_b32_e32 v6, -1, v6, vcc
	v_mov_b32_e32 v7, s7
	v_mov_b32_e32 v8, s9
	v_cmp_ne_u32_e32 vcc, 0, v6
	v_cndmask_b32_e32 v6, v7, v8, vcc
	v_cndmask_b32_e32 v3, v3, v5, vcc
	v_cmp_le_u32_e32 vcc, s4, v2
	s_cmp_eq_u32 s5, 0
	v_cndmask_b32_e64 v5, 0, -1, vcc
	s_cselect_b64 vcc, -1, 0
	v_cndmask_b32_e32 v5, -1, v5, vcc
	v_cmp_ne_u32_e32 vcc, 0, v5
	v_mov_b32_e32 v7, s5
	v_cndmask_b32_e32 v2, v2, v3, vcc
	v_cndmask_b32_e32 v5, v7, v6, vcc
	v_xor_b32_e32 v2, s8, v2
	v_xor_b32_e32 v3, s8, v5
	v_mov_b32_e32 v5, s8
	v_subrev_co_u32_e32 v2, vcc, s8, v2
	v_subb_co_u32_e32 v3, vcc, v3, v5, vcc
	v_and_b32_e32 v14, 0xffff, v4
	s_cbranch_execnz .LBB275_74
.LBB275_73:
	v_cvt_f32_u32_e32 v2, s4
	s_sub_i32 s2, 0, s4
	v_rcp_iflag_f32_e32 v2, v2
	v_mul_f32_e32 v2, 0x4f7ffffe, v2
	v_cvt_u32_f32_e32 v2, v2
	v_mul_lo_u32 v3, s2, v2
	v_mul_hi_u32 v3, v2, v3
	v_add_u32_e32 v2, v2, v3
	v_mul_hi_u32 v2, s36, v2
	v_mul_lo_u32 v2, v2, s4
	v_sub_u32_e32 v2, s36, v2
	v_subrev_u32_e32 v3, s4, v2
	v_cmp_le_u32_e32 vcc, s4, v2
	v_cndmask_b32_e32 v2, v2, v3, vcc
	v_subrev_u32_e32 v3, s4, v2
	v_cmp_le_u32_e32 vcc, s4, v2
	v_cndmask_b32_e32 v2, v2, v3, vcc
	v_mov_b32_e32 v3, 0
.LBB275_74:
	v_mov_b32_e32 v4, s37
	v_sub_co_u32_e32 v2, vcc, s36, v2
	v_subb_co_u32_e32 v3, vcc, v4, v3, vcc
	v_lshlrev_b64 v[4:5], 3, v[0:1]
	v_cmp_lt_i64_e32 vcc, v[4:5], v[2:3]
	s_and_saveexec_b64 s[44:45], vcc
	s_cbranch_execz .LBB275_77
; %bb.75:
	v_lshlrev_b64 v[4:5], 4, v[0:1]
	s_mov_b32 s23, s22
	v_or_b32_e32 v4, 8, v4
	v_lshlrev_b32_e32 v15, 4, v14
	s_mov_b64 s[46:47], 0
	v_mov_b32_e32 v16, s41
	v_mov_b32_e32 v17, s43
	;; [unrolled: 1-line block ×3, first 2 shown]
	s_mov_b32 s7, 0x3fb8aa3b
	s_mov_b32 s19, 0x32a5705f
	;; [unrolled: 1-line block ×4, first 2 shown]
	v_mov_b32_e32 v19, 0x7f800000
	s_xor_b32 s49, s22, 0x80000000
	s_xor_b32 s48, s22, 0x80000000
	v_pk_mov_b32 v[6:7], v[0:1], v[0:1] op_sel:[0,1]
.LBB275_76:                             ; =>This Inner Loop Header: Depth=1
	v_add_co_u32_e32 v10, vcc, s40, v4
	v_addc_co_u32_e32 v11, vcc, v16, v5, vcc
	v_add_co_u32_e32 v12, vcc, s42, v4
	v_addc_co_u32_e32 v13, vcc, v17, v5, vcc
	global_load_dwordx4 v[20:23], v[10:11], off offset:-8
	global_load_dwordx4 v[24:27], v[12:13], off offset:-8
	v_add_co_u32_e32 v8, vcc, s38, v4
	v_addc_co_u32_e32 v9, vcc, v18, v5, vcc
	v_add_co_u32_e32 v6, vcc, v6, v14
	v_addc_co_u32_e32 v7, vcc, 0, v7, vcc
	;; [unrolled: 2-line block ×3, first 2 shown]
	v_lshlrev_b64 v[10:11], 3, v[6:7]
	v_cmp_ge_i64_e32 vcc, v[10:11], v[2:3]
	s_or_b64 s[46:47], vcc, s[46:47]
	s_waitcnt vmcnt(1)
	v_cvt_f32_f16_sdwa v1, v21 dst_sel:DWORD dst_unused:UNUSED_PAD src0_sel:WORD_1
	v_cvt_f32_f16_e32 v28, v21
	v_cvt_f32_f16_sdwa v29, v20 dst_sel:DWORD dst_unused:UNUSED_PAD src0_sel:WORD_1
	v_cvt_f32_f16_e32 v30, v20
	;; [unrolled: 2-line block ×4, first 2 shown]
	v_mul_f32_e32 v35, 0x3fb8aa3b, v30
	v_mul_f32_e32 v36, 0x3fb8aa3b, v29
	;; [unrolled: 1-line block ×8, first 2 shown]
	v_fma_mix_f32 v43, v20, s7, -v35 op_sel_hi:[1,0,0]
	v_rndne_f32_e32 v44, v35
	v_fma_mix_f32 v45, v20, s7, -v36 op_sel:[1,0,0] op_sel_hi:[1,0,0]
	v_rndne_f32_e32 v46, v36
	v_fma_mix_f32 v47, v21, s7, -v37 op_sel_hi:[1,0,0]
	v_rndne_f32_e32 v48, v37
	v_fma_mix_f32 v49, v21, s7, -v38 op_sel:[1,0,0] op_sel_hi:[1,0,0]
	v_rndne_f32_e32 v50, v38
	v_fma_mix_f32 v51, v22, s7, -v39 op_sel_hi:[1,0,0]
	v_rndne_f32_e32 v52, v39
	v_fma_mix_f32 v53, v22, s7, -v40 op_sel:[1,0,0] op_sel_hi:[1,0,0]
	v_rndne_f32_e32 v54, v40
	v_fma_mix_f32 v55, v23, s7, -v41 op_sel_hi:[1,0,0]
	v_rndne_f32_e32 v56, v41
	v_fma_mix_f32 v57, v23, s7, -v42 op_sel:[1,0,0] op_sel_hi:[1,0,0]
	v_rndne_f32_e32 v58, v42
	v_fma_mix_f32 v43, v20, s19, v43 op_sel_hi:[1,0,0]
	v_sub_f32_e32 v35, v35, v44
	v_fma_mix_f32 v20, v20, s19, v45 op_sel:[1,0,0] op_sel_hi:[1,0,0]
	v_sub_f32_e32 v36, v36, v46
	v_cvt_i32_f32_e32 v45, v46
	v_fma_mix_f32 v46, v21, s19, v47 op_sel_hi:[1,0,0]
	v_sub_f32_e32 v37, v37, v48
	v_cvt_i32_f32_e32 v47, v48
	v_fma_mix_f32 v21, v21, s19, v49 op_sel:[1,0,0] op_sel_hi:[1,0,0]
	v_sub_f32_e32 v38, v38, v50
	v_cvt_i32_f32_e32 v48, v50
	v_fma_mix_f32 v49, v22, s19, v51 op_sel_hi:[1,0,0]
	v_sub_f32_e32 v39, v39, v52
	v_cvt_i32_f32_e32 v50, v52
	v_fma_mix_f32 v22, v22, s19, v53 op_sel:[1,0,0] op_sel_hi:[1,0,0]
	v_sub_f32_e32 v40, v40, v54
	v_fma_mix_f32 v52, v23, s19, v55 op_sel_hi:[1,0,0]
	v_sub_f32_e32 v41, v41, v56
	v_fma_mix_f32 v23, v23, s19, v57 op_sel:[1,0,0] op_sel_hi:[1,0,0]
	v_sub_f32_e32 v42, v42, v58
	v_add_f32_e32 v35, v35, v43
	v_add_f32_e32 v20, v36, v20
	;; [unrolled: 1-line block ×8, first 2 shown]
	v_cvt_i32_f32_e32 v44, v44
	v_cvt_i32_f32_e32 v51, v54
	;; [unrolled: 1-line block ×4, first 2 shown]
	v_exp_f32_e32 v35, v35
	v_exp_f32_e32 v20, v20
	;; [unrolled: 1-line block ×8, first 2 shown]
	s_waitcnt vmcnt(0)
	v_cvt_f32_f16_e32 v10, v24
	v_cvt_f32_f16_sdwa v11, v24 dst_sel:DWORD dst_unused:UNUSED_PAD src0_sel:WORD_1
	v_cvt_f32_f16_e32 v12, v25
	v_cvt_f32_f16_sdwa v13, v25 dst_sel:DWORD dst_unused:UNUSED_PAD src0_sel:WORD_1
	;; [unrolled: 2-line block ×4, first 2 shown]
	v_ldexp_f32 v35, v35, v44
	v_ldexp_f32 v20, v20, v45
	v_cmp_ngt_f32_e32 vcc, s31, v29
	v_ldexp_f32 v36, v36, v47
	v_cmp_ngt_f32_e64 s[2:3], s31, v28
	v_ldexp_f32 v21, v21, v48
	v_cmp_ngt_f32_e64 s[4:5], s31, v1
	;; [unrolled: 2-line block ×6, first 2 shown]
	v_cmp_ngt_f32_e64 s[16:17], s31, v30
	v_cndmask_b32_e64 v35, 0, v35, s[16:17]
	v_cndmask_b32_e32 v39, 0, v20, vcc
	v_cmp_nlt_f32_e32 vcc, s33, v29
	v_cndmask_b32_e64 v29, 0, v36, s[2:3]
	v_cmp_nlt_f32_e64 s[2:3], s33, v28
	v_cndmask_b32_e64 v28, 0, v21, s[4:5]
	v_cmp_nlt_f32_e64 s[4:5], s33, v1
	;; [unrolled: 2-line block ×6, first 2 shown]
	v_cmp_nlt_f32_e64 s[16:17], s33, v30
	v_cndmask_b32_e64 v20, v19, v35, s[16:17]
	v_cndmask_b32_e32 v21, v19, v39, vcc
	v_cndmask_b32_e64 v22, v19, v29, s[2:3]
	v_cndmask_b32_e64 v23, v19, v28, s[4:5]
	v_cndmask_b32_e64 v28, v19, v1, s[8:9]
	v_cndmask_b32_e64 v29, v19, v34, s[10:11]
	v_cndmask_b32_e64 v30, v19, v33, s[12:13]
	v_cndmask_b32_e64 v31, v19, v32, s[14:15]
	v_pk_fma_f32 v[12:13], s[48:49], v[22:23], v[12:13]
	v_pk_fma_f32 v[10:11], s[22:23], v[20:21], v[10:11] neg_lo:[1,0,0] neg_hi:[1,0,0]
	v_pk_fma_f32 v[20:21], s[48:49], v[30:31], v[26:27]
	v_pk_fma_f32 v[22:23], s[22:23], v[28:29], v[24:25] neg_lo:[1,0,0] neg_hi:[1,0,0]
	v_cvt_f16_f32_e32 v1, v11
	v_cvt_f16_f32_e32 v11, v13
	;; [unrolled: 1-line block ×8, first 2 shown]
	v_pack_b32_f16 v13, v20, v13
	v_pack_b32_f16 v12, v21, v23
	;; [unrolled: 1-line block ×4, first 2 shown]
	global_store_dwordx4 v[8:9], v[10:13], off offset:-8
	s_andn2_b64 exec, exec, s[46:47]
	s_cbranch_execnz .LBB275_76
.LBB275_77:
	s_or_b64 exec, exec, s[44:45]
	v_add_co_u32_e32 v2, vcc, v2, v0
	v_addc_co_u32_e32 v3, vcc, 0, v3, vcc
	v_cmp_gt_i64_e32 vcc, s[36:37], v[2:3]
	s_and_saveexec_b64 s[2:3], vcc
	s_cbranch_execz .LBB275_80
; %bb.78:
	v_lshlrev_b64 v[4:5], 1, v[2:3]
	v_lshlrev_b32_e32 v1, 1, v14
	s_mov_b64 s[4:5], 0
	v_mov_b32_e32 v6, s43
	v_mov_b32_e32 v7, s41
	s_mov_b32 s7, 0x3fb8aa3b
	s_mov_b32 s8, 0x32a5705f
	;; [unrolled: 1-line block ×4, first 2 shown]
	v_mov_b32_e32 v8, 0x7f800000
	v_mov_b32_e32 v9, s39
.LBB275_79:                             ; =>This Inner Loop Header: Depth=1
	v_add_co_u32_e32 v10, vcc, s40, v4
	v_addc_co_u32_e32 v11, vcc, v7, v5, vcc
	global_load_ushort v12, v[10:11], off
	v_add_co_u32_e32 v10, vcc, s42, v4
	v_addc_co_u32_e32 v11, vcc, v6, v5, vcc
	global_load_ushort v13, v[10:11], off
	v_add_co_u32_e32 v10, vcc, s38, v4
	v_addc_co_u32_e32 v11, vcc, v9, v5, vcc
	v_add_co_u32_e32 v2, vcc, v2, v14
	v_addc_co_u32_e32 v3, vcc, 0, v3, vcc
	;; [unrolled: 2-line block ×3, first 2 shown]
	v_cmp_le_i64_e32 vcc, s[36:37], v[2:3]
	s_or_b64 s[4:5], vcc, s[4:5]
	s_waitcnt vmcnt(1)
	v_cvt_f32_f16_e32 v15, v12
	v_mul_f32_e32 v16, 0x3fb8aa3b, v15
	v_fma_mix_f32 v17, v12, s7, -v16 op_sel_hi:[1,0,0]
	v_rndne_f32_e32 v18, v16
	v_fma_mix_f32 v12, v12, s8, v17 op_sel_hi:[1,0,0]
	v_sub_f32_e32 v16, v16, v18
	v_add_f32_e32 v12, v16, v12
	v_cvt_i32_f32_e32 v17, v18
	v_exp_f32_e32 v12, v12
	v_cmp_ngt_f32_e32 vcc, s9, v15
	v_ldexp_f32 v12, v12, v17
	v_cndmask_b32_e32 v12, 0, v12, vcc
	v_cmp_nlt_f32_e32 vcc, s10, v15
	v_cndmask_b32_e32 v12, v8, v12, vcc
	s_waitcnt vmcnt(0)
	v_fma_mixlo_f16 v12, -s22, v12, v13 op_sel_hi:[0,0,1]
	global_store_short v[10:11], v12, off
	s_andn2_b64 exec, exec, s[4:5]
	s_cbranch_execnz .LBB275_79
.LBB275_80:
	s_or_b64 exec, exec, s[2:3]
	s_mov_b64 s[2:3], 0
.LBB275_81:
	s_and_b64 vcc, exec, s[2:3]
	s_cbranch_vccz .LBB275_93
; %bb.82:
	s_and_b64 vcc, exec, s[0:1]
	s_cbranch_vccnz .LBB275_86
; %bb.83:
	s_lshl_b32 s0, s34, 1
	s_sub_u32 s7, s24, s0
	s_subb_u32 s8, s25, 0
	s_sub_u32 s4, s26, s0
	s_subb_u32 s5, s27, 0
	;; [unrolled: 2-line block ×3, first 2 shown]
	v_cmp_le_u32_e32 vcc, s34, v0
	s_and_saveexec_b64 s[0:1], vcc
	s_cbranch_execz .LBB275_85
; %bb.84:
	v_mov_b32_e32 v1, 0
	v_lshlrev_b64 v[2:3], 1, v[0:1]
	v_mov_b32_e32 v1, s5
	v_add_co_u32_e32 v4, vcc, s4, v2
	v_addc_co_u32_e32 v5, vcc, v1, v3, vcc
	global_load_ushort v1, v[4:5], off
	v_mov_b32_e32 v5, s3
	v_add_co_u32_e32 v4, vcc, s2, v2
	v_addc_co_u32_e32 v5, vcc, v5, v3, vcc
	global_load_ushort v4, v[4:5], off
	s_mov_b32 s9, 0x3fb8aa3b
	s_mov_b32 s10, 0x32a5705f
	;; [unrolled: 1-line block ×3, first 2 shown]
	s_waitcnt vmcnt(1)
	v_cvt_f32_f16_e32 v5, v1
	v_mul_f32_e32 v6, 0x3fb8aa3b, v5
	v_fma_mix_f32 v7, v1, s9, -v6 op_sel_hi:[1,0,0]
	v_rndne_f32_e32 v8, v6
	v_fma_mix_f32 v1, v1, s10, v7 op_sel_hi:[1,0,0]
	v_sub_f32_e32 v6, v6, v8
	v_add_f32_e32 v1, v6, v1
	v_cvt_i32_f32_e32 v7, v8
	v_exp_f32_e32 v1, v1
	s_mov_b32 s9, 0x42b17218
	v_cmp_ngt_f32_e32 vcc, s11, v5
	v_mov_b32_e32 v6, 0x7f800000
	v_ldexp_f32 v1, v1, v7
	v_cndmask_b32_e32 v1, 0, v1, vcc
	v_cmp_nlt_f32_e32 vcc, s9, v5
	v_mov_b32_e32 v8, s8
	v_cndmask_b32_e32 v1, v6, v1, vcc
	v_add_co_u32_e32 v2, vcc, s7, v2
	s_waitcnt vmcnt(0)
	v_fma_mixlo_f16 v1, -s22, v1, v4 op_sel_hi:[0,0,1]
	v_addc_co_u32_e32 v3, vcc, v8, v3, vcc
	global_store_short v[2:3], v1, off
.LBB275_85:
	s_or_b64 exec, exec, s[0:1]
	s_add_i32 s0, s34, s18
	v_mov_b32_e32 v1, s30
	v_sub_u32_e64 v1, s0, v1 clamp
	s_lshl_b32 s0, s30, 1
	s_add_u32 s24, s7, s0
	s_addc_u32 s25, s8, 0
	s_add_u32 s26, s4, s0
	s_addc_u32 s27, s5, 0
	s_add_u32 s20, s2, s0
	v_readfirstlane_b32 s18, v1
	s_addc_u32 s21, s3, 0
.LBB275_86:
	s_load_dword s0, s[28:29], 0x0
	v_mov_b32_e32 v1, 0
	s_waitcnt lgkmcnt(0)
	s_cmp_lt_u32 s6, s0
	s_cselect_b32 s0, 12, 18
	s_add_u32 s0, s28, s0
	s_addc_u32 s1, s29, 0
	global_load_ushort v14, v1, s[0:1]
	s_waitcnt vmcnt(0)
	v_readfirstlane_b32 s0, v14
	s_lshl_b32 s0, s0, 3
	v_cvt_f32_u32_e32 v1, s0
	s_sub_i32 s1, 0, s0
	v_rcp_iflag_f32_e32 v1, v1
	v_mul_f32_e32 v1, 0x4f7ffffe, v1
	v_cvt_u32_f32_e32 v1, v1
	v_readfirstlane_b32 s2, v1
	s_mul_i32 s1, s1, s2
	s_mul_hi_u32 s1, s2, s1
	s_add_i32 s2, s2, s1
	s_mul_hi_u32 s1, s18, s2
	s_mul_i32 s1, s1, s0
	s_sub_i32 s1, s18, s1
	s_sub_i32 s2, s1, s0
	s_cmp_ge_u32 s1, s0
	s_cselect_b32 s1, s2, s1
	s_sub_i32 s2, s1, s0
	s_cmp_ge_u32 s1, s0
	s_cselect_b32 s0, s2, s1
	s_sub_i32 s6, s18, s0
	v_lshlrev_b32_e32 v1, 3, v0
	v_cmp_gt_i32_e32 vcc, s6, v1
	s_and_saveexec_b64 s[0:1], vcc
	s_cbranch_execz .LBB275_89
; %bb.87:
	s_mov_b32 s23, s22
	s_mov_b64 s[2:3], 0
	v_mov_b32_e32 v1, s27
	v_mov_b32_e32 v15, s21
	;; [unrolled: 1-line block ×3, first 2 shown]
	s_mov_b32 s7, 0x3fb8aa3b
	s_mov_b32 s8, 0x32a5705f
	;; [unrolled: 1-line block ×4, first 2 shown]
	v_mov_b32_e32 v17, 0x7f800000
	s_xor_b32 s5, s22, 0x80000000
	s_xor_b32 s4, s22, 0x80000000
	v_mov_b32_e32 v10, v0
.LBB275_88:                             ; =>This Inner Loop Header: Depth=1
	v_ashrrev_i32_e32 v11, 31, v10
	v_lshlrev_b64 v[12:13], 4, v[10:11]
	v_add_co_u32_e32 v2, vcc, s26, v12
	v_addc_co_u32_e32 v3, vcc, v1, v13, vcc
	global_load_dwordx4 v[6:9], v[2:3], off
	v_add_co_u32_e32 v2, vcc, s20, v12
	v_addc_co_u32_e32 v3, vcc, v15, v13, vcc
	global_load_dwordx4 v[2:5], v[2:3], off
	v_add_co_u32_e32 v12, vcc, s24, v12
	v_addc_co_u32_e32 v13, vcc, v16, v13, vcc
	v_add_u32_e32 v10, v10, v14
	s_waitcnt vmcnt(1)
	v_cvt_f32_f16_e32 v22, v6
	v_cvt_f32_f16_sdwa v21, v6 dst_sel:DWORD dst_unused:UNUSED_PAD src0_sel:WORD_1
	v_cvt_f32_f16_e32 v20, v7
	v_cvt_f32_f16_sdwa v11, v7 dst_sel:DWORD dst_unused:UNUSED_PAD src0_sel:WORD_1
	v_mul_f32_e32 v27, 0x3fb8aa3b, v22
	v_mul_f32_e32 v28, 0x3fb8aa3b, v21
	v_fma_mix_f32 v33, v6, s7, -v27 op_sel_hi:[1,0,0]
	v_rndne_f32_e32 v34, v27
	v_mul_f32_e32 v29, 0x3fb8aa3b, v20
	v_fma_mix_f32 v35, v6, s7, -v28 op_sel:[1,0,0] op_sel_hi:[1,0,0]
	v_rndne_f32_e32 v36, v28
	v_fma_mix_f32 v33, v6, s8, v33 op_sel_hi:[1,0,0]
	v_sub_f32_e32 v27, v27, v34
	v_mul_f32_e32 v30, 0x3fb8aa3b, v11
	v_fma_mix_f32 v37, v7, s7, -v29 op_sel_hi:[1,0,0]
	v_rndne_f32_e32 v38, v29
	v_fma_mix_f32 v6, v6, s8, v35 op_sel:[1,0,0] op_sel_hi:[1,0,0]
	v_sub_f32_e32 v28, v28, v36
	v_add_f32_e32 v27, v27, v33
	v_fma_mix_f32 v39, v7, s7, -v30 op_sel:[1,0,0] op_sel_hi:[1,0,0]
	v_rndne_f32_e32 v40, v30
	v_cvt_i32_f32_e32 v34, v34
	v_cvt_i32_f32_e32 v35, v36
	v_fma_mix_f32 v36, v7, s8, v37 op_sel_hi:[1,0,0]
	v_sub_f32_e32 v29, v29, v38
	v_add_f32_e32 v6, v28, v6
	v_exp_f32_e32 v27, v27
	v_cvt_f32_f16_e32 v26, v8
	v_fma_mix_f32 v7, v7, s8, v39 op_sel:[1,0,0] op_sel_hi:[1,0,0]
	v_sub_f32_e32 v30, v30, v40
	v_add_f32_e32 v28, v29, v36
	v_exp_f32_e32 v6, v6
	v_cvt_i32_f32_e32 v37, v38
	v_add_f32_e32 v7, v30, v7
	v_exp_f32_e32 v28, v28
	v_cvt_f32_f16_sdwa v25, v8 dst_sel:DWORD dst_unused:UNUSED_PAD src0_sel:WORD_1
	v_cvt_i32_f32_e32 v38, v40
	v_exp_f32_e32 v7, v7
	v_ldexp_f32 v27, v27, v34
	v_cmp_ngt_f32_e32 vcc, s9, v22
	v_mul_f32_e32 v31, 0x3fb8aa3b, v26
	v_ldexp_f32 v6, v6, v35
	v_cndmask_b32_e32 v27, 0, v27, vcc
	v_cmp_ngt_f32_e32 vcc, s9, v21
	v_fma_mix_f32 v41, v8, s7, -v31 op_sel_hi:[1,0,0]
	v_rndne_f32_e32 v42, v31
	v_ldexp_f32 v28, v28, v37
	v_cndmask_b32_e32 v30, 0, v6, vcc
	v_cmp_ngt_f32_e32 vcc, s9, v20
	v_mul_f32_e32 v32, 0x3fb8aa3b, v25
	v_fma_mix_f32 v39, v8, s8, v41 op_sel_hi:[1,0,0]
	v_sub_f32_e32 v31, v31, v42
	v_ldexp_f32 v7, v7, v38
	v_cndmask_b32_e32 v28, 0, v28, vcc
	v_cmp_ngt_f32_e32 vcc, s9, v11
	v_fma_mix_f32 v43, v8, s7, -v32 op_sel:[1,0,0] op_sel_hi:[1,0,0]
	v_rndne_f32_e32 v44, v32
	v_add_f32_e32 v29, v31, v39
	v_cndmask_b32_e32 v31, 0, v7, vcc
	v_cmp_nlt_f32_e32 vcc, s10, v22
	v_fma_mix_f32 v8, v8, s8, v43 op_sel:[1,0,0] op_sel_hi:[1,0,0]
	v_sub_f32_e32 v32, v32, v44
	v_cndmask_b32_e32 v6, v17, v27, vcc
	v_cmp_nlt_f32_e32 vcc, s10, v21
	v_add_f32_e32 v8, v32, v8
	v_cndmask_b32_e32 v7, v17, v30, vcc
	v_cmp_nlt_f32_e32 vcc, s10, v20
	v_cvt_f32_f16_e32 v23, v9
	v_exp_f32_e32 v8, v8
	v_cndmask_b32_e32 v20, v17, v28, vcc
	v_cmp_nlt_f32_e32 vcc, s10, v11
	v_cvt_i32_f32_e32 v11, v44
	s_waitcnt vmcnt(0)
	v_cvt_f32_f16_e32 v18, v2
	v_cvt_f32_f16_sdwa v19, v2 dst_sel:DWORD dst_unused:UNUSED_PAD src0_sel:WORD_1
	v_cvt_f32_f16_e32 v2, v3
	v_cvt_f32_f16_sdwa v3, v3 dst_sel:DWORD dst_unused:UNUSED_PAD src0_sel:WORD_1
	v_cvt_i32_f32_e32 v40, v42
	v_exp_f32_e32 v29, v29
	v_cndmask_b32_e32 v21, v17, v31, vcc
	v_ldexp_f32 v8, v8, v11
	v_mul_f32_e32 v11, 0x3fb8aa3b, v23
	v_pk_fma_f32 v[2:3], s[4:5], v[20:21], v[2:3]
	v_pk_fma_f32 v[6:7], s[22:23], v[6:7], v[18:19] neg_lo:[1,0,0] neg_hi:[1,0,0]
	v_fma_mix_f32 v19, v9, s7, -v11 op_sel_hi:[1,0,0]
	v_rndne_f32_e32 v20, v11
	v_fma_mix_f32 v19, v9, s8, v19 op_sel_hi:[1,0,0]
	v_sub_f32_e32 v11, v11, v20
	v_add_f32_e32 v11, v11, v19
	v_cvt_f32_f16_sdwa v24, v9 dst_sel:DWORD dst_unused:UNUSED_PAD src0_sel:WORD_1
	v_ldexp_f32 v29, v29, v40
	v_cmp_ngt_f32_e32 vcc, s9, v26
	v_exp_f32_e32 v11, v11
	v_cvt_i32_f32_e32 v20, v20
	v_cndmask_b32_e32 v18, 0, v29, vcc
	v_cmp_nlt_f32_e32 vcc, s10, v26
	v_cndmask_b32_e32 v18, v17, v18, vcc
	v_cmp_ngt_f32_e32 vcc, s9, v25
	v_cndmask_b32_e32 v8, 0, v8, vcc
	v_cmp_nlt_f32_e32 vcc, s10, v25
	v_cndmask_b32_e32 v19, v17, v8, vcc
	v_ldexp_f32 v8, v11, v20
	v_mul_f32_e32 v11, 0x3fb8aa3b, v24
	v_fma_mix_f32 v20, v9, s7, -v11 op_sel:[1,0,0] op_sel_hi:[1,0,0]
	v_fma_mix_f32 v9, v9, s8, v20 op_sel:[1,0,0] op_sel_hi:[1,0,0]
	v_rndne_f32_e32 v20, v11
	v_sub_f32_e32 v11, v11, v20
	v_add_f32_e32 v9, v11, v9
	v_exp_f32_e32 v9, v9
	v_cvt_i32_f32_e32 v11, v20
	v_cmp_ngt_f32_e32 vcc, s9, v23
	v_cndmask_b32_e32 v8, 0, v8, vcc
	v_cmp_nlt_f32_e32 vcc, s10, v23
	v_cvt_f32_f16_e32 v20, v4
	v_cvt_f32_f16_e32 v22, v5
	v_cvt_f32_f16_sdwa v23, v5 dst_sel:DWORD dst_unused:UNUSED_PAD src0_sel:WORD_1
	v_cvt_f32_f16_sdwa v21, v4 dst_sel:DWORD dst_unused:UNUSED_PAD src0_sel:WORD_1
	v_cndmask_b32_e32 v8, v17, v8, vcc
	v_ldexp_f32 v9, v9, v11
	v_cmp_ngt_f32_e32 vcc, s9, v24
	v_cndmask_b32_e32 v9, 0, v9, vcc
	v_cmp_nlt_f32_e32 vcc, s10, v24
	v_cvt_f16_f32_e32 v7, v7
	v_cvt_f16_f32_e32 v3, v3
	v_cndmask_b32_e32 v9, v17, v9, vcc
	v_cvt_f16_f32_e32 v2, v2
	v_cvt_f16_f32_e32 v6, v6
	v_pk_fma_f32 v[4:5], s[4:5], v[8:9], v[22:23]
	v_pk_fma_f32 v[8:9], s[22:23], v[18:19], v[20:21] neg_lo:[1,0,0] neg_hi:[1,0,0]
	v_cvt_f16_f32_e32 v9, v9
	v_cvt_f16_f32_e32 v5, v5
	v_cvt_f16_f32_e32 v4, v4
	v_cvt_f16_f32_e32 v8, v8
	v_pack_b32_f16 v3, v2, v3
	v_pack_b32_f16 v2, v6, v7
	v_lshlrev_b32_e32 v6, 3, v10
	v_cmp_le_i32_e32 vcc, s6, v6
	v_pack_b32_f16 v5, v4, v5
	v_pack_b32_f16 v4, v8, v9
	s_or_b64 s[2:3], vcc, s[2:3]
	global_store_dwordx4 v[12:13], v[2:5], off
	s_andn2_b64 exec, exec, s[2:3]
	s_cbranch_execnz .LBB275_88
.LBB275_89:
	s_or_b64 exec, exec, s[0:1]
	v_add_u32_e32 v0, s6, v0
	v_cmp_gt_i32_e32 vcc, s18, v0
	s_and_saveexec_b64 s[0:1], vcc
	s_cbranch_execz .LBB275_93
; %bb.90:
	s_mov_b64 s[2:3], 0
	v_mov_b32_e32 v2, s21
	v_mov_b32_e32 v3, s27
	s_mov_b32 s4, 0x3fb8aa3b
	s_mov_b32 s5, 0x32a5705f
	;; [unrolled: 1-line block ×4, first 2 shown]
	v_mov_b32_e32 v4, 0x7f800000
	v_mov_b32_e32 v5, s25
.LBB275_91:                             ; =>This Inner Loop Header: Depth=1
	v_ashrrev_i32_e32 v1, 31, v0
	v_lshlrev_b64 v[6:7], 1, v[0:1]
	v_add_co_u32_e32 v8, vcc, s26, v6
	v_addc_co_u32_e32 v9, vcc, v3, v7, vcc
	global_load_ushort v1, v[8:9], off
	v_add_co_u32_e32 v8, vcc, s20, v6
	v_addc_co_u32_e32 v9, vcc, v2, v7, vcc
	global_load_ushort v8, v[8:9], off
	v_add_co_u32_e32 v6, vcc, s24, v6
	v_add_u32_e32 v0, v0, v14
	v_addc_co_u32_e32 v7, vcc, v5, v7, vcc
	v_cmp_le_i32_e32 vcc, s18, v0
	s_or_b64 s[2:3], vcc, s[2:3]
	s_waitcnt vmcnt(1)
	v_cvt_f32_f16_e32 v9, v1
	v_mul_f32_e32 v10, 0x3fb8aa3b, v9
	v_fma_mix_f32 v11, v1, s4, -v10 op_sel_hi:[1,0,0]
	v_rndne_f32_e32 v12, v10
	v_fma_mix_f32 v1, v1, s5, v11 op_sel_hi:[1,0,0]
	v_sub_f32_e32 v10, v10, v12
	v_add_f32_e32 v1, v10, v1
	v_cvt_i32_f32_e32 v11, v12
	v_exp_f32_e32 v1, v1
	v_cmp_ngt_f32_e64 s[0:1], s6, v9
	v_ldexp_f32 v1, v1, v11
	v_cndmask_b32_e64 v1, 0, v1, s[0:1]
	v_cmp_nlt_f32_e64 s[0:1], s7, v9
	v_cndmask_b32_e64 v1, v4, v1, s[0:1]
	s_waitcnt vmcnt(0)
	v_fma_mixlo_f16 v1, -s22, v1, v8 op_sel_hi:[0,0,1]
	global_store_short v[6:7], v1, off
	s_andn2_b64 exec, exec, s[2:3]
	s_cbranch_execnz .LBB275_91
	s_branch .LBB275_93
.LBB275_92:
	s_cbranch_execz .LBB275_66
.LBB275_93:
	s_endpgm
.LBB275_94:
                                        ; implicit-def: $vgpr2_vgpr3
	v_and_b32_e32 v14, 0xffff, v4
	s_branch .LBB275_73
	.section	.rodata,"a",@progbits
	.p2align	6, 0x0
	.amdhsa_kernel _ZN2at6native12_GLOBAL__N_120cunn_SoftMaxBackwardILi8EN3c104HalfEfS4_NS1_26LogSoftMaxBackwardEpilogueEEEvPT0_PKT2_SA_l
		.amdhsa_group_segment_fixed_size 0
		.amdhsa_private_segment_fixed_size 0
		.amdhsa_kernarg_size 288
		.amdhsa_user_sgpr_count 6
		.amdhsa_user_sgpr_private_segment_buffer 1
		.amdhsa_user_sgpr_dispatch_ptr 0
		.amdhsa_user_sgpr_queue_ptr 0
		.amdhsa_user_sgpr_kernarg_segment_ptr 1
		.amdhsa_user_sgpr_dispatch_id 0
		.amdhsa_user_sgpr_flat_scratch_init 0
		.amdhsa_user_sgpr_kernarg_preload_length 0
		.amdhsa_user_sgpr_kernarg_preload_offset 0
		.amdhsa_user_sgpr_private_segment_size 0
		.amdhsa_uses_dynamic_stack 0
		.amdhsa_system_sgpr_private_segment_wavefront_offset 0
		.amdhsa_system_sgpr_workgroup_id_x 1
		.amdhsa_system_sgpr_workgroup_id_y 0
		.amdhsa_system_sgpr_workgroup_id_z 0
		.amdhsa_system_sgpr_workgroup_info 0
		.amdhsa_system_vgpr_workitem_id 0
		.amdhsa_next_free_vgpr 64
		.amdhsa_next_free_sgpr 50
		.amdhsa_accum_offset 64
		.amdhsa_reserve_vcc 1
		.amdhsa_reserve_flat_scratch 0
		.amdhsa_float_round_mode_32 0
		.amdhsa_float_round_mode_16_64 0
		.amdhsa_float_denorm_mode_32 3
		.amdhsa_float_denorm_mode_16_64 3
		.amdhsa_dx10_clamp 1
		.amdhsa_ieee_mode 1
		.amdhsa_fp16_overflow 0
		.amdhsa_tg_split 0
		.amdhsa_exception_fp_ieee_invalid_op 0
		.amdhsa_exception_fp_denorm_src 0
		.amdhsa_exception_fp_ieee_div_zero 0
		.amdhsa_exception_fp_ieee_overflow 0
		.amdhsa_exception_fp_ieee_underflow 0
		.amdhsa_exception_fp_ieee_inexact 0
		.amdhsa_exception_int_div_zero 0
	.end_amdhsa_kernel
	.section	.text._ZN2at6native12_GLOBAL__N_120cunn_SoftMaxBackwardILi8EN3c104HalfEfS4_NS1_26LogSoftMaxBackwardEpilogueEEEvPT0_PKT2_SA_l,"axG",@progbits,_ZN2at6native12_GLOBAL__N_120cunn_SoftMaxBackwardILi8EN3c104HalfEfS4_NS1_26LogSoftMaxBackwardEpilogueEEEvPT0_PKT2_SA_l,comdat
.Lfunc_end275:
	.size	_ZN2at6native12_GLOBAL__N_120cunn_SoftMaxBackwardILi8EN3c104HalfEfS4_NS1_26LogSoftMaxBackwardEpilogueEEEvPT0_PKT2_SA_l, .Lfunc_end275-_ZN2at6native12_GLOBAL__N_120cunn_SoftMaxBackwardILi8EN3c104HalfEfS4_NS1_26LogSoftMaxBackwardEpilogueEEEvPT0_PKT2_SA_l
                                        ; -- End function
	.section	.AMDGPU.csdata,"",@progbits
; Kernel info:
; codeLenInByte = 10416
; NumSgprs: 54
; NumVgprs: 64
; NumAgprs: 0
; TotalNumVgprs: 64
; ScratchSize: 0
; MemoryBound: 0
; FloatMode: 240
; IeeeMode: 1
; LDSByteSize: 0 bytes/workgroup (compile time only)
; SGPRBlocks: 6
; VGPRBlocks: 7
; NumSGPRsForWavesPerEU: 54
; NumVGPRsForWavesPerEU: 64
; AccumOffset: 64
; Occupancy: 8
; WaveLimiterHint : 0
; COMPUTE_PGM_RSRC2:SCRATCH_EN: 0
; COMPUTE_PGM_RSRC2:USER_SGPR: 6
; COMPUTE_PGM_RSRC2:TRAP_HANDLER: 0
; COMPUTE_PGM_RSRC2:TGID_X_EN: 1
; COMPUTE_PGM_RSRC2:TGID_Y_EN: 0
; COMPUTE_PGM_RSRC2:TGID_Z_EN: 0
; COMPUTE_PGM_RSRC2:TIDIG_COMP_CNT: 0
; COMPUTE_PGM_RSRC3_GFX90A:ACCUM_OFFSET: 15
; COMPUTE_PGM_RSRC3_GFX90A:TG_SPLIT: 0
	.section	.text._ZN12_GLOBAL__N_121softmax_warp_backwardIfN3c104HalfEfLi0ELb1ELb0ELi64EEEvPT0_PKT_S7_iiiPKb,"axG",@progbits,_ZN12_GLOBAL__N_121softmax_warp_backwardIfN3c104HalfEfLi0ELb1ELb0ELi64EEEvPT0_PKT_S7_iiiPKb,comdat
	.globl	_ZN12_GLOBAL__N_121softmax_warp_backwardIfN3c104HalfEfLi0ELb1ELb0ELi64EEEvPT0_PKT_S7_iiiPKb ; -- Begin function _ZN12_GLOBAL__N_121softmax_warp_backwardIfN3c104HalfEfLi0ELb1ELb0ELi64EEEvPT0_PKT_S7_iiiPKb
	.p2align	8
	.type	_ZN12_GLOBAL__N_121softmax_warp_backwardIfN3c104HalfEfLi0ELb1ELb0ELi64EEEvPT0_PKT_S7_iiiPKb,@function
_ZN12_GLOBAL__N_121softmax_warp_backwardIfN3c104HalfEfLi0ELb1ELb0ELi64EEEvPT0_PKT_S7_iiiPKb: ; @_ZN12_GLOBAL__N_121softmax_warp_backwardIfN3c104HalfEfLi0ELb1ELb0ELi64EEEvPT0_PKT_S7_iiiPKb
; %bb.0:
	s_load_dword s2, s[4:5], 0x3c
	s_load_dwordx4 s[8:11], s[4:5], 0x18
	s_load_dwordx4 s[12:15], s[4:5], 0x0
	s_load_dwordx2 s[0:1], s[4:5], 0x10
	v_bfe_u32 v0, v0, 10, 10
	s_waitcnt lgkmcnt(0)
	s_lshr_b32 s2, s2, 16
	s_mul_i32 s6, s6, s2
	v_add_lshl_u32 v0, s6, v0, 1
	v_sub_u32_e32 v7, s8, v0
	v_mul_lo_u32 v0, v0, s9
	v_ashrrev_i32_e32 v1, 31, v0
	v_lshlrev_b64 v[4:5], 2, v[0:1]
	v_mov_b32_e32 v3, s15
	v_add_co_u32_e32 v2, vcc, s14, v4
	v_addc_co_u32_e32 v3, vcc, v3, v5, vcc
	v_mov_b32_e32 v6, s1
	v_add_co_u32_e32 v4, vcc, s0, v4
	v_addc_co_u32_e32 v5, vcc, v6, v5, vcc
	s_cmp_gt_i32 s10, 0
	s_cselect_b64 s[2:3], -1, 0
	v_cmp_lt_i32_e32 vcc, 0, v7
	s_and_b64 s[4:5], s[2:3], vcc
	v_mov_b32_e32 v6, 0
	v_mov_b32_e32 v8, 0
	;; [unrolled: 1-line block ×3, first 2 shown]
	s_and_saveexec_b64 s[0:1], s[4:5]
	s_cbranch_execz .LBB276_2
; %bb.1:
	global_load_dword v8, v[2:3], off
	global_load_dword v10, v[4:5], off
.LBB276_2:
	s_or_b64 exec, exec, s[0:1]
	v_cmp_lt_i32_e64 s[0:1], 1, v7
	s_and_b64 s[0:1], s[2:3], s[0:1]
	s_mov_b32 s11, 0
	v_mov_b32_e32 v9, 0
	s_and_saveexec_b64 s[4:5], s[0:1]
	s_cbranch_execz .LBB276_4
; %bb.3:
	s_lshl_b64 s[6:7], s[10:11], 2
	v_mov_b32_e32 v9, s7
	v_add_co_u32_e64 v2, s[0:1], s6, v2
	v_addc_co_u32_e64 v3, s[0:1], v3, v9, s[0:1]
	global_load_dword v6, v[2:3], off
	v_add_co_u32_e64 v2, s[0:1], s6, v4
	v_addc_co_u32_e64 v3, s[0:1], v5, v9, s[0:1]
	global_load_dword v9, v[2:3], off
.LBB276_4:
	s_or_b64 exec, exec, s[4:5]
	s_and_saveexec_b64 s[0:1], vcc
	s_cbranch_execz .LBB276_10
; %bb.5:
	v_lshlrev_b64 v[0:1], 1, v[0:1]
	v_mov_b32_e32 v2, s13
	v_cndmask_b32_e64 v3, 0, 1, s[2:3]
	s_andn2_b64 vcc, exec, s[2:3]
	v_add_co_u32_e64 v0, s[2:3], s12, v0
	v_cmp_ne_u32_e64 s[0:1], 1, v3
	v_addc_co_u32_e64 v1, s[2:3], v2, v1, s[2:3]
	s_cbranch_vccnz .LBB276_7
; %bb.6:
	s_waitcnt vmcnt(0)
	v_mul_f32_e32 v2, 0x3fb8aa3b, v10
	s_mov_b32 s2, 0x3fb8aa3b
	v_rndne_f32_e32 v3, v2
	v_sub_f32_e32 v4, v2, v3
	v_fma_f32 v2, v10, s2, -v2
	v_fmac_f32_e32 v2, 0x32a5705f, v10
	v_add_f32_e32 v2, v4, v2
	v_exp_f32_e32 v2, v2
	v_cvt_i32_f32_e32 v3, v3
	s_mov_b32 s2, 0xc2ce8ed0
	v_cmp_ngt_f32_e32 vcc, s2, v10
	s_mov_b32 s2, 0x42b17218
	v_ldexp_f32 v2, v2, v3
	v_cndmask_b32_e32 v2, 0, v2, vcc
	v_mov_b32_e32 v3, 0x7f800000
	v_cmp_nlt_f32_e32 vcc, s2, v10
	v_cndmask_b32_e32 v2, v3, v2, vcc
	v_add_f32_e32 v3, 0, v8
	v_fma_mixlo_f16 v2, -v3, v2, v8
	global_store_short v[0:1], v2, off
.LBB276_7:
	v_cmp_ne_u32_e32 vcc, 1, v7
	s_and_b64 exec, exec, vcc
	s_cbranch_execz .LBB276_10
; %bb.8:
	s_and_b64 vcc, exec, s[0:1]
	s_cbranch_vccnz .LBB276_10
; %bb.9:
	s_waitcnt vmcnt(0)
	v_mul_f32_e32 v2, 0x3fb8aa3b, v9
	s_mov_b32 s0, 0x3fb8aa3b
	v_rndne_f32_e32 v3, v2
	v_sub_f32_e32 v4, v2, v3
	v_fma_f32 v2, v9, s0, -v2
	v_fmac_f32_e32 v2, 0x32a5705f, v9
	v_add_f32_e32 v2, v4, v2
	v_exp_f32_e32 v2, v2
	v_cvt_i32_f32_e32 v3, v3
	s_mov_b32 s0, 0xc2ce8ed0
	v_cmp_ngt_f32_e32 vcc, s0, v9
	s_mov_b32 s0, 0x42b17218
	v_ldexp_f32 v2, v2, v3
	v_cndmask_b32_e32 v2, 0, v2, vcc
	v_mov_b32_e32 v3, 0x7f800000
	v_cmp_nlt_f32_e32 vcc, s0, v9
	v_cndmask_b32_e32 v2, v3, v2, vcc
	v_add_f32_e32 v3, 0, v6
	s_lshl_b64 s[0:1], s[10:11], 1
	v_fma_mixlo_f16 v2, -v3, v2, v6
	v_mov_b32_e32 v3, s1
	v_add_co_u32_e32 v0, vcc, s0, v0
	v_addc_co_u32_e32 v1, vcc, v1, v3, vcc
	global_store_short v[0:1], v2, off
.LBB276_10:
	s_endpgm
	.section	.rodata,"a",@progbits
	.p2align	6, 0x0
	.amdhsa_kernel _ZN12_GLOBAL__N_121softmax_warp_backwardIfN3c104HalfEfLi0ELb1ELb0ELi64EEEvPT0_PKT_S7_iiiPKb
		.amdhsa_group_segment_fixed_size 0
		.amdhsa_private_segment_fixed_size 0
		.amdhsa_kernarg_size 304
		.amdhsa_user_sgpr_count 6
		.amdhsa_user_sgpr_private_segment_buffer 1
		.amdhsa_user_sgpr_dispatch_ptr 0
		.amdhsa_user_sgpr_queue_ptr 0
		.amdhsa_user_sgpr_kernarg_segment_ptr 1
		.amdhsa_user_sgpr_dispatch_id 0
		.amdhsa_user_sgpr_flat_scratch_init 0
		.amdhsa_user_sgpr_kernarg_preload_length 0
		.amdhsa_user_sgpr_kernarg_preload_offset 0
		.amdhsa_user_sgpr_private_segment_size 0
		.amdhsa_uses_dynamic_stack 0
		.amdhsa_system_sgpr_private_segment_wavefront_offset 0
		.amdhsa_system_sgpr_workgroup_id_x 1
		.amdhsa_system_sgpr_workgroup_id_y 0
		.amdhsa_system_sgpr_workgroup_id_z 0
		.amdhsa_system_sgpr_workgroup_info 0
		.amdhsa_system_vgpr_workitem_id 1
		.amdhsa_next_free_vgpr 11
		.amdhsa_next_free_sgpr 16
		.amdhsa_accum_offset 12
		.amdhsa_reserve_vcc 1
		.amdhsa_reserve_flat_scratch 0
		.amdhsa_float_round_mode_32 0
		.amdhsa_float_round_mode_16_64 0
		.amdhsa_float_denorm_mode_32 3
		.amdhsa_float_denorm_mode_16_64 3
		.amdhsa_dx10_clamp 1
		.amdhsa_ieee_mode 1
		.amdhsa_fp16_overflow 0
		.amdhsa_tg_split 0
		.amdhsa_exception_fp_ieee_invalid_op 0
		.amdhsa_exception_fp_denorm_src 0
		.amdhsa_exception_fp_ieee_div_zero 0
		.amdhsa_exception_fp_ieee_overflow 0
		.amdhsa_exception_fp_ieee_underflow 0
		.amdhsa_exception_fp_ieee_inexact 0
		.amdhsa_exception_int_div_zero 0
	.end_amdhsa_kernel
	.section	.text._ZN12_GLOBAL__N_121softmax_warp_backwardIfN3c104HalfEfLi0ELb1ELb0ELi64EEEvPT0_PKT_S7_iiiPKb,"axG",@progbits,_ZN12_GLOBAL__N_121softmax_warp_backwardIfN3c104HalfEfLi0ELb1ELb0ELi64EEEvPT0_PKT_S7_iiiPKb,comdat
.Lfunc_end276:
	.size	_ZN12_GLOBAL__N_121softmax_warp_backwardIfN3c104HalfEfLi0ELb1ELb0ELi64EEEvPT0_PKT_S7_iiiPKb, .Lfunc_end276-_ZN12_GLOBAL__N_121softmax_warp_backwardIfN3c104HalfEfLi0ELb1ELb0ELi64EEEvPT0_PKT_S7_iiiPKb
                                        ; -- End function
	.section	.AMDGPU.csdata,"",@progbits
; Kernel info:
; codeLenInByte = 600
; NumSgprs: 20
; NumVgprs: 11
; NumAgprs: 0
; TotalNumVgprs: 11
; ScratchSize: 0
; MemoryBound: 0
; FloatMode: 240
; IeeeMode: 1
; LDSByteSize: 0 bytes/workgroup (compile time only)
; SGPRBlocks: 2
; VGPRBlocks: 1
; NumSGPRsForWavesPerEU: 20
; NumVGPRsForWavesPerEU: 11
; AccumOffset: 12
; Occupancy: 8
; WaveLimiterHint : 0
; COMPUTE_PGM_RSRC2:SCRATCH_EN: 0
; COMPUTE_PGM_RSRC2:USER_SGPR: 6
; COMPUTE_PGM_RSRC2:TRAP_HANDLER: 0
; COMPUTE_PGM_RSRC2:TGID_X_EN: 1
; COMPUTE_PGM_RSRC2:TGID_Y_EN: 0
; COMPUTE_PGM_RSRC2:TGID_Z_EN: 0
; COMPUTE_PGM_RSRC2:TIDIG_COMP_CNT: 1
; COMPUTE_PGM_RSRC3_GFX90A:ACCUM_OFFSET: 2
; COMPUTE_PGM_RSRC3_GFX90A:TG_SPLIT: 0
	.section	.text._ZN12_GLOBAL__N_121softmax_warp_backwardIfN3c104HalfEfLi0ELb1ELb0ELi32EEEvPT0_PKT_S7_iiiPKb,"axG",@progbits,_ZN12_GLOBAL__N_121softmax_warp_backwardIfN3c104HalfEfLi0ELb1ELb0ELi32EEEvPT0_PKT_S7_iiiPKb,comdat
	.globl	_ZN12_GLOBAL__N_121softmax_warp_backwardIfN3c104HalfEfLi0ELb1ELb0ELi32EEEvPT0_PKT_S7_iiiPKb ; -- Begin function _ZN12_GLOBAL__N_121softmax_warp_backwardIfN3c104HalfEfLi0ELb1ELb0ELi32EEEvPT0_PKT_S7_iiiPKb
	.p2align	8
	.type	_ZN12_GLOBAL__N_121softmax_warp_backwardIfN3c104HalfEfLi0ELb1ELb0ELi32EEEvPT0_PKT_S7_iiiPKb,@function
_ZN12_GLOBAL__N_121softmax_warp_backwardIfN3c104HalfEfLi0ELb1ELb0ELi32EEEvPT0_PKT_S7_iiiPKb: ; @_ZN12_GLOBAL__N_121softmax_warp_backwardIfN3c104HalfEfLi0ELb1ELb0ELi32EEEvPT0_PKT_S7_iiiPKb
; %bb.0:
	s_load_dword s2, s[4:5], 0x3c
	s_load_dwordx4 s[8:11], s[4:5], 0x18
	s_load_dwordx4 s[12:15], s[4:5], 0x0
	s_load_dwordx2 s[0:1], s[4:5], 0x10
	v_bfe_u32 v0, v0, 10, 10
	s_waitcnt lgkmcnt(0)
	s_lshr_b32 s2, s2, 16
	s_mul_i32 s6, s6, s2
	v_add_lshl_u32 v0, s6, v0, 1
	v_sub_u32_e32 v7, s8, v0
	v_mul_lo_u32 v0, v0, s9
	v_ashrrev_i32_e32 v1, 31, v0
	v_lshlrev_b64 v[4:5], 2, v[0:1]
	v_mov_b32_e32 v3, s15
	v_add_co_u32_e32 v2, vcc, s14, v4
	v_addc_co_u32_e32 v3, vcc, v3, v5, vcc
	v_mov_b32_e32 v6, s1
	v_add_co_u32_e32 v4, vcc, s0, v4
	v_addc_co_u32_e32 v5, vcc, v6, v5, vcc
	s_cmp_gt_i32 s10, 0
	s_cselect_b64 s[2:3], -1, 0
	v_cmp_lt_i32_e32 vcc, 0, v7
	s_and_b64 s[4:5], s[2:3], vcc
	v_mov_b32_e32 v6, 0
	v_mov_b32_e32 v8, 0
	;; [unrolled: 1-line block ×3, first 2 shown]
	s_and_saveexec_b64 s[0:1], s[4:5]
	s_cbranch_execz .LBB277_2
; %bb.1:
	global_load_dword v8, v[2:3], off
	global_load_dword v10, v[4:5], off
.LBB277_2:
	s_or_b64 exec, exec, s[0:1]
	v_cmp_lt_i32_e64 s[0:1], 1, v7
	s_and_b64 s[0:1], s[2:3], s[0:1]
	s_mov_b32 s11, 0
	v_mov_b32_e32 v9, 0
	s_and_saveexec_b64 s[4:5], s[0:1]
	s_cbranch_execz .LBB277_4
; %bb.3:
	s_lshl_b64 s[6:7], s[10:11], 2
	v_mov_b32_e32 v9, s7
	v_add_co_u32_e64 v2, s[0:1], s6, v2
	v_addc_co_u32_e64 v3, s[0:1], v3, v9, s[0:1]
	global_load_dword v6, v[2:3], off
	v_add_co_u32_e64 v2, s[0:1], s6, v4
	v_addc_co_u32_e64 v3, s[0:1], v5, v9, s[0:1]
	global_load_dword v9, v[2:3], off
.LBB277_4:
	s_or_b64 exec, exec, s[4:5]
	s_and_saveexec_b64 s[0:1], vcc
	s_cbranch_execz .LBB277_10
; %bb.5:
	v_lshlrev_b64 v[0:1], 1, v[0:1]
	v_mov_b32_e32 v2, s13
	v_cndmask_b32_e64 v3, 0, 1, s[2:3]
	s_andn2_b64 vcc, exec, s[2:3]
	v_add_co_u32_e64 v0, s[2:3], s12, v0
	v_cmp_ne_u32_e64 s[0:1], 1, v3
	v_addc_co_u32_e64 v1, s[2:3], v2, v1, s[2:3]
	s_cbranch_vccnz .LBB277_7
; %bb.6:
	s_waitcnt vmcnt(0)
	v_mul_f32_e32 v2, 0x3fb8aa3b, v10
	s_mov_b32 s2, 0x3fb8aa3b
	v_rndne_f32_e32 v3, v2
	v_sub_f32_e32 v4, v2, v3
	v_fma_f32 v2, v10, s2, -v2
	v_fmac_f32_e32 v2, 0x32a5705f, v10
	v_add_f32_e32 v2, v4, v2
	v_exp_f32_e32 v2, v2
	v_cvt_i32_f32_e32 v3, v3
	s_mov_b32 s2, 0xc2ce8ed0
	v_cmp_ngt_f32_e32 vcc, s2, v10
	s_mov_b32 s2, 0x42b17218
	v_ldexp_f32 v2, v2, v3
	v_cndmask_b32_e32 v2, 0, v2, vcc
	v_mov_b32_e32 v3, 0x7f800000
	v_cmp_nlt_f32_e32 vcc, s2, v10
	v_cndmask_b32_e32 v2, v3, v2, vcc
	v_add_f32_e32 v3, 0, v8
	v_fma_mixlo_f16 v2, -v3, v2, v8
	global_store_short v[0:1], v2, off
.LBB277_7:
	v_cmp_ne_u32_e32 vcc, 1, v7
	s_and_b64 exec, exec, vcc
	s_cbranch_execz .LBB277_10
; %bb.8:
	s_and_b64 vcc, exec, s[0:1]
	s_cbranch_vccnz .LBB277_10
; %bb.9:
	s_waitcnt vmcnt(0)
	v_mul_f32_e32 v2, 0x3fb8aa3b, v9
	s_mov_b32 s0, 0x3fb8aa3b
	v_rndne_f32_e32 v3, v2
	v_sub_f32_e32 v4, v2, v3
	v_fma_f32 v2, v9, s0, -v2
	v_fmac_f32_e32 v2, 0x32a5705f, v9
	v_add_f32_e32 v2, v4, v2
	v_exp_f32_e32 v2, v2
	v_cvt_i32_f32_e32 v3, v3
	s_mov_b32 s0, 0xc2ce8ed0
	v_cmp_ngt_f32_e32 vcc, s0, v9
	s_mov_b32 s0, 0x42b17218
	v_ldexp_f32 v2, v2, v3
	v_cndmask_b32_e32 v2, 0, v2, vcc
	v_mov_b32_e32 v3, 0x7f800000
	v_cmp_nlt_f32_e32 vcc, s0, v9
	v_cndmask_b32_e32 v2, v3, v2, vcc
	v_add_f32_e32 v3, 0, v6
	s_lshl_b64 s[0:1], s[10:11], 1
	v_fma_mixlo_f16 v2, -v3, v2, v6
	v_mov_b32_e32 v3, s1
	v_add_co_u32_e32 v0, vcc, s0, v0
	v_addc_co_u32_e32 v1, vcc, v1, v3, vcc
	global_store_short v[0:1], v2, off
.LBB277_10:
	s_endpgm
	.section	.rodata,"a",@progbits
	.p2align	6, 0x0
	.amdhsa_kernel _ZN12_GLOBAL__N_121softmax_warp_backwardIfN3c104HalfEfLi0ELb1ELb0ELi32EEEvPT0_PKT_S7_iiiPKb
		.amdhsa_group_segment_fixed_size 0
		.amdhsa_private_segment_fixed_size 0
		.amdhsa_kernarg_size 304
		.amdhsa_user_sgpr_count 6
		.amdhsa_user_sgpr_private_segment_buffer 1
		.amdhsa_user_sgpr_dispatch_ptr 0
		.amdhsa_user_sgpr_queue_ptr 0
		.amdhsa_user_sgpr_kernarg_segment_ptr 1
		.amdhsa_user_sgpr_dispatch_id 0
		.amdhsa_user_sgpr_flat_scratch_init 0
		.amdhsa_user_sgpr_kernarg_preload_length 0
		.amdhsa_user_sgpr_kernarg_preload_offset 0
		.amdhsa_user_sgpr_private_segment_size 0
		.amdhsa_uses_dynamic_stack 0
		.amdhsa_system_sgpr_private_segment_wavefront_offset 0
		.amdhsa_system_sgpr_workgroup_id_x 1
		.amdhsa_system_sgpr_workgroup_id_y 0
		.amdhsa_system_sgpr_workgroup_id_z 0
		.amdhsa_system_sgpr_workgroup_info 0
		.amdhsa_system_vgpr_workitem_id 1
		.amdhsa_next_free_vgpr 11
		.amdhsa_next_free_sgpr 16
		.amdhsa_accum_offset 12
		.amdhsa_reserve_vcc 1
		.amdhsa_reserve_flat_scratch 0
		.amdhsa_float_round_mode_32 0
		.amdhsa_float_round_mode_16_64 0
		.amdhsa_float_denorm_mode_32 3
		.amdhsa_float_denorm_mode_16_64 3
		.amdhsa_dx10_clamp 1
		.amdhsa_ieee_mode 1
		.amdhsa_fp16_overflow 0
		.amdhsa_tg_split 0
		.amdhsa_exception_fp_ieee_invalid_op 0
		.amdhsa_exception_fp_denorm_src 0
		.amdhsa_exception_fp_ieee_div_zero 0
		.amdhsa_exception_fp_ieee_overflow 0
		.amdhsa_exception_fp_ieee_underflow 0
		.amdhsa_exception_fp_ieee_inexact 0
		.amdhsa_exception_int_div_zero 0
	.end_amdhsa_kernel
	.section	.text._ZN12_GLOBAL__N_121softmax_warp_backwardIfN3c104HalfEfLi0ELb1ELb0ELi32EEEvPT0_PKT_S7_iiiPKb,"axG",@progbits,_ZN12_GLOBAL__N_121softmax_warp_backwardIfN3c104HalfEfLi0ELb1ELb0ELi32EEEvPT0_PKT_S7_iiiPKb,comdat
.Lfunc_end277:
	.size	_ZN12_GLOBAL__N_121softmax_warp_backwardIfN3c104HalfEfLi0ELb1ELb0ELi32EEEvPT0_PKT_S7_iiiPKb, .Lfunc_end277-_ZN12_GLOBAL__N_121softmax_warp_backwardIfN3c104HalfEfLi0ELb1ELb0ELi32EEEvPT0_PKT_S7_iiiPKb
                                        ; -- End function
	.section	.AMDGPU.csdata,"",@progbits
; Kernel info:
; codeLenInByte = 600
; NumSgprs: 20
; NumVgprs: 11
; NumAgprs: 0
; TotalNumVgprs: 11
; ScratchSize: 0
; MemoryBound: 0
; FloatMode: 240
; IeeeMode: 1
; LDSByteSize: 0 bytes/workgroup (compile time only)
; SGPRBlocks: 2
; VGPRBlocks: 1
; NumSGPRsForWavesPerEU: 20
; NumVGPRsForWavesPerEU: 11
; AccumOffset: 12
; Occupancy: 8
; WaveLimiterHint : 0
; COMPUTE_PGM_RSRC2:SCRATCH_EN: 0
; COMPUTE_PGM_RSRC2:USER_SGPR: 6
; COMPUTE_PGM_RSRC2:TRAP_HANDLER: 0
; COMPUTE_PGM_RSRC2:TGID_X_EN: 1
; COMPUTE_PGM_RSRC2:TGID_Y_EN: 0
; COMPUTE_PGM_RSRC2:TGID_Z_EN: 0
; COMPUTE_PGM_RSRC2:TIDIG_COMP_CNT: 1
; COMPUTE_PGM_RSRC3_GFX90A:ACCUM_OFFSET: 2
; COMPUTE_PGM_RSRC3_GFX90A:TG_SPLIT: 0
	.section	.text._ZN12_GLOBAL__N_121softmax_warp_backwardIfN3c104HalfEfLi1ELb1ELb0ELi64EEEvPT0_PKT_S7_iiiPKb,"axG",@progbits,_ZN12_GLOBAL__N_121softmax_warp_backwardIfN3c104HalfEfLi1ELb1ELb0ELi64EEEvPT0_PKT_S7_iiiPKb,comdat
	.globl	_ZN12_GLOBAL__N_121softmax_warp_backwardIfN3c104HalfEfLi1ELb1ELb0ELi64EEEvPT0_PKT_S7_iiiPKb ; -- Begin function _ZN12_GLOBAL__N_121softmax_warp_backwardIfN3c104HalfEfLi1ELb1ELb0ELi64EEEvPT0_PKT_S7_iiiPKb
	.p2align	8
	.type	_ZN12_GLOBAL__N_121softmax_warp_backwardIfN3c104HalfEfLi1ELb1ELb0ELi64EEEvPT0_PKT_S7_iiiPKb,@function
_ZN12_GLOBAL__N_121softmax_warp_backwardIfN3c104HalfEfLi1ELb1ELb0ELi64EEEvPT0_PKT_S7_iiiPKb: ; @_ZN12_GLOBAL__N_121softmax_warp_backwardIfN3c104HalfEfLi1ELb1ELb0ELi64EEEvPT0_PKT_S7_iiiPKb
; %bb.0:
	s_load_dword s2, s[4:5], 0x3c
	s_load_dwordx4 s[8:11], s[4:5], 0x18
	s_load_dwordx4 s[12:15], s[4:5], 0x0
	s_load_dwordx2 s[0:1], s[4:5], 0x10
	v_bfe_u32 v1, v0, 10, 10
	s_waitcnt lgkmcnt(0)
	s_lshr_b32 s2, s2, 16
	s_mul_i32 s6, s6, s2
	v_add_lshl_u32 v1, s6, v1, 1
	v_sub_u32_e32 v8, s8, v1
	v_mul_lo_u32 v1, v1, s9
	v_and_b32_e32 v9, 1, v0
	v_or_b32_e32 v2, v1, v9
	v_ashrrev_i32_e32 v3, 31, v2
	v_lshlrev_b64 v[0:1], 2, v[2:3]
	v_mov_b32_e32 v5, s15
	v_add_co_u32_e32 v4, vcc, s14, v0
	v_addc_co_u32_e32 v5, vcc, v5, v1, vcc
	v_mov_b32_e32 v7, s1
	v_add_co_u32_e32 v6, vcc, s0, v0
	v_addc_co_u32_e32 v7, vcc, v7, v1, vcc
	v_cmp_gt_i32_e32 vcc, s10, v9
	v_cmp_lt_i32_e64 s[0:1], 0, v8
	s_and_b64 s[4:5], vcc, s[0:1]
	v_mov_b32_e32 v1, 0
	v_mov_b32_e32 v0, 0
	;; [unrolled: 1-line block ×3, first 2 shown]
	s_and_saveexec_b64 s[2:3], s[4:5]
	s_cbranch_execz .LBB278_2
; %bb.1:
	global_load_dword v0, v[4:5], off
	global_load_dword v10, v[6:7], off
.LBB278_2:
	s_or_b64 exec, exec, s[2:3]
	v_cmp_lt_i32_e64 s[2:3], 1, v8
	s_and_b64 s[2:3], vcc, s[2:3]
	s_mov_b32 s11, 0
	v_mov_b32_e32 v9, 0
	s_and_saveexec_b64 s[4:5], s[2:3]
	s_cbranch_execz .LBB278_4
; %bb.3:
	s_lshl_b64 s[6:7], s[10:11], 2
	v_mov_b32_e32 v9, s7
	v_add_co_u32_e64 v4, s[2:3], s6, v4
	v_addc_co_u32_e64 v5, s[2:3], v5, v9, s[2:3]
	global_load_dword v1, v[4:5], off
	v_add_co_u32_e64 v4, s[2:3], s6, v6
	v_addc_co_u32_e64 v5, s[2:3], v7, v9, s[2:3]
	global_load_dword v9, v[4:5], off
.LBB278_4:
	s_or_b64 exec, exec, s[4:5]
	v_mbcnt_lo_u32_b32 v6, -1, 0
	v_mbcnt_hi_u32_b32 v6, -1, v6
	v_and_b32_e32 v11, 0x7e, v6
	v_xor_b32_e32 v7, 1, v6
	v_add_u32_e32 v11, 2, v11
	v_cmp_lt_i32_e64 s[2:3], v7, v11
	v_cndmask_b32_e64 v6, v6, v7, s[2:3]
	s_waitcnt vmcnt(1)
	v_pk_add_f32 v[4:5], v[0:1], 0 op_sel_hi:[1,0]
	v_lshlrev_b32_e32 v7, 2, v6
	ds_bpermute_b32 v6, v7, v4
	ds_bpermute_b32 v7, v7, v5
	s_and_saveexec_b64 s[2:3], s[0:1]
	s_cbranch_execz .LBB278_10
; %bb.5:
	v_lshlrev_b64 v[2:3], 1, v[2:3]
	v_mov_b32_e32 v11, s13
	v_add_co_u32_e64 v2, s[0:1], s12, v2
	v_addc_co_u32_e64 v3, s[0:1], v11, v3, s[0:1]
	s_waitcnt lgkmcnt(0)
	v_pk_add_f32 v[4:5], v[4:5], v[6:7]
	s_and_saveexec_b64 s[2:3], vcc
	s_cbranch_execz .LBB278_7
; %bb.6:
	s_waitcnt vmcnt(0)
	v_mul_f32_e32 v6, 0x3fb8aa3b, v10
	s_mov_b32 s0, 0x3fb8aa3b
	v_rndne_f32_e32 v7, v6
	v_sub_f32_e32 v11, v6, v7
	v_fma_f32 v6, v10, s0, -v6
	v_fmac_f32_e32 v6, 0x32a5705f, v10
	v_add_f32_e32 v6, v11, v6
	v_exp_f32_e32 v6, v6
	v_cvt_i32_f32_e32 v7, v7
	s_mov_b32 s0, 0xc2ce8ed0
	v_cmp_ngt_f32_e64 s[0:1], s0, v10
	v_ldexp_f32 v6, v6, v7
	v_cndmask_b32_e64 v6, 0, v6, s[0:1]
	s_mov_b32 s0, 0x42b17218
	v_mov_b32_e32 v7, 0x7f800000
	v_cmp_nlt_f32_e64 s[0:1], s0, v10
	v_cndmask_b32_e64 v6, v7, v6, s[0:1]
	v_fma_mixlo_f16 v0, -v4, v6, v0
	global_store_short v[2:3], v0, off
.LBB278_7:
	s_or_b64 exec, exec, s[2:3]
	v_cmp_ne_u32_e64 s[0:1], 1, v8
	s_and_b64 exec, exec, s[0:1]
	s_cbranch_execz .LBB278_10
; %bb.8:
	s_and_b64 exec, exec, vcc
	s_cbranch_execz .LBB278_10
; %bb.9:
	s_waitcnt vmcnt(0)
	v_mul_f32_e32 v0, 0x3fb8aa3b, v9
	s_mov_b32 s0, 0x3fb8aa3b
	v_rndne_f32_e32 v4, v0
	v_sub_f32_e32 v6, v0, v4
	v_fma_f32 v0, v9, s0, -v0
	v_fmac_f32_e32 v0, 0x32a5705f, v9
	v_add_f32_e32 v0, v6, v0
	v_exp_f32_e32 v0, v0
	v_cvt_i32_f32_e32 v4, v4
	s_mov_b32 s0, 0xc2ce8ed0
	v_cmp_ngt_f32_e32 vcc, s0, v9
	s_mov_b32 s0, 0x42b17218
	v_ldexp_f32 v0, v0, v4
	v_cndmask_b32_e32 v0, 0, v0, vcc
	v_mov_b32_e32 v4, 0x7f800000
	v_cmp_nlt_f32_e32 vcc, s0, v9
	v_cndmask_b32_e32 v0, v4, v0, vcc
	s_lshl_b64 s[0:1], s[10:11], 1
	v_fma_mixlo_f16 v4, -v5, v0, v1
	v_mov_b32_e32 v1, s1
	v_add_co_u32_e32 v0, vcc, s0, v2
	v_addc_co_u32_e32 v1, vcc, v3, v1, vcc
	global_store_short v[0:1], v4, off
.LBB278_10:
	s_endpgm
	.section	.rodata,"a",@progbits
	.p2align	6, 0x0
	.amdhsa_kernel _ZN12_GLOBAL__N_121softmax_warp_backwardIfN3c104HalfEfLi1ELb1ELb0ELi64EEEvPT0_PKT_S7_iiiPKb
		.amdhsa_group_segment_fixed_size 0
		.amdhsa_private_segment_fixed_size 0
		.amdhsa_kernarg_size 304
		.amdhsa_user_sgpr_count 6
		.amdhsa_user_sgpr_private_segment_buffer 1
		.amdhsa_user_sgpr_dispatch_ptr 0
		.amdhsa_user_sgpr_queue_ptr 0
		.amdhsa_user_sgpr_kernarg_segment_ptr 1
		.amdhsa_user_sgpr_dispatch_id 0
		.amdhsa_user_sgpr_flat_scratch_init 0
		.amdhsa_user_sgpr_kernarg_preload_length 0
		.amdhsa_user_sgpr_kernarg_preload_offset 0
		.amdhsa_user_sgpr_private_segment_size 0
		.amdhsa_uses_dynamic_stack 0
		.amdhsa_system_sgpr_private_segment_wavefront_offset 0
		.amdhsa_system_sgpr_workgroup_id_x 1
		.amdhsa_system_sgpr_workgroup_id_y 0
		.amdhsa_system_sgpr_workgroup_id_z 0
		.amdhsa_system_sgpr_workgroup_info 0
		.amdhsa_system_vgpr_workitem_id 1
		.amdhsa_next_free_vgpr 12
		.amdhsa_next_free_sgpr 16
		.amdhsa_accum_offset 12
		.amdhsa_reserve_vcc 1
		.amdhsa_reserve_flat_scratch 0
		.amdhsa_float_round_mode_32 0
		.amdhsa_float_round_mode_16_64 0
		.amdhsa_float_denorm_mode_32 3
		.amdhsa_float_denorm_mode_16_64 3
		.amdhsa_dx10_clamp 1
		.amdhsa_ieee_mode 1
		.amdhsa_fp16_overflow 0
		.amdhsa_tg_split 0
		.amdhsa_exception_fp_ieee_invalid_op 0
		.amdhsa_exception_fp_denorm_src 0
		.amdhsa_exception_fp_ieee_div_zero 0
		.amdhsa_exception_fp_ieee_overflow 0
		.amdhsa_exception_fp_ieee_underflow 0
		.amdhsa_exception_fp_ieee_inexact 0
		.amdhsa_exception_int_div_zero 0
	.end_amdhsa_kernel
	.section	.text._ZN12_GLOBAL__N_121softmax_warp_backwardIfN3c104HalfEfLi1ELb1ELb0ELi64EEEvPT0_PKT_S7_iiiPKb,"axG",@progbits,_ZN12_GLOBAL__N_121softmax_warp_backwardIfN3c104HalfEfLi1ELb1ELb0ELi64EEEvPT0_PKT_S7_iiiPKb,comdat
.Lfunc_end278:
	.size	_ZN12_GLOBAL__N_121softmax_warp_backwardIfN3c104HalfEfLi1ELb1ELb0ELi64EEEvPT0_PKT_S7_iiiPKb, .Lfunc_end278-_ZN12_GLOBAL__N_121softmax_warp_backwardIfN3c104HalfEfLi1ELb1ELb0ELi64EEEvPT0_PKT_S7_iiiPKb
                                        ; -- End function
	.section	.AMDGPU.csdata,"",@progbits
; Kernel info:
; codeLenInByte = 700
; NumSgprs: 20
; NumVgprs: 12
; NumAgprs: 0
; TotalNumVgprs: 12
; ScratchSize: 0
; MemoryBound: 0
; FloatMode: 240
; IeeeMode: 1
; LDSByteSize: 0 bytes/workgroup (compile time only)
; SGPRBlocks: 2
; VGPRBlocks: 1
; NumSGPRsForWavesPerEU: 20
; NumVGPRsForWavesPerEU: 12
; AccumOffset: 12
; Occupancy: 8
; WaveLimiterHint : 0
; COMPUTE_PGM_RSRC2:SCRATCH_EN: 0
; COMPUTE_PGM_RSRC2:USER_SGPR: 6
; COMPUTE_PGM_RSRC2:TRAP_HANDLER: 0
; COMPUTE_PGM_RSRC2:TGID_X_EN: 1
; COMPUTE_PGM_RSRC2:TGID_Y_EN: 0
; COMPUTE_PGM_RSRC2:TGID_Z_EN: 0
; COMPUTE_PGM_RSRC2:TIDIG_COMP_CNT: 1
; COMPUTE_PGM_RSRC3_GFX90A:ACCUM_OFFSET: 2
; COMPUTE_PGM_RSRC3_GFX90A:TG_SPLIT: 0
	.section	.text._ZN12_GLOBAL__N_121softmax_warp_backwardIfN3c104HalfEfLi1ELb1ELb0ELi32EEEvPT0_PKT_S7_iiiPKb,"axG",@progbits,_ZN12_GLOBAL__N_121softmax_warp_backwardIfN3c104HalfEfLi1ELb1ELb0ELi32EEEvPT0_PKT_S7_iiiPKb,comdat
	.globl	_ZN12_GLOBAL__N_121softmax_warp_backwardIfN3c104HalfEfLi1ELb1ELb0ELi32EEEvPT0_PKT_S7_iiiPKb ; -- Begin function _ZN12_GLOBAL__N_121softmax_warp_backwardIfN3c104HalfEfLi1ELb1ELb0ELi32EEEvPT0_PKT_S7_iiiPKb
	.p2align	8
	.type	_ZN12_GLOBAL__N_121softmax_warp_backwardIfN3c104HalfEfLi1ELb1ELb0ELi32EEEvPT0_PKT_S7_iiiPKb,@function
_ZN12_GLOBAL__N_121softmax_warp_backwardIfN3c104HalfEfLi1ELb1ELb0ELi32EEEvPT0_PKT_S7_iiiPKb: ; @_ZN12_GLOBAL__N_121softmax_warp_backwardIfN3c104HalfEfLi1ELb1ELb0ELi32EEEvPT0_PKT_S7_iiiPKb
; %bb.0:
	s_load_dword s2, s[4:5], 0x3c
	s_load_dwordx4 s[8:11], s[4:5], 0x18
	s_load_dwordx4 s[12:15], s[4:5], 0x0
	s_load_dwordx2 s[0:1], s[4:5], 0x10
	v_bfe_u32 v1, v0, 10, 10
	s_waitcnt lgkmcnt(0)
	s_lshr_b32 s2, s2, 16
	s_mul_i32 s6, s6, s2
	v_add_lshl_u32 v1, s6, v1, 1
	v_sub_u32_e32 v8, s8, v1
	v_mul_lo_u32 v1, v1, s9
	v_and_b32_e32 v9, 1, v0
	v_or_b32_e32 v2, v1, v9
	v_ashrrev_i32_e32 v3, 31, v2
	v_lshlrev_b64 v[0:1], 2, v[2:3]
	v_mov_b32_e32 v5, s15
	v_add_co_u32_e32 v4, vcc, s14, v0
	v_addc_co_u32_e32 v5, vcc, v5, v1, vcc
	v_mov_b32_e32 v7, s1
	v_add_co_u32_e32 v6, vcc, s0, v0
	v_addc_co_u32_e32 v7, vcc, v7, v1, vcc
	v_cmp_gt_i32_e32 vcc, s10, v9
	v_cmp_lt_i32_e64 s[0:1], 0, v8
	s_and_b64 s[4:5], vcc, s[0:1]
	v_mov_b32_e32 v1, 0
	v_mov_b32_e32 v0, 0
	;; [unrolled: 1-line block ×3, first 2 shown]
	s_and_saveexec_b64 s[2:3], s[4:5]
	s_cbranch_execz .LBB279_2
; %bb.1:
	global_load_dword v0, v[4:5], off
	global_load_dword v10, v[6:7], off
.LBB279_2:
	s_or_b64 exec, exec, s[2:3]
	v_cmp_lt_i32_e64 s[2:3], 1, v8
	s_and_b64 s[2:3], vcc, s[2:3]
	s_mov_b32 s11, 0
	v_mov_b32_e32 v9, 0
	s_and_saveexec_b64 s[4:5], s[2:3]
	s_cbranch_execz .LBB279_4
; %bb.3:
	s_lshl_b64 s[6:7], s[10:11], 2
	v_mov_b32_e32 v9, s7
	v_add_co_u32_e64 v4, s[2:3], s6, v4
	v_addc_co_u32_e64 v5, s[2:3], v5, v9, s[2:3]
	global_load_dword v1, v[4:5], off
	v_add_co_u32_e64 v4, s[2:3], s6, v6
	v_addc_co_u32_e64 v5, s[2:3], v7, v9, s[2:3]
	global_load_dword v9, v[4:5], off
.LBB279_4:
	s_or_b64 exec, exec, s[4:5]
	v_mbcnt_lo_u32_b32 v6, -1, 0
	v_mbcnt_hi_u32_b32 v6, -1, v6
	v_and_b32_e32 v11, 0x7e, v6
	v_xor_b32_e32 v7, 1, v6
	v_add_u32_e32 v11, 2, v11
	v_cmp_lt_i32_e64 s[2:3], v7, v11
	v_cndmask_b32_e64 v6, v6, v7, s[2:3]
	s_waitcnt vmcnt(1)
	v_pk_add_f32 v[4:5], v[0:1], 0 op_sel_hi:[1,0]
	v_lshlrev_b32_e32 v7, 2, v6
	ds_bpermute_b32 v6, v7, v4
	ds_bpermute_b32 v7, v7, v5
	s_and_saveexec_b64 s[2:3], s[0:1]
	s_cbranch_execz .LBB279_10
; %bb.5:
	v_lshlrev_b64 v[2:3], 1, v[2:3]
	v_mov_b32_e32 v11, s13
	v_add_co_u32_e64 v2, s[0:1], s12, v2
	v_addc_co_u32_e64 v3, s[0:1], v11, v3, s[0:1]
	s_waitcnt lgkmcnt(0)
	v_pk_add_f32 v[4:5], v[4:5], v[6:7]
	s_and_saveexec_b64 s[2:3], vcc
	s_cbranch_execz .LBB279_7
; %bb.6:
	s_waitcnt vmcnt(0)
	v_mul_f32_e32 v6, 0x3fb8aa3b, v10
	s_mov_b32 s0, 0x3fb8aa3b
	v_rndne_f32_e32 v7, v6
	v_sub_f32_e32 v11, v6, v7
	v_fma_f32 v6, v10, s0, -v6
	v_fmac_f32_e32 v6, 0x32a5705f, v10
	v_add_f32_e32 v6, v11, v6
	v_exp_f32_e32 v6, v6
	v_cvt_i32_f32_e32 v7, v7
	s_mov_b32 s0, 0xc2ce8ed0
	v_cmp_ngt_f32_e64 s[0:1], s0, v10
	v_ldexp_f32 v6, v6, v7
	v_cndmask_b32_e64 v6, 0, v6, s[0:1]
	s_mov_b32 s0, 0x42b17218
	v_mov_b32_e32 v7, 0x7f800000
	v_cmp_nlt_f32_e64 s[0:1], s0, v10
	v_cndmask_b32_e64 v6, v7, v6, s[0:1]
	v_fma_mixlo_f16 v0, -v4, v6, v0
	global_store_short v[2:3], v0, off
.LBB279_7:
	s_or_b64 exec, exec, s[2:3]
	v_cmp_ne_u32_e64 s[0:1], 1, v8
	s_and_b64 exec, exec, s[0:1]
	s_cbranch_execz .LBB279_10
; %bb.8:
	s_and_b64 exec, exec, vcc
	s_cbranch_execz .LBB279_10
; %bb.9:
	s_waitcnt vmcnt(0)
	v_mul_f32_e32 v0, 0x3fb8aa3b, v9
	s_mov_b32 s0, 0x3fb8aa3b
	v_rndne_f32_e32 v4, v0
	v_sub_f32_e32 v6, v0, v4
	v_fma_f32 v0, v9, s0, -v0
	v_fmac_f32_e32 v0, 0x32a5705f, v9
	v_add_f32_e32 v0, v6, v0
	v_exp_f32_e32 v0, v0
	v_cvt_i32_f32_e32 v4, v4
	s_mov_b32 s0, 0xc2ce8ed0
	v_cmp_ngt_f32_e32 vcc, s0, v9
	s_mov_b32 s0, 0x42b17218
	v_ldexp_f32 v0, v0, v4
	v_cndmask_b32_e32 v0, 0, v0, vcc
	v_mov_b32_e32 v4, 0x7f800000
	v_cmp_nlt_f32_e32 vcc, s0, v9
	v_cndmask_b32_e32 v0, v4, v0, vcc
	s_lshl_b64 s[0:1], s[10:11], 1
	v_fma_mixlo_f16 v4, -v5, v0, v1
	v_mov_b32_e32 v1, s1
	v_add_co_u32_e32 v0, vcc, s0, v2
	v_addc_co_u32_e32 v1, vcc, v3, v1, vcc
	global_store_short v[0:1], v4, off
.LBB279_10:
	s_endpgm
	.section	.rodata,"a",@progbits
	.p2align	6, 0x0
	.amdhsa_kernel _ZN12_GLOBAL__N_121softmax_warp_backwardIfN3c104HalfEfLi1ELb1ELb0ELi32EEEvPT0_PKT_S7_iiiPKb
		.amdhsa_group_segment_fixed_size 0
		.amdhsa_private_segment_fixed_size 0
		.amdhsa_kernarg_size 304
		.amdhsa_user_sgpr_count 6
		.amdhsa_user_sgpr_private_segment_buffer 1
		.amdhsa_user_sgpr_dispatch_ptr 0
		.amdhsa_user_sgpr_queue_ptr 0
		.amdhsa_user_sgpr_kernarg_segment_ptr 1
		.amdhsa_user_sgpr_dispatch_id 0
		.amdhsa_user_sgpr_flat_scratch_init 0
		.amdhsa_user_sgpr_kernarg_preload_length 0
		.amdhsa_user_sgpr_kernarg_preload_offset 0
		.amdhsa_user_sgpr_private_segment_size 0
		.amdhsa_uses_dynamic_stack 0
		.amdhsa_system_sgpr_private_segment_wavefront_offset 0
		.amdhsa_system_sgpr_workgroup_id_x 1
		.amdhsa_system_sgpr_workgroup_id_y 0
		.amdhsa_system_sgpr_workgroup_id_z 0
		.amdhsa_system_sgpr_workgroup_info 0
		.amdhsa_system_vgpr_workitem_id 1
		.amdhsa_next_free_vgpr 12
		.amdhsa_next_free_sgpr 16
		.amdhsa_accum_offset 12
		.amdhsa_reserve_vcc 1
		.amdhsa_reserve_flat_scratch 0
		.amdhsa_float_round_mode_32 0
		.amdhsa_float_round_mode_16_64 0
		.amdhsa_float_denorm_mode_32 3
		.amdhsa_float_denorm_mode_16_64 3
		.amdhsa_dx10_clamp 1
		.amdhsa_ieee_mode 1
		.amdhsa_fp16_overflow 0
		.amdhsa_tg_split 0
		.amdhsa_exception_fp_ieee_invalid_op 0
		.amdhsa_exception_fp_denorm_src 0
		.amdhsa_exception_fp_ieee_div_zero 0
		.amdhsa_exception_fp_ieee_overflow 0
		.amdhsa_exception_fp_ieee_underflow 0
		.amdhsa_exception_fp_ieee_inexact 0
		.amdhsa_exception_int_div_zero 0
	.end_amdhsa_kernel
	.section	.text._ZN12_GLOBAL__N_121softmax_warp_backwardIfN3c104HalfEfLi1ELb1ELb0ELi32EEEvPT0_PKT_S7_iiiPKb,"axG",@progbits,_ZN12_GLOBAL__N_121softmax_warp_backwardIfN3c104HalfEfLi1ELb1ELb0ELi32EEEvPT0_PKT_S7_iiiPKb,comdat
.Lfunc_end279:
	.size	_ZN12_GLOBAL__N_121softmax_warp_backwardIfN3c104HalfEfLi1ELb1ELb0ELi32EEEvPT0_PKT_S7_iiiPKb, .Lfunc_end279-_ZN12_GLOBAL__N_121softmax_warp_backwardIfN3c104HalfEfLi1ELb1ELb0ELi32EEEvPT0_PKT_S7_iiiPKb
                                        ; -- End function
	.section	.AMDGPU.csdata,"",@progbits
; Kernel info:
; codeLenInByte = 700
; NumSgprs: 20
; NumVgprs: 12
; NumAgprs: 0
; TotalNumVgprs: 12
; ScratchSize: 0
; MemoryBound: 0
; FloatMode: 240
; IeeeMode: 1
; LDSByteSize: 0 bytes/workgroup (compile time only)
; SGPRBlocks: 2
; VGPRBlocks: 1
; NumSGPRsForWavesPerEU: 20
; NumVGPRsForWavesPerEU: 12
; AccumOffset: 12
; Occupancy: 8
; WaveLimiterHint : 0
; COMPUTE_PGM_RSRC2:SCRATCH_EN: 0
; COMPUTE_PGM_RSRC2:USER_SGPR: 6
; COMPUTE_PGM_RSRC2:TRAP_HANDLER: 0
; COMPUTE_PGM_RSRC2:TGID_X_EN: 1
; COMPUTE_PGM_RSRC2:TGID_Y_EN: 0
; COMPUTE_PGM_RSRC2:TGID_Z_EN: 0
; COMPUTE_PGM_RSRC2:TIDIG_COMP_CNT: 1
; COMPUTE_PGM_RSRC3_GFX90A:ACCUM_OFFSET: 2
; COMPUTE_PGM_RSRC3_GFX90A:TG_SPLIT: 0
	.section	.text._ZN12_GLOBAL__N_121softmax_warp_backwardIfN3c104HalfEfLi2ELb1ELb0ELi64EEEvPT0_PKT_S7_iiiPKb,"axG",@progbits,_ZN12_GLOBAL__N_121softmax_warp_backwardIfN3c104HalfEfLi2ELb1ELb0ELi64EEEvPT0_PKT_S7_iiiPKb,comdat
	.globl	_ZN12_GLOBAL__N_121softmax_warp_backwardIfN3c104HalfEfLi2ELb1ELb0ELi64EEEvPT0_PKT_S7_iiiPKb ; -- Begin function _ZN12_GLOBAL__N_121softmax_warp_backwardIfN3c104HalfEfLi2ELb1ELb0ELi64EEEvPT0_PKT_S7_iiiPKb
	.p2align	8
	.type	_ZN12_GLOBAL__N_121softmax_warp_backwardIfN3c104HalfEfLi2ELb1ELb0ELi64EEEvPT0_PKT_S7_iiiPKb,@function
_ZN12_GLOBAL__N_121softmax_warp_backwardIfN3c104HalfEfLi2ELb1ELb0ELi64EEEvPT0_PKT_S7_iiiPKb: ; @_ZN12_GLOBAL__N_121softmax_warp_backwardIfN3c104HalfEfLi2ELb1ELb0ELi64EEEvPT0_PKT_S7_iiiPKb
; %bb.0:
	s_load_dword s2, s[4:5], 0x3c
	s_load_dwordx4 s[8:11], s[4:5], 0x18
	s_load_dwordx4 s[12:15], s[4:5], 0x0
	s_load_dwordx2 s[0:1], s[4:5], 0x10
	v_bfe_u32 v1, v0, 10, 10
	s_waitcnt lgkmcnt(0)
	s_lshr_b32 s2, s2, 16
	s_mul_i32 s6, s6, s2
	v_add_lshl_u32 v1, s6, v1, 1
	v_and_b32_e32 v0, 3, v0
	v_mad_u64_u32 v[2:3], s[2:3], v1, s9, v[0:1]
	v_ashrrev_i32_e32 v3, 31, v2
	v_lshlrev_b64 v[6:7], 2, v[2:3]
	v_sub_u32_e32 v8, s8, v1
	v_mov_b32_e32 v1, s15
	v_add_co_u32_e32 v4, vcc, s14, v6
	v_addc_co_u32_e32 v5, vcc, v1, v7, vcc
	v_mov_b32_e32 v1, s1
	v_add_co_u32_e32 v6, vcc, s0, v6
	v_addc_co_u32_e32 v7, vcc, v1, v7, vcc
	v_cmp_gt_i32_e32 vcc, s10, v0
	v_cmp_lt_i32_e64 s[0:1], 0, v8
	s_and_b64 s[4:5], vcc, s[0:1]
	v_mov_b32_e32 v1, 0
	v_mov_b32_e32 v0, 0
	v_mov_b32_e32 v10, 0
	s_and_saveexec_b64 s[2:3], s[4:5]
	s_cbranch_execz .LBB280_2
; %bb.1:
	global_load_dword v0, v[4:5], off
	global_load_dword v10, v[6:7], off
.LBB280_2:
	s_or_b64 exec, exec, s[2:3]
	v_cmp_lt_i32_e64 s[2:3], 1, v8
	s_and_b64 s[2:3], vcc, s[2:3]
	s_mov_b32 s11, 0
	v_mov_b32_e32 v9, 0
	s_and_saveexec_b64 s[4:5], s[2:3]
	s_cbranch_execz .LBB280_4
; %bb.3:
	s_lshl_b64 s[6:7], s[10:11], 2
	v_mov_b32_e32 v9, s7
	v_add_co_u32_e64 v4, s[2:3], s6, v4
	v_addc_co_u32_e64 v5, s[2:3], v5, v9, s[2:3]
	global_load_dword v1, v[4:5], off
	v_add_co_u32_e64 v4, s[2:3], s6, v6
	v_addc_co_u32_e64 v5, s[2:3], v7, v9, s[2:3]
	global_load_dword v9, v[4:5], off
.LBB280_4:
	s_or_b64 exec, exec, s[4:5]
	v_mbcnt_lo_u32_b32 v6, -1, 0
	v_mbcnt_hi_u32_b32 v11, -1, v6
	v_and_b32_e32 v6, 0x7c, v11
	v_add_u32_e32 v12, 4, v6
	v_xor_b32_e32 v6, 2, v11
	v_cmp_lt_i32_e64 s[2:3], v6, v12
	v_cndmask_b32_e64 v6, v11, v6, s[2:3]
	s_waitcnt vmcnt(1)
	v_pk_add_f32 v[4:5], v[0:1], 0 op_sel_hi:[1,0]
	v_lshlrev_b32_e32 v7, 2, v6
	ds_bpermute_b32 v6, v7, v4
	ds_bpermute_b32 v7, v7, v5
	v_xor_b32_e32 v13, 1, v11
	v_cmp_lt_i32_e64 s[2:3], v13, v12
	v_cndmask_b32_e64 v11, v11, v13, s[2:3]
	v_lshlrev_b32_e32 v11, 2, v11
	s_waitcnt lgkmcnt(0)
	v_pk_add_f32 v[4:5], v[4:5], v[6:7]
	ds_bpermute_b32 v6, v11, v4
	ds_bpermute_b32 v7, v11, v5
	s_and_saveexec_b64 s[2:3], s[0:1]
	s_cbranch_execz .LBB280_10
; %bb.5:
	v_lshlrev_b64 v[2:3], 1, v[2:3]
	v_mov_b32_e32 v11, s13
	v_add_co_u32_e64 v2, s[0:1], s12, v2
	v_addc_co_u32_e64 v3, s[0:1], v11, v3, s[0:1]
	s_waitcnt lgkmcnt(0)
	v_pk_add_f32 v[4:5], v[4:5], v[6:7]
	s_and_saveexec_b64 s[2:3], vcc
	s_cbranch_execz .LBB280_7
; %bb.6:
	s_waitcnt vmcnt(0)
	v_mul_f32_e32 v6, 0x3fb8aa3b, v10
	s_mov_b32 s0, 0x3fb8aa3b
	v_rndne_f32_e32 v7, v6
	v_sub_f32_e32 v11, v6, v7
	v_fma_f32 v6, v10, s0, -v6
	v_fmac_f32_e32 v6, 0x32a5705f, v10
	v_add_f32_e32 v6, v11, v6
	v_exp_f32_e32 v6, v6
	v_cvt_i32_f32_e32 v7, v7
	s_mov_b32 s0, 0xc2ce8ed0
	v_cmp_ngt_f32_e64 s[0:1], s0, v10
	v_ldexp_f32 v6, v6, v7
	v_cndmask_b32_e64 v6, 0, v6, s[0:1]
	s_mov_b32 s0, 0x42b17218
	v_mov_b32_e32 v7, 0x7f800000
	v_cmp_nlt_f32_e64 s[0:1], s0, v10
	v_cndmask_b32_e64 v6, v7, v6, s[0:1]
	v_fma_mixlo_f16 v0, -v4, v6, v0
	global_store_short v[2:3], v0, off
.LBB280_7:
	s_or_b64 exec, exec, s[2:3]
	v_cmp_ne_u32_e64 s[0:1], 1, v8
	s_and_b64 exec, exec, s[0:1]
	s_cbranch_execz .LBB280_10
; %bb.8:
	s_and_b64 exec, exec, vcc
	s_cbranch_execz .LBB280_10
; %bb.9:
	s_waitcnt vmcnt(0)
	v_mul_f32_e32 v0, 0x3fb8aa3b, v9
	s_mov_b32 s0, 0x3fb8aa3b
	v_rndne_f32_e32 v4, v0
	v_sub_f32_e32 v6, v0, v4
	v_fma_f32 v0, v9, s0, -v0
	v_fmac_f32_e32 v0, 0x32a5705f, v9
	v_add_f32_e32 v0, v6, v0
	v_exp_f32_e32 v0, v0
	v_cvt_i32_f32_e32 v4, v4
	s_mov_b32 s0, 0xc2ce8ed0
	v_cmp_ngt_f32_e32 vcc, s0, v9
	s_mov_b32 s0, 0x42b17218
	v_ldexp_f32 v0, v0, v4
	v_cndmask_b32_e32 v0, 0, v0, vcc
	v_mov_b32_e32 v4, 0x7f800000
	v_cmp_nlt_f32_e32 vcc, s0, v9
	v_cndmask_b32_e32 v0, v4, v0, vcc
	s_lshl_b64 s[0:1], s[10:11], 1
	v_fma_mixlo_f16 v4, -v5, v0, v1
	v_mov_b32_e32 v1, s1
	v_add_co_u32_e32 v0, vcc, s0, v2
	v_addc_co_u32_e32 v1, vcc, v3, v1, vcc
	global_store_short v[0:1], v4, off
.LBB280_10:
	s_endpgm
	.section	.rodata,"a",@progbits
	.p2align	6, 0x0
	.amdhsa_kernel _ZN12_GLOBAL__N_121softmax_warp_backwardIfN3c104HalfEfLi2ELb1ELb0ELi64EEEvPT0_PKT_S7_iiiPKb
		.amdhsa_group_segment_fixed_size 0
		.amdhsa_private_segment_fixed_size 0
		.amdhsa_kernarg_size 304
		.amdhsa_user_sgpr_count 6
		.amdhsa_user_sgpr_private_segment_buffer 1
		.amdhsa_user_sgpr_dispatch_ptr 0
		.amdhsa_user_sgpr_queue_ptr 0
		.amdhsa_user_sgpr_kernarg_segment_ptr 1
		.amdhsa_user_sgpr_dispatch_id 0
		.amdhsa_user_sgpr_flat_scratch_init 0
		.amdhsa_user_sgpr_kernarg_preload_length 0
		.amdhsa_user_sgpr_kernarg_preload_offset 0
		.amdhsa_user_sgpr_private_segment_size 0
		.amdhsa_uses_dynamic_stack 0
		.amdhsa_system_sgpr_private_segment_wavefront_offset 0
		.amdhsa_system_sgpr_workgroup_id_x 1
		.amdhsa_system_sgpr_workgroup_id_y 0
		.amdhsa_system_sgpr_workgroup_id_z 0
		.amdhsa_system_sgpr_workgroup_info 0
		.amdhsa_system_vgpr_workitem_id 1
		.amdhsa_next_free_vgpr 14
		.amdhsa_next_free_sgpr 16
		.amdhsa_accum_offset 16
		.amdhsa_reserve_vcc 1
		.amdhsa_reserve_flat_scratch 0
		.amdhsa_float_round_mode_32 0
		.amdhsa_float_round_mode_16_64 0
		.amdhsa_float_denorm_mode_32 3
		.amdhsa_float_denorm_mode_16_64 3
		.amdhsa_dx10_clamp 1
		.amdhsa_ieee_mode 1
		.amdhsa_fp16_overflow 0
		.amdhsa_tg_split 0
		.amdhsa_exception_fp_ieee_invalid_op 0
		.amdhsa_exception_fp_denorm_src 0
		.amdhsa_exception_fp_ieee_div_zero 0
		.amdhsa_exception_fp_ieee_overflow 0
		.amdhsa_exception_fp_ieee_underflow 0
		.amdhsa_exception_fp_ieee_inexact 0
		.amdhsa_exception_int_div_zero 0
	.end_amdhsa_kernel
	.section	.text._ZN12_GLOBAL__N_121softmax_warp_backwardIfN3c104HalfEfLi2ELb1ELb0ELi64EEEvPT0_PKT_S7_iiiPKb,"axG",@progbits,_ZN12_GLOBAL__N_121softmax_warp_backwardIfN3c104HalfEfLi2ELb1ELb0ELi64EEEvPT0_PKT_S7_iiiPKb,comdat
.Lfunc_end280:
	.size	_ZN12_GLOBAL__N_121softmax_warp_backwardIfN3c104HalfEfLi2ELb1ELb0ELi64EEEvPT0_PKT_S7_iiiPKb, .Lfunc_end280-_ZN12_GLOBAL__N_121softmax_warp_backwardIfN3c104HalfEfLi2ELb1ELb0ELi64EEEvPT0_PKT_S7_iiiPKb
                                        ; -- End function
	.section	.AMDGPU.csdata,"",@progbits
; Kernel info:
; codeLenInByte = 748
; NumSgprs: 20
; NumVgprs: 14
; NumAgprs: 0
; TotalNumVgprs: 14
; ScratchSize: 0
; MemoryBound: 0
; FloatMode: 240
; IeeeMode: 1
; LDSByteSize: 0 bytes/workgroup (compile time only)
; SGPRBlocks: 2
; VGPRBlocks: 1
; NumSGPRsForWavesPerEU: 20
; NumVGPRsForWavesPerEU: 14
; AccumOffset: 16
; Occupancy: 8
; WaveLimiterHint : 0
; COMPUTE_PGM_RSRC2:SCRATCH_EN: 0
; COMPUTE_PGM_RSRC2:USER_SGPR: 6
; COMPUTE_PGM_RSRC2:TRAP_HANDLER: 0
; COMPUTE_PGM_RSRC2:TGID_X_EN: 1
; COMPUTE_PGM_RSRC2:TGID_Y_EN: 0
; COMPUTE_PGM_RSRC2:TGID_Z_EN: 0
; COMPUTE_PGM_RSRC2:TIDIG_COMP_CNT: 1
; COMPUTE_PGM_RSRC3_GFX90A:ACCUM_OFFSET: 3
; COMPUTE_PGM_RSRC3_GFX90A:TG_SPLIT: 0
	.section	.text._ZN12_GLOBAL__N_121softmax_warp_backwardIfN3c104HalfEfLi2ELb1ELb0ELi32EEEvPT0_PKT_S7_iiiPKb,"axG",@progbits,_ZN12_GLOBAL__N_121softmax_warp_backwardIfN3c104HalfEfLi2ELb1ELb0ELi32EEEvPT0_PKT_S7_iiiPKb,comdat
	.globl	_ZN12_GLOBAL__N_121softmax_warp_backwardIfN3c104HalfEfLi2ELb1ELb0ELi32EEEvPT0_PKT_S7_iiiPKb ; -- Begin function _ZN12_GLOBAL__N_121softmax_warp_backwardIfN3c104HalfEfLi2ELb1ELb0ELi32EEEvPT0_PKT_S7_iiiPKb
	.p2align	8
	.type	_ZN12_GLOBAL__N_121softmax_warp_backwardIfN3c104HalfEfLi2ELb1ELb0ELi32EEEvPT0_PKT_S7_iiiPKb,@function
_ZN12_GLOBAL__N_121softmax_warp_backwardIfN3c104HalfEfLi2ELb1ELb0ELi32EEEvPT0_PKT_S7_iiiPKb: ; @_ZN12_GLOBAL__N_121softmax_warp_backwardIfN3c104HalfEfLi2ELb1ELb0ELi32EEEvPT0_PKT_S7_iiiPKb
; %bb.0:
	s_load_dword s2, s[4:5], 0x3c
	s_load_dwordx4 s[8:11], s[4:5], 0x18
	s_load_dwordx4 s[12:15], s[4:5], 0x0
	s_load_dwordx2 s[0:1], s[4:5], 0x10
	v_bfe_u32 v1, v0, 10, 10
	s_waitcnt lgkmcnt(0)
	s_lshr_b32 s2, s2, 16
	s_mul_i32 s6, s6, s2
	v_add_lshl_u32 v1, s6, v1, 1
	v_and_b32_e32 v0, 3, v0
	v_mad_u64_u32 v[2:3], s[2:3], v1, s9, v[0:1]
	v_ashrrev_i32_e32 v3, 31, v2
	v_lshlrev_b64 v[6:7], 2, v[2:3]
	v_sub_u32_e32 v8, s8, v1
	v_mov_b32_e32 v1, s15
	v_add_co_u32_e32 v4, vcc, s14, v6
	v_addc_co_u32_e32 v5, vcc, v1, v7, vcc
	v_mov_b32_e32 v1, s1
	v_add_co_u32_e32 v6, vcc, s0, v6
	v_addc_co_u32_e32 v7, vcc, v1, v7, vcc
	v_cmp_gt_i32_e32 vcc, s10, v0
	v_cmp_lt_i32_e64 s[0:1], 0, v8
	s_and_b64 s[4:5], vcc, s[0:1]
	v_mov_b32_e32 v1, 0
	v_mov_b32_e32 v0, 0
	;; [unrolled: 1-line block ×3, first 2 shown]
	s_and_saveexec_b64 s[2:3], s[4:5]
	s_cbranch_execz .LBB281_2
; %bb.1:
	global_load_dword v0, v[4:5], off
	global_load_dword v10, v[6:7], off
.LBB281_2:
	s_or_b64 exec, exec, s[2:3]
	v_cmp_lt_i32_e64 s[2:3], 1, v8
	s_and_b64 s[2:3], vcc, s[2:3]
	s_mov_b32 s11, 0
	v_mov_b32_e32 v9, 0
	s_and_saveexec_b64 s[4:5], s[2:3]
	s_cbranch_execz .LBB281_4
; %bb.3:
	s_lshl_b64 s[6:7], s[10:11], 2
	v_mov_b32_e32 v9, s7
	v_add_co_u32_e64 v4, s[2:3], s6, v4
	v_addc_co_u32_e64 v5, s[2:3], v5, v9, s[2:3]
	global_load_dword v1, v[4:5], off
	v_add_co_u32_e64 v4, s[2:3], s6, v6
	v_addc_co_u32_e64 v5, s[2:3], v7, v9, s[2:3]
	global_load_dword v9, v[4:5], off
.LBB281_4:
	s_or_b64 exec, exec, s[4:5]
	v_mbcnt_lo_u32_b32 v6, -1, 0
	v_mbcnt_hi_u32_b32 v11, -1, v6
	v_and_b32_e32 v6, 0x7c, v11
	v_add_u32_e32 v12, 4, v6
	v_xor_b32_e32 v6, 2, v11
	v_cmp_lt_i32_e64 s[2:3], v6, v12
	v_cndmask_b32_e64 v6, v11, v6, s[2:3]
	s_waitcnt vmcnt(1)
	v_pk_add_f32 v[4:5], v[0:1], 0 op_sel_hi:[1,0]
	v_lshlrev_b32_e32 v7, 2, v6
	ds_bpermute_b32 v6, v7, v4
	ds_bpermute_b32 v7, v7, v5
	v_xor_b32_e32 v13, 1, v11
	v_cmp_lt_i32_e64 s[2:3], v13, v12
	v_cndmask_b32_e64 v11, v11, v13, s[2:3]
	v_lshlrev_b32_e32 v11, 2, v11
	s_waitcnt lgkmcnt(0)
	v_pk_add_f32 v[4:5], v[4:5], v[6:7]
	ds_bpermute_b32 v6, v11, v4
	ds_bpermute_b32 v7, v11, v5
	s_and_saveexec_b64 s[2:3], s[0:1]
	s_cbranch_execz .LBB281_10
; %bb.5:
	v_lshlrev_b64 v[2:3], 1, v[2:3]
	v_mov_b32_e32 v11, s13
	v_add_co_u32_e64 v2, s[0:1], s12, v2
	v_addc_co_u32_e64 v3, s[0:1], v11, v3, s[0:1]
	s_waitcnt lgkmcnt(0)
	v_pk_add_f32 v[4:5], v[4:5], v[6:7]
	s_and_saveexec_b64 s[2:3], vcc
	s_cbranch_execz .LBB281_7
; %bb.6:
	s_waitcnt vmcnt(0)
	v_mul_f32_e32 v6, 0x3fb8aa3b, v10
	s_mov_b32 s0, 0x3fb8aa3b
	v_rndne_f32_e32 v7, v6
	v_sub_f32_e32 v11, v6, v7
	v_fma_f32 v6, v10, s0, -v6
	v_fmac_f32_e32 v6, 0x32a5705f, v10
	v_add_f32_e32 v6, v11, v6
	v_exp_f32_e32 v6, v6
	v_cvt_i32_f32_e32 v7, v7
	s_mov_b32 s0, 0xc2ce8ed0
	v_cmp_ngt_f32_e64 s[0:1], s0, v10
	v_ldexp_f32 v6, v6, v7
	v_cndmask_b32_e64 v6, 0, v6, s[0:1]
	s_mov_b32 s0, 0x42b17218
	v_mov_b32_e32 v7, 0x7f800000
	v_cmp_nlt_f32_e64 s[0:1], s0, v10
	v_cndmask_b32_e64 v6, v7, v6, s[0:1]
	v_fma_mixlo_f16 v0, -v4, v6, v0
	global_store_short v[2:3], v0, off
.LBB281_7:
	s_or_b64 exec, exec, s[2:3]
	v_cmp_ne_u32_e64 s[0:1], 1, v8
	s_and_b64 exec, exec, s[0:1]
	s_cbranch_execz .LBB281_10
; %bb.8:
	s_and_b64 exec, exec, vcc
	s_cbranch_execz .LBB281_10
; %bb.9:
	s_waitcnt vmcnt(0)
	v_mul_f32_e32 v0, 0x3fb8aa3b, v9
	s_mov_b32 s0, 0x3fb8aa3b
	v_rndne_f32_e32 v4, v0
	v_sub_f32_e32 v6, v0, v4
	v_fma_f32 v0, v9, s0, -v0
	v_fmac_f32_e32 v0, 0x32a5705f, v9
	v_add_f32_e32 v0, v6, v0
	v_exp_f32_e32 v0, v0
	v_cvt_i32_f32_e32 v4, v4
	s_mov_b32 s0, 0xc2ce8ed0
	v_cmp_ngt_f32_e32 vcc, s0, v9
	s_mov_b32 s0, 0x42b17218
	v_ldexp_f32 v0, v0, v4
	v_cndmask_b32_e32 v0, 0, v0, vcc
	v_mov_b32_e32 v4, 0x7f800000
	v_cmp_nlt_f32_e32 vcc, s0, v9
	v_cndmask_b32_e32 v0, v4, v0, vcc
	s_lshl_b64 s[0:1], s[10:11], 1
	v_fma_mixlo_f16 v4, -v5, v0, v1
	v_mov_b32_e32 v1, s1
	v_add_co_u32_e32 v0, vcc, s0, v2
	v_addc_co_u32_e32 v1, vcc, v3, v1, vcc
	global_store_short v[0:1], v4, off
.LBB281_10:
	s_endpgm
	.section	.rodata,"a",@progbits
	.p2align	6, 0x0
	.amdhsa_kernel _ZN12_GLOBAL__N_121softmax_warp_backwardIfN3c104HalfEfLi2ELb1ELb0ELi32EEEvPT0_PKT_S7_iiiPKb
		.amdhsa_group_segment_fixed_size 0
		.amdhsa_private_segment_fixed_size 0
		.amdhsa_kernarg_size 304
		.amdhsa_user_sgpr_count 6
		.amdhsa_user_sgpr_private_segment_buffer 1
		.amdhsa_user_sgpr_dispatch_ptr 0
		.amdhsa_user_sgpr_queue_ptr 0
		.amdhsa_user_sgpr_kernarg_segment_ptr 1
		.amdhsa_user_sgpr_dispatch_id 0
		.amdhsa_user_sgpr_flat_scratch_init 0
		.amdhsa_user_sgpr_kernarg_preload_length 0
		.amdhsa_user_sgpr_kernarg_preload_offset 0
		.amdhsa_user_sgpr_private_segment_size 0
		.amdhsa_uses_dynamic_stack 0
		.amdhsa_system_sgpr_private_segment_wavefront_offset 0
		.amdhsa_system_sgpr_workgroup_id_x 1
		.amdhsa_system_sgpr_workgroup_id_y 0
		.amdhsa_system_sgpr_workgroup_id_z 0
		.amdhsa_system_sgpr_workgroup_info 0
		.amdhsa_system_vgpr_workitem_id 1
		.amdhsa_next_free_vgpr 14
		.amdhsa_next_free_sgpr 16
		.amdhsa_accum_offset 16
		.amdhsa_reserve_vcc 1
		.amdhsa_reserve_flat_scratch 0
		.amdhsa_float_round_mode_32 0
		.amdhsa_float_round_mode_16_64 0
		.amdhsa_float_denorm_mode_32 3
		.amdhsa_float_denorm_mode_16_64 3
		.amdhsa_dx10_clamp 1
		.amdhsa_ieee_mode 1
		.amdhsa_fp16_overflow 0
		.amdhsa_tg_split 0
		.amdhsa_exception_fp_ieee_invalid_op 0
		.amdhsa_exception_fp_denorm_src 0
		.amdhsa_exception_fp_ieee_div_zero 0
		.amdhsa_exception_fp_ieee_overflow 0
		.amdhsa_exception_fp_ieee_underflow 0
		.amdhsa_exception_fp_ieee_inexact 0
		.amdhsa_exception_int_div_zero 0
	.end_amdhsa_kernel
	.section	.text._ZN12_GLOBAL__N_121softmax_warp_backwardIfN3c104HalfEfLi2ELb1ELb0ELi32EEEvPT0_PKT_S7_iiiPKb,"axG",@progbits,_ZN12_GLOBAL__N_121softmax_warp_backwardIfN3c104HalfEfLi2ELb1ELb0ELi32EEEvPT0_PKT_S7_iiiPKb,comdat
.Lfunc_end281:
	.size	_ZN12_GLOBAL__N_121softmax_warp_backwardIfN3c104HalfEfLi2ELb1ELb0ELi32EEEvPT0_PKT_S7_iiiPKb, .Lfunc_end281-_ZN12_GLOBAL__N_121softmax_warp_backwardIfN3c104HalfEfLi2ELb1ELb0ELi32EEEvPT0_PKT_S7_iiiPKb
                                        ; -- End function
	.section	.AMDGPU.csdata,"",@progbits
; Kernel info:
; codeLenInByte = 748
; NumSgprs: 20
; NumVgprs: 14
; NumAgprs: 0
; TotalNumVgprs: 14
; ScratchSize: 0
; MemoryBound: 0
; FloatMode: 240
; IeeeMode: 1
; LDSByteSize: 0 bytes/workgroup (compile time only)
; SGPRBlocks: 2
; VGPRBlocks: 1
; NumSGPRsForWavesPerEU: 20
; NumVGPRsForWavesPerEU: 14
; AccumOffset: 16
; Occupancy: 8
; WaveLimiterHint : 0
; COMPUTE_PGM_RSRC2:SCRATCH_EN: 0
; COMPUTE_PGM_RSRC2:USER_SGPR: 6
; COMPUTE_PGM_RSRC2:TRAP_HANDLER: 0
; COMPUTE_PGM_RSRC2:TGID_X_EN: 1
; COMPUTE_PGM_RSRC2:TGID_Y_EN: 0
; COMPUTE_PGM_RSRC2:TGID_Z_EN: 0
; COMPUTE_PGM_RSRC2:TIDIG_COMP_CNT: 1
; COMPUTE_PGM_RSRC3_GFX90A:ACCUM_OFFSET: 3
; COMPUTE_PGM_RSRC3_GFX90A:TG_SPLIT: 0
	.section	.text._ZN12_GLOBAL__N_121softmax_warp_backwardIfN3c104HalfEfLi3ELb1ELb0ELi64EEEvPT0_PKT_S7_iiiPKb,"axG",@progbits,_ZN12_GLOBAL__N_121softmax_warp_backwardIfN3c104HalfEfLi3ELb1ELb0ELi64EEEvPT0_PKT_S7_iiiPKb,comdat
	.globl	_ZN12_GLOBAL__N_121softmax_warp_backwardIfN3c104HalfEfLi3ELb1ELb0ELi64EEEvPT0_PKT_S7_iiiPKb ; -- Begin function _ZN12_GLOBAL__N_121softmax_warp_backwardIfN3c104HalfEfLi3ELb1ELb0ELi64EEEvPT0_PKT_S7_iiiPKb
	.p2align	8
	.type	_ZN12_GLOBAL__N_121softmax_warp_backwardIfN3c104HalfEfLi3ELb1ELb0ELi64EEEvPT0_PKT_S7_iiiPKb,@function
_ZN12_GLOBAL__N_121softmax_warp_backwardIfN3c104HalfEfLi3ELb1ELb0ELi64EEEvPT0_PKT_S7_iiiPKb: ; @_ZN12_GLOBAL__N_121softmax_warp_backwardIfN3c104HalfEfLi3ELb1ELb0ELi64EEEvPT0_PKT_S7_iiiPKb
; %bb.0:
	s_load_dword s2, s[4:5], 0x3c
	s_load_dwordx4 s[8:11], s[4:5], 0x18
	s_load_dwordx4 s[12:15], s[4:5], 0x0
	s_load_dwordx2 s[0:1], s[4:5], 0x10
	v_bfe_u32 v1, v0, 10, 10
	s_waitcnt lgkmcnt(0)
	s_lshr_b32 s2, s2, 16
	s_mul_i32 s6, s6, s2
	v_add_lshl_u32 v1, s6, v1, 1
	v_and_b32_e32 v0, 7, v0
	v_mad_u64_u32 v[2:3], s[2:3], v1, s9, v[0:1]
	v_ashrrev_i32_e32 v3, 31, v2
	v_lshlrev_b64 v[6:7], 2, v[2:3]
	v_sub_u32_e32 v8, s8, v1
	v_mov_b32_e32 v1, s15
	v_add_co_u32_e32 v4, vcc, s14, v6
	v_addc_co_u32_e32 v5, vcc, v1, v7, vcc
	v_mov_b32_e32 v1, s1
	v_add_co_u32_e32 v6, vcc, s0, v6
	v_addc_co_u32_e32 v7, vcc, v1, v7, vcc
	v_cmp_gt_i32_e32 vcc, s10, v0
	v_cmp_lt_i32_e64 s[0:1], 0, v8
	s_and_b64 s[4:5], vcc, s[0:1]
	v_mov_b32_e32 v1, 0
	v_mov_b32_e32 v0, 0
	;; [unrolled: 1-line block ×3, first 2 shown]
	s_and_saveexec_b64 s[2:3], s[4:5]
	s_cbranch_execz .LBB282_2
; %bb.1:
	global_load_dword v0, v[4:5], off
	global_load_dword v10, v[6:7], off
.LBB282_2:
	s_or_b64 exec, exec, s[2:3]
	v_cmp_lt_i32_e64 s[2:3], 1, v8
	s_and_b64 s[2:3], vcc, s[2:3]
	s_mov_b32 s11, 0
	v_mov_b32_e32 v9, 0
	s_and_saveexec_b64 s[4:5], s[2:3]
	s_cbranch_execz .LBB282_4
; %bb.3:
	s_lshl_b64 s[6:7], s[10:11], 2
	v_mov_b32_e32 v9, s7
	v_add_co_u32_e64 v4, s[2:3], s6, v4
	v_addc_co_u32_e64 v5, s[2:3], v5, v9, s[2:3]
	global_load_dword v1, v[4:5], off
	v_add_co_u32_e64 v4, s[2:3], s6, v6
	v_addc_co_u32_e64 v5, s[2:3], v7, v9, s[2:3]
	global_load_dword v9, v[4:5], off
.LBB282_4:
	s_or_b64 exec, exec, s[4:5]
	v_mbcnt_lo_u32_b32 v6, -1, 0
	v_mbcnt_hi_u32_b32 v11, -1, v6
	v_and_b32_e32 v6, 0x78, v11
	v_add_u32_e32 v12, 8, v6
	v_xor_b32_e32 v6, 4, v11
	v_cmp_lt_i32_e64 s[2:3], v6, v12
	v_cndmask_b32_e64 v6, v11, v6, s[2:3]
	s_waitcnt vmcnt(1)
	v_pk_add_f32 v[4:5], v[0:1], 0 op_sel_hi:[1,0]
	v_lshlrev_b32_e32 v7, 2, v6
	ds_bpermute_b32 v6, v7, v4
	ds_bpermute_b32 v7, v7, v5
	v_xor_b32_e32 v13, 2, v11
	v_cmp_lt_i32_e64 s[2:3], v13, v12
	v_cndmask_b32_e64 v13, v11, v13, s[2:3]
	v_lshlrev_b32_e32 v13, 2, v13
	s_waitcnt lgkmcnt(0)
	v_pk_add_f32 v[4:5], v[4:5], v[6:7]
	ds_bpermute_b32 v6, v13, v4
	ds_bpermute_b32 v7, v13, v5
	v_xor_b32_e32 v13, 1, v11
	v_cmp_lt_i32_e64 s[2:3], v13, v12
	v_cndmask_b32_e64 v11, v11, v13, s[2:3]
	v_lshlrev_b32_e32 v11, 2, v11
	s_waitcnt lgkmcnt(0)
	v_pk_add_f32 v[4:5], v[4:5], v[6:7]
	ds_bpermute_b32 v6, v11, v4
	ds_bpermute_b32 v7, v11, v5
	s_and_saveexec_b64 s[2:3], s[0:1]
	s_cbranch_execz .LBB282_10
; %bb.5:
	v_lshlrev_b64 v[2:3], 1, v[2:3]
	v_mov_b32_e32 v11, s13
	v_add_co_u32_e64 v2, s[0:1], s12, v2
	v_addc_co_u32_e64 v3, s[0:1], v11, v3, s[0:1]
	s_waitcnt lgkmcnt(0)
	v_pk_add_f32 v[4:5], v[4:5], v[6:7]
	s_and_saveexec_b64 s[2:3], vcc
	s_cbranch_execz .LBB282_7
; %bb.6:
	s_waitcnt vmcnt(0)
	v_mul_f32_e32 v6, 0x3fb8aa3b, v10
	s_mov_b32 s0, 0x3fb8aa3b
	v_rndne_f32_e32 v7, v6
	v_sub_f32_e32 v11, v6, v7
	v_fma_f32 v6, v10, s0, -v6
	v_fmac_f32_e32 v6, 0x32a5705f, v10
	v_add_f32_e32 v6, v11, v6
	v_exp_f32_e32 v6, v6
	v_cvt_i32_f32_e32 v7, v7
	s_mov_b32 s0, 0xc2ce8ed0
	v_cmp_ngt_f32_e64 s[0:1], s0, v10
	v_ldexp_f32 v6, v6, v7
	v_cndmask_b32_e64 v6, 0, v6, s[0:1]
	s_mov_b32 s0, 0x42b17218
	v_mov_b32_e32 v7, 0x7f800000
	v_cmp_nlt_f32_e64 s[0:1], s0, v10
	v_cndmask_b32_e64 v6, v7, v6, s[0:1]
	v_fma_mixlo_f16 v0, -v4, v6, v0
	global_store_short v[2:3], v0, off
.LBB282_7:
	s_or_b64 exec, exec, s[2:3]
	v_cmp_ne_u32_e64 s[0:1], 1, v8
	s_and_b64 exec, exec, s[0:1]
	s_cbranch_execz .LBB282_10
; %bb.8:
	s_and_b64 exec, exec, vcc
	s_cbranch_execz .LBB282_10
; %bb.9:
	s_waitcnt vmcnt(0)
	v_mul_f32_e32 v0, 0x3fb8aa3b, v9
	s_mov_b32 s0, 0x3fb8aa3b
	v_rndne_f32_e32 v4, v0
	v_sub_f32_e32 v6, v0, v4
	v_fma_f32 v0, v9, s0, -v0
	v_fmac_f32_e32 v0, 0x32a5705f, v9
	v_add_f32_e32 v0, v6, v0
	v_exp_f32_e32 v0, v0
	v_cvt_i32_f32_e32 v4, v4
	s_mov_b32 s0, 0xc2ce8ed0
	v_cmp_ngt_f32_e32 vcc, s0, v9
	s_mov_b32 s0, 0x42b17218
	v_ldexp_f32 v0, v0, v4
	v_cndmask_b32_e32 v0, 0, v0, vcc
	v_mov_b32_e32 v4, 0x7f800000
	v_cmp_nlt_f32_e32 vcc, s0, v9
	v_cndmask_b32_e32 v0, v4, v0, vcc
	s_lshl_b64 s[0:1], s[10:11], 1
	v_fma_mixlo_f16 v4, -v5, v0, v1
	v_mov_b32_e32 v1, s1
	v_add_co_u32_e32 v0, vcc, s0, v2
	v_addc_co_u32_e32 v1, vcc, v3, v1, vcc
	global_store_short v[0:1], v4, off
.LBB282_10:
	s_endpgm
	.section	.rodata,"a",@progbits
	.p2align	6, 0x0
	.amdhsa_kernel _ZN12_GLOBAL__N_121softmax_warp_backwardIfN3c104HalfEfLi3ELb1ELb0ELi64EEEvPT0_PKT_S7_iiiPKb
		.amdhsa_group_segment_fixed_size 0
		.amdhsa_private_segment_fixed_size 0
		.amdhsa_kernarg_size 304
		.amdhsa_user_sgpr_count 6
		.amdhsa_user_sgpr_private_segment_buffer 1
		.amdhsa_user_sgpr_dispatch_ptr 0
		.amdhsa_user_sgpr_queue_ptr 0
		.amdhsa_user_sgpr_kernarg_segment_ptr 1
		.amdhsa_user_sgpr_dispatch_id 0
		.amdhsa_user_sgpr_flat_scratch_init 0
		.amdhsa_user_sgpr_kernarg_preload_length 0
		.amdhsa_user_sgpr_kernarg_preload_offset 0
		.amdhsa_user_sgpr_private_segment_size 0
		.amdhsa_uses_dynamic_stack 0
		.amdhsa_system_sgpr_private_segment_wavefront_offset 0
		.amdhsa_system_sgpr_workgroup_id_x 1
		.amdhsa_system_sgpr_workgroup_id_y 0
		.amdhsa_system_sgpr_workgroup_id_z 0
		.amdhsa_system_sgpr_workgroup_info 0
		.amdhsa_system_vgpr_workitem_id 1
		.amdhsa_next_free_vgpr 14
		.amdhsa_next_free_sgpr 16
		.amdhsa_accum_offset 16
		.amdhsa_reserve_vcc 1
		.amdhsa_reserve_flat_scratch 0
		.amdhsa_float_round_mode_32 0
		.amdhsa_float_round_mode_16_64 0
		.amdhsa_float_denorm_mode_32 3
		.amdhsa_float_denorm_mode_16_64 3
		.amdhsa_dx10_clamp 1
		.amdhsa_ieee_mode 1
		.amdhsa_fp16_overflow 0
		.amdhsa_tg_split 0
		.amdhsa_exception_fp_ieee_invalid_op 0
		.amdhsa_exception_fp_denorm_src 0
		.amdhsa_exception_fp_ieee_div_zero 0
		.amdhsa_exception_fp_ieee_overflow 0
		.amdhsa_exception_fp_ieee_underflow 0
		.amdhsa_exception_fp_ieee_inexact 0
		.amdhsa_exception_int_div_zero 0
	.end_amdhsa_kernel
	.section	.text._ZN12_GLOBAL__N_121softmax_warp_backwardIfN3c104HalfEfLi3ELb1ELb0ELi64EEEvPT0_PKT_S7_iiiPKb,"axG",@progbits,_ZN12_GLOBAL__N_121softmax_warp_backwardIfN3c104HalfEfLi3ELb1ELb0ELi64EEEvPT0_PKT_S7_iiiPKb,comdat
.Lfunc_end282:
	.size	_ZN12_GLOBAL__N_121softmax_warp_backwardIfN3c104HalfEfLi3ELb1ELb0ELi64EEEvPT0_PKT_S7_iiiPKb, .Lfunc_end282-_ZN12_GLOBAL__N_121softmax_warp_backwardIfN3c104HalfEfLi3ELb1ELb0ELi64EEEvPT0_PKT_S7_iiiPKb
                                        ; -- End function
	.section	.AMDGPU.csdata,"",@progbits
; Kernel info:
; codeLenInByte = 800
; NumSgprs: 20
; NumVgprs: 14
; NumAgprs: 0
; TotalNumVgprs: 14
; ScratchSize: 0
; MemoryBound: 0
; FloatMode: 240
; IeeeMode: 1
; LDSByteSize: 0 bytes/workgroup (compile time only)
; SGPRBlocks: 2
; VGPRBlocks: 1
; NumSGPRsForWavesPerEU: 20
; NumVGPRsForWavesPerEU: 14
; AccumOffset: 16
; Occupancy: 8
; WaveLimiterHint : 0
; COMPUTE_PGM_RSRC2:SCRATCH_EN: 0
; COMPUTE_PGM_RSRC2:USER_SGPR: 6
; COMPUTE_PGM_RSRC2:TRAP_HANDLER: 0
; COMPUTE_PGM_RSRC2:TGID_X_EN: 1
; COMPUTE_PGM_RSRC2:TGID_Y_EN: 0
; COMPUTE_PGM_RSRC2:TGID_Z_EN: 0
; COMPUTE_PGM_RSRC2:TIDIG_COMP_CNT: 1
; COMPUTE_PGM_RSRC3_GFX90A:ACCUM_OFFSET: 3
; COMPUTE_PGM_RSRC3_GFX90A:TG_SPLIT: 0
	.section	.text._ZN12_GLOBAL__N_121softmax_warp_backwardIfN3c104HalfEfLi3ELb1ELb0ELi32EEEvPT0_PKT_S7_iiiPKb,"axG",@progbits,_ZN12_GLOBAL__N_121softmax_warp_backwardIfN3c104HalfEfLi3ELb1ELb0ELi32EEEvPT0_PKT_S7_iiiPKb,comdat
	.globl	_ZN12_GLOBAL__N_121softmax_warp_backwardIfN3c104HalfEfLi3ELb1ELb0ELi32EEEvPT0_PKT_S7_iiiPKb ; -- Begin function _ZN12_GLOBAL__N_121softmax_warp_backwardIfN3c104HalfEfLi3ELb1ELb0ELi32EEEvPT0_PKT_S7_iiiPKb
	.p2align	8
	.type	_ZN12_GLOBAL__N_121softmax_warp_backwardIfN3c104HalfEfLi3ELb1ELb0ELi32EEEvPT0_PKT_S7_iiiPKb,@function
_ZN12_GLOBAL__N_121softmax_warp_backwardIfN3c104HalfEfLi3ELb1ELb0ELi32EEEvPT0_PKT_S7_iiiPKb: ; @_ZN12_GLOBAL__N_121softmax_warp_backwardIfN3c104HalfEfLi3ELb1ELb0ELi32EEEvPT0_PKT_S7_iiiPKb
; %bb.0:
	s_load_dword s2, s[4:5], 0x3c
	s_load_dwordx4 s[8:11], s[4:5], 0x18
	s_load_dwordx4 s[12:15], s[4:5], 0x0
	s_load_dwordx2 s[0:1], s[4:5], 0x10
	v_bfe_u32 v1, v0, 10, 10
	s_waitcnt lgkmcnt(0)
	s_lshr_b32 s2, s2, 16
	s_mul_i32 s6, s6, s2
	v_add_lshl_u32 v1, s6, v1, 1
	v_and_b32_e32 v0, 7, v0
	v_mad_u64_u32 v[2:3], s[2:3], v1, s9, v[0:1]
	v_ashrrev_i32_e32 v3, 31, v2
	v_lshlrev_b64 v[6:7], 2, v[2:3]
	v_sub_u32_e32 v8, s8, v1
	v_mov_b32_e32 v1, s15
	v_add_co_u32_e32 v4, vcc, s14, v6
	v_addc_co_u32_e32 v5, vcc, v1, v7, vcc
	v_mov_b32_e32 v1, s1
	v_add_co_u32_e32 v6, vcc, s0, v6
	v_addc_co_u32_e32 v7, vcc, v1, v7, vcc
	v_cmp_gt_i32_e32 vcc, s10, v0
	v_cmp_lt_i32_e64 s[0:1], 0, v8
	s_and_b64 s[4:5], vcc, s[0:1]
	v_mov_b32_e32 v1, 0
	v_mov_b32_e32 v0, 0
	;; [unrolled: 1-line block ×3, first 2 shown]
	s_and_saveexec_b64 s[2:3], s[4:5]
	s_cbranch_execz .LBB283_2
; %bb.1:
	global_load_dword v0, v[4:5], off
	global_load_dword v10, v[6:7], off
.LBB283_2:
	s_or_b64 exec, exec, s[2:3]
	v_cmp_lt_i32_e64 s[2:3], 1, v8
	s_and_b64 s[2:3], vcc, s[2:3]
	s_mov_b32 s11, 0
	v_mov_b32_e32 v9, 0
	s_and_saveexec_b64 s[4:5], s[2:3]
	s_cbranch_execz .LBB283_4
; %bb.3:
	s_lshl_b64 s[6:7], s[10:11], 2
	v_mov_b32_e32 v9, s7
	v_add_co_u32_e64 v4, s[2:3], s6, v4
	v_addc_co_u32_e64 v5, s[2:3], v5, v9, s[2:3]
	global_load_dword v1, v[4:5], off
	v_add_co_u32_e64 v4, s[2:3], s6, v6
	v_addc_co_u32_e64 v5, s[2:3], v7, v9, s[2:3]
	global_load_dword v9, v[4:5], off
.LBB283_4:
	s_or_b64 exec, exec, s[4:5]
	v_mbcnt_lo_u32_b32 v6, -1, 0
	v_mbcnt_hi_u32_b32 v11, -1, v6
	v_and_b32_e32 v6, 0x78, v11
	v_add_u32_e32 v12, 8, v6
	v_xor_b32_e32 v6, 4, v11
	v_cmp_lt_i32_e64 s[2:3], v6, v12
	v_cndmask_b32_e64 v6, v11, v6, s[2:3]
	s_waitcnt vmcnt(1)
	v_pk_add_f32 v[4:5], v[0:1], 0 op_sel_hi:[1,0]
	v_lshlrev_b32_e32 v7, 2, v6
	ds_bpermute_b32 v6, v7, v4
	ds_bpermute_b32 v7, v7, v5
	v_xor_b32_e32 v13, 2, v11
	v_cmp_lt_i32_e64 s[2:3], v13, v12
	v_cndmask_b32_e64 v13, v11, v13, s[2:3]
	v_lshlrev_b32_e32 v13, 2, v13
	s_waitcnt lgkmcnt(0)
	v_pk_add_f32 v[4:5], v[4:5], v[6:7]
	ds_bpermute_b32 v6, v13, v4
	ds_bpermute_b32 v7, v13, v5
	v_xor_b32_e32 v13, 1, v11
	v_cmp_lt_i32_e64 s[2:3], v13, v12
	v_cndmask_b32_e64 v11, v11, v13, s[2:3]
	v_lshlrev_b32_e32 v11, 2, v11
	s_waitcnt lgkmcnt(0)
	v_pk_add_f32 v[4:5], v[4:5], v[6:7]
	ds_bpermute_b32 v6, v11, v4
	ds_bpermute_b32 v7, v11, v5
	s_and_saveexec_b64 s[2:3], s[0:1]
	s_cbranch_execz .LBB283_10
; %bb.5:
	v_lshlrev_b64 v[2:3], 1, v[2:3]
	v_mov_b32_e32 v11, s13
	v_add_co_u32_e64 v2, s[0:1], s12, v2
	v_addc_co_u32_e64 v3, s[0:1], v11, v3, s[0:1]
	s_waitcnt lgkmcnt(0)
	v_pk_add_f32 v[4:5], v[4:5], v[6:7]
	s_and_saveexec_b64 s[2:3], vcc
	s_cbranch_execz .LBB283_7
; %bb.6:
	s_waitcnt vmcnt(0)
	v_mul_f32_e32 v6, 0x3fb8aa3b, v10
	s_mov_b32 s0, 0x3fb8aa3b
	v_rndne_f32_e32 v7, v6
	v_sub_f32_e32 v11, v6, v7
	v_fma_f32 v6, v10, s0, -v6
	v_fmac_f32_e32 v6, 0x32a5705f, v10
	v_add_f32_e32 v6, v11, v6
	v_exp_f32_e32 v6, v6
	v_cvt_i32_f32_e32 v7, v7
	s_mov_b32 s0, 0xc2ce8ed0
	v_cmp_ngt_f32_e64 s[0:1], s0, v10
	v_ldexp_f32 v6, v6, v7
	v_cndmask_b32_e64 v6, 0, v6, s[0:1]
	s_mov_b32 s0, 0x42b17218
	v_mov_b32_e32 v7, 0x7f800000
	v_cmp_nlt_f32_e64 s[0:1], s0, v10
	v_cndmask_b32_e64 v6, v7, v6, s[0:1]
	v_fma_mixlo_f16 v0, -v4, v6, v0
	global_store_short v[2:3], v0, off
.LBB283_7:
	s_or_b64 exec, exec, s[2:3]
	v_cmp_ne_u32_e64 s[0:1], 1, v8
	s_and_b64 exec, exec, s[0:1]
	s_cbranch_execz .LBB283_10
; %bb.8:
	s_and_b64 exec, exec, vcc
	s_cbranch_execz .LBB283_10
; %bb.9:
	s_waitcnt vmcnt(0)
	v_mul_f32_e32 v0, 0x3fb8aa3b, v9
	s_mov_b32 s0, 0x3fb8aa3b
	v_rndne_f32_e32 v4, v0
	v_sub_f32_e32 v6, v0, v4
	v_fma_f32 v0, v9, s0, -v0
	v_fmac_f32_e32 v0, 0x32a5705f, v9
	v_add_f32_e32 v0, v6, v0
	v_exp_f32_e32 v0, v0
	v_cvt_i32_f32_e32 v4, v4
	s_mov_b32 s0, 0xc2ce8ed0
	v_cmp_ngt_f32_e32 vcc, s0, v9
	s_mov_b32 s0, 0x42b17218
	v_ldexp_f32 v0, v0, v4
	v_cndmask_b32_e32 v0, 0, v0, vcc
	v_mov_b32_e32 v4, 0x7f800000
	v_cmp_nlt_f32_e32 vcc, s0, v9
	v_cndmask_b32_e32 v0, v4, v0, vcc
	s_lshl_b64 s[0:1], s[10:11], 1
	v_fma_mixlo_f16 v4, -v5, v0, v1
	v_mov_b32_e32 v1, s1
	v_add_co_u32_e32 v0, vcc, s0, v2
	v_addc_co_u32_e32 v1, vcc, v3, v1, vcc
	global_store_short v[0:1], v4, off
.LBB283_10:
	s_endpgm
	.section	.rodata,"a",@progbits
	.p2align	6, 0x0
	.amdhsa_kernel _ZN12_GLOBAL__N_121softmax_warp_backwardIfN3c104HalfEfLi3ELb1ELb0ELi32EEEvPT0_PKT_S7_iiiPKb
		.amdhsa_group_segment_fixed_size 0
		.amdhsa_private_segment_fixed_size 0
		.amdhsa_kernarg_size 304
		.amdhsa_user_sgpr_count 6
		.amdhsa_user_sgpr_private_segment_buffer 1
		.amdhsa_user_sgpr_dispatch_ptr 0
		.amdhsa_user_sgpr_queue_ptr 0
		.amdhsa_user_sgpr_kernarg_segment_ptr 1
		.amdhsa_user_sgpr_dispatch_id 0
		.amdhsa_user_sgpr_flat_scratch_init 0
		.amdhsa_user_sgpr_kernarg_preload_length 0
		.amdhsa_user_sgpr_kernarg_preload_offset 0
		.amdhsa_user_sgpr_private_segment_size 0
		.amdhsa_uses_dynamic_stack 0
		.amdhsa_system_sgpr_private_segment_wavefront_offset 0
		.amdhsa_system_sgpr_workgroup_id_x 1
		.amdhsa_system_sgpr_workgroup_id_y 0
		.amdhsa_system_sgpr_workgroup_id_z 0
		.amdhsa_system_sgpr_workgroup_info 0
		.amdhsa_system_vgpr_workitem_id 1
		.amdhsa_next_free_vgpr 14
		.amdhsa_next_free_sgpr 16
		.amdhsa_accum_offset 16
		.amdhsa_reserve_vcc 1
		.amdhsa_reserve_flat_scratch 0
		.amdhsa_float_round_mode_32 0
		.amdhsa_float_round_mode_16_64 0
		.amdhsa_float_denorm_mode_32 3
		.amdhsa_float_denorm_mode_16_64 3
		.amdhsa_dx10_clamp 1
		.amdhsa_ieee_mode 1
		.amdhsa_fp16_overflow 0
		.amdhsa_tg_split 0
		.amdhsa_exception_fp_ieee_invalid_op 0
		.amdhsa_exception_fp_denorm_src 0
		.amdhsa_exception_fp_ieee_div_zero 0
		.amdhsa_exception_fp_ieee_overflow 0
		.amdhsa_exception_fp_ieee_underflow 0
		.amdhsa_exception_fp_ieee_inexact 0
		.amdhsa_exception_int_div_zero 0
	.end_amdhsa_kernel
	.section	.text._ZN12_GLOBAL__N_121softmax_warp_backwardIfN3c104HalfEfLi3ELb1ELb0ELi32EEEvPT0_PKT_S7_iiiPKb,"axG",@progbits,_ZN12_GLOBAL__N_121softmax_warp_backwardIfN3c104HalfEfLi3ELb1ELb0ELi32EEEvPT0_PKT_S7_iiiPKb,comdat
.Lfunc_end283:
	.size	_ZN12_GLOBAL__N_121softmax_warp_backwardIfN3c104HalfEfLi3ELb1ELb0ELi32EEEvPT0_PKT_S7_iiiPKb, .Lfunc_end283-_ZN12_GLOBAL__N_121softmax_warp_backwardIfN3c104HalfEfLi3ELb1ELb0ELi32EEEvPT0_PKT_S7_iiiPKb
                                        ; -- End function
	.section	.AMDGPU.csdata,"",@progbits
; Kernel info:
; codeLenInByte = 800
; NumSgprs: 20
; NumVgprs: 14
; NumAgprs: 0
; TotalNumVgprs: 14
; ScratchSize: 0
; MemoryBound: 0
; FloatMode: 240
; IeeeMode: 1
; LDSByteSize: 0 bytes/workgroup (compile time only)
; SGPRBlocks: 2
; VGPRBlocks: 1
; NumSGPRsForWavesPerEU: 20
; NumVGPRsForWavesPerEU: 14
; AccumOffset: 16
; Occupancy: 8
; WaveLimiterHint : 0
; COMPUTE_PGM_RSRC2:SCRATCH_EN: 0
; COMPUTE_PGM_RSRC2:USER_SGPR: 6
; COMPUTE_PGM_RSRC2:TRAP_HANDLER: 0
; COMPUTE_PGM_RSRC2:TGID_X_EN: 1
; COMPUTE_PGM_RSRC2:TGID_Y_EN: 0
; COMPUTE_PGM_RSRC2:TGID_Z_EN: 0
; COMPUTE_PGM_RSRC2:TIDIG_COMP_CNT: 1
; COMPUTE_PGM_RSRC3_GFX90A:ACCUM_OFFSET: 3
; COMPUTE_PGM_RSRC3_GFX90A:TG_SPLIT: 0
	.section	.text._ZN12_GLOBAL__N_121softmax_warp_backwardIfN3c104HalfEfLi4ELb1ELb0ELi64EEEvPT0_PKT_S7_iiiPKb,"axG",@progbits,_ZN12_GLOBAL__N_121softmax_warp_backwardIfN3c104HalfEfLi4ELb1ELb0ELi64EEEvPT0_PKT_S7_iiiPKb,comdat
	.globl	_ZN12_GLOBAL__N_121softmax_warp_backwardIfN3c104HalfEfLi4ELb1ELb0ELi64EEEvPT0_PKT_S7_iiiPKb ; -- Begin function _ZN12_GLOBAL__N_121softmax_warp_backwardIfN3c104HalfEfLi4ELb1ELb0ELi64EEEvPT0_PKT_S7_iiiPKb
	.p2align	8
	.type	_ZN12_GLOBAL__N_121softmax_warp_backwardIfN3c104HalfEfLi4ELb1ELb0ELi64EEEvPT0_PKT_S7_iiiPKb,@function
_ZN12_GLOBAL__N_121softmax_warp_backwardIfN3c104HalfEfLi4ELb1ELb0ELi64EEEvPT0_PKT_S7_iiiPKb: ; @_ZN12_GLOBAL__N_121softmax_warp_backwardIfN3c104HalfEfLi4ELb1ELb0ELi64EEEvPT0_PKT_S7_iiiPKb
; %bb.0:
	s_load_dword s2, s[4:5], 0x3c
	s_load_dwordx4 s[8:11], s[4:5], 0x18
	s_load_dwordx4 s[12:15], s[4:5], 0x0
	s_load_dwordx2 s[0:1], s[4:5], 0x10
	v_bfe_u32 v1, v0, 10, 10
	s_waitcnt lgkmcnt(0)
	s_lshr_b32 s2, s2, 16
	s_mul_i32 s6, s6, s2
	v_add_lshl_u32 v1, s6, v1, 1
	v_and_b32_e32 v0, 15, v0
	v_mad_u64_u32 v[2:3], s[2:3], v1, s9, v[0:1]
	v_ashrrev_i32_e32 v3, 31, v2
	v_lshlrev_b64 v[6:7], 2, v[2:3]
	v_sub_u32_e32 v8, s8, v1
	v_mov_b32_e32 v1, s15
	v_add_co_u32_e32 v4, vcc, s14, v6
	v_addc_co_u32_e32 v5, vcc, v1, v7, vcc
	v_mov_b32_e32 v1, s1
	v_add_co_u32_e32 v6, vcc, s0, v6
	v_addc_co_u32_e32 v7, vcc, v1, v7, vcc
	v_cmp_gt_i32_e32 vcc, s10, v0
	v_cmp_lt_i32_e64 s[0:1], 0, v8
	s_and_b64 s[4:5], vcc, s[0:1]
	v_mov_b32_e32 v1, 0
	v_mov_b32_e32 v0, 0
	;; [unrolled: 1-line block ×3, first 2 shown]
	s_and_saveexec_b64 s[2:3], s[4:5]
	s_cbranch_execz .LBB284_2
; %bb.1:
	global_load_dword v0, v[4:5], off
	global_load_dword v10, v[6:7], off
.LBB284_2:
	s_or_b64 exec, exec, s[2:3]
	v_cmp_lt_i32_e64 s[2:3], 1, v8
	s_and_b64 s[2:3], vcc, s[2:3]
	s_mov_b32 s11, 0
	v_mov_b32_e32 v9, 0
	s_and_saveexec_b64 s[4:5], s[2:3]
	s_cbranch_execz .LBB284_4
; %bb.3:
	s_lshl_b64 s[6:7], s[10:11], 2
	v_mov_b32_e32 v9, s7
	v_add_co_u32_e64 v4, s[2:3], s6, v4
	v_addc_co_u32_e64 v5, s[2:3], v5, v9, s[2:3]
	global_load_dword v1, v[4:5], off
	v_add_co_u32_e64 v4, s[2:3], s6, v6
	v_addc_co_u32_e64 v5, s[2:3], v7, v9, s[2:3]
	global_load_dword v9, v[4:5], off
.LBB284_4:
	s_or_b64 exec, exec, s[4:5]
	v_mbcnt_lo_u32_b32 v6, -1, 0
	v_mbcnt_hi_u32_b32 v11, -1, v6
	v_and_b32_e32 v6, 0x70, v11
	v_add_u32_e32 v12, 16, v6
	v_xor_b32_e32 v6, 8, v11
	v_cmp_lt_i32_e64 s[2:3], v6, v12
	v_cndmask_b32_e64 v6, v11, v6, s[2:3]
	s_waitcnt vmcnt(1)
	v_pk_add_f32 v[4:5], v[0:1], 0 op_sel_hi:[1,0]
	v_lshlrev_b32_e32 v7, 2, v6
	ds_bpermute_b32 v6, v7, v4
	ds_bpermute_b32 v7, v7, v5
	v_xor_b32_e32 v13, 4, v11
	v_cmp_lt_i32_e64 s[2:3], v13, v12
	v_cndmask_b32_e64 v13, v11, v13, s[2:3]
	v_lshlrev_b32_e32 v13, 2, v13
	s_waitcnt lgkmcnt(0)
	v_pk_add_f32 v[4:5], v[4:5], v[6:7]
	ds_bpermute_b32 v6, v13, v4
	ds_bpermute_b32 v7, v13, v5
	v_xor_b32_e32 v13, 2, v11
	v_cmp_lt_i32_e64 s[2:3], v13, v12
	v_cndmask_b32_e64 v13, v11, v13, s[2:3]
	v_lshlrev_b32_e32 v13, 2, v13
	s_waitcnt lgkmcnt(0)
	v_pk_add_f32 v[4:5], v[4:5], v[6:7]
	ds_bpermute_b32 v6, v13, v4
	ds_bpermute_b32 v7, v13, v5
	v_xor_b32_e32 v13, 1, v11
	v_cmp_lt_i32_e64 s[2:3], v13, v12
	v_cndmask_b32_e64 v11, v11, v13, s[2:3]
	v_lshlrev_b32_e32 v11, 2, v11
	s_waitcnt lgkmcnt(0)
	v_pk_add_f32 v[4:5], v[4:5], v[6:7]
	ds_bpermute_b32 v6, v11, v4
	ds_bpermute_b32 v7, v11, v5
	s_and_saveexec_b64 s[2:3], s[0:1]
	s_cbranch_execz .LBB284_10
; %bb.5:
	v_lshlrev_b64 v[2:3], 1, v[2:3]
	v_mov_b32_e32 v11, s13
	v_add_co_u32_e64 v2, s[0:1], s12, v2
	v_addc_co_u32_e64 v3, s[0:1], v11, v3, s[0:1]
	s_waitcnt lgkmcnt(0)
	v_pk_add_f32 v[4:5], v[4:5], v[6:7]
	s_and_saveexec_b64 s[2:3], vcc
	s_cbranch_execz .LBB284_7
; %bb.6:
	s_waitcnt vmcnt(0)
	v_mul_f32_e32 v6, 0x3fb8aa3b, v10
	s_mov_b32 s0, 0x3fb8aa3b
	v_rndne_f32_e32 v7, v6
	v_sub_f32_e32 v11, v6, v7
	v_fma_f32 v6, v10, s0, -v6
	v_fmac_f32_e32 v6, 0x32a5705f, v10
	v_add_f32_e32 v6, v11, v6
	v_exp_f32_e32 v6, v6
	v_cvt_i32_f32_e32 v7, v7
	s_mov_b32 s0, 0xc2ce8ed0
	v_cmp_ngt_f32_e64 s[0:1], s0, v10
	v_ldexp_f32 v6, v6, v7
	v_cndmask_b32_e64 v6, 0, v6, s[0:1]
	s_mov_b32 s0, 0x42b17218
	v_mov_b32_e32 v7, 0x7f800000
	v_cmp_nlt_f32_e64 s[0:1], s0, v10
	v_cndmask_b32_e64 v6, v7, v6, s[0:1]
	v_fma_mixlo_f16 v0, -v4, v6, v0
	global_store_short v[2:3], v0, off
.LBB284_7:
	s_or_b64 exec, exec, s[2:3]
	v_cmp_ne_u32_e64 s[0:1], 1, v8
	s_and_b64 exec, exec, s[0:1]
	s_cbranch_execz .LBB284_10
; %bb.8:
	s_and_b64 exec, exec, vcc
	s_cbranch_execz .LBB284_10
; %bb.9:
	s_waitcnt vmcnt(0)
	v_mul_f32_e32 v0, 0x3fb8aa3b, v9
	s_mov_b32 s0, 0x3fb8aa3b
	v_rndne_f32_e32 v4, v0
	v_sub_f32_e32 v6, v0, v4
	v_fma_f32 v0, v9, s0, -v0
	v_fmac_f32_e32 v0, 0x32a5705f, v9
	v_add_f32_e32 v0, v6, v0
	v_exp_f32_e32 v0, v0
	v_cvt_i32_f32_e32 v4, v4
	s_mov_b32 s0, 0xc2ce8ed0
	v_cmp_ngt_f32_e32 vcc, s0, v9
	s_mov_b32 s0, 0x42b17218
	v_ldexp_f32 v0, v0, v4
	v_cndmask_b32_e32 v0, 0, v0, vcc
	v_mov_b32_e32 v4, 0x7f800000
	v_cmp_nlt_f32_e32 vcc, s0, v9
	v_cndmask_b32_e32 v0, v4, v0, vcc
	s_lshl_b64 s[0:1], s[10:11], 1
	v_fma_mixlo_f16 v4, -v5, v0, v1
	v_mov_b32_e32 v1, s1
	v_add_co_u32_e32 v0, vcc, s0, v2
	v_addc_co_u32_e32 v1, vcc, v3, v1, vcc
	global_store_short v[0:1], v4, off
.LBB284_10:
	s_endpgm
	.section	.rodata,"a",@progbits
	.p2align	6, 0x0
	.amdhsa_kernel _ZN12_GLOBAL__N_121softmax_warp_backwardIfN3c104HalfEfLi4ELb1ELb0ELi64EEEvPT0_PKT_S7_iiiPKb
		.amdhsa_group_segment_fixed_size 0
		.amdhsa_private_segment_fixed_size 0
		.amdhsa_kernarg_size 304
		.amdhsa_user_sgpr_count 6
		.amdhsa_user_sgpr_private_segment_buffer 1
		.amdhsa_user_sgpr_dispatch_ptr 0
		.amdhsa_user_sgpr_queue_ptr 0
		.amdhsa_user_sgpr_kernarg_segment_ptr 1
		.amdhsa_user_sgpr_dispatch_id 0
		.amdhsa_user_sgpr_flat_scratch_init 0
		.amdhsa_user_sgpr_kernarg_preload_length 0
		.amdhsa_user_sgpr_kernarg_preload_offset 0
		.amdhsa_user_sgpr_private_segment_size 0
		.amdhsa_uses_dynamic_stack 0
		.amdhsa_system_sgpr_private_segment_wavefront_offset 0
		.amdhsa_system_sgpr_workgroup_id_x 1
		.amdhsa_system_sgpr_workgroup_id_y 0
		.amdhsa_system_sgpr_workgroup_id_z 0
		.amdhsa_system_sgpr_workgroup_info 0
		.amdhsa_system_vgpr_workitem_id 1
		.amdhsa_next_free_vgpr 14
		.amdhsa_next_free_sgpr 16
		.amdhsa_accum_offset 16
		.amdhsa_reserve_vcc 1
		.amdhsa_reserve_flat_scratch 0
		.amdhsa_float_round_mode_32 0
		.amdhsa_float_round_mode_16_64 0
		.amdhsa_float_denorm_mode_32 3
		.amdhsa_float_denorm_mode_16_64 3
		.amdhsa_dx10_clamp 1
		.amdhsa_ieee_mode 1
		.amdhsa_fp16_overflow 0
		.amdhsa_tg_split 0
		.amdhsa_exception_fp_ieee_invalid_op 0
		.amdhsa_exception_fp_denorm_src 0
		.amdhsa_exception_fp_ieee_div_zero 0
		.amdhsa_exception_fp_ieee_overflow 0
		.amdhsa_exception_fp_ieee_underflow 0
		.amdhsa_exception_fp_ieee_inexact 0
		.amdhsa_exception_int_div_zero 0
	.end_amdhsa_kernel
	.section	.text._ZN12_GLOBAL__N_121softmax_warp_backwardIfN3c104HalfEfLi4ELb1ELb0ELi64EEEvPT0_PKT_S7_iiiPKb,"axG",@progbits,_ZN12_GLOBAL__N_121softmax_warp_backwardIfN3c104HalfEfLi4ELb1ELb0ELi64EEEvPT0_PKT_S7_iiiPKb,comdat
.Lfunc_end284:
	.size	_ZN12_GLOBAL__N_121softmax_warp_backwardIfN3c104HalfEfLi4ELb1ELb0ELi64EEEvPT0_PKT_S7_iiiPKb, .Lfunc_end284-_ZN12_GLOBAL__N_121softmax_warp_backwardIfN3c104HalfEfLi4ELb1ELb0ELi64EEEvPT0_PKT_S7_iiiPKb
                                        ; -- End function
	.section	.AMDGPU.csdata,"",@progbits
; Kernel info:
; codeLenInByte = 852
; NumSgprs: 20
; NumVgprs: 14
; NumAgprs: 0
; TotalNumVgprs: 14
; ScratchSize: 0
; MemoryBound: 0
; FloatMode: 240
; IeeeMode: 1
; LDSByteSize: 0 bytes/workgroup (compile time only)
; SGPRBlocks: 2
; VGPRBlocks: 1
; NumSGPRsForWavesPerEU: 20
; NumVGPRsForWavesPerEU: 14
; AccumOffset: 16
; Occupancy: 8
; WaveLimiterHint : 0
; COMPUTE_PGM_RSRC2:SCRATCH_EN: 0
; COMPUTE_PGM_RSRC2:USER_SGPR: 6
; COMPUTE_PGM_RSRC2:TRAP_HANDLER: 0
; COMPUTE_PGM_RSRC2:TGID_X_EN: 1
; COMPUTE_PGM_RSRC2:TGID_Y_EN: 0
; COMPUTE_PGM_RSRC2:TGID_Z_EN: 0
; COMPUTE_PGM_RSRC2:TIDIG_COMP_CNT: 1
; COMPUTE_PGM_RSRC3_GFX90A:ACCUM_OFFSET: 3
; COMPUTE_PGM_RSRC3_GFX90A:TG_SPLIT: 0
	.section	.text._ZN12_GLOBAL__N_121softmax_warp_backwardIfN3c104HalfEfLi4ELb1ELb0ELi32EEEvPT0_PKT_S7_iiiPKb,"axG",@progbits,_ZN12_GLOBAL__N_121softmax_warp_backwardIfN3c104HalfEfLi4ELb1ELb0ELi32EEEvPT0_PKT_S7_iiiPKb,comdat
	.globl	_ZN12_GLOBAL__N_121softmax_warp_backwardIfN3c104HalfEfLi4ELb1ELb0ELi32EEEvPT0_PKT_S7_iiiPKb ; -- Begin function _ZN12_GLOBAL__N_121softmax_warp_backwardIfN3c104HalfEfLi4ELb1ELb0ELi32EEEvPT0_PKT_S7_iiiPKb
	.p2align	8
	.type	_ZN12_GLOBAL__N_121softmax_warp_backwardIfN3c104HalfEfLi4ELb1ELb0ELi32EEEvPT0_PKT_S7_iiiPKb,@function
_ZN12_GLOBAL__N_121softmax_warp_backwardIfN3c104HalfEfLi4ELb1ELb0ELi32EEEvPT0_PKT_S7_iiiPKb: ; @_ZN12_GLOBAL__N_121softmax_warp_backwardIfN3c104HalfEfLi4ELb1ELb0ELi32EEEvPT0_PKT_S7_iiiPKb
; %bb.0:
	s_load_dword s2, s[4:5], 0x3c
	s_load_dwordx4 s[8:11], s[4:5], 0x18
	s_load_dwordx4 s[12:15], s[4:5], 0x0
	s_load_dwordx2 s[0:1], s[4:5], 0x10
	v_bfe_u32 v1, v0, 10, 10
	s_waitcnt lgkmcnt(0)
	s_lshr_b32 s2, s2, 16
	s_mul_i32 s6, s6, s2
	v_add_lshl_u32 v1, s6, v1, 1
	v_and_b32_e32 v0, 15, v0
	v_mad_u64_u32 v[2:3], s[2:3], v1, s9, v[0:1]
	v_ashrrev_i32_e32 v3, 31, v2
	v_lshlrev_b64 v[6:7], 2, v[2:3]
	v_sub_u32_e32 v8, s8, v1
	v_mov_b32_e32 v1, s15
	v_add_co_u32_e32 v4, vcc, s14, v6
	v_addc_co_u32_e32 v5, vcc, v1, v7, vcc
	v_mov_b32_e32 v1, s1
	v_add_co_u32_e32 v6, vcc, s0, v6
	v_addc_co_u32_e32 v7, vcc, v1, v7, vcc
	v_cmp_gt_i32_e32 vcc, s10, v0
	v_cmp_lt_i32_e64 s[0:1], 0, v8
	s_and_b64 s[4:5], vcc, s[0:1]
	v_mov_b32_e32 v1, 0
	v_mov_b32_e32 v0, 0
	;; [unrolled: 1-line block ×3, first 2 shown]
	s_and_saveexec_b64 s[2:3], s[4:5]
	s_cbranch_execz .LBB285_2
; %bb.1:
	global_load_dword v0, v[4:5], off
	global_load_dword v10, v[6:7], off
.LBB285_2:
	s_or_b64 exec, exec, s[2:3]
	v_cmp_lt_i32_e64 s[2:3], 1, v8
	s_and_b64 s[2:3], vcc, s[2:3]
	s_mov_b32 s11, 0
	v_mov_b32_e32 v9, 0
	s_and_saveexec_b64 s[4:5], s[2:3]
	s_cbranch_execz .LBB285_4
; %bb.3:
	s_lshl_b64 s[6:7], s[10:11], 2
	v_mov_b32_e32 v9, s7
	v_add_co_u32_e64 v4, s[2:3], s6, v4
	v_addc_co_u32_e64 v5, s[2:3], v5, v9, s[2:3]
	global_load_dword v1, v[4:5], off
	v_add_co_u32_e64 v4, s[2:3], s6, v6
	v_addc_co_u32_e64 v5, s[2:3], v7, v9, s[2:3]
	global_load_dword v9, v[4:5], off
.LBB285_4:
	s_or_b64 exec, exec, s[4:5]
	v_mbcnt_lo_u32_b32 v6, -1, 0
	v_mbcnt_hi_u32_b32 v11, -1, v6
	v_and_b32_e32 v6, 0x70, v11
	v_add_u32_e32 v12, 16, v6
	v_xor_b32_e32 v6, 8, v11
	v_cmp_lt_i32_e64 s[2:3], v6, v12
	v_cndmask_b32_e64 v6, v11, v6, s[2:3]
	s_waitcnt vmcnt(1)
	v_pk_add_f32 v[4:5], v[0:1], 0 op_sel_hi:[1,0]
	v_lshlrev_b32_e32 v7, 2, v6
	ds_bpermute_b32 v6, v7, v4
	ds_bpermute_b32 v7, v7, v5
	v_xor_b32_e32 v13, 4, v11
	v_cmp_lt_i32_e64 s[2:3], v13, v12
	v_cndmask_b32_e64 v13, v11, v13, s[2:3]
	v_lshlrev_b32_e32 v13, 2, v13
	s_waitcnt lgkmcnt(0)
	v_pk_add_f32 v[4:5], v[4:5], v[6:7]
	ds_bpermute_b32 v6, v13, v4
	ds_bpermute_b32 v7, v13, v5
	v_xor_b32_e32 v13, 2, v11
	v_cmp_lt_i32_e64 s[2:3], v13, v12
	v_cndmask_b32_e64 v13, v11, v13, s[2:3]
	v_lshlrev_b32_e32 v13, 2, v13
	s_waitcnt lgkmcnt(0)
	v_pk_add_f32 v[4:5], v[4:5], v[6:7]
	;; [unrolled: 8-line block ×3, first 2 shown]
	ds_bpermute_b32 v6, v11, v4
	ds_bpermute_b32 v7, v11, v5
	s_and_saveexec_b64 s[2:3], s[0:1]
	s_cbranch_execz .LBB285_10
; %bb.5:
	v_lshlrev_b64 v[2:3], 1, v[2:3]
	v_mov_b32_e32 v11, s13
	v_add_co_u32_e64 v2, s[0:1], s12, v2
	v_addc_co_u32_e64 v3, s[0:1], v11, v3, s[0:1]
	s_waitcnt lgkmcnt(0)
	v_pk_add_f32 v[4:5], v[4:5], v[6:7]
	s_and_saveexec_b64 s[2:3], vcc
	s_cbranch_execz .LBB285_7
; %bb.6:
	s_waitcnt vmcnt(0)
	v_mul_f32_e32 v6, 0x3fb8aa3b, v10
	s_mov_b32 s0, 0x3fb8aa3b
	v_rndne_f32_e32 v7, v6
	v_sub_f32_e32 v11, v6, v7
	v_fma_f32 v6, v10, s0, -v6
	v_fmac_f32_e32 v6, 0x32a5705f, v10
	v_add_f32_e32 v6, v11, v6
	v_exp_f32_e32 v6, v6
	v_cvt_i32_f32_e32 v7, v7
	s_mov_b32 s0, 0xc2ce8ed0
	v_cmp_ngt_f32_e64 s[0:1], s0, v10
	v_ldexp_f32 v6, v6, v7
	v_cndmask_b32_e64 v6, 0, v6, s[0:1]
	s_mov_b32 s0, 0x42b17218
	v_mov_b32_e32 v7, 0x7f800000
	v_cmp_nlt_f32_e64 s[0:1], s0, v10
	v_cndmask_b32_e64 v6, v7, v6, s[0:1]
	v_fma_mixlo_f16 v0, -v4, v6, v0
	global_store_short v[2:3], v0, off
.LBB285_7:
	s_or_b64 exec, exec, s[2:3]
	v_cmp_ne_u32_e64 s[0:1], 1, v8
	s_and_b64 exec, exec, s[0:1]
	s_cbranch_execz .LBB285_10
; %bb.8:
	s_and_b64 exec, exec, vcc
	s_cbranch_execz .LBB285_10
; %bb.9:
	s_waitcnt vmcnt(0)
	v_mul_f32_e32 v0, 0x3fb8aa3b, v9
	s_mov_b32 s0, 0x3fb8aa3b
	v_rndne_f32_e32 v4, v0
	v_sub_f32_e32 v6, v0, v4
	v_fma_f32 v0, v9, s0, -v0
	v_fmac_f32_e32 v0, 0x32a5705f, v9
	v_add_f32_e32 v0, v6, v0
	v_exp_f32_e32 v0, v0
	v_cvt_i32_f32_e32 v4, v4
	s_mov_b32 s0, 0xc2ce8ed0
	v_cmp_ngt_f32_e32 vcc, s0, v9
	s_mov_b32 s0, 0x42b17218
	v_ldexp_f32 v0, v0, v4
	v_cndmask_b32_e32 v0, 0, v0, vcc
	v_mov_b32_e32 v4, 0x7f800000
	v_cmp_nlt_f32_e32 vcc, s0, v9
	v_cndmask_b32_e32 v0, v4, v0, vcc
	s_lshl_b64 s[0:1], s[10:11], 1
	v_fma_mixlo_f16 v4, -v5, v0, v1
	v_mov_b32_e32 v1, s1
	v_add_co_u32_e32 v0, vcc, s0, v2
	v_addc_co_u32_e32 v1, vcc, v3, v1, vcc
	global_store_short v[0:1], v4, off
.LBB285_10:
	s_endpgm
	.section	.rodata,"a",@progbits
	.p2align	6, 0x0
	.amdhsa_kernel _ZN12_GLOBAL__N_121softmax_warp_backwardIfN3c104HalfEfLi4ELb1ELb0ELi32EEEvPT0_PKT_S7_iiiPKb
		.amdhsa_group_segment_fixed_size 0
		.amdhsa_private_segment_fixed_size 0
		.amdhsa_kernarg_size 304
		.amdhsa_user_sgpr_count 6
		.amdhsa_user_sgpr_private_segment_buffer 1
		.amdhsa_user_sgpr_dispatch_ptr 0
		.amdhsa_user_sgpr_queue_ptr 0
		.amdhsa_user_sgpr_kernarg_segment_ptr 1
		.amdhsa_user_sgpr_dispatch_id 0
		.amdhsa_user_sgpr_flat_scratch_init 0
		.amdhsa_user_sgpr_kernarg_preload_length 0
		.amdhsa_user_sgpr_kernarg_preload_offset 0
		.amdhsa_user_sgpr_private_segment_size 0
		.amdhsa_uses_dynamic_stack 0
		.amdhsa_system_sgpr_private_segment_wavefront_offset 0
		.amdhsa_system_sgpr_workgroup_id_x 1
		.amdhsa_system_sgpr_workgroup_id_y 0
		.amdhsa_system_sgpr_workgroup_id_z 0
		.amdhsa_system_sgpr_workgroup_info 0
		.amdhsa_system_vgpr_workitem_id 1
		.amdhsa_next_free_vgpr 14
		.amdhsa_next_free_sgpr 16
		.amdhsa_accum_offset 16
		.amdhsa_reserve_vcc 1
		.amdhsa_reserve_flat_scratch 0
		.amdhsa_float_round_mode_32 0
		.amdhsa_float_round_mode_16_64 0
		.amdhsa_float_denorm_mode_32 3
		.amdhsa_float_denorm_mode_16_64 3
		.amdhsa_dx10_clamp 1
		.amdhsa_ieee_mode 1
		.amdhsa_fp16_overflow 0
		.amdhsa_tg_split 0
		.amdhsa_exception_fp_ieee_invalid_op 0
		.amdhsa_exception_fp_denorm_src 0
		.amdhsa_exception_fp_ieee_div_zero 0
		.amdhsa_exception_fp_ieee_overflow 0
		.amdhsa_exception_fp_ieee_underflow 0
		.amdhsa_exception_fp_ieee_inexact 0
		.amdhsa_exception_int_div_zero 0
	.end_amdhsa_kernel
	.section	.text._ZN12_GLOBAL__N_121softmax_warp_backwardIfN3c104HalfEfLi4ELb1ELb0ELi32EEEvPT0_PKT_S7_iiiPKb,"axG",@progbits,_ZN12_GLOBAL__N_121softmax_warp_backwardIfN3c104HalfEfLi4ELb1ELb0ELi32EEEvPT0_PKT_S7_iiiPKb,comdat
.Lfunc_end285:
	.size	_ZN12_GLOBAL__N_121softmax_warp_backwardIfN3c104HalfEfLi4ELb1ELb0ELi32EEEvPT0_PKT_S7_iiiPKb, .Lfunc_end285-_ZN12_GLOBAL__N_121softmax_warp_backwardIfN3c104HalfEfLi4ELb1ELb0ELi32EEEvPT0_PKT_S7_iiiPKb
                                        ; -- End function
	.section	.AMDGPU.csdata,"",@progbits
; Kernel info:
; codeLenInByte = 852
; NumSgprs: 20
; NumVgprs: 14
; NumAgprs: 0
; TotalNumVgprs: 14
; ScratchSize: 0
; MemoryBound: 0
; FloatMode: 240
; IeeeMode: 1
; LDSByteSize: 0 bytes/workgroup (compile time only)
; SGPRBlocks: 2
; VGPRBlocks: 1
; NumSGPRsForWavesPerEU: 20
; NumVGPRsForWavesPerEU: 14
; AccumOffset: 16
; Occupancy: 8
; WaveLimiterHint : 0
; COMPUTE_PGM_RSRC2:SCRATCH_EN: 0
; COMPUTE_PGM_RSRC2:USER_SGPR: 6
; COMPUTE_PGM_RSRC2:TRAP_HANDLER: 0
; COMPUTE_PGM_RSRC2:TGID_X_EN: 1
; COMPUTE_PGM_RSRC2:TGID_Y_EN: 0
; COMPUTE_PGM_RSRC2:TGID_Z_EN: 0
; COMPUTE_PGM_RSRC2:TIDIG_COMP_CNT: 1
; COMPUTE_PGM_RSRC3_GFX90A:ACCUM_OFFSET: 3
; COMPUTE_PGM_RSRC3_GFX90A:TG_SPLIT: 0
	.section	.text._ZN12_GLOBAL__N_121softmax_warp_backwardIfN3c104HalfEfLi5ELb1ELb0ELi64EEEvPT0_PKT_S7_iiiPKb,"axG",@progbits,_ZN12_GLOBAL__N_121softmax_warp_backwardIfN3c104HalfEfLi5ELb1ELb0ELi64EEEvPT0_PKT_S7_iiiPKb,comdat
	.globl	_ZN12_GLOBAL__N_121softmax_warp_backwardIfN3c104HalfEfLi5ELb1ELb0ELi64EEEvPT0_PKT_S7_iiiPKb ; -- Begin function _ZN12_GLOBAL__N_121softmax_warp_backwardIfN3c104HalfEfLi5ELb1ELb0ELi64EEEvPT0_PKT_S7_iiiPKb
	.p2align	8
	.type	_ZN12_GLOBAL__N_121softmax_warp_backwardIfN3c104HalfEfLi5ELb1ELb0ELi64EEEvPT0_PKT_S7_iiiPKb,@function
_ZN12_GLOBAL__N_121softmax_warp_backwardIfN3c104HalfEfLi5ELb1ELb0ELi64EEEvPT0_PKT_S7_iiiPKb: ; @_ZN12_GLOBAL__N_121softmax_warp_backwardIfN3c104HalfEfLi5ELb1ELb0ELi64EEEvPT0_PKT_S7_iiiPKb
; %bb.0:
	s_load_dword s2, s[4:5], 0x3c
	s_load_dwordx4 s[8:11], s[4:5], 0x18
	s_load_dwordx4 s[12:15], s[4:5], 0x0
	s_load_dwordx2 s[0:1], s[4:5], 0x10
	v_bfe_u32 v1, v0, 10, 10
	s_waitcnt lgkmcnt(0)
	s_lshr_b32 s2, s2, 16
	s_mul_i32 s6, s6, s2
	v_add_lshl_u32 v1, s6, v1, 1
	v_and_b32_e32 v0, 31, v0
	v_mad_u64_u32 v[2:3], s[2:3], v1, s9, v[0:1]
	v_ashrrev_i32_e32 v3, 31, v2
	v_lshlrev_b64 v[6:7], 2, v[2:3]
	v_sub_u32_e32 v8, s8, v1
	v_mov_b32_e32 v1, s15
	v_add_co_u32_e32 v4, vcc, s14, v6
	v_addc_co_u32_e32 v5, vcc, v1, v7, vcc
	v_mov_b32_e32 v1, s1
	v_add_co_u32_e32 v6, vcc, s0, v6
	v_addc_co_u32_e32 v7, vcc, v1, v7, vcc
	v_cmp_gt_i32_e32 vcc, s10, v0
	v_cmp_lt_i32_e64 s[0:1], 0, v8
	s_and_b64 s[4:5], vcc, s[0:1]
	v_mov_b32_e32 v1, 0
	v_mov_b32_e32 v0, 0
	v_mov_b32_e32 v10, 0
	s_and_saveexec_b64 s[2:3], s[4:5]
	s_cbranch_execz .LBB286_2
; %bb.1:
	global_load_dword v0, v[4:5], off
	global_load_dword v10, v[6:7], off
.LBB286_2:
	s_or_b64 exec, exec, s[2:3]
	v_cmp_lt_i32_e64 s[2:3], 1, v8
	s_and_b64 s[2:3], vcc, s[2:3]
	s_mov_b32 s11, 0
	v_mov_b32_e32 v9, 0
	s_and_saveexec_b64 s[4:5], s[2:3]
	s_cbranch_execz .LBB286_4
; %bb.3:
	s_lshl_b64 s[6:7], s[10:11], 2
	v_mov_b32_e32 v9, s7
	v_add_co_u32_e64 v4, s[2:3], s6, v4
	v_addc_co_u32_e64 v5, s[2:3], v5, v9, s[2:3]
	global_load_dword v1, v[4:5], off
	v_add_co_u32_e64 v4, s[2:3], s6, v6
	v_addc_co_u32_e64 v5, s[2:3], v7, v9, s[2:3]
	global_load_dword v9, v[4:5], off
.LBB286_4:
	s_or_b64 exec, exec, s[4:5]
	v_mbcnt_lo_u32_b32 v6, -1, 0
	v_mbcnt_hi_u32_b32 v11, -1, v6
	v_and_b32_e32 v6, 0x60, v11
	v_add_u32_e32 v12, 32, v6
	v_xor_b32_e32 v6, 16, v11
	v_cmp_lt_i32_e64 s[2:3], v6, v12
	v_cndmask_b32_e64 v6, v11, v6, s[2:3]
	s_waitcnt vmcnt(1)
	v_pk_add_f32 v[4:5], v[0:1], 0 op_sel_hi:[1,0]
	v_lshlrev_b32_e32 v7, 2, v6
	ds_bpermute_b32 v6, v7, v4
	ds_bpermute_b32 v7, v7, v5
	v_xor_b32_e32 v13, 8, v11
	v_cmp_lt_i32_e64 s[2:3], v13, v12
	v_cndmask_b32_e64 v13, v11, v13, s[2:3]
	v_lshlrev_b32_e32 v13, 2, v13
	s_waitcnt lgkmcnt(0)
	v_pk_add_f32 v[4:5], v[4:5], v[6:7]
	ds_bpermute_b32 v6, v13, v4
	ds_bpermute_b32 v7, v13, v5
	v_xor_b32_e32 v13, 4, v11
	v_cmp_lt_i32_e64 s[2:3], v13, v12
	v_cndmask_b32_e64 v13, v11, v13, s[2:3]
	v_lshlrev_b32_e32 v13, 2, v13
	s_waitcnt lgkmcnt(0)
	v_pk_add_f32 v[4:5], v[4:5], v[6:7]
	;; [unrolled: 8-line block ×4, first 2 shown]
	ds_bpermute_b32 v6, v11, v4
	ds_bpermute_b32 v7, v11, v5
	s_and_saveexec_b64 s[2:3], s[0:1]
	s_cbranch_execz .LBB286_10
; %bb.5:
	v_lshlrev_b64 v[2:3], 1, v[2:3]
	v_mov_b32_e32 v11, s13
	v_add_co_u32_e64 v2, s[0:1], s12, v2
	v_addc_co_u32_e64 v3, s[0:1], v11, v3, s[0:1]
	s_waitcnt lgkmcnt(0)
	v_pk_add_f32 v[4:5], v[4:5], v[6:7]
	s_and_saveexec_b64 s[2:3], vcc
	s_cbranch_execz .LBB286_7
; %bb.6:
	s_waitcnt vmcnt(0)
	v_mul_f32_e32 v6, 0x3fb8aa3b, v10
	s_mov_b32 s0, 0x3fb8aa3b
	v_rndne_f32_e32 v7, v6
	v_sub_f32_e32 v11, v6, v7
	v_fma_f32 v6, v10, s0, -v6
	v_fmac_f32_e32 v6, 0x32a5705f, v10
	v_add_f32_e32 v6, v11, v6
	v_exp_f32_e32 v6, v6
	v_cvt_i32_f32_e32 v7, v7
	s_mov_b32 s0, 0xc2ce8ed0
	v_cmp_ngt_f32_e64 s[0:1], s0, v10
	v_ldexp_f32 v6, v6, v7
	v_cndmask_b32_e64 v6, 0, v6, s[0:1]
	s_mov_b32 s0, 0x42b17218
	v_mov_b32_e32 v7, 0x7f800000
	v_cmp_nlt_f32_e64 s[0:1], s0, v10
	v_cndmask_b32_e64 v6, v7, v6, s[0:1]
	v_fma_mixlo_f16 v0, -v4, v6, v0
	global_store_short v[2:3], v0, off
.LBB286_7:
	s_or_b64 exec, exec, s[2:3]
	v_cmp_ne_u32_e64 s[0:1], 1, v8
	s_and_b64 exec, exec, s[0:1]
	s_cbranch_execz .LBB286_10
; %bb.8:
	s_and_b64 exec, exec, vcc
	s_cbranch_execz .LBB286_10
; %bb.9:
	s_waitcnt vmcnt(0)
	v_mul_f32_e32 v0, 0x3fb8aa3b, v9
	s_mov_b32 s0, 0x3fb8aa3b
	v_rndne_f32_e32 v4, v0
	v_sub_f32_e32 v6, v0, v4
	v_fma_f32 v0, v9, s0, -v0
	v_fmac_f32_e32 v0, 0x32a5705f, v9
	v_add_f32_e32 v0, v6, v0
	v_exp_f32_e32 v0, v0
	v_cvt_i32_f32_e32 v4, v4
	s_mov_b32 s0, 0xc2ce8ed0
	v_cmp_ngt_f32_e32 vcc, s0, v9
	s_mov_b32 s0, 0x42b17218
	v_ldexp_f32 v0, v0, v4
	v_cndmask_b32_e32 v0, 0, v0, vcc
	v_mov_b32_e32 v4, 0x7f800000
	v_cmp_nlt_f32_e32 vcc, s0, v9
	v_cndmask_b32_e32 v0, v4, v0, vcc
	s_lshl_b64 s[0:1], s[10:11], 1
	v_fma_mixlo_f16 v4, -v5, v0, v1
	v_mov_b32_e32 v1, s1
	v_add_co_u32_e32 v0, vcc, s0, v2
	v_addc_co_u32_e32 v1, vcc, v3, v1, vcc
	global_store_short v[0:1], v4, off
.LBB286_10:
	s_endpgm
	.section	.rodata,"a",@progbits
	.p2align	6, 0x0
	.amdhsa_kernel _ZN12_GLOBAL__N_121softmax_warp_backwardIfN3c104HalfEfLi5ELb1ELb0ELi64EEEvPT0_PKT_S7_iiiPKb
		.amdhsa_group_segment_fixed_size 0
		.amdhsa_private_segment_fixed_size 0
		.amdhsa_kernarg_size 304
		.amdhsa_user_sgpr_count 6
		.amdhsa_user_sgpr_private_segment_buffer 1
		.amdhsa_user_sgpr_dispatch_ptr 0
		.amdhsa_user_sgpr_queue_ptr 0
		.amdhsa_user_sgpr_kernarg_segment_ptr 1
		.amdhsa_user_sgpr_dispatch_id 0
		.amdhsa_user_sgpr_flat_scratch_init 0
		.amdhsa_user_sgpr_kernarg_preload_length 0
		.amdhsa_user_sgpr_kernarg_preload_offset 0
		.amdhsa_user_sgpr_private_segment_size 0
		.amdhsa_uses_dynamic_stack 0
		.amdhsa_system_sgpr_private_segment_wavefront_offset 0
		.amdhsa_system_sgpr_workgroup_id_x 1
		.amdhsa_system_sgpr_workgroup_id_y 0
		.amdhsa_system_sgpr_workgroup_id_z 0
		.amdhsa_system_sgpr_workgroup_info 0
		.amdhsa_system_vgpr_workitem_id 1
		.amdhsa_next_free_vgpr 14
		.amdhsa_next_free_sgpr 16
		.amdhsa_accum_offset 16
		.amdhsa_reserve_vcc 1
		.amdhsa_reserve_flat_scratch 0
		.amdhsa_float_round_mode_32 0
		.amdhsa_float_round_mode_16_64 0
		.amdhsa_float_denorm_mode_32 3
		.amdhsa_float_denorm_mode_16_64 3
		.amdhsa_dx10_clamp 1
		.amdhsa_ieee_mode 1
		.amdhsa_fp16_overflow 0
		.amdhsa_tg_split 0
		.amdhsa_exception_fp_ieee_invalid_op 0
		.amdhsa_exception_fp_denorm_src 0
		.amdhsa_exception_fp_ieee_div_zero 0
		.amdhsa_exception_fp_ieee_overflow 0
		.amdhsa_exception_fp_ieee_underflow 0
		.amdhsa_exception_fp_ieee_inexact 0
		.amdhsa_exception_int_div_zero 0
	.end_amdhsa_kernel
	.section	.text._ZN12_GLOBAL__N_121softmax_warp_backwardIfN3c104HalfEfLi5ELb1ELb0ELi64EEEvPT0_PKT_S7_iiiPKb,"axG",@progbits,_ZN12_GLOBAL__N_121softmax_warp_backwardIfN3c104HalfEfLi5ELb1ELb0ELi64EEEvPT0_PKT_S7_iiiPKb,comdat
.Lfunc_end286:
	.size	_ZN12_GLOBAL__N_121softmax_warp_backwardIfN3c104HalfEfLi5ELb1ELb0ELi64EEEvPT0_PKT_S7_iiiPKb, .Lfunc_end286-_ZN12_GLOBAL__N_121softmax_warp_backwardIfN3c104HalfEfLi5ELb1ELb0ELi64EEEvPT0_PKT_S7_iiiPKb
                                        ; -- End function
	.section	.AMDGPU.csdata,"",@progbits
; Kernel info:
; codeLenInByte = 904
; NumSgprs: 20
; NumVgprs: 14
; NumAgprs: 0
; TotalNumVgprs: 14
; ScratchSize: 0
; MemoryBound: 0
; FloatMode: 240
; IeeeMode: 1
; LDSByteSize: 0 bytes/workgroup (compile time only)
; SGPRBlocks: 2
; VGPRBlocks: 1
; NumSGPRsForWavesPerEU: 20
; NumVGPRsForWavesPerEU: 14
; AccumOffset: 16
; Occupancy: 8
; WaveLimiterHint : 0
; COMPUTE_PGM_RSRC2:SCRATCH_EN: 0
; COMPUTE_PGM_RSRC2:USER_SGPR: 6
; COMPUTE_PGM_RSRC2:TRAP_HANDLER: 0
; COMPUTE_PGM_RSRC2:TGID_X_EN: 1
; COMPUTE_PGM_RSRC2:TGID_Y_EN: 0
; COMPUTE_PGM_RSRC2:TGID_Z_EN: 0
; COMPUTE_PGM_RSRC2:TIDIG_COMP_CNT: 1
; COMPUTE_PGM_RSRC3_GFX90A:ACCUM_OFFSET: 3
; COMPUTE_PGM_RSRC3_GFX90A:TG_SPLIT: 0
	.section	.text._ZN12_GLOBAL__N_121softmax_warp_backwardIfN3c104HalfEfLi5ELb1ELb0ELi32EEEvPT0_PKT_S7_iiiPKb,"axG",@progbits,_ZN12_GLOBAL__N_121softmax_warp_backwardIfN3c104HalfEfLi5ELb1ELb0ELi32EEEvPT0_PKT_S7_iiiPKb,comdat
	.globl	_ZN12_GLOBAL__N_121softmax_warp_backwardIfN3c104HalfEfLi5ELb1ELb0ELi32EEEvPT0_PKT_S7_iiiPKb ; -- Begin function _ZN12_GLOBAL__N_121softmax_warp_backwardIfN3c104HalfEfLi5ELb1ELb0ELi32EEEvPT0_PKT_S7_iiiPKb
	.p2align	8
	.type	_ZN12_GLOBAL__N_121softmax_warp_backwardIfN3c104HalfEfLi5ELb1ELb0ELi32EEEvPT0_PKT_S7_iiiPKb,@function
_ZN12_GLOBAL__N_121softmax_warp_backwardIfN3c104HalfEfLi5ELb1ELb0ELi32EEEvPT0_PKT_S7_iiiPKb: ; @_ZN12_GLOBAL__N_121softmax_warp_backwardIfN3c104HalfEfLi5ELb1ELb0ELi32EEEvPT0_PKT_S7_iiiPKb
; %bb.0:
	s_load_dword s2, s[4:5], 0x3c
	s_load_dwordx4 s[8:11], s[4:5], 0x18
	s_load_dwordx4 s[12:15], s[4:5], 0x0
	s_load_dwordx2 s[0:1], s[4:5], 0x10
	v_bfe_u32 v1, v0, 10, 10
	s_waitcnt lgkmcnt(0)
	s_lshr_b32 s2, s2, 16
	s_mul_i32 s6, s6, s2
	v_add_lshl_u32 v1, s6, v1, 1
	v_and_b32_e32 v0, 31, v0
	v_mad_u64_u32 v[2:3], s[2:3], v1, s9, v[0:1]
	v_ashrrev_i32_e32 v3, 31, v2
	v_lshlrev_b64 v[6:7], 2, v[2:3]
	v_sub_u32_e32 v8, s8, v1
	v_mov_b32_e32 v1, s15
	v_add_co_u32_e32 v4, vcc, s14, v6
	v_addc_co_u32_e32 v5, vcc, v1, v7, vcc
	v_mov_b32_e32 v1, s1
	v_add_co_u32_e32 v6, vcc, s0, v6
	v_addc_co_u32_e32 v7, vcc, v1, v7, vcc
	v_cmp_gt_i32_e32 vcc, s10, v0
	v_cmp_lt_i32_e64 s[0:1], 0, v8
	s_and_b64 s[4:5], vcc, s[0:1]
	v_mov_b32_e32 v1, 0
	v_mov_b32_e32 v0, 0
	;; [unrolled: 1-line block ×3, first 2 shown]
	s_and_saveexec_b64 s[2:3], s[4:5]
	s_cbranch_execz .LBB287_2
; %bb.1:
	global_load_dword v0, v[4:5], off
	global_load_dword v10, v[6:7], off
.LBB287_2:
	s_or_b64 exec, exec, s[2:3]
	v_cmp_lt_i32_e64 s[2:3], 1, v8
	s_and_b64 s[2:3], vcc, s[2:3]
	s_mov_b32 s11, 0
	v_mov_b32_e32 v9, 0
	s_and_saveexec_b64 s[4:5], s[2:3]
	s_cbranch_execz .LBB287_4
; %bb.3:
	s_lshl_b64 s[6:7], s[10:11], 2
	v_mov_b32_e32 v9, s7
	v_add_co_u32_e64 v4, s[2:3], s6, v4
	v_addc_co_u32_e64 v5, s[2:3], v5, v9, s[2:3]
	global_load_dword v1, v[4:5], off
	v_add_co_u32_e64 v4, s[2:3], s6, v6
	v_addc_co_u32_e64 v5, s[2:3], v7, v9, s[2:3]
	global_load_dword v9, v[4:5], off
.LBB287_4:
	s_or_b64 exec, exec, s[4:5]
	v_mbcnt_lo_u32_b32 v6, -1, 0
	v_mbcnt_hi_u32_b32 v11, -1, v6
	v_and_b32_e32 v6, 0x60, v11
	v_add_u32_e32 v12, 32, v6
	v_xor_b32_e32 v6, 16, v11
	v_cmp_lt_i32_e64 s[2:3], v6, v12
	v_cndmask_b32_e64 v6, v11, v6, s[2:3]
	s_waitcnt vmcnt(1)
	v_pk_add_f32 v[4:5], v[0:1], 0 op_sel_hi:[1,0]
	v_lshlrev_b32_e32 v7, 2, v6
	ds_bpermute_b32 v6, v7, v4
	ds_bpermute_b32 v7, v7, v5
	v_xor_b32_e32 v13, 8, v11
	v_cmp_lt_i32_e64 s[2:3], v13, v12
	v_cndmask_b32_e64 v13, v11, v13, s[2:3]
	v_lshlrev_b32_e32 v13, 2, v13
	s_waitcnt lgkmcnt(0)
	v_pk_add_f32 v[4:5], v[4:5], v[6:7]
	ds_bpermute_b32 v6, v13, v4
	ds_bpermute_b32 v7, v13, v5
	v_xor_b32_e32 v13, 4, v11
	v_cmp_lt_i32_e64 s[2:3], v13, v12
	v_cndmask_b32_e64 v13, v11, v13, s[2:3]
	v_lshlrev_b32_e32 v13, 2, v13
	s_waitcnt lgkmcnt(0)
	v_pk_add_f32 v[4:5], v[4:5], v[6:7]
	;; [unrolled: 8-line block ×4, first 2 shown]
	ds_bpermute_b32 v6, v11, v4
	ds_bpermute_b32 v7, v11, v5
	s_and_saveexec_b64 s[2:3], s[0:1]
	s_cbranch_execz .LBB287_10
; %bb.5:
	v_lshlrev_b64 v[2:3], 1, v[2:3]
	v_mov_b32_e32 v11, s13
	v_add_co_u32_e64 v2, s[0:1], s12, v2
	v_addc_co_u32_e64 v3, s[0:1], v11, v3, s[0:1]
	s_waitcnt lgkmcnt(0)
	v_pk_add_f32 v[4:5], v[4:5], v[6:7]
	s_and_saveexec_b64 s[2:3], vcc
	s_cbranch_execz .LBB287_7
; %bb.6:
	s_waitcnt vmcnt(0)
	v_mul_f32_e32 v6, 0x3fb8aa3b, v10
	s_mov_b32 s0, 0x3fb8aa3b
	v_rndne_f32_e32 v7, v6
	v_sub_f32_e32 v11, v6, v7
	v_fma_f32 v6, v10, s0, -v6
	v_fmac_f32_e32 v6, 0x32a5705f, v10
	v_add_f32_e32 v6, v11, v6
	v_exp_f32_e32 v6, v6
	v_cvt_i32_f32_e32 v7, v7
	s_mov_b32 s0, 0xc2ce8ed0
	v_cmp_ngt_f32_e64 s[0:1], s0, v10
	v_ldexp_f32 v6, v6, v7
	v_cndmask_b32_e64 v6, 0, v6, s[0:1]
	s_mov_b32 s0, 0x42b17218
	v_mov_b32_e32 v7, 0x7f800000
	v_cmp_nlt_f32_e64 s[0:1], s0, v10
	v_cndmask_b32_e64 v6, v7, v6, s[0:1]
	v_fma_mixlo_f16 v0, -v4, v6, v0
	global_store_short v[2:3], v0, off
.LBB287_7:
	s_or_b64 exec, exec, s[2:3]
	v_cmp_ne_u32_e64 s[0:1], 1, v8
	s_and_b64 exec, exec, s[0:1]
	s_cbranch_execz .LBB287_10
; %bb.8:
	s_and_b64 exec, exec, vcc
	s_cbranch_execz .LBB287_10
; %bb.9:
	s_waitcnt vmcnt(0)
	v_mul_f32_e32 v0, 0x3fb8aa3b, v9
	s_mov_b32 s0, 0x3fb8aa3b
	v_rndne_f32_e32 v4, v0
	v_sub_f32_e32 v6, v0, v4
	v_fma_f32 v0, v9, s0, -v0
	v_fmac_f32_e32 v0, 0x32a5705f, v9
	v_add_f32_e32 v0, v6, v0
	v_exp_f32_e32 v0, v0
	v_cvt_i32_f32_e32 v4, v4
	s_mov_b32 s0, 0xc2ce8ed0
	v_cmp_ngt_f32_e32 vcc, s0, v9
	s_mov_b32 s0, 0x42b17218
	v_ldexp_f32 v0, v0, v4
	v_cndmask_b32_e32 v0, 0, v0, vcc
	v_mov_b32_e32 v4, 0x7f800000
	v_cmp_nlt_f32_e32 vcc, s0, v9
	v_cndmask_b32_e32 v0, v4, v0, vcc
	s_lshl_b64 s[0:1], s[10:11], 1
	v_fma_mixlo_f16 v4, -v5, v0, v1
	v_mov_b32_e32 v1, s1
	v_add_co_u32_e32 v0, vcc, s0, v2
	v_addc_co_u32_e32 v1, vcc, v3, v1, vcc
	global_store_short v[0:1], v4, off
.LBB287_10:
	s_endpgm
	.section	.rodata,"a",@progbits
	.p2align	6, 0x0
	.amdhsa_kernel _ZN12_GLOBAL__N_121softmax_warp_backwardIfN3c104HalfEfLi5ELb1ELb0ELi32EEEvPT0_PKT_S7_iiiPKb
		.amdhsa_group_segment_fixed_size 0
		.amdhsa_private_segment_fixed_size 0
		.amdhsa_kernarg_size 304
		.amdhsa_user_sgpr_count 6
		.amdhsa_user_sgpr_private_segment_buffer 1
		.amdhsa_user_sgpr_dispatch_ptr 0
		.amdhsa_user_sgpr_queue_ptr 0
		.amdhsa_user_sgpr_kernarg_segment_ptr 1
		.amdhsa_user_sgpr_dispatch_id 0
		.amdhsa_user_sgpr_flat_scratch_init 0
		.amdhsa_user_sgpr_kernarg_preload_length 0
		.amdhsa_user_sgpr_kernarg_preload_offset 0
		.amdhsa_user_sgpr_private_segment_size 0
		.amdhsa_uses_dynamic_stack 0
		.amdhsa_system_sgpr_private_segment_wavefront_offset 0
		.amdhsa_system_sgpr_workgroup_id_x 1
		.amdhsa_system_sgpr_workgroup_id_y 0
		.amdhsa_system_sgpr_workgroup_id_z 0
		.amdhsa_system_sgpr_workgroup_info 0
		.amdhsa_system_vgpr_workitem_id 1
		.amdhsa_next_free_vgpr 14
		.amdhsa_next_free_sgpr 16
		.amdhsa_accum_offset 16
		.amdhsa_reserve_vcc 1
		.amdhsa_reserve_flat_scratch 0
		.amdhsa_float_round_mode_32 0
		.amdhsa_float_round_mode_16_64 0
		.amdhsa_float_denorm_mode_32 3
		.amdhsa_float_denorm_mode_16_64 3
		.amdhsa_dx10_clamp 1
		.amdhsa_ieee_mode 1
		.amdhsa_fp16_overflow 0
		.amdhsa_tg_split 0
		.amdhsa_exception_fp_ieee_invalid_op 0
		.amdhsa_exception_fp_denorm_src 0
		.amdhsa_exception_fp_ieee_div_zero 0
		.amdhsa_exception_fp_ieee_overflow 0
		.amdhsa_exception_fp_ieee_underflow 0
		.amdhsa_exception_fp_ieee_inexact 0
		.amdhsa_exception_int_div_zero 0
	.end_amdhsa_kernel
	.section	.text._ZN12_GLOBAL__N_121softmax_warp_backwardIfN3c104HalfEfLi5ELb1ELb0ELi32EEEvPT0_PKT_S7_iiiPKb,"axG",@progbits,_ZN12_GLOBAL__N_121softmax_warp_backwardIfN3c104HalfEfLi5ELb1ELb0ELi32EEEvPT0_PKT_S7_iiiPKb,comdat
.Lfunc_end287:
	.size	_ZN12_GLOBAL__N_121softmax_warp_backwardIfN3c104HalfEfLi5ELb1ELb0ELi32EEEvPT0_PKT_S7_iiiPKb, .Lfunc_end287-_ZN12_GLOBAL__N_121softmax_warp_backwardIfN3c104HalfEfLi5ELb1ELb0ELi32EEEvPT0_PKT_S7_iiiPKb
                                        ; -- End function
	.section	.AMDGPU.csdata,"",@progbits
; Kernel info:
; codeLenInByte = 904
; NumSgprs: 20
; NumVgprs: 14
; NumAgprs: 0
; TotalNumVgprs: 14
; ScratchSize: 0
; MemoryBound: 0
; FloatMode: 240
; IeeeMode: 1
; LDSByteSize: 0 bytes/workgroup (compile time only)
; SGPRBlocks: 2
; VGPRBlocks: 1
; NumSGPRsForWavesPerEU: 20
; NumVGPRsForWavesPerEU: 14
; AccumOffset: 16
; Occupancy: 8
; WaveLimiterHint : 0
; COMPUTE_PGM_RSRC2:SCRATCH_EN: 0
; COMPUTE_PGM_RSRC2:USER_SGPR: 6
; COMPUTE_PGM_RSRC2:TRAP_HANDLER: 0
; COMPUTE_PGM_RSRC2:TGID_X_EN: 1
; COMPUTE_PGM_RSRC2:TGID_Y_EN: 0
; COMPUTE_PGM_RSRC2:TGID_Z_EN: 0
; COMPUTE_PGM_RSRC2:TIDIG_COMP_CNT: 1
; COMPUTE_PGM_RSRC3_GFX90A:ACCUM_OFFSET: 3
; COMPUTE_PGM_RSRC3_GFX90A:TG_SPLIT: 0
	.section	.text._ZN12_GLOBAL__N_121softmax_warp_backwardIfN3c104HalfEfLi6ELb1ELb0ELi64EEEvPT0_PKT_S7_iiiPKb,"axG",@progbits,_ZN12_GLOBAL__N_121softmax_warp_backwardIfN3c104HalfEfLi6ELb1ELb0ELi64EEEvPT0_PKT_S7_iiiPKb,comdat
	.globl	_ZN12_GLOBAL__N_121softmax_warp_backwardIfN3c104HalfEfLi6ELb1ELb0ELi64EEEvPT0_PKT_S7_iiiPKb ; -- Begin function _ZN12_GLOBAL__N_121softmax_warp_backwardIfN3c104HalfEfLi6ELb1ELb0ELi64EEEvPT0_PKT_S7_iiiPKb
	.p2align	8
	.type	_ZN12_GLOBAL__N_121softmax_warp_backwardIfN3c104HalfEfLi6ELb1ELb0ELi64EEEvPT0_PKT_S7_iiiPKb,@function
_ZN12_GLOBAL__N_121softmax_warp_backwardIfN3c104HalfEfLi6ELb1ELb0ELi64EEEvPT0_PKT_S7_iiiPKb: ; @_ZN12_GLOBAL__N_121softmax_warp_backwardIfN3c104HalfEfLi6ELb1ELb0ELi64EEEvPT0_PKT_S7_iiiPKb
; %bb.0:
	s_load_dword s2, s[4:5], 0x3c
	s_load_dwordx4 s[8:11], s[4:5], 0x18
	s_load_dwordx4 s[12:15], s[4:5], 0x0
	s_load_dwordx2 s[0:1], s[4:5], 0x10
	v_bfe_u32 v1, v0, 10, 10
	s_waitcnt lgkmcnt(0)
	s_lshr_b32 s2, s2, 16
	s_mul_i32 s6, s6, s2
	v_add_lshl_u32 v1, s6, v1, 1
	v_and_b32_e32 v0, 63, v0
	v_mad_u64_u32 v[2:3], s[2:3], v1, s9, v[0:1]
	v_ashrrev_i32_e32 v3, 31, v2
	v_lshlrev_b64 v[6:7], 2, v[2:3]
	v_sub_u32_e32 v8, s8, v1
	v_mov_b32_e32 v1, s15
	v_add_co_u32_e32 v4, vcc, s14, v6
	v_addc_co_u32_e32 v5, vcc, v1, v7, vcc
	v_mov_b32_e32 v1, s1
	v_add_co_u32_e32 v6, vcc, s0, v6
	v_addc_co_u32_e32 v7, vcc, v1, v7, vcc
	v_cmp_gt_i32_e32 vcc, s10, v0
	v_cmp_lt_i32_e64 s[0:1], 0, v8
	s_and_b64 s[4:5], vcc, s[0:1]
	v_mov_b32_e32 v1, 0
	v_mov_b32_e32 v0, 0
	;; [unrolled: 1-line block ×3, first 2 shown]
	s_and_saveexec_b64 s[2:3], s[4:5]
	s_cbranch_execz .LBB288_2
; %bb.1:
	global_load_dword v0, v[4:5], off
	global_load_dword v10, v[6:7], off
.LBB288_2:
	s_or_b64 exec, exec, s[2:3]
	v_cmp_lt_i32_e64 s[2:3], 1, v8
	s_and_b64 s[2:3], vcc, s[2:3]
	s_mov_b32 s11, 0
	v_mov_b32_e32 v9, 0
	s_and_saveexec_b64 s[4:5], s[2:3]
	s_cbranch_execz .LBB288_4
; %bb.3:
	s_lshl_b64 s[6:7], s[10:11], 2
	v_mov_b32_e32 v9, s7
	v_add_co_u32_e64 v4, s[2:3], s6, v4
	v_addc_co_u32_e64 v5, s[2:3], v5, v9, s[2:3]
	global_load_dword v1, v[4:5], off
	v_add_co_u32_e64 v4, s[2:3], s6, v6
	v_addc_co_u32_e64 v5, s[2:3], v7, v9, s[2:3]
	global_load_dword v9, v[4:5], off
.LBB288_4:
	s_or_b64 exec, exec, s[4:5]
	v_mbcnt_lo_u32_b32 v6, -1, 0
	v_mbcnt_hi_u32_b32 v11, -1, v6
	v_and_b32_e32 v6, 64, v11
	v_add_u32_e32 v12, 64, v6
	v_xor_b32_e32 v6, 32, v11
	v_cmp_lt_i32_e64 s[2:3], v6, v12
	v_cndmask_b32_e64 v6, v11, v6, s[2:3]
	s_waitcnt vmcnt(1)
	v_pk_add_f32 v[4:5], v[0:1], 0 op_sel_hi:[1,0]
	v_lshlrev_b32_e32 v7, 2, v6
	ds_bpermute_b32 v6, v7, v4
	ds_bpermute_b32 v7, v7, v5
	v_xor_b32_e32 v13, 16, v11
	v_cmp_lt_i32_e64 s[2:3], v13, v12
	v_cndmask_b32_e64 v13, v11, v13, s[2:3]
	v_lshlrev_b32_e32 v13, 2, v13
	s_waitcnt lgkmcnt(0)
	v_pk_add_f32 v[4:5], v[4:5], v[6:7]
	ds_bpermute_b32 v6, v13, v4
	ds_bpermute_b32 v7, v13, v5
	v_xor_b32_e32 v13, 8, v11
	v_cmp_lt_i32_e64 s[2:3], v13, v12
	v_cndmask_b32_e64 v13, v11, v13, s[2:3]
	v_lshlrev_b32_e32 v13, 2, v13
	s_waitcnt lgkmcnt(0)
	v_pk_add_f32 v[4:5], v[4:5], v[6:7]
	;; [unrolled: 8-line block ×5, first 2 shown]
	ds_bpermute_b32 v6, v11, v4
	ds_bpermute_b32 v7, v11, v5
	s_and_saveexec_b64 s[2:3], s[0:1]
	s_cbranch_execz .LBB288_10
; %bb.5:
	v_lshlrev_b64 v[2:3], 1, v[2:3]
	v_mov_b32_e32 v11, s13
	v_add_co_u32_e64 v2, s[0:1], s12, v2
	v_addc_co_u32_e64 v3, s[0:1], v11, v3, s[0:1]
	s_waitcnt lgkmcnt(0)
	v_pk_add_f32 v[4:5], v[4:5], v[6:7]
	s_and_saveexec_b64 s[2:3], vcc
	s_cbranch_execz .LBB288_7
; %bb.6:
	s_waitcnt vmcnt(0)
	v_mul_f32_e32 v6, 0x3fb8aa3b, v10
	s_mov_b32 s0, 0x3fb8aa3b
	v_rndne_f32_e32 v7, v6
	v_sub_f32_e32 v11, v6, v7
	v_fma_f32 v6, v10, s0, -v6
	v_fmac_f32_e32 v6, 0x32a5705f, v10
	v_add_f32_e32 v6, v11, v6
	v_exp_f32_e32 v6, v6
	v_cvt_i32_f32_e32 v7, v7
	s_mov_b32 s0, 0xc2ce8ed0
	v_cmp_ngt_f32_e64 s[0:1], s0, v10
	v_ldexp_f32 v6, v6, v7
	v_cndmask_b32_e64 v6, 0, v6, s[0:1]
	s_mov_b32 s0, 0x42b17218
	v_mov_b32_e32 v7, 0x7f800000
	v_cmp_nlt_f32_e64 s[0:1], s0, v10
	v_cndmask_b32_e64 v6, v7, v6, s[0:1]
	v_fma_mixlo_f16 v0, -v4, v6, v0
	global_store_short v[2:3], v0, off
.LBB288_7:
	s_or_b64 exec, exec, s[2:3]
	v_cmp_ne_u32_e64 s[0:1], 1, v8
	s_and_b64 exec, exec, s[0:1]
	s_cbranch_execz .LBB288_10
; %bb.8:
	s_and_b64 exec, exec, vcc
	s_cbranch_execz .LBB288_10
; %bb.9:
	s_waitcnt vmcnt(0)
	v_mul_f32_e32 v0, 0x3fb8aa3b, v9
	s_mov_b32 s0, 0x3fb8aa3b
	v_rndne_f32_e32 v4, v0
	v_sub_f32_e32 v6, v0, v4
	v_fma_f32 v0, v9, s0, -v0
	v_fmac_f32_e32 v0, 0x32a5705f, v9
	v_add_f32_e32 v0, v6, v0
	v_exp_f32_e32 v0, v0
	v_cvt_i32_f32_e32 v4, v4
	s_mov_b32 s0, 0xc2ce8ed0
	v_cmp_ngt_f32_e32 vcc, s0, v9
	s_mov_b32 s0, 0x42b17218
	v_ldexp_f32 v0, v0, v4
	v_cndmask_b32_e32 v0, 0, v0, vcc
	v_mov_b32_e32 v4, 0x7f800000
	v_cmp_nlt_f32_e32 vcc, s0, v9
	v_cndmask_b32_e32 v0, v4, v0, vcc
	s_lshl_b64 s[0:1], s[10:11], 1
	v_fma_mixlo_f16 v4, -v5, v0, v1
	v_mov_b32_e32 v1, s1
	v_add_co_u32_e32 v0, vcc, s0, v2
	v_addc_co_u32_e32 v1, vcc, v3, v1, vcc
	global_store_short v[0:1], v4, off
.LBB288_10:
	s_endpgm
	.section	.rodata,"a",@progbits
	.p2align	6, 0x0
	.amdhsa_kernel _ZN12_GLOBAL__N_121softmax_warp_backwardIfN3c104HalfEfLi6ELb1ELb0ELi64EEEvPT0_PKT_S7_iiiPKb
		.amdhsa_group_segment_fixed_size 0
		.amdhsa_private_segment_fixed_size 0
		.amdhsa_kernarg_size 304
		.amdhsa_user_sgpr_count 6
		.amdhsa_user_sgpr_private_segment_buffer 1
		.amdhsa_user_sgpr_dispatch_ptr 0
		.amdhsa_user_sgpr_queue_ptr 0
		.amdhsa_user_sgpr_kernarg_segment_ptr 1
		.amdhsa_user_sgpr_dispatch_id 0
		.amdhsa_user_sgpr_flat_scratch_init 0
		.amdhsa_user_sgpr_kernarg_preload_length 0
		.amdhsa_user_sgpr_kernarg_preload_offset 0
		.amdhsa_user_sgpr_private_segment_size 0
		.amdhsa_uses_dynamic_stack 0
		.amdhsa_system_sgpr_private_segment_wavefront_offset 0
		.amdhsa_system_sgpr_workgroup_id_x 1
		.amdhsa_system_sgpr_workgroup_id_y 0
		.amdhsa_system_sgpr_workgroup_id_z 0
		.amdhsa_system_sgpr_workgroup_info 0
		.amdhsa_system_vgpr_workitem_id 1
		.amdhsa_next_free_vgpr 14
		.amdhsa_next_free_sgpr 16
		.amdhsa_accum_offset 16
		.amdhsa_reserve_vcc 1
		.amdhsa_reserve_flat_scratch 0
		.amdhsa_float_round_mode_32 0
		.amdhsa_float_round_mode_16_64 0
		.amdhsa_float_denorm_mode_32 3
		.amdhsa_float_denorm_mode_16_64 3
		.amdhsa_dx10_clamp 1
		.amdhsa_ieee_mode 1
		.amdhsa_fp16_overflow 0
		.amdhsa_tg_split 0
		.amdhsa_exception_fp_ieee_invalid_op 0
		.amdhsa_exception_fp_denorm_src 0
		.amdhsa_exception_fp_ieee_div_zero 0
		.amdhsa_exception_fp_ieee_overflow 0
		.amdhsa_exception_fp_ieee_underflow 0
		.amdhsa_exception_fp_ieee_inexact 0
		.amdhsa_exception_int_div_zero 0
	.end_amdhsa_kernel
	.section	.text._ZN12_GLOBAL__N_121softmax_warp_backwardIfN3c104HalfEfLi6ELb1ELb0ELi64EEEvPT0_PKT_S7_iiiPKb,"axG",@progbits,_ZN12_GLOBAL__N_121softmax_warp_backwardIfN3c104HalfEfLi6ELb1ELb0ELi64EEEvPT0_PKT_S7_iiiPKb,comdat
.Lfunc_end288:
	.size	_ZN12_GLOBAL__N_121softmax_warp_backwardIfN3c104HalfEfLi6ELb1ELb0ELi64EEEvPT0_PKT_S7_iiiPKb, .Lfunc_end288-_ZN12_GLOBAL__N_121softmax_warp_backwardIfN3c104HalfEfLi6ELb1ELb0ELi64EEEvPT0_PKT_S7_iiiPKb
                                        ; -- End function
	.section	.AMDGPU.csdata,"",@progbits
; Kernel info:
; codeLenInByte = 952
; NumSgprs: 20
; NumVgprs: 14
; NumAgprs: 0
; TotalNumVgprs: 14
; ScratchSize: 0
; MemoryBound: 0
; FloatMode: 240
; IeeeMode: 1
; LDSByteSize: 0 bytes/workgroup (compile time only)
; SGPRBlocks: 2
; VGPRBlocks: 1
; NumSGPRsForWavesPerEU: 20
; NumVGPRsForWavesPerEU: 14
; AccumOffset: 16
; Occupancy: 8
; WaveLimiterHint : 0
; COMPUTE_PGM_RSRC2:SCRATCH_EN: 0
; COMPUTE_PGM_RSRC2:USER_SGPR: 6
; COMPUTE_PGM_RSRC2:TRAP_HANDLER: 0
; COMPUTE_PGM_RSRC2:TGID_X_EN: 1
; COMPUTE_PGM_RSRC2:TGID_Y_EN: 0
; COMPUTE_PGM_RSRC2:TGID_Z_EN: 0
; COMPUTE_PGM_RSRC2:TIDIG_COMP_CNT: 1
; COMPUTE_PGM_RSRC3_GFX90A:ACCUM_OFFSET: 3
; COMPUTE_PGM_RSRC3_GFX90A:TG_SPLIT: 0
	.section	.text._ZN12_GLOBAL__N_121softmax_warp_backwardIfN3c104HalfEfLi6ELb1ELb0ELi32EEEvPT0_PKT_S7_iiiPKb,"axG",@progbits,_ZN12_GLOBAL__N_121softmax_warp_backwardIfN3c104HalfEfLi6ELb1ELb0ELi32EEEvPT0_PKT_S7_iiiPKb,comdat
	.globl	_ZN12_GLOBAL__N_121softmax_warp_backwardIfN3c104HalfEfLi6ELb1ELb0ELi32EEEvPT0_PKT_S7_iiiPKb ; -- Begin function _ZN12_GLOBAL__N_121softmax_warp_backwardIfN3c104HalfEfLi6ELb1ELb0ELi32EEEvPT0_PKT_S7_iiiPKb
	.p2align	8
	.type	_ZN12_GLOBAL__N_121softmax_warp_backwardIfN3c104HalfEfLi6ELb1ELb0ELi32EEEvPT0_PKT_S7_iiiPKb,@function
_ZN12_GLOBAL__N_121softmax_warp_backwardIfN3c104HalfEfLi6ELb1ELb0ELi32EEEvPT0_PKT_S7_iiiPKb: ; @_ZN12_GLOBAL__N_121softmax_warp_backwardIfN3c104HalfEfLi6ELb1ELb0ELi32EEEvPT0_PKT_S7_iiiPKb
; %bb.0:
	s_load_dword s2, s[4:5], 0x3c
	s_load_dwordx4 s[8:11], s[4:5], 0x18
	s_load_dwordx4 s[12:15], s[4:5], 0x0
	s_load_dwordx2 s[0:1], s[4:5], 0x10
	v_bfe_u32 v1, v0, 10, 10
	s_waitcnt lgkmcnt(0)
	s_lshr_b32 s2, s2, 16
	s_mul_i32 s6, s6, s2
	v_add_lshl_u32 v1, s6, v1, 1
	v_sub_u32_e32 v11, s8, v1
	v_and_b32_e32 v10, 31, v0
	v_mad_u64_u32 v[4:5], s[2:3], v1, s9, v[10:11]
	v_ashrrev_i32_e32 v5, 31, v4
	v_lshlrev_b64 v[0:1], 2, v[4:5]
	v_mov_b32_e32 v2, s15
	v_add_co_u32_e32 v6, vcc, s14, v0
	v_addc_co_u32_e32 v7, vcc, v2, v1, vcc
	v_mov_b32_e32 v2, s1
	v_add_co_u32_e32 v8, vcc, s0, v0
	v_cmp_lt_i32_e64 s[2:3], 0, v11
	v_cmp_gt_i32_e64 s[0:1], s10, v10
	v_addc_co_u32_e32 v9, vcc, v2, v1, vcc
	s_and_b64 s[6:7], s[2:3], s[0:1]
	v_mov_b32_e32 v0, 0
	v_mov_b32_e32 v2, 0
	;; [unrolled: 1-line block ×3, first 2 shown]
	s_and_saveexec_b64 s[4:5], s[6:7]
	s_cbranch_execz .LBB289_2
; %bb.1:
	global_load_dword v2, v[6:7], off
	global_load_dword v14, v[8:9], off
.LBB289_2:
	s_or_b64 exec, exec, s[4:5]
	v_or_b32_e32 v1, 32, v10
	v_cmp_gt_i32_e32 vcc, s10, v1
	s_and_b64 s[6:7], s[2:3], vcc
	v_mov_b32_e32 v13, 0
	s_and_saveexec_b64 s[4:5], s[6:7]
	s_cbranch_execz .LBB289_4
; %bb.3:
	global_load_dword v0, v[6:7], off offset:128
	global_load_dword v13, v[8:9], off offset:128
.LBB289_4:
	s_or_b64 exec, exec, s[4:5]
	v_cmp_lt_i32_e64 s[4:5], 1, v11
	s_and_b64 s[6:7], s[4:5], s[0:1]
	s_mov_b32 s11, 0
	v_mov_b32_e32 v1, 0
	v_mov_b32_e32 v3, 0
	v_mov_b32_e32 v12, 0
	s_and_saveexec_b64 s[8:9], s[6:7]
	s_cbranch_execz .LBB289_6
; %bb.5:
	s_lshl_b64 s[14:15], s[10:11], 2
	v_mov_b32_e32 v10, s15
	v_add_co_u32_e64 v16, s[6:7], s14, v6
	v_addc_co_u32_e64 v17, s[6:7], v7, v10, s[6:7]
	global_load_dword v3, v[16:17], off
	v_add_co_u32_e64 v16, s[6:7], s14, v8
	v_addc_co_u32_e64 v17, s[6:7], v9, v10, s[6:7]
	global_load_dword v12, v[16:17], off
.LBB289_6:
	s_or_b64 exec, exec, s[8:9]
	s_and_b64 s[4:5], s[4:5], vcc
	v_mov_b32_e32 v10, 0
	s_and_saveexec_b64 s[6:7], s[4:5]
	s_cbranch_execz .LBB289_8
; %bb.7:
	s_lshl_b64 s[8:9], s[10:11], 2
	v_mov_b32_e32 v10, s9
	v_add_co_u32_e64 v6, s[4:5], s8, v6
	v_addc_co_u32_e64 v7, s[4:5], v7, v10, s[4:5]
	global_load_dword v1, v[6:7], off offset:128
	v_add_co_u32_e64 v6, s[4:5], s8, v8
	v_addc_co_u32_e64 v7, s[4:5], v9, v10, s[4:5]
	global_load_dword v10, v[6:7], off offset:128
.LBB289_8:
	s_or_b64 exec, exec, s[6:7]
	v_mbcnt_lo_u32_b32 v8, -1, 0
	v_mbcnt_hi_u32_b32 v15, -1, v8
	v_and_b32_e32 v8, 0x60, v15
	v_add_u32_e32 v16, 32, v8
	v_xor_b32_e32 v8, 16, v15
	v_cmp_lt_i32_e64 s[4:5], v8, v16
	s_waitcnt vmcnt(1)
	v_pk_add_f32 v[6:7], v[2:3], 0 op_sel_hi:[1,0]
	v_cndmask_b32_e64 v8, v15, v8, s[4:5]
	v_lshlrev_b32_e32 v9, 2, v8
	v_pk_add_f32 v[6:7], v[6:7], v[0:1]
	ds_bpermute_b32 v8, v9, v6
	ds_bpermute_b32 v9, v9, v7
	v_xor_b32_e32 v17, 8, v15
	v_cmp_lt_i32_e64 s[4:5], v17, v16
	v_cndmask_b32_e64 v17, v15, v17, s[4:5]
	v_lshlrev_b32_e32 v17, 2, v17
	s_waitcnt lgkmcnt(0)
	v_pk_add_f32 v[6:7], v[6:7], v[8:9]
	ds_bpermute_b32 v8, v17, v6
	ds_bpermute_b32 v9, v17, v7
	v_xor_b32_e32 v17, 4, v15
	v_cmp_lt_i32_e64 s[4:5], v17, v16
	v_cndmask_b32_e64 v17, v15, v17, s[4:5]
	v_lshlrev_b32_e32 v17, 2, v17
	s_waitcnt lgkmcnt(0)
	;; [unrolled: 8-line block ×4, first 2 shown]
	v_pk_add_f32 v[6:7], v[6:7], v[8:9]
	ds_bpermute_b32 v8, v15, v6
	ds_bpermute_b32 v9, v15, v7
	s_and_saveexec_b64 s[4:5], s[2:3]
	s_cbranch_execz .LBB289_12
; %bb.9:
	v_lshlrev_b64 v[4:5], 1, v[4:5]
	v_mov_b32_e32 v15, s13
	v_add_co_u32_e64 v4, s[2:3], s12, v4
	v_addc_co_u32_e64 v5, s[2:3], v15, v5, s[2:3]
	s_waitcnt lgkmcnt(0)
	v_pk_add_f32 v[6:7], v[6:7], v[8:9]
	s_and_saveexec_b64 s[4:5], s[0:1]
	s_cbranch_execnz .LBB289_13
; %bb.10:
	s_or_b64 exec, exec, s[4:5]
	s_and_saveexec_b64 s[4:5], vcc
	s_cbranch_execnz .LBB289_14
.LBB289_11:
	s_or_b64 exec, exec, s[4:5]
	v_cmp_ne_u32_e64 s[2:3], 1, v11
	s_and_b64 exec, exec, s[2:3]
	s_cbranch_execnz .LBB289_15
.LBB289_12:
	s_endpgm
.LBB289_13:
	s_waitcnt vmcnt(0)
	v_mul_f32_e32 v8, 0x3fb8aa3b, v14
	s_mov_b32 s2, 0x3fb8aa3b
	v_rndne_f32_e32 v9, v8
	v_sub_f32_e32 v15, v8, v9
	v_fma_f32 v8, v14, s2, -v8
	v_fmac_f32_e32 v8, 0x32a5705f, v14
	v_add_f32_e32 v8, v15, v8
	v_exp_f32_e32 v8, v8
	v_cvt_i32_f32_e32 v9, v9
	s_mov_b32 s2, 0xc2ce8ed0
	v_cmp_ngt_f32_e64 s[2:3], s2, v14
	v_ldexp_f32 v8, v8, v9
	v_cndmask_b32_e64 v8, 0, v8, s[2:3]
	s_mov_b32 s2, 0x42b17218
	v_mov_b32_e32 v9, 0x7f800000
	v_cmp_nlt_f32_e64 s[2:3], s2, v14
	v_cndmask_b32_e64 v8, v9, v8, s[2:3]
	v_fma_mixlo_f16 v2, -v6, v8, v2
	global_store_short v[4:5], v2, off
	s_or_b64 exec, exec, s[4:5]
	s_and_saveexec_b64 s[4:5], vcc
	s_cbranch_execz .LBB289_11
.LBB289_14:
	s_waitcnt vmcnt(0)
	v_mul_f32_e32 v2, 0x3fb8aa3b, v13
	s_mov_b32 s2, 0x3fb8aa3b
	v_rndne_f32_e32 v8, v2
	v_sub_f32_e32 v9, v2, v8
	v_fma_f32 v2, v13, s2, -v2
	v_fmac_f32_e32 v2, 0x32a5705f, v13
	v_add_f32_e32 v2, v9, v2
	v_exp_f32_e32 v2, v2
	v_cvt_i32_f32_e32 v8, v8
	s_mov_b32 s2, 0xc2ce8ed0
	v_cmp_ngt_f32_e64 s[2:3], s2, v13
	v_ldexp_f32 v2, v2, v8
	v_cndmask_b32_e64 v2, 0, v2, s[2:3]
	s_mov_b32 s2, 0x42b17218
	v_mov_b32_e32 v8, 0x7f800000
	v_cmp_nlt_f32_e64 s[2:3], s2, v13
	v_cndmask_b32_e64 v2, v8, v2, s[2:3]
	v_fma_mixlo_f16 v0, -v6, v2, v0
	global_store_short v[4:5], v0, off offset:64
	s_or_b64 exec, exec, s[4:5]
	v_cmp_ne_u32_e64 s[2:3], 1, v11
	s_and_b64 exec, exec, s[2:3]
	s_cbranch_execz .LBB289_12
.LBB289_15:
	s_and_saveexec_b64 s[2:3], s[0:1]
	s_cbranch_execz .LBB289_17
; %bb.16:
	s_waitcnt vmcnt(0)
	v_mul_f32_e32 v0, 0x3fb8aa3b, v12
	s_mov_b32 s0, 0x3fb8aa3b
	v_rndne_f32_e32 v2, v0
	v_sub_f32_e32 v6, v0, v2
	v_fma_f32 v0, v12, s0, -v0
	v_fmac_f32_e32 v0, 0x32a5705f, v12
	v_add_f32_e32 v0, v6, v0
	v_exp_f32_e32 v0, v0
	v_cvt_i32_f32_e32 v2, v2
	s_mov_b32 s0, 0xc2ce8ed0
	v_cmp_ngt_f32_e64 s[0:1], s0, v12
	v_ldexp_f32 v0, v0, v2
	v_cndmask_b32_e64 v0, 0, v0, s[0:1]
	s_mov_b32 s0, 0x42b17218
	v_mov_b32_e32 v2, 0x7f800000
	v_cmp_nlt_f32_e64 s[0:1], s0, v12
	v_cndmask_b32_e64 v0, v2, v0, s[0:1]
	s_lshl_b64 s[0:1], s[10:11], 1
	v_fma_mixlo_f16 v0, -v7, v0, v3
	v_mov_b32_e32 v3, s1
	v_add_co_u32_e64 v2, s[0:1], s0, v4
	v_addc_co_u32_e64 v3, s[0:1], v5, v3, s[0:1]
	global_store_short v[2:3], v0, off
.LBB289_17:
	s_or_b64 exec, exec, s[2:3]
	s_and_b64 exec, exec, vcc
	s_cbranch_execz .LBB289_12
; %bb.18:
	s_waitcnt vmcnt(0)
	v_mul_f32_e32 v0, 0x3fb8aa3b, v10
	s_mov_b32 s0, 0x3fb8aa3b
	v_rndne_f32_e32 v2, v0
	v_sub_f32_e32 v3, v0, v2
	v_fma_f32 v0, v10, s0, -v0
	v_fmac_f32_e32 v0, 0x32a5705f, v10
	v_add_f32_e32 v0, v3, v0
	v_exp_f32_e32 v0, v0
	v_cvt_i32_f32_e32 v2, v2
	s_mov_b32 s0, 0xc2ce8ed0
	v_cmp_ngt_f32_e32 vcc, s0, v10
	s_mov_b32 s0, 0x42b17218
	v_ldexp_f32 v0, v0, v2
	v_cndmask_b32_e32 v0, 0, v0, vcc
	v_mov_b32_e32 v2, 0x7f800000
	v_cmp_nlt_f32_e32 vcc, s0, v10
	s_ashr_i32 s11, s10, 31
	v_cndmask_b32_e32 v0, v2, v0, vcc
	s_lshl_b64 s[0:1], s[10:11], 1
	v_fma_mixlo_f16 v2, -v7, v0, v1
	v_mov_b32_e32 v1, s1
	v_add_co_u32_e32 v0, vcc, s0, v4
	v_addc_co_u32_e32 v1, vcc, v5, v1, vcc
	global_store_short v[0:1], v2, off offset:64
	s_endpgm
	.section	.rodata,"a",@progbits
	.p2align	6, 0x0
	.amdhsa_kernel _ZN12_GLOBAL__N_121softmax_warp_backwardIfN3c104HalfEfLi6ELb1ELb0ELi32EEEvPT0_PKT_S7_iiiPKb
		.amdhsa_group_segment_fixed_size 0
		.amdhsa_private_segment_fixed_size 0
		.amdhsa_kernarg_size 304
		.amdhsa_user_sgpr_count 6
		.amdhsa_user_sgpr_private_segment_buffer 1
		.amdhsa_user_sgpr_dispatch_ptr 0
		.amdhsa_user_sgpr_queue_ptr 0
		.amdhsa_user_sgpr_kernarg_segment_ptr 1
		.amdhsa_user_sgpr_dispatch_id 0
		.amdhsa_user_sgpr_flat_scratch_init 0
		.amdhsa_user_sgpr_kernarg_preload_length 0
		.amdhsa_user_sgpr_kernarg_preload_offset 0
		.amdhsa_user_sgpr_private_segment_size 0
		.amdhsa_uses_dynamic_stack 0
		.amdhsa_system_sgpr_private_segment_wavefront_offset 0
		.amdhsa_system_sgpr_workgroup_id_x 1
		.amdhsa_system_sgpr_workgroup_id_y 0
		.amdhsa_system_sgpr_workgroup_id_z 0
		.amdhsa_system_sgpr_workgroup_info 0
		.amdhsa_system_vgpr_workitem_id 1
		.amdhsa_next_free_vgpr 18
		.amdhsa_next_free_sgpr 16
		.amdhsa_accum_offset 20
		.amdhsa_reserve_vcc 1
		.amdhsa_reserve_flat_scratch 0
		.amdhsa_float_round_mode_32 0
		.amdhsa_float_round_mode_16_64 0
		.amdhsa_float_denorm_mode_32 3
		.amdhsa_float_denorm_mode_16_64 3
		.amdhsa_dx10_clamp 1
		.amdhsa_ieee_mode 1
		.amdhsa_fp16_overflow 0
		.amdhsa_tg_split 0
		.amdhsa_exception_fp_ieee_invalid_op 0
		.amdhsa_exception_fp_denorm_src 0
		.amdhsa_exception_fp_ieee_div_zero 0
		.amdhsa_exception_fp_ieee_overflow 0
		.amdhsa_exception_fp_ieee_underflow 0
		.amdhsa_exception_fp_ieee_inexact 0
		.amdhsa_exception_int_div_zero 0
	.end_amdhsa_kernel
	.section	.text._ZN12_GLOBAL__N_121softmax_warp_backwardIfN3c104HalfEfLi6ELb1ELb0ELi32EEEvPT0_PKT_S7_iiiPKb,"axG",@progbits,_ZN12_GLOBAL__N_121softmax_warp_backwardIfN3c104HalfEfLi6ELb1ELb0ELi32EEEvPT0_PKT_S7_iiiPKb,comdat
.Lfunc_end289:
	.size	_ZN12_GLOBAL__N_121softmax_warp_backwardIfN3c104HalfEfLi6ELb1ELb0ELi32EEEvPT0_PKT_S7_iiiPKb, .Lfunc_end289-_ZN12_GLOBAL__N_121softmax_warp_backwardIfN3c104HalfEfLi6ELb1ELb0ELi32EEEvPT0_PKT_S7_iiiPKb
                                        ; -- End function
	.section	.AMDGPU.csdata,"",@progbits
; Kernel info:
; codeLenInByte = 1404
; NumSgprs: 20
; NumVgprs: 18
; NumAgprs: 0
; TotalNumVgprs: 18
; ScratchSize: 0
; MemoryBound: 0
; FloatMode: 240
; IeeeMode: 1
; LDSByteSize: 0 bytes/workgroup (compile time only)
; SGPRBlocks: 2
; VGPRBlocks: 2
; NumSGPRsForWavesPerEU: 20
; NumVGPRsForWavesPerEU: 18
; AccumOffset: 20
; Occupancy: 8
; WaveLimiterHint : 0
; COMPUTE_PGM_RSRC2:SCRATCH_EN: 0
; COMPUTE_PGM_RSRC2:USER_SGPR: 6
; COMPUTE_PGM_RSRC2:TRAP_HANDLER: 0
; COMPUTE_PGM_RSRC2:TGID_X_EN: 1
; COMPUTE_PGM_RSRC2:TGID_Y_EN: 0
; COMPUTE_PGM_RSRC2:TGID_Z_EN: 0
; COMPUTE_PGM_RSRC2:TIDIG_COMP_CNT: 1
; COMPUTE_PGM_RSRC3_GFX90A:ACCUM_OFFSET: 4
; COMPUTE_PGM_RSRC3_GFX90A:TG_SPLIT: 0
	.section	.text._ZN12_GLOBAL__N_121softmax_warp_backwardIfN3c104HalfEfLi7ELb1ELb0ELi64EEEvPT0_PKT_S7_iiiPKb,"axG",@progbits,_ZN12_GLOBAL__N_121softmax_warp_backwardIfN3c104HalfEfLi7ELb1ELb0ELi64EEEvPT0_PKT_S7_iiiPKb,comdat
	.globl	_ZN12_GLOBAL__N_121softmax_warp_backwardIfN3c104HalfEfLi7ELb1ELb0ELi64EEEvPT0_PKT_S7_iiiPKb ; -- Begin function _ZN12_GLOBAL__N_121softmax_warp_backwardIfN3c104HalfEfLi7ELb1ELb0ELi64EEEvPT0_PKT_S7_iiiPKb
	.p2align	8
	.type	_ZN12_GLOBAL__N_121softmax_warp_backwardIfN3c104HalfEfLi7ELb1ELb0ELi64EEEvPT0_PKT_S7_iiiPKb,@function
_ZN12_GLOBAL__N_121softmax_warp_backwardIfN3c104HalfEfLi7ELb1ELb0ELi64EEEvPT0_PKT_S7_iiiPKb: ; @_ZN12_GLOBAL__N_121softmax_warp_backwardIfN3c104HalfEfLi7ELb1ELb0ELi64EEEvPT0_PKT_S7_iiiPKb
; %bb.0:
	s_load_dword s2, s[4:5], 0x3c
	s_load_dwordx4 s[8:11], s[4:5], 0x18
	s_load_dwordx4 s[12:15], s[4:5], 0x0
	s_load_dwordx2 s[0:1], s[4:5], 0x10
	v_bfe_u32 v1, v0, 10, 10
	s_waitcnt lgkmcnt(0)
	s_lshr_b32 s2, s2, 16
	s_mul_i32 s6, s6, s2
	v_add_lshl_u32 v1, s6, v1, 1
	v_sub_u32_e32 v11, s8, v1
	v_and_b32_e32 v10, 63, v0
	v_mad_u64_u32 v[4:5], s[2:3], v1, s9, v[10:11]
	v_ashrrev_i32_e32 v5, 31, v4
	v_lshlrev_b64 v[0:1], 2, v[4:5]
	v_mov_b32_e32 v2, s15
	v_add_co_u32_e32 v6, vcc, s14, v0
	v_addc_co_u32_e32 v7, vcc, v2, v1, vcc
	v_mov_b32_e32 v2, s1
	v_add_co_u32_e32 v8, vcc, s0, v0
	v_cmp_lt_i32_e64 s[2:3], 0, v11
	v_cmp_gt_i32_e64 s[0:1], s10, v10
	v_addc_co_u32_e32 v9, vcc, v2, v1, vcc
	s_and_b64 s[6:7], s[2:3], s[0:1]
	v_mov_b32_e32 v0, 0
	v_mov_b32_e32 v2, 0
	;; [unrolled: 1-line block ×3, first 2 shown]
	s_and_saveexec_b64 s[4:5], s[6:7]
	s_cbranch_execz .LBB290_2
; %bb.1:
	global_load_dword v2, v[6:7], off
	global_load_dword v14, v[8:9], off
.LBB290_2:
	s_or_b64 exec, exec, s[4:5]
	v_or_b32_e32 v1, 64, v10
	v_cmp_gt_i32_e32 vcc, s10, v1
	s_and_b64 s[6:7], s[2:3], vcc
	v_mov_b32_e32 v13, 0
	s_and_saveexec_b64 s[4:5], s[6:7]
	s_cbranch_execz .LBB290_4
; %bb.3:
	global_load_dword v0, v[6:7], off offset:256
	global_load_dword v13, v[8:9], off offset:256
.LBB290_4:
	s_or_b64 exec, exec, s[4:5]
	v_cmp_lt_i32_e64 s[4:5], 1, v11
	s_and_b64 s[6:7], s[4:5], s[0:1]
	s_mov_b32 s11, 0
	v_mov_b32_e32 v1, 0
	v_mov_b32_e32 v3, 0
	;; [unrolled: 1-line block ×3, first 2 shown]
	s_and_saveexec_b64 s[8:9], s[6:7]
	s_cbranch_execz .LBB290_6
; %bb.5:
	s_lshl_b64 s[14:15], s[10:11], 2
	v_mov_b32_e32 v10, s15
	v_add_co_u32_e64 v16, s[6:7], s14, v6
	v_addc_co_u32_e64 v17, s[6:7], v7, v10, s[6:7]
	global_load_dword v3, v[16:17], off
	v_add_co_u32_e64 v16, s[6:7], s14, v8
	v_addc_co_u32_e64 v17, s[6:7], v9, v10, s[6:7]
	global_load_dword v12, v[16:17], off
.LBB290_6:
	s_or_b64 exec, exec, s[8:9]
	s_and_b64 s[4:5], s[4:5], vcc
	v_mov_b32_e32 v10, 0
	s_and_saveexec_b64 s[6:7], s[4:5]
	s_cbranch_execz .LBB290_8
; %bb.7:
	s_lshl_b64 s[8:9], s[10:11], 2
	v_mov_b32_e32 v10, s9
	v_add_co_u32_e64 v6, s[4:5], s8, v6
	v_addc_co_u32_e64 v7, s[4:5], v7, v10, s[4:5]
	global_load_dword v1, v[6:7], off offset:256
	v_add_co_u32_e64 v6, s[4:5], s8, v8
	v_addc_co_u32_e64 v7, s[4:5], v9, v10, s[4:5]
	global_load_dword v10, v[6:7], off offset:256
.LBB290_8:
	s_or_b64 exec, exec, s[6:7]
	v_mbcnt_lo_u32_b32 v8, -1, 0
	v_mbcnt_hi_u32_b32 v15, -1, v8
	v_and_b32_e32 v8, 64, v15
	v_add_u32_e32 v16, 64, v8
	v_xor_b32_e32 v8, 32, v15
	v_cmp_lt_i32_e64 s[4:5], v8, v16
	s_waitcnt vmcnt(1)
	v_pk_add_f32 v[6:7], v[2:3], 0 op_sel_hi:[1,0]
	v_cndmask_b32_e64 v8, v15, v8, s[4:5]
	v_lshlrev_b32_e32 v9, 2, v8
	v_pk_add_f32 v[6:7], v[6:7], v[0:1]
	ds_bpermute_b32 v8, v9, v6
	ds_bpermute_b32 v9, v9, v7
	v_xor_b32_e32 v17, 16, v15
	v_cmp_lt_i32_e64 s[4:5], v17, v16
	v_cndmask_b32_e64 v17, v15, v17, s[4:5]
	v_lshlrev_b32_e32 v17, 2, v17
	s_waitcnt lgkmcnt(0)
	v_pk_add_f32 v[6:7], v[6:7], v[8:9]
	ds_bpermute_b32 v8, v17, v6
	ds_bpermute_b32 v9, v17, v7
	v_xor_b32_e32 v17, 8, v15
	v_cmp_lt_i32_e64 s[4:5], v17, v16
	v_cndmask_b32_e64 v17, v15, v17, s[4:5]
	v_lshlrev_b32_e32 v17, 2, v17
	s_waitcnt lgkmcnt(0)
	;; [unrolled: 8-line block ×5, first 2 shown]
	v_pk_add_f32 v[6:7], v[6:7], v[8:9]
	ds_bpermute_b32 v8, v15, v6
	ds_bpermute_b32 v9, v15, v7
	s_and_saveexec_b64 s[4:5], s[2:3]
	s_cbranch_execz .LBB290_12
; %bb.9:
	v_lshlrev_b64 v[4:5], 1, v[4:5]
	v_mov_b32_e32 v15, s13
	v_add_co_u32_e64 v4, s[2:3], s12, v4
	v_addc_co_u32_e64 v5, s[2:3], v15, v5, s[2:3]
	s_waitcnt lgkmcnt(0)
	v_pk_add_f32 v[6:7], v[6:7], v[8:9]
	s_and_saveexec_b64 s[4:5], s[0:1]
	s_cbranch_execnz .LBB290_13
; %bb.10:
	s_or_b64 exec, exec, s[4:5]
	s_and_saveexec_b64 s[4:5], vcc
	s_cbranch_execnz .LBB290_14
.LBB290_11:
	s_or_b64 exec, exec, s[4:5]
	v_cmp_ne_u32_e64 s[2:3], 1, v11
	s_and_b64 exec, exec, s[2:3]
	s_cbranch_execnz .LBB290_15
.LBB290_12:
	s_endpgm
.LBB290_13:
	s_waitcnt vmcnt(0)
	v_mul_f32_e32 v8, 0x3fb8aa3b, v14
	s_mov_b32 s2, 0x3fb8aa3b
	v_rndne_f32_e32 v9, v8
	v_sub_f32_e32 v15, v8, v9
	v_fma_f32 v8, v14, s2, -v8
	v_fmac_f32_e32 v8, 0x32a5705f, v14
	v_add_f32_e32 v8, v15, v8
	v_exp_f32_e32 v8, v8
	v_cvt_i32_f32_e32 v9, v9
	s_mov_b32 s2, 0xc2ce8ed0
	v_cmp_ngt_f32_e64 s[2:3], s2, v14
	v_ldexp_f32 v8, v8, v9
	v_cndmask_b32_e64 v8, 0, v8, s[2:3]
	s_mov_b32 s2, 0x42b17218
	v_mov_b32_e32 v9, 0x7f800000
	v_cmp_nlt_f32_e64 s[2:3], s2, v14
	v_cndmask_b32_e64 v8, v9, v8, s[2:3]
	v_fma_mixlo_f16 v2, -v6, v8, v2
	global_store_short v[4:5], v2, off
	s_or_b64 exec, exec, s[4:5]
	s_and_saveexec_b64 s[4:5], vcc
	s_cbranch_execz .LBB290_11
.LBB290_14:
	s_waitcnt vmcnt(0)
	v_mul_f32_e32 v2, 0x3fb8aa3b, v13
	s_mov_b32 s2, 0x3fb8aa3b
	v_rndne_f32_e32 v8, v2
	v_sub_f32_e32 v9, v2, v8
	v_fma_f32 v2, v13, s2, -v2
	v_fmac_f32_e32 v2, 0x32a5705f, v13
	v_add_f32_e32 v2, v9, v2
	v_exp_f32_e32 v2, v2
	v_cvt_i32_f32_e32 v8, v8
	s_mov_b32 s2, 0xc2ce8ed0
	v_cmp_ngt_f32_e64 s[2:3], s2, v13
	v_ldexp_f32 v2, v2, v8
	v_cndmask_b32_e64 v2, 0, v2, s[2:3]
	s_mov_b32 s2, 0x42b17218
	v_mov_b32_e32 v8, 0x7f800000
	v_cmp_nlt_f32_e64 s[2:3], s2, v13
	v_cndmask_b32_e64 v2, v8, v2, s[2:3]
	v_fma_mixlo_f16 v0, -v6, v2, v0
	global_store_short v[4:5], v0, off offset:128
	s_or_b64 exec, exec, s[4:5]
	v_cmp_ne_u32_e64 s[2:3], 1, v11
	s_and_b64 exec, exec, s[2:3]
	s_cbranch_execz .LBB290_12
.LBB290_15:
	s_and_saveexec_b64 s[2:3], s[0:1]
	s_cbranch_execz .LBB290_17
; %bb.16:
	s_waitcnt vmcnt(0)
	v_mul_f32_e32 v0, 0x3fb8aa3b, v12
	s_mov_b32 s0, 0x3fb8aa3b
	v_rndne_f32_e32 v2, v0
	v_sub_f32_e32 v6, v0, v2
	v_fma_f32 v0, v12, s0, -v0
	v_fmac_f32_e32 v0, 0x32a5705f, v12
	v_add_f32_e32 v0, v6, v0
	v_exp_f32_e32 v0, v0
	v_cvt_i32_f32_e32 v2, v2
	s_mov_b32 s0, 0xc2ce8ed0
	v_cmp_ngt_f32_e64 s[0:1], s0, v12
	v_ldexp_f32 v0, v0, v2
	v_cndmask_b32_e64 v0, 0, v0, s[0:1]
	s_mov_b32 s0, 0x42b17218
	v_mov_b32_e32 v2, 0x7f800000
	v_cmp_nlt_f32_e64 s[0:1], s0, v12
	v_cndmask_b32_e64 v0, v2, v0, s[0:1]
	s_lshl_b64 s[0:1], s[10:11], 1
	v_fma_mixlo_f16 v0, -v7, v0, v3
	v_mov_b32_e32 v3, s1
	v_add_co_u32_e64 v2, s[0:1], s0, v4
	v_addc_co_u32_e64 v3, s[0:1], v5, v3, s[0:1]
	global_store_short v[2:3], v0, off
.LBB290_17:
	s_or_b64 exec, exec, s[2:3]
	s_and_b64 exec, exec, vcc
	s_cbranch_execz .LBB290_12
; %bb.18:
	s_waitcnt vmcnt(0)
	v_mul_f32_e32 v0, 0x3fb8aa3b, v10
	s_mov_b32 s0, 0x3fb8aa3b
	v_rndne_f32_e32 v2, v0
	v_sub_f32_e32 v3, v0, v2
	v_fma_f32 v0, v10, s0, -v0
	v_fmac_f32_e32 v0, 0x32a5705f, v10
	v_add_f32_e32 v0, v3, v0
	v_exp_f32_e32 v0, v0
	v_cvt_i32_f32_e32 v2, v2
	s_mov_b32 s0, 0xc2ce8ed0
	v_cmp_ngt_f32_e32 vcc, s0, v10
	s_mov_b32 s0, 0x42b17218
	v_ldexp_f32 v0, v0, v2
	v_cndmask_b32_e32 v0, 0, v0, vcc
	v_mov_b32_e32 v2, 0x7f800000
	v_cmp_nlt_f32_e32 vcc, s0, v10
	s_ashr_i32 s11, s10, 31
	v_cndmask_b32_e32 v0, v2, v0, vcc
	s_lshl_b64 s[0:1], s[10:11], 1
	v_fma_mixlo_f16 v2, -v7, v0, v1
	v_mov_b32_e32 v1, s1
	v_add_co_u32_e32 v0, vcc, s0, v4
	v_addc_co_u32_e32 v1, vcc, v5, v1, vcc
	global_store_short v[0:1], v2, off offset:128
	s_endpgm
	.section	.rodata,"a",@progbits
	.p2align	6, 0x0
	.amdhsa_kernel _ZN12_GLOBAL__N_121softmax_warp_backwardIfN3c104HalfEfLi7ELb1ELb0ELi64EEEvPT0_PKT_S7_iiiPKb
		.amdhsa_group_segment_fixed_size 0
		.amdhsa_private_segment_fixed_size 0
		.amdhsa_kernarg_size 304
		.amdhsa_user_sgpr_count 6
		.amdhsa_user_sgpr_private_segment_buffer 1
		.amdhsa_user_sgpr_dispatch_ptr 0
		.amdhsa_user_sgpr_queue_ptr 0
		.amdhsa_user_sgpr_kernarg_segment_ptr 1
		.amdhsa_user_sgpr_dispatch_id 0
		.amdhsa_user_sgpr_flat_scratch_init 0
		.amdhsa_user_sgpr_kernarg_preload_length 0
		.amdhsa_user_sgpr_kernarg_preload_offset 0
		.amdhsa_user_sgpr_private_segment_size 0
		.amdhsa_uses_dynamic_stack 0
		.amdhsa_system_sgpr_private_segment_wavefront_offset 0
		.amdhsa_system_sgpr_workgroup_id_x 1
		.amdhsa_system_sgpr_workgroup_id_y 0
		.amdhsa_system_sgpr_workgroup_id_z 0
		.amdhsa_system_sgpr_workgroup_info 0
		.amdhsa_system_vgpr_workitem_id 1
		.amdhsa_next_free_vgpr 18
		.amdhsa_next_free_sgpr 16
		.amdhsa_accum_offset 20
		.amdhsa_reserve_vcc 1
		.amdhsa_reserve_flat_scratch 0
		.amdhsa_float_round_mode_32 0
		.amdhsa_float_round_mode_16_64 0
		.amdhsa_float_denorm_mode_32 3
		.amdhsa_float_denorm_mode_16_64 3
		.amdhsa_dx10_clamp 1
		.amdhsa_ieee_mode 1
		.amdhsa_fp16_overflow 0
		.amdhsa_tg_split 0
		.amdhsa_exception_fp_ieee_invalid_op 0
		.amdhsa_exception_fp_denorm_src 0
		.amdhsa_exception_fp_ieee_div_zero 0
		.amdhsa_exception_fp_ieee_overflow 0
		.amdhsa_exception_fp_ieee_underflow 0
		.amdhsa_exception_fp_ieee_inexact 0
		.amdhsa_exception_int_div_zero 0
	.end_amdhsa_kernel
	.section	.text._ZN12_GLOBAL__N_121softmax_warp_backwardIfN3c104HalfEfLi7ELb1ELb0ELi64EEEvPT0_PKT_S7_iiiPKb,"axG",@progbits,_ZN12_GLOBAL__N_121softmax_warp_backwardIfN3c104HalfEfLi7ELb1ELb0ELi64EEEvPT0_PKT_S7_iiiPKb,comdat
.Lfunc_end290:
	.size	_ZN12_GLOBAL__N_121softmax_warp_backwardIfN3c104HalfEfLi7ELb1ELb0ELi64EEEvPT0_PKT_S7_iiiPKb, .Lfunc_end290-_ZN12_GLOBAL__N_121softmax_warp_backwardIfN3c104HalfEfLi7ELb1ELb0ELi64EEEvPT0_PKT_S7_iiiPKb
                                        ; -- End function
	.section	.AMDGPU.csdata,"",@progbits
; Kernel info:
; codeLenInByte = 1452
; NumSgprs: 20
; NumVgprs: 18
; NumAgprs: 0
; TotalNumVgprs: 18
; ScratchSize: 0
; MemoryBound: 0
; FloatMode: 240
; IeeeMode: 1
; LDSByteSize: 0 bytes/workgroup (compile time only)
; SGPRBlocks: 2
; VGPRBlocks: 2
; NumSGPRsForWavesPerEU: 20
; NumVGPRsForWavesPerEU: 18
; AccumOffset: 20
; Occupancy: 8
; WaveLimiterHint : 0
; COMPUTE_PGM_RSRC2:SCRATCH_EN: 0
; COMPUTE_PGM_RSRC2:USER_SGPR: 6
; COMPUTE_PGM_RSRC2:TRAP_HANDLER: 0
; COMPUTE_PGM_RSRC2:TGID_X_EN: 1
; COMPUTE_PGM_RSRC2:TGID_Y_EN: 0
; COMPUTE_PGM_RSRC2:TGID_Z_EN: 0
; COMPUTE_PGM_RSRC2:TIDIG_COMP_CNT: 1
; COMPUTE_PGM_RSRC3_GFX90A:ACCUM_OFFSET: 4
; COMPUTE_PGM_RSRC3_GFX90A:TG_SPLIT: 0
	.section	.text._ZN12_GLOBAL__N_121softmax_warp_backwardIfN3c104HalfEfLi7ELb1ELb0ELi32EEEvPT0_PKT_S7_iiiPKb,"axG",@progbits,_ZN12_GLOBAL__N_121softmax_warp_backwardIfN3c104HalfEfLi7ELb1ELb0ELi32EEEvPT0_PKT_S7_iiiPKb,comdat
	.globl	_ZN12_GLOBAL__N_121softmax_warp_backwardIfN3c104HalfEfLi7ELb1ELb0ELi32EEEvPT0_PKT_S7_iiiPKb ; -- Begin function _ZN12_GLOBAL__N_121softmax_warp_backwardIfN3c104HalfEfLi7ELb1ELb0ELi32EEEvPT0_PKT_S7_iiiPKb
	.p2align	8
	.type	_ZN12_GLOBAL__N_121softmax_warp_backwardIfN3c104HalfEfLi7ELb1ELb0ELi32EEEvPT0_PKT_S7_iiiPKb,@function
_ZN12_GLOBAL__N_121softmax_warp_backwardIfN3c104HalfEfLi7ELb1ELb0ELi32EEEvPT0_PKT_S7_iiiPKb: ; @_ZN12_GLOBAL__N_121softmax_warp_backwardIfN3c104HalfEfLi7ELb1ELb0ELi32EEEvPT0_PKT_S7_iiiPKb
; %bb.0:
	s_load_dword s2, s[4:5], 0x3c
	s_load_dwordx4 s[12:15], s[4:5], 0x18
	s_load_dwordx4 s[16:19], s[4:5], 0x0
	s_load_dwordx2 s[0:1], s[4:5], 0x10
	v_bfe_u32 v1, v0, 10, 10
	s_waitcnt lgkmcnt(0)
	s_lshr_b32 s2, s2, 16
	s_mul_i32 s6, s6, s2
	v_add_lshl_u32 v1, s6, v1, 1
	v_and_b32_e32 v14, 31, v0
	v_mad_u64_u32 v[8:9], s[2:3], v1, s13, v[14:15]
	v_ashrrev_i32_e32 v9, 31, v8
	v_sub_u32_e32 v16, s12, v1
	v_lshlrev_b64 v[0:1], 2, v[8:9]
	v_mov_b32_e32 v2, s19
	v_add_co_u32_e32 v10, vcc, s18, v0
	v_addc_co_u32_e32 v11, vcc, v2, v1, vcc
	v_mov_b32_e32 v2, s1
	v_add_co_u32_e32 v12, vcc, s0, v0
	v_cmp_lt_i32_e64 s[6:7], 0, v16
	v_cmp_gt_i32_e64 s[4:5], s14, v14
	v_addc_co_u32_e32 v13, vcc, v2, v1, vcc
	s_and_b64 s[2:3], s[6:7], s[4:5]
	v_mov_b32_e32 v2, 0
	v_mov_b32_e32 v6, 0
	;; [unrolled: 1-line block ×3, first 2 shown]
	s_and_saveexec_b64 s[0:1], s[2:3]
	s_cbranch_execz .LBB291_2
; %bb.1:
	global_load_dword v6, v[10:11], off
	global_load_dword v24, v[12:13], off
.LBB291_2:
	s_or_b64 exec, exec, s[0:1]
	v_or_b32_e32 v0, 32, v14
	v_cmp_gt_i32_e64 s[2:3], s14, v0
	s_and_b64 s[8:9], s[6:7], s[2:3]
	v_mov_b32_e32 v23, 0
	s_and_saveexec_b64 s[0:1], s[8:9]
	s_cbranch_execz .LBB291_4
; %bb.3:
	global_load_dword v2, v[10:11], off offset:128
	global_load_dword v23, v[12:13], off offset:128
.LBB291_4:
	s_or_b64 exec, exec, s[0:1]
	v_or_b32_e32 v0, 64, v14
	v_cmp_gt_i32_e64 s[0:1], s14, v0
	s_and_b64 s[10:11], s[6:7], s[0:1]
	v_mov_b32_e32 v0, 0
	v_mov_b32_e32 v4, 0
	;; [unrolled: 1-line block ×3, first 2 shown]
	s_and_saveexec_b64 s[8:9], s[10:11]
	s_cbranch_execz .LBB291_6
; %bb.5:
	global_load_dword v4, v[10:11], off offset:256
	global_load_dword v22, v[12:13], off offset:256
.LBB291_6:
	s_or_b64 exec, exec, s[8:9]
	v_or_b32_e32 v1, 0x60, v14
	v_cmp_gt_i32_e32 vcc, s14, v1
	s_and_b64 s[10:11], s[6:7], vcc
	v_mov_b32_e32 v21, 0
	s_and_saveexec_b64 s[8:9], s[10:11]
	s_cbranch_execz .LBB291_8
; %bb.7:
	global_load_dword v0, v[10:11], off offset:384
	global_load_dword v21, v[12:13], off offset:384
.LBB291_8:
	s_or_b64 exec, exec, s[8:9]
	v_cmp_lt_i32_e64 s[8:9], 1, v16
	s_and_b64 s[10:11], s[8:9], s[4:5]
	s_mov_b32 s15, 0
	v_mov_b32_e32 v3, 0
	v_mov_b32_e32 v7, 0
	;; [unrolled: 1-line block ×3, first 2 shown]
	s_and_saveexec_b64 s[12:13], s[10:11]
	s_cbranch_execz .LBB291_10
; %bb.9:
	s_lshl_b64 s[18:19], s[14:15], 2
	v_mov_b32_e32 v1, s19
	v_add_co_u32_e64 v14, s[10:11], s18, v10
	v_addc_co_u32_e64 v15, s[10:11], v11, v1, s[10:11]
	global_load_dword v7, v[14:15], off
	v_add_co_u32_e64 v14, s[10:11], s18, v12
	v_addc_co_u32_e64 v15, s[10:11], v13, v1, s[10:11]
	global_load_dword v17, v[14:15], off
.LBB291_10:
	s_or_b64 exec, exec, s[12:13]
	s_and_b64 s[10:11], s[8:9], s[2:3]
	v_mov_b32_e32 v18, 0
	s_and_saveexec_b64 s[12:13], s[10:11]
	s_cbranch_execz .LBB291_12
; %bb.11:
	s_lshl_b64 s[18:19], s[14:15], 2
	v_mov_b32_e32 v1, s19
	v_add_co_u32_e64 v14, s[10:11], s18, v10
	v_addc_co_u32_e64 v15, s[10:11], v11, v1, s[10:11]
	global_load_dword v3, v[14:15], off offset:128
	v_add_co_u32_e64 v14, s[10:11], s18, v12
	v_addc_co_u32_e64 v15, s[10:11], v13, v1, s[10:11]
	global_load_dword v18, v[14:15], off offset:128
.LBB291_12:
	s_or_b64 exec, exec, s[12:13]
	s_and_b64 s[10:11], s[8:9], s[0:1]
	v_mov_b32_e32 v1, 0
	v_mov_b32_e32 v5, 0
	;; [unrolled: 1-line block ×3, first 2 shown]
	s_and_saveexec_b64 s[12:13], s[10:11]
	s_cbranch_execz .LBB291_14
; %bb.13:
	s_lshl_b64 s[18:19], s[14:15], 2
	v_mov_b32_e32 v19, s19
	v_add_co_u32_e64 v14, s[10:11], s18, v10
	v_addc_co_u32_e64 v15, s[10:11], v11, v19, s[10:11]
	global_load_dword v5, v[14:15], off offset:256
	v_add_co_u32_e64 v14, s[10:11], s18, v12
	v_addc_co_u32_e64 v15, s[10:11], v13, v19, s[10:11]
	global_load_dword v19, v[14:15], off offset:256
.LBB291_14:
	s_or_b64 exec, exec, s[12:13]
	s_and_b64 s[8:9], s[8:9], vcc
	v_mov_b32_e32 v20, 0
	s_and_saveexec_b64 s[10:11], s[8:9]
	s_cbranch_execz .LBB291_16
; %bb.15:
	s_lshl_b64 s[12:13], s[14:15], 2
	v_mov_b32_e32 v14, s13
	v_add_co_u32_e64 v10, s[8:9], s12, v10
	v_addc_co_u32_e64 v11, s[8:9], v11, v14, s[8:9]
	global_load_dword v1, v[10:11], off offset:384
	v_add_co_u32_e64 v10, s[8:9], s12, v12
	v_addc_co_u32_e64 v11, s[8:9], v13, v14, s[8:9]
	global_load_dword v20, v[10:11], off offset:384
.LBB291_16:
	s_or_b64 exec, exec, s[10:11]
	v_mbcnt_lo_u32_b32 v12, -1, 0
	v_mbcnt_hi_u32_b32 v14, -1, v12
	v_and_b32_e32 v12, 0x60, v14
	s_waitcnt vmcnt(1)
	v_pk_add_f32 v[10:11], v[6:7], 0 op_sel_hi:[1,0]
	v_add_u32_e32 v15, 32, v12
	v_xor_b32_e32 v12, 16, v14
	v_cmp_lt_i32_e64 s[8:9], v12, v15
	v_pk_add_f32 v[10:11], v[10:11], v[2:3]
	v_cndmask_b32_e64 v12, v14, v12, s[8:9]
	v_pk_add_f32 v[10:11], v[10:11], v[4:5]
	v_lshlrev_b32_e32 v13, 2, v12
	v_pk_add_f32 v[10:11], v[10:11], v[0:1]
	ds_bpermute_b32 v12, v13, v10
	ds_bpermute_b32 v13, v13, v11
	v_xor_b32_e32 v25, 8, v14
	v_cmp_lt_i32_e64 s[8:9], v25, v15
	v_cndmask_b32_e64 v25, v14, v25, s[8:9]
	v_lshlrev_b32_e32 v25, 2, v25
	s_waitcnt lgkmcnt(0)
	v_pk_add_f32 v[10:11], v[10:11], v[12:13]
	ds_bpermute_b32 v12, v25, v10
	ds_bpermute_b32 v13, v25, v11
	v_xor_b32_e32 v25, 4, v14
	v_cmp_lt_i32_e64 s[8:9], v25, v15
	v_cndmask_b32_e64 v25, v14, v25, s[8:9]
	v_lshlrev_b32_e32 v25, 2, v25
	s_waitcnt lgkmcnt(0)
	;; [unrolled: 8-line block ×4, first 2 shown]
	v_pk_add_f32 v[12:13], v[10:11], v[12:13]
	ds_bpermute_b32 v14, v15, v12
	ds_bpermute_b32 v15, v15, v13
	s_and_saveexec_b64 s[8:9], s[6:7]
	s_cbranch_execz .LBB291_22
; %bb.17:
	v_lshlrev_b64 v[8:9], 1, v[8:9]
	v_mov_b32_e32 v11, s17
	v_add_co_u32_e64 v10, s[6:7], s16, v8
	v_addc_co_u32_e64 v11, s[6:7], v11, v9, s[6:7]
	s_waitcnt lgkmcnt(0)
	v_pk_add_f32 v[8:9], v[12:13], v[14:15]
	s_and_saveexec_b64 s[8:9], s[4:5]
	s_cbranch_execnz .LBB291_23
; %bb.18:
	s_or_b64 exec, exec, s[8:9]
	s_and_saveexec_b64 s[8:9], s[2:3]
	s_cbranch_execnz .LBB291_24
.LBB291_19:
	s_or_b64 exec, exec, s[8:9]
	s_and_saveexec_b64 s[8:9], s[0:1]
	s_cbranch_execnz .LBB291_25
.LBB291_20:
	s_or_b64 exec, exec, s[8:9]
	s_and_saveexec_b64 s[8:9], vcc
	s_cbranch_execnz .LBB291_26
.LBB291_21:
	s_or_b64 exec, exec, s[8:9]
	v_cmp_ne_u32_e64 s[6:7], 1, v16
	s_and_b64 exec, exec, s[6:7]
	s_cbranch_execnz .LBB291_27
.LBB291_22:
	s_endpgm
.LBB291_23:
	s_waitcnt vmcnt(0)
	v_mul_f32_e32 v12, 0x3fb8aa3b, v24
	s_mov_b32 s6, 0x3fb8aa3b
	v_rndne_f32_e32 v13, v12
	v_sub_f32_e32 v14, v12, v13
	v_fma_f32 v12, v24, s6, -v12
	v_fmac_f32_e32 v12, 0x32a5705f, v24
	v_add_f32_e32 v12, v14, v12
	v_exp_f32_e32 v12, v12
	v_cvt_i32_f32_e32 v13, v13
	s_mov_b32 s6, 0xc2ce8ed0
	v_cmp_ngt_f32_e64 s[6:7], s6, v24
	v_ldexp_f32 v12, v12, v13
	v_cndmask_b32_e64 v12, 0, v12, s[6:7]
	s_mov_b32 s6, 0x42b17218
	v_mov_b32_e32 v13, 0x7f800000
	v_cmp_nlt_f32_e64 s[6:7], s6, v24
	v_cndmask_b32_e64 v12, v13, v12, s[6:7]
	v_fma_mixlo_f16 v6, -v8, v12, v6
	global_store_short v[10:11], v6, off
	s_or_b64 exec, exec, s[8:9]
	s_and_saveexec_b64 s[8:9], s[2:3]
	s_cbranch_execz .LBB291_19
.LBB291_24:
	s_waitcnt vmcnt(0)
	v_mul_f32_e32 v6, 0x3fb8aa3b, v23
	s_mov_b32 s6, 0x3fb8aa3b
	v_rndne_f32_e32 v12, v6
	v_sub_f32_e32 v13, v6, v12
	v_fma_f32 v6, v23, s6, -v6
	v_fmac_f32_e32 v6, 0x32a5705f, v23
	v_add_f32_e32 v6, v13, v6
	v_exp_f32_e32 v6, v6
	v_cvt_i32_f32_e32 v12, v12
	s_mov_b32 s6, 0xc2ce8ed0
	v_cmp_ngt_f32_e64 s[6:7], s6, v23
	v_ldexp_f32 v6, v6, v12
	v_cndmask_b32_e64 v6, 0, v6, s[6:7]
	s_mov_b32 s6, 0x42b17218
	v_mov_b32_e32 v12, 0x7f800000
	v_cmp_nlt_f32_e64 s[6:7], s6, v23
	v_cndmask_b32_e64 v6, v12, v6, s[6:7]
	v_fma_mixlo_f16 v2, -v8, v6, v2
	global_store_short v[10:11], v2, off offset:64
	s_or_b64 exec, exec, s[8:9]
	s_and_saveexec_b64 s[8:9], s[0:1]
	s_cbranch_execz .LBB291_20
.LBB291_25:
	s_waitcnt vmcnt(0)
	v_mul_f32_e32 v2, 0x3fb8aa3b, v22
	s_mov_b32 s6, 0x3fb8aa3b
	v_rndne_f32_e32 v6, v2
	v_sub_f32_e32 v12, v2, v6
	v_fma_f32 v2, v22, s6, -v2
	v_fmac_f32_e32 v2, 0x32a5705f, v22
	v_add_f32_e32 v2, v12, v2
	v_exp_f32_e32 v2, v2
	v_cvt_i32_f32_e32 v6, v6
	s_mov_b32 s6, 0xc2ce8ed0
	v_cmp_ngt_f32_e64 s[6:7], s6, v22
	v_ldexp_f32 v2, v2, v6
	v_cndmask_b32_e64 v2, 0, v2, s[6:7]
	s_mov_b32 s6, 0x42b17218
	v_mov_b32_e32 v6, 0x7f800000
	v_cmp_nlt_f32_e64 s[6:7], s6, v22
	v_cndmask_b32_e64 v2, v6, v2, s[6:7]
	v_fma_mixlo_f16 v2, -v8, v2, v4
	global_store_short v[10:11], v2, off offset:128
	s_or_b64 exec, exec, s[8:9]
	s_and_saveexec_b64 s[8:9], vcc
	s_cbranch_execz .LBB291_21
.LBB291_26:
	s_waitcnt vmcnt(0)
	v_mul_f32_e32 v2, 0x3fb8aa3b, v21
	s_mov_b32 s6, 0x3fb8aa3b
	v_rndne_f32_e32 v4, v2
	v_sub_f32_e32 v6, v2, v4
	v_fma_f32 v2, v21, s6, -v2
	v_fmac_f32_e32 v2, 0x32a5705f, v21
	v_add_f32_e32 v2, v6, v2
	v_exp_f32_e32 v2, v2
	v_cvt_i32_f32_e32 v4, v4
	s_mov_b32 s6, 0xc2ce8ed0
	v_cmp_ngt_f32_e64 s[6:7], s6, v21
	v_ldexp_f32 v2, v2, v4
	v_cndmask_b32_e64 v2, 0, v2, s[6:7]
	s_mov_b32 s6, 0x42b17218
	v_mov_b32_e32 v4, 0x7f800000
	v_cmp_nlt_f32_e64 s[6:7], s6, v21
	v_cndmask_b32_e64 v2, v4, v2, s[6:7]
	v_fma_mixlo_f16 v0, -v8, v2, v0
	global_store_short v[10:11], v0, off offset:192
	s_or_b64 exec, exec, s[8:9]
	v_cmp_ne_u32_e64 s[6:7], 1, v16
	s_and_b64 exec, exec, s[6:7]
	s_cbranch_execz .LBB291_22
.LBB291_27:
	s_ashr_i32 s15, s14, 31
	s_lshl_b64 s[6:7], s[14:15], 1
	v_mov_b32_e32 v0, s7
	v_add_co_u32_e64 v10, s[6:7], s6, v10
	v_addc_co_u32_e64 v11, s[6:7], v11, v0, s[6:7]
	s_and_saveexec_b64 s[6:7], s[4:5]
	s_cbranch_execnz .LBB291_31
; %bb.28:
	s_or_b64 exec, exec, s[6:7]
	s_and_saveexec_b64 s[4:5], s[2:3]
	s_cbranch_execnz .LBB291_32
.LBB291_29:
	s_or_b64 exec, exec, s[4:5]
	s_and_saveexec_b64 s[2:3], s[0:1]
	s_cbranch_execnz .LBB291_33
.LBB291_30:
	s_or_b64 exec, exec, s[2:3]
	s_and_b64 exec, exec, vcc
	s_cbranch_execz .LBB291_22
	s_branch .LBB291_34
.LBB291_31:
	s_waitcnt vmcnt(0)
	v_mul_f32_e32 v0, 0x3fb8aa3b, v17
	s_mov_b32 s4, 0x3fb8aa3b
	v_rndne_f32_e32 v2, v0
	v_sub_f32_e32 v4, v0, v2
	v_fma_f32 v0, v17, s4, -v0
	v_fmac_f32_e32 v0, 0x32a5705f, v17
	v_add_f32_e32 v0, v4, v0
	v_exp_f32_e32 v0, v0
	v_cvt_i32_f32_e32 v2, v2
	s_mov_b32 s4, 0xc2ce8ed0
	v_cmp_ngt_f32_e64 s[4:5], s4, v17
	v_ldexp_f32 v0, v0, v2
	v_cndmask_b32_e64 v0, 0, v0, s[4:5]
	s_mov_b32 s4, 0x42b17218
	v_mov_b32_e32 v2, 0x7f800000
	v_cmp_nlt_f32_e64 s[4:5], s4, v17
	v_cndmask_b32_e64 v0, v2, v0, s[4:5]
	v_fma_mixlo_f16 v0, -v9, v0, v7
	global_store_short v[10:11], v0, off
	s_or_b64 exec, exec, s[6:7]
	s_and_saveexec_b64 s[4:5], s[2:3]
	s_cbranch_execz .LBB291_29
.LBB291_32:
	s_waitcnt vmcnt(0)
	v_mul_f32_e32 v0, 0x3fb8aa3b, v18
	s_mov_b32 s2, 0x3fb8aa3b
	v_rndne_f32_e32 v2, v0
	v_sub_f32_e32 v4, v0, v2
	v_fma_f32 v0, v18, s2, -v0
	v_fmac_f32_e32 v0, 0x32a5705f, v18
	v_add_f32_e32 v0, v4, v0
	v_exp_f32_e32 v0, v0
	v_cvt_i32_f32_e32 v2, v2
	s_mov_b32 s2, 0xc2ce8ed0
	v_cmp_ngt_f32_e64 s[2:3], s2, v18
	v_ldexp_f32 v0, v0, v2
	v_cndmask_b32_e64 v0, 0, v0, s[2:3]
	s_mov_b32 s2, 0x42b17218
	v_mov_b32_e32 v2, 0x7f800000
	v_cmp_nlt_f32_e64 s[2:3], s2, v18
	v_cndmask_b32_e64 v0, v2, v0, s[2:3]
	v_fma_mixlo_f16 v0, -v9, v0, v3
	global_store_short v[10:11], v0, off offset:64
	s_or_b64 exec, exec, s[4:5]
	s_and_saveexec_b64 s[2:3], s[0:1]
	s_cbranch_execz .LBB291_30
.LBB291_33:
	s_waitcnt vmcnt(0)
	v_mul_f32_e32 v0, 0x3fb8aa3b, v19
	s_mov_b32 s0, 0x3fb8aa3b
	v_rndne_f32_e32 v2, v0
	v_sub_f32_e32 v3, v0, v2
	v_fma_f32 v0, v19, s0, -v0
	v_fmac_f32_e32 v0, 0x32a5705f, v19
	v_add_f32_e32 v0, v3, v0
	v_exp_f32_e32 v0, v0
	v_cvt_i32_f32_e32 v2, v2
	s_mov_b32 s0, 0xc2ce8ed0
	v_cmp_ngt_f32_e64 s[0:1], s0, v19
	v_ldexp_f32 v0, v0, v2
	v_cndmask_b32_e64 v0, 0, v0, s[0:1]
	s_mov_b32 s0, 0x42b17218
	v_mov_b32_e32 v2, 0x7f800000
	v_cmp_nlt_f32_e64 s[0:1], s0, v19
	v_cndmask_b32_e64 v0, v2, v0, s[0:1]
	v_fma_mixlo_f16 v0, -v9, v0, v5
	global_store_short v[10:11], v0, off offset:128
	s_or_b64 exec, exec, s[2:3]
	s_and_b64 exec, exec, vcc
	s_cbranch_execz .LBB291_22
.LBB291_34:
	s_waitcnt vmcnt(0)
	v_mul_f32_e32 v0, 0x3fb8aa3b, v20
	s_mov_b32 s0, 0x3fb8aa3b
	v_rndne_f32_e32 v2, v0
	v_sub_f32_e32 v3, v0, v2
	v_fma_f32 v0, v20, s0, -v0
	v_fmac_f32_e32 v0, 0x32a5705f, v20
	v_add_f32_e32 v0, v3, v0
	v_exp_f32_e32 v0, v0
	v_cvt_i32_f32_e32 v2, v2
	s_mov_b32 s0, 0xc2ce8ed0
	v_cmp_ngt_f32_e32 vcc, s0, v20
	s_mov_b32 s0, 0x42b17218
	v_ldexp_f32 v0, v0, v2
	v_cndmask_b32_e32 v0, 0, v0, vcc
	v_mov_b32_e32 v2, 0x7f800000
	v_cmp_nlt_f32_e32 vcc, s0, v20
	v_cndmask_b32_e32 v0, v2, v0, vcc
	v_fma_mixlo_f16 v0, -v9, v0, v1
	global_store_short v[10:11], v0, off offset:192
	s_endpgm
	.section	.rodata,"a",@progbits
	.p2align	6, 0x0
	.amdhsa_kernel _ZN12_GLOBAL__N_121softmax_warp_backwardIfN3c104HalfEfLi7ELb1ELb0ELi32EEEvPT0_PKT_S7_iiiPKb
		.amdhsa_group_segment_fixed_size 0
		.amdhsa_private_segment_fixed_size 0
		.amdhsa_kernarg_size 304
		.amdhsa_user_sgpr_count 6
		.amdhsa_user_sgpr_private_segment_buffer 1
		.amdhsa_user_sgpr_dispatch_ptr 0
		.amdhsa_user_sgpr_queue_ptr 0
		.amdhsa_user_sgpr_kernarg_segment_ptr 1
		.amdhsa_user_sgpr_dispatch_id 0
		.amdhsa_user_sgpr_flat_scratch_init 0
		.amdhsa_user_sgpr_kernarg_preload_length 0
		.amdhsa_user_sgpr_kernarg_preload_offset 0
		.amdhsa_user_sgpr_private_segment_size 0
		.amdhsa_uses_dynamic_stack 0
		.amdhsa_system_sgpr_private_segment_wavefront_offset 0
		.amdhsa_system_sgpr_workgroup_id_x 1
		.amdhsa_system_sgpr_workgroup_id_y 0
		.amdhsa_system_sgpr_workgroup_id_z 0
		.amdhsa_system_sgpr_workgroup_info 0
		.amdhsa_system_vgpr_workitem_id 1
		.amdhsa_next_free_vgpr 26
		.amdhsa_next_free_sgpr 20
		.amdhsa_accum_offset 28
		.amdhsa_reserve_vcc 1
		.amdhsa_reserve_flat_scratch 0
		.amdhsa_float_round_mode_32 0
		.amdhsa_float_round_mode_16_64 0
		.amdhsa_float_denorm_mode_32 3
		.amdhsa_float_denorm_mode_16_64 3
		.amdhsa_dx10_clamp 1
		.amdhsa_ieee_mode 1
		.amdhsa_fp16_overflow 0
		.amdhsa_tg_split 0
		.amdhsa_exception_fp_ieee_invalid_op 0
		.amdhsa_exception_fp_denorm_src 0
		.amdhsa_exception_fp_ieee_div_zero 0
		.amdhsa_exception_fp_ieee_overflow 0
		.amdhsa_exception_fp_ieee_underflow 0
		.amdhsa_exception_fp_ieee_inexact 0
		.amdhsa_exception_int_div_zero 0
	.end_amdhsa_kernel
	.section	.text._ZN12_GLOBAL__N_121softmax_warp_backwardIfN3c104HalfEfLi7ELb1ELb0ELi32EEEvPT0_PKT_S7_iiiPKb,"axG",@progbits,_ZN12_GLOBAL__N_121softmax_warp_backwardIfN3c104HalfEfLi7ELb1ELb0ELi32EEEvPT0_PKT_S7_iiiPKb,comdat
.Lfunc_end291:
	.size	_ZN12_GLOBAL__N_121softmax_warp_backwardIfN3c104HalfEfLi7ELb1ELb0ELi32EEEvPT0_PKT_S7_iiiPKb, .Lfunc_end291-_ZN12_GLOBAL__N_121softmax_warp_backwardIfN3c104HalfEfLi7ELb1ELb0ELi32EEEvPT0_PKT_S7_iiiPKb
                                        ; -- End function
	.section	.AMDGPU.csdata,"",@progbits
; Kernel info:
; codeLenInByte = 2328
; NumSgprs: 24
; NumVgprs: 26
; NumAgprs: 0
; TotalNumVgprs: 26
; ScratchSize: 0
; MemoryBound: 0
; FloatMode: 240
; IeeeMode: 1
; LDSByteSize: 0 bytes/workgroup (compile time only)
; SGPRBlocks: 2
; VGPRBlocks: 3
; NumSGPRsForWavesPerEU: 24
; NumVGPRsForWavesPerEU: 26
; AccumOffset: 28
; Occupancy: 8
; WaveLimiterHint : 0
; COMPUTE_PGM_RSRC2:SCRATCH_EN: 0
; COMPUTE_PGM_RSRC2:USER_SGPR: 6
; COMPUTE_PGM_RSRC2:TRAP_HANDLER: 0
; COMPUTE_PGM_RSRC2:TGID_X_EN: 1
; COMPUTE_PGM_RSRC2:TGID_Y_EN: 0
; COMPUTE_PGM_RSRC2:TGID_Z_EN: 0
; COMPUTE_PGM_RSRC2:TIDIG_COMP_CNT: 1
; COMPUTE_PGM_RSRC3_GFX90A:ACCUM_OFFSET: 6
; COMPUTE_PGM_RSRC3_GFX90A:TG_SPLIT: 0
	.section	.text._ZN12_GLOBAL__N_121softmax_warp_backwardIfN3c104HalfEfLi8ELb1ELb0ELi64EEEvPT0_PKT_S7_iiiPKb,"axG",@progbits,_ZN12_GLOBAL__N_121softmax_warp_backwardIfN3c104HalfEfLi8ELb1ELb0ELi64EEEvPT0_PKT_S7_iiiPKb,comdat
	.globl	_ZN12_GLOBAL__N_121softmax_warp_backwardIfN3c104HalfEfLi8ELb1ELb0ELi64EEEvPT0_PKT_S7_iiiPKb ; -- Begin function _ZN12_GLOBAL__N_121softmax_warp_backwardIfN3c104HalfEfLi8ELb1ELb0ELi64EEEvPT0_PKT_S7_iiiPKb
	.p2align	8
	.type	_ZN12_GLOBAL__N_121softmax_warp_backwardIfN3c104HalfEfLi8ELb1ELb0ELi64EEEvPT0_PKT_S7_iiiPKb,@function
_ZN12_GLOBAL__N_121softmax_warp_backwardIfN3c104HalfEfLi8ELb1ELb0ELi64EEEvPT0_PKT_S7_iiiPKb: ; @_ZN12_GLOBAL__N_121softmax_warp_backwardIfN3c104HalfEfLi8ELb1ELb0ELi64EEEvPT0_PKT_S7_iiiPKb
; %bb.0:
	s_load_dword s2, s[4:5], 0x3c
	s_load_dwordx4 s[12:15], s[4:5], 0x18
	s_load_dwordx4 s[8:11], s[4:5], 0x0
	s_load_dwordx2 s[0:1], s[4:5], 0x10
	v_bfe_u32 v1, v0, 10, 10
	s_waitcnt lgkmcnt(0)
	s_lshr_b32 s2, s2, 16
	s_mul_i32 s6, s6, s2
	v_add_u32_e32 v1, s6, v1
	v_and_b32_e32 v4, 63, v0
	v_sub_u32_e32 v14, s12, v1
	v_mad_u64_u32 v[0:1], s[2:3], v1, s13, v[4:5]
	v_ashrrev_i32_e32 v1, 31, v0
	v_lshlrev_b64 v[6:7], 2, v[0:1]
	v_mov_b32_e32 v3, s11
	v_add_co_u32_e32 v2, vcc, s10, v6
	v_addc_co_u32_e32 v3, vcc, v3, v7, vcc
	v_mov_b32_e32 v5, s1
	v_add_co_u32_e32 v6, vcc, s0, v6
	v_cmp_lt_i32_e64 s[6:7], 0, v14
	v_cmp_gt_i32_e64 s[4:5], s14, v4
	v_addc_co_u32_e32 v7, vcc, v5, v7, vcc
	s_and_b64 s[2:3], s[6:7], s[4:5]
	v_mov_b32_e32 v8, 0
	v_mov_b32_e32 v12, 0
	v_mov_b32_e32 v13, 0
	s_and_saveexec_b64 s[0:1], s[2:3]
	s_cbranch_execz .LBB292_2
; %bb.1:
	global_load_dword v12, v[2:3], off
	global_load_dword v13, v[6:7], off
.LBB292_2:
	s_or_b64 exec, exec, s[0:1]
	v_or_b32_e32 v5, 64, v4
	v_cmp_gt_i32_e64 s[2:3], s14, v5
	s_and_b64 s[10:11], s[6:7], s[2:3]
	v_mov_b32_e32 v11, 0
	s_and_saveexec_b64 s[0:1], s[10:11]
	s_cbranch_execz .LBB292_4
; %bb.3:
	global_load_dword v8, v[2:3], off offset:256
	global_load_dword v11, v[6:7], off offset:256
.LBB292_4:
	s_or_b64 exec, exec, s[0:1]
	v_or_b32_e32 v5, 0x80, v4
	v_cmp_gt_i32_e64 s[0:1], s14, v5
	s_and_b64 s[12:13], s[6:7], s[0:1]
	v_mov_b32_e32 v5, 0
	v_mov_b32_e32 v9, 0
	;; [unrolled: 1-line block ×3, first 2 shown]
	s_and_saveexec_b64 s[10:11], s[12:13]
	s_cbranch_execz .LBB292_6
; %bb.5:
	global_load_dword v9, v[2:3], off offset:512
	global_load_dword v10, v[6:7], off offset:512
.LBB292_6:
	s_or_b64 exec, exec, s[10:11]
	v_or_b32_e32 v4, 0xc0, v4
	v_cmp_gt_i32_e32 vcc, s14, v4
	s_and_b64 s[10:11], s[6:7], vcc
	v_mov_b32_e32 v4, 0
	s_and_saveexec_b64 s[6:7], s[10:11]
	s_cbranch_execz .LBB292_8
; %bb.7:
	global_load_dword v5, v[2:3], off offset:768
	global_load_dword v4, v[6:7], off offset:768
.LBB292_8:
	s_or_b64 exec, exec, s[6:7]
	v_mbcnt_lo_u32_b32 v3, -1, 0
	v_mbcnt_hi_u32_b32 v3, -1, v3
	v_and_b32_e32 v6, 64, v3
	s_waitcnt vmcnt(1)
	v_add_f32_e32 v2, 0, v12
	v_add_u32_e32 v6, 64, v6
	v_xor_b32_e32 v7, 32, v3
	v_add_f32_e32 v2, v2, v8
	v_cmp_lt_i32_e64 s[6:7], v7, v6
	v_add_f32_e32 v2, v2, v9
	v_cndmask_b32_e64 v7, v3, v7, s[6:7]
	v_add_f32_e32 v2, v2, v5
	v_lshlrev_b32_e32 v7, 2, v7
	ds_bpermute_b32 v7, v7, v2
	s_waitcnt lgkmcnt(0)
	v_add_f32_e32 v2, v2, v7
	v_xor_b32_e32 v7, 16, v3
	v_cmp_lt_i32_e64 s[6:7], v7, v6
	v_cndmask_b32_e64 v7, v3, v7, s[6:7]
	v_lshlrev_b32_e32 v7, 2, v7
	ds_bpermute_b32 v7, v7, v2
	s_waitcnt lgkmcnt(0)
	v_add_f32_e32 v2, v2, v7
	v_xor_b32_e32 v7, 8, v3
	v_cmp_lt_i32_e64 s[6:7], v7, v6
	v_cndmask_b32_e64 v7, v3, v7, s[6:7]
	;; [unrolled: 7-line block ×5, first 2 shown]
	v_lshlrev_b32_e32 v3, 2, v3
	ds_bpermute_b32 v3, v3, v2
	v_cmp_lt_i32_e64 s[6:7], 0, v14
	s_and_saveexec_b64 s[10:11], s[6:7]
	s_cbranch_execz .LBB292_14
; %bb.9:
	v_lshlrev_b64 v[0:1], 1, v[0:1]
	v_mov_b32_e32 v6, s9
	v_add_co_u32_e64 v0, s[6:7], s8, v0
	v_addc_co_u32_e64 v1, s[6:7], v6, v1, s[6:7]
	s_waitcnt lgkmcnt(0)
	v_add_f32_e32 v2, v2, v3
	s_and_saveexec_b64 s[6:7], s[4:5]
	s_cbranch_execnz .LBB292_15
; %bb.10:
	s_or_b64 exec, exec, s[6:7]
	s_and_saveexec_b64 s[4:5], s[2:3]
	s_cbranch_execnz .LBB292_16
.LBB292_11:
	s_or_b64 exec, exec, s[4:5]
	s_and_saveexec_b64 s[2:3], s[0:1]
	s_cbranch_execnz .LBB292_17
.LBB292_12:
	s_or_b64 exec, exec, s[2:3]
	s_and_b64 exec, exec, vcc
	s_cbranch_execz .LBB292_14
.LBB292_13:
	s_waitcnt vmcnt(0)
	v_mul_f32_e32 v3, 0x3fb8aa3b, v4
	s_mov_b32 s0, 0x3fb8aa3b
	v_rndne_f32_e32 v6, v3
	v_sub_f32_e32 v7, v3, v6
	v_fma_f32 v3, v4, s0, -v3
	v_fmac_f32_e32 v3, 0x32a5705f, v4
	v_add_f32_e32 v3, v7, v3
	v_exp_f32_e32 v3, v3
	v_cvt_i32_f32_e32 v6, v6
	s_mov_b32 s0, 0xc2ce8ed0
	v_cmp_ngt_f32_e32 vcc, s0, v4
	s_mov_b32 s0, 0x42b17218
	v_ldexp_f32 v3, v3, v6
	v_cndmask_b32_e32 v3, 0, v3, vcc
	v_mov_b32_e32 v6, 0x7f800000
	v_cmp_nlt_f32_e32 vcc, s0, v4
	v_cndmask_b32_e32 v3, v6, v3, vcc
	v_fma_mixlo_f16 v2, -v2, v3, v5
	global_store_short v[0:1], v2, off offset:384
.LBB292_14:
	s_endpgm
.LBB292_15:
	s_waitcnt vmcnt(0)
	v_mul_f32_e32 v3, 0x3fb8aa3b, v13
	s_mov_b32 s4, 0x3fb8aa3b
	v_rndne_f32_e32 v6, v3
	v_sub_f32_e32 v7, v3, v6
	v_fma_f32 v3, v13, s4, -v3
	v_fmac_f32_e32 v3, 0x32a5705f, v13
	v_add_f32_e32 v3, v7, v3
	v_exp_f32_e32 v3, v3
	v_cvt_i32_f32_e32 v6, v6
	s_mov_b32 s4, 0xc2ce8ed0
	v_cmp_ngt_f32_e64 s[4:5], s4, v13
	v_ldexp_f32 v3, v3, v6
	v_cndmask_b32_e64 v3, 0, v3, s[4:5]
	s_mov_b32 s4, 0x42b17218
	v_mov_b32_e32 v6, 0x7f800000
	v_cmp_nlt_f32_e64 s[4:5], s4, v13
	v_cndmask_b32_e64 v3, v6, v3, s[4:5]
	v_fma_mixlo_f16 v3, -v2, v3, v12
	global_store_short v[0:1], v3, off
	s_or_b64 exec, exec, s[6:7]
	s_and_saveexec_b64 s[4:5], s[2:3]
	s_cbranch_execz .LBB292_11
.LBB292_16:
	s_waitcnt vmcnt(0)
	v_mul_f32_e32 v3, 0x3fb8aa3b, v11
	s_mov_b32 s2, 0x3fb8aa3b
	v_rndne_f32_e32 v6, v3
	v_sub_f32_e32 v7, v3, v6
	v_fma_f32 v3, v11, s2, -v3
	v_fmac_f32_e32 v3, 0x32a5705f, v11
	v_add_f32_e32 v3, v7, v3
	v_exp_f32_e32 v3, v3
	v_cvt_i32_f32_e32 v6, v6
	s_mov_b32 s2, 0xc2ce8ed0
	v_cmp_ngt_f32_e64 s[2:3], s2, v11
	v_ldexp_f32 v3, v3, v6
	v_cndmask_b32_e64 v3, 0, v3, s[2:3]
	s_mov_b32 s2, 0x42b17218
	v_mov_b32_e32 v6, 0x7f800000
	v_cmp_nlt_f32_e64 s[2:3], s2, v11
	v_cndmask_b32_e64 v3, v6, v3, s[2:3]
	v_fma_mixlo_f16 v3, -v2, v3, v8
	global_store_short v[0:1], v3, off offset:128
	s_or_b64 exec, exec, s[4:5]
	s_and_saveexec_b64 s[2:3], s[0:1]
	s_cbranch_execz .LBB292_12
.LBB292_17:
	s_waitcnt vmcnt(0)
	v_mul_f32_e32 v3, 0x3fb8aa3b, v10
	s_mov_b32 s0, 0x3fb8aa3b
	v_rndne_f32_e32 v6, v3
	v_sub_f32_e32 v7, v3, v6
	v_fma_f32 v3, v10, s0, -v3
	v_fmac_f32_e32 v3, 0x32a5705f, v10
	v_add_f32_e32 v3, v7, v3
	v_exp_f32_e32 v3, v3
	v_cvt_i32_f32_e32 v6, v6
	s_mov_b32 s0, 0xc2ce8ed0
	v_cmp_ngt_f32_e64 s[0:1], s0, v10
	v_ldexp_f32 v3, v3, v6
	v_cndmask_b32_e64 v3, 0, v3, s[0:1]
	s_mov_b32 s0, 0x42b17218
	v_mov_b32_e32 v6, 0x7f800000
	v_cmp_nlt_f32_e64 s[0:1], s0, v10
	v_cndmask_b32_e64 v3, v6, v3, s[0:1]
	v_fma_mixlo_f16 v3, -v2, v3, v9
	global_store_short v[0:1], v3, off offset:256
	s_or_b64 exec, exec, s[2:3]
	s_and_b64 exec, exec, vcc
	s_cbranch_execnz .LBB292_13
	s_branch .LBB292_14
	.section	.rodata,"a",@progbits
	.p2align	6, 0x0
	.amdhsa_kernel _ZN12_GLOBAL__N_121softmax_warp_backwardIfN3c104HalfEfLi8ELb1ELb0ELi64EEEvPT0_PKT_S7_iiiPKb
		.amdhsa_group_segment_fixed_size 0
		.amdhsa_private_segment_fixed_size 0
		.amdhsa_kernarg_size 304
		.amdhsa_user_sgpr_count 6
		.amdhsa_user_sgpr_private_segment_buffer 1
		.amdhsa_user_sgpr_dispatch_ptr 0
		.amdhsa_user_sgpr_queue_ptr 0
		.amdhsa_user_sgpr_kernarg_segment_ptr 1
		.amdhsa_user_sgpr_dispatch_id 0
		.amdhsa_user_sgpr_flat_scratch_init 0
		.amdhsa_user_sgpr_kernarg_preload_length 0
		.amdhsa_user_sgpr_kernarg_preload_offset 0
		.amdhsa_user_sgpr_private_segment_size 0
		.amdhsa_uses_dynamic_stack 0
		.amdhsa_system_sgpr_private_segment_wavefront_offset 0
		.amdhsa_system_sgpr_workgroup_id_x 1
		.amdhsa_system_sgpr_workgroup_id_y 0
		.amdhsa_system_sgpr_workgroup_id_z 0
		.amdhsa_system_sgpr_workgroup_info 0
		.amdhsa_system_vgpr_workitem_id 1
		.amdhsa_next_free_vgpr 15
		.amdhsa_next_free_sgpr 16
		.amdhsa_accum_offset 16
		.amdhsa_reserve_vcc 1
		.amdhsa_reserve_flat_scratch 0
		.amdhsa_float_round_mode_32 0
		.amdhsa_float_round_mode_16_64 0
		.amdhsa_float_denorm_mode_32 3
		.amdhsa_float_denorm_mode_16_64 3
		.amdhsa_dx10_clamp 1
		.amdhsa_ieee_mode 1
		.amdhsa_fp16_overflow 0
		.amdhsa_tg_split 0
		.amdhsa_exception_fp_ieee_invalid_op 0
		.amdhsa_exception_fp_denorm_src 0
		.amdhsa_exception_fp_ieee_div_zero 0
		.amdhsa_exception_fp_ieee_overflow 0
		.amdhsa_exception_fp_ieee_underflow 0
		.amdhsa_exception_fp_ieee_inexact 0
		.amdhsa_exception_int_div_zero 0
	.end_amdhsa_kernel
	.section	.text._ZN12_GLOBAL__N_121softmax_warp_backwardIfN3c104HalfEfLi8ELb1ELb0ELi64EEEvPT0_PKT_S7_iiiPKb,"axG",@progbits,_ZN12_GLOBAL__N_121softmax_warp_backwardIfN3c104HalfEfLi8ELb1ELb0ELi64EEEvPT0_PKT_S7_iiiPKb,comdat
.Lfunc_end292:
	.size	_ZN12_GLOBAL__N_121softmax_warp_backwardIfN3c104HalfEfLi8ELb1ELb0ELi64EEEvPT0_PKT_S7_iiiPKb, .Lfunc_end292-_ZN12_GLOBAL__N_121softmax_warp_backwardIfN3c104HalfEfLi8ELb1ELb0ELi64EEEvPT0_PKT_S7_iiiPKb
                                        ; -- End function
	.section	.AMDGPU.csdata,"",@progbits
; Kernel info:
; codeLenInByte = 1268
; NumSgprs: 20
; NumVgprs: 15
; NumAgprs: 0
; TotalNumVgprs: 15
; ScratchSize: 0
; MemoryBound: 0
; FloatMode: 240
; IeeeMode: 1
; LDSByteSize: 0 bytes/workgroup (compile time only)
; SGPRBlocks: 2
; VGPRBlocks: 1
; NumSGPRsForWavesPerEU: 20
; NumVGPRsForWavesPerEU: 15
; AccumOffset: 16
; Occupancy: 8
; WaveLimiterHint : 0
; COMPUTE_PGM_RSRC2:SCRATCH_EN: 0
; COMPUTE_PGM_RSRC2:USER_SGPR: 6
; COMPUTE_PGM_RSRC2:TRAP_HANDLER: 0
; COMPUTE_PGM_RSRC2:TGID_X_EN: 1
; COMPUTE_PGM_RSRC2:TGID_Y_EN: 0
; COMPUTE_PGM_RSRC2:TGID_Z_EN: 0
; COMPUTE_PGM_RSRC2:TIDIG_COMP_CNT: 1
; COMPUTE_PGM_RSRC3_GFX90A:ACCUM_OFFSET: 3
; COMPUTE_PGM_RSRC3_GFX90A:TG_SPLIT: 0
	.section	.text._ZN12_GLOBAL__N_121softmax_warp_backwardIfN3c104HalfEfLi8ELb1ELb0ELi32EEEvPT0_PKT_S7_iiiPKb,"axG",@progbits,_ZN12_GLOBAL__N_121softmax_warp_backwardIfN3c104HalfEfLi8ELb1ELb0ELi32EEEvPT0_PKT_S7_iiiPKb,comdat
	.globl	_ZN12_GLOBAL__N_121softmax_warp_backwardIfN3c104HalfEfLi8ELb1ELb0ELi32EEEvPT0_PKT_S7_iiiPKb ; -- Begin function _ZN12_GLOBAL__N_121softmax_warp_backwardIfN3c104HalfEfLi8ELb1ELb0ELi32EEEvPT0_PKT_S7_iiiPKb
	.p2align	8
	.type	_ZN12_GLOBAL__N_121softmax_warp_backwardIfN3c104HalfEfLi8ELb1ELb0ELi32EEEvPT0_PKT_S7_iiiPKb,@function
_ZN12_GLOBAL__N_121softmax_warp_backwardIfN3c104HalfEfLi8ELb1ELb0ELi32EEEvPT0_PKT_S7_iiiPKb: ; @_ZN12_GLOBAL__N_121softmax_warp_backwardIfN3c104HalfEfLi8ELb1ELb0ELi32EEEvPT0_PKT_S7_iiiPKb
; %bb.0:
	s_load_dword s2, s[4:5], 0x3c
	s_load_dwordx4 s[20:23], s[4:5], 0x18
	s_load_dwordx4 s[16:19], s[4:5], 0x0
	s_load_dwordx2 s[0:1], s[4:5], 0x10
	v_bfe_u32 v1, v0, 10, 10
	s_waitcnt lgkmcnt(0)
	s_lshr_b32 s2, s2, 16
	s_mul_i32 s6, s6, s2
	v_add_u32_e32 v1, s6, v1
	v_and_b32_e32 v4, 31, v0
	v_sub_u32_e32 v22, s20, v1
	v_mad_u64_u32 v[0:1], s[2:3], v1, s21, v[4:5]
	v_ashrrev_i32_e32 v1, 31, v0
	v_lshlrev_b64 v[6:7], 2, v[0:1]
	v_mov_b32_e32 v3, s19
	v_add_co_u32_e32 v2, vcc, s18, v6
	v_addc_co_u32_e32 v3, vcc, v3, v7, vcc
	v_mov_b32_e32 v5, s1
	v_add_co_u32_e32 v6, vcc, s0, v6
	v_cmp_lt_i32_e64 s[14:15], 0, v22
	v_cmp_gt_i32_e64 s[12:13], s22, v4
	v_addc_co_u32_e32 v7, vcc, v5, v7, vcc
	s_and_b64 s[2:3], s[14:15], s[12:13]
	v_mov_b32_e32 v15, 0
	v_mov_b32_e32 v20, 0
	;; [unrolled: 1-line block ×3, first 2 shown]
	s_and_saveexec_b64 s[0:1], s[2:3]
	s_cbranch_execz .LBB293_2
; %bb.1:
	global_load_dword v20, v[2:3], off
	global_load_dword v21, v[6:7], off
.LBB293_2:
	s_or_b64 exec, exec, s[0:1]
	v_or_b32_e32 v5, 32, v4
	v_cmp_gt_i32_e64 s[10:11], s22, v5
	s_and_b64 s[2:3], s[14:15], s[10:11]
	v_mov_b32_e32 v19, 0
	s_and_saveexec_b64 s[0:1], s[2:3]
	s_cbranch_execz .LBB293_4
; %bb.3:
	global_load_dword v15, v[2:3], off offset:128
	global_load_dword v19, v[6:7], off offset:128
.LBB293_4:
	s_or_b64 exec, exec, s[0:1]
	v_or_b32_e32 v5, 64, v4
	v_cmp_gt_i32_e64 s[8:9], s22, v5
	s_and_b64 s[2:3], s[14:15], s[8:9]
	v_mov_b32_e32 v11, 0
	v_mov_b32_e32 v17, 0
	v_mov_b32_e32 v18, 0
	s_and_saveexec_b64 s[0:1], s[2:3]
	s_cbranch_execz .LBB293_6
; %bb.5:
	global_load_dword v17, v[2:3], off offset:256
	global_load_dword v18, v[6:7], off offset:256
.LBB293_6:
	s_or_b64 exec, exec, s[0:1]
	v_or_b32_e32 v5, 0x60, v4
	v_cmp_gt_i32_e64 s[6:7], s22, v5
	s_and_b64 s[2:3], s[14:15], s[6:7]
	v_mov_b32_e32 v16, 0
	s_and_saveexec_b64 s[0:1], s[2:3]
	s_cbranch_execz .LBB293_8
; %bb.7:
	global_load_dword v11, v[2:3], off offset:384
	global_load_dword v16, v[6:7], off offset:384
.LBB293_8:
	s_or_b64 exec, exec, s[0:1]
	v_or_b32_e32 v5, 0x80, v4
	v_cmp_gt_i32_e64 s[4:5], s22, v5
	s_and_b64 s[2:3], s[14:15], s[4:5]
	v_mov_b32_e32 v8, 0
	v_mov_b32_e32 v13, 0
	v_mov_b32_e32 v14, 0
	s_and_saveexec_b64 s[0:1], s[2:3]
	s_cbranch_execz .LBB293_10
; %bb.9:
	global_load_dword v13, v[2:3], off offset:512
	global_load_dword v14, v[6:7], off offset:512
.LBB293_10:
	;; [unrolled: 24-line block ×3, first 2 shown]
	s_or_b64 exec, exec, s[18:19]
	v_or_b32_e32 v4, 0xe0, v4
	v_cmp_gt_i32_e32 vcc, s22, v4
	s_and_b64 s[18:19], s[14:15], vcc
	v_mov_b32_e32 v4, 0
	s_and_saveexec_b64 s[14:15], s[18:19]
	s_cbranch_execz .LBB293_16
; %bb.15:
	global_load_dword v5, v[2:3], off offset:896
	global_load_dword v4, v[6:7], off offset:896
.LBB293_16:
	s_or_b64 exec, exec, s[14:15]
	s_waitcnt vmcnt(1)
	v_add_f32_e32 v2, 0, v20
	v_add_f32_e32 v2, v2, v15
	v_mbcnt_lo_u32_b32 v3, -1, 0
	v_add_f32_e32 v2, v2, v17
	v_mbcnt_hi_u32_b32 v3, -1, v3
	v_add_f32_e32 v2, v2, v11
	v_and_b32_e32 v6, 0x60, v3
	v_add_f32_e32 v2, v2, v13
	v_add_u32_e32 v6, 32, v6
	v_xor_b32_e32 v7, 16, v3
	v_add_f32_e32 v2, v2, v8
	v_cmp_lt_i32_e64 s[14:15], v7, v6
	v_add_f32_e32 v2, v2, v9
	v_cndmask_b32_e64 v7, v3, v7, s[14:15]
	v_add_f32_e32 v2, v2, v5
	v_lshlrev_b32_e32 v7, 2, v7
	ds_bpermute_b32 v7, v7, v2
	s_waitcnt lgkmcnt(0)
	v_add_f32_e32 v2, v2, v7
	v_xor_b32_e32 v7, 8, v3
	v_cmp_lt_i32_e64 s[14:15], v7, v6
	v_cndmask_b32_e64 v7, v3, v7, s[14:15]
	v_lshlrev_b32_e32 v7, 2, v7
	ds_bpermute_b32 v7, v7, v2
	s_waitcnt lgkmcnt(0)
	v_add_f32_e32 v2, v2, v7
	v_xor_b32_e32 v7, 4, v3
	v_cmp_lt_i32_e64 s[14:15], v7, v6
	v_cndmask_b32_e64 v7, v3, v7, s[14:15]
	;; [unrolled: 7-line block ×4, first 2 shown]
	v_lshlrev_b32_e32 v3, 2, v3
	ds_bpermute_b32 v3, v3, v2
	v_cmp_lt_i32_e64 s[14:15], 0, v22
	s_and_saveexec_b64 s[18:19], s[14:15]
	s_cbranch_execz .LBB293_26
; %bb.17:
	v_lshlrev_b64 v[0:1], 1, v[0:1]
	v_mov_b32_e32 v6, s17
	v_add_co_u32_e64 v0, s[14:15], s16, v0
	v_addc_co_u32_e64 v1, s[14:15], v6, v1, s[14:15]
	s_waitcnt lgkmcnt(0)
	v_add_f32_e32 v2, v2, v3
	s_and_saveexec_b64 s[14:15], s[12:13]
	s_cbranch_execnz .LBB293_27
; %bb.18:
	s_or_b64 exec, exec, s[14:15]
	s_and_saveexec_b64 s[12:13], s[10:11]
	s_cbranch_execnz .LBB293_28
.LBB293_19:
	s_or_b64 exec, exec, s[12:13]
	s_and_saveexec_b64 s[10:11], s[8:9]
	s_cbranch_execnz .LBB293_29
.LBB293_20:
	s_or_b64 exec, exec, s[10:11]
	s_and_saveexec_b64 s[8:9], s[6:7]
	s_cbranch_execnz .LBB293_30
.LBB293_21:
	s_or_b64 exec, exec, s[8:9]
	s_and_saveexec_b64 s[6:7], s[4:5]
	s_cbranch_execnz .LBB293_31
.LBB293_22:
	s_or_b64 exec, exec, s[6:7]
	s_and_saveexec_b64 s[4:5], s[2:3]
	s_cbranch_execnz .LBB293_32
.LBB293_23:
	s_or_b64 exec, exec, s[4:5]
	s_and_saveexec_b64 s[2:3], s[0:1]
	s_cbranch_execnz .LBB293_33
.LBB293_24:
	s_or_b64 exec, exec, s[2:3]
	s_and_b64 exec, exec, vcc
	s_cbranch_execz .LBB293_26
.LBB293_25:
	s_waitcnt vmcnt(0)
	v_mul_f32_e32 v3, 0x3fb8aa3b, v4
	s_mov_b32 s0, 0x3fb8aa3b
	v_rndne_f32_e32 v6, v3
	v_sub_f32_e32 v7, v3, v6
	v_fma_f32 v3, v4, s0, -v3
	v_fmac_f32_e32 v3, 0x32a5705f, v4
	v_add_f32_e32 v3, v7, v3
	v_exp_f32_e32 v3, v3
	v_cvt_i32_f32_e32 v6, v6
	s_mov_b32 s0, 0xc2ce8ed0
	v_cmp_ngt_f32_e32 vcc, s0, v4
	s_mov_b32 s0, 0x42b17218
	v_ldexp_f32 v3, v3, v6
	v_cndmask_b32_e32 v3, 0, v3, vcc
	v_mov_b32_e32 v6, 0x7f800000
	v_cmp_nlt_f32_e32 vcc, s0, v4
	v_cndmask_b32_e32 v3, v6, v3, vcc
	v_fma_mixlo_f16 v2, -v2, v3, v5
	global_store_short v[0:1], v2, off offset:448
.LBB293_26:
	s_endpgm
.LBB293_27:
	s_waitcnt vmcnt(0)
	v_mul_f32_e32 v3, 0x3fb8aa3b, v21
	s_mov_b32 s12, 0x3fb8aa3b
	v_rndne_f32_e32 v6, v3
	v_sub_f32_e32 v7, v3, v6
	v_fma_f32 v3, v21, s12, -v3
	v_fmac_f32_e32 v3, 0x32a5705f, v21
	v_add_f32_e32 v3, v7, v3
	v_exp_f32_e32 v3, v3
	v_cvt_i32_f32_e32 v6, v6
	s_mov_b32 s12, 0xc2ce8ed0
	v_cmp_ngt_f32_e64 s[12:13], s12, v21
	v_ldexp_f32 v3, v3, v6
	v_cndmask_b32_e64 v3, 0, v3, s[12:13]
	s_mov_b32 s12, 0x42b17218
	v_mov_b32_e32 v6, 0x7f800000
	v_cmp_nlt_f32_e64 s[12:13], s12, v21
	v_cndmask_b32_e64 v3, v6, v3, s[12:13]
	v_fma_mixlo_f16 v3, -v2, v3, v20
	global_store_short v[0:1], v3, off
	s_or_b64 exec, exec, s[14:15]
	s_and_saveexec_b64 s[12:13], s[10:11]
	s_cbranch_execz .LBB293_19
.LBB293_28:
	s_waitcnt vmcnt(0)
	v_mul_f32_e32 v3, 0x3fb8aa3b, v19
	s_mov_b32 s10, 0x3fb8aa3b
	v_rndne_f32_e32 v6, v3
	v_sub_f32_e32 v7, v3, v6
	v_fma_f32 v3, v19, s10, -v3
	v_fmac_f32_e32 v3, 0x32a5705f, v19
	v_add_f32_e32 v3, v7, v3
	v_exp_f32_e32 v3, v3
	v_cvt_i32_f32_e32 v6, v6
	s_mov_b32 s10, 0xc2ce8ed0
	v_cmp_ngt_f32_e64 s[10:11], s10, v19
	v_ldexp_f32 v3, v3, v6
	v_cndmask_b32_e64 v3, 0, v3, s[10:11]
	s_mov_b32 s10, 0x42b17218
	v_mov_b32_e32 v6, 0x7f800000
	v_cmp_nlt_f32_e64 s[10:11], s10, v19
	v_cndmask_b32_e64 v3, v6, v3, s[10:11]
	v_fma_mixlo_f16 v3, -v2, v3, v15
	global_store_short v[0:1], v3, off offset:64
	s_or_b64 exec, exec, s[12:13]
	s_and_saveexec_b64 s[10:11], s[8:9]
	s_cbranch_execz .LBB293_20
.LBB293_29:
	s_waitcnt vmcnt(0)
	v_mul_f32_e32 v3, 0x3fb8aa3b, v18
	s_mov_b32 s8, 0x3fb8aa3b
	v_rndne_f32_e32 v6, v3
	v_sub_f32_e32 v7, v3, v6
	v_fma_f32 v3, v18, s8, -v3
	v_fmac_f32_e32 v3, 0x32a5705f, v18
	v_add_f32_e32 v3, v7, v3
	v_exp_f32_e32 v3, v3
	v_cvt_i32_f32_e32 v6, v6
	s_mov_b32 s8, 0xc2ce8ed0
	v_cmp_ngt_f32_e64 s[8:9], s8, v18
	v_ldexp_f32 v3, v3, v6
	v_cndmask_b32_e64 v3, 0, v3, s[8:9]
	s_mov_b32 s8, 0x42b17218
	v_mov_b32_e32 v6, 0x7f800000
	v_cmp_nlt_f32_e64 s[8:9], s8, v18
	v_cndmask_b32_e64 v3, v6, v3, s[8:9]
	v_fma_mixlo_f16 v3, -v2, v3, v17
	global_store_short v[0:1], v3, off offset:128
	s_or_b64 exec, exec, s[10:11]
	s_and_saveexec_b64 s[8:9], s[6:7]
	s_cbranch_execz .LBB293_21
.LBB293_30:
	s_waitcnt vmcnt(0)
	v_mul_f32_e32 v3, 0x3fb8aa3b, v16
	s_mov_b32 s6, 0x3fb8aa3b
	v_rndne_f32_e32 v6, v3
	v_sub_f32_e32 v7, v3, v6
	v_fma_f32 v3, v16, s6, -v3
	v_fmac_f32_e32 v3, 0x32a5705f, v16
	v_add_f32_e32 v3, v7, v3
	v_exp_f32_e32 v3, v3
	v_cvt_i32_f32_e32 v6, v6
	s_mov_b32 s6, 0xc2ce8ed0
	v_cmp_ngt_f32_e64 s[6:7], s6, v16
	v_ldexp_f32 v3, v3, v6
	v_cndmask_b32_e64 v3, 0, v3, s[6:7]
	s_mov_b32 s6, 0x42b17218
	v_mov_b32_e32 v6, 0x7f800000
	v_cmp_nlt_f32_e64 s[6:7], s6, v16
	v_cndmask_b32_e64 v3, v6, v3, s[6:7]
	v_fma_mixlo_f16 v3, -v2, v3, v11
	global_store_short v[0:1], v3, off offset:192
	s_or_b64 exec, exec, s[8:9]
	s_and_saveexec_b64 s[6:7], s[4:5]
	s_cbranch_execz .LBB293_22
.LBB293_31:
	s_waitcnt vmcnt(0)
	v_mul_f32_e32 v3, 0x3fb8aa3b, v14
	s_mov_b32 s4, 0x3fb8aa3b
	v_rndne_f32_e32 v6, v3
	v_sub_f32_e32 v7, v3, v6
	v_fma_f32 v3, v14, s4, -v3
	v_fmac_f32_e32 v3, 0x32a5705f, v14
	v_add_f32_e32 v3, v7, v3
	v_exp_f32_e32 v3, v3
	v_cvt_i32_f32_e32 v6, v6
	s_mov_b32 s4, 0xc2ce8ed0
	v_cmp_ngt_f32_e64 s[4:5], s4, v14
	v_ldexp_f32 v3, v3, v6
	v_cndmask_b32_e64 v3, 0, v3, s[4:5]
	s_mov_b32 s4, 0x42b17218
	v_mov_b32_e32 v6, 0x7f800000
	v_cmp_nlt_f32_e64 s[4:5], s4, v14
	v_cndmask_b32_e64 v3, v6, v3, s[4:5]
	v_fma_mixlo_f16 v3, -v2, v3, v13
	global_store_short v[0:1], v3, off offset:256
	s_or_b64 exec, exec, s[6:7]
	s_and_saveexec_b64 s[4:5], s[2:3]
	s_cbranch_execz .LBB293_23
.LBB293_32:
	s_waitcnt vmcnt(0)
	v_mul_f32_e32 v3, 0x3fb8aa3b, v12
	s_mov_b32 s2, 0x3fb8aa3b
	v_rndne_f32_e32 v6, v3
	v_sub_f32_e32 v7, v3, v6
	v_fma_f32 v3, v12, s2, -v3
	v_fmac_f32_e32 v3, 0x32a5705f, v12
	v_add_f32_e32 v3, v7, v3
	v_exp_f32_e32 v3, v3
	v_cvt_i32_f32_e32 v6, v6
	s_mov_b32 s2, 0xc2ce8ed0
	v_cmp_ngt_f32_e64 s[2:3], s2, v12
	v_ldexp_f32 v3, v3, v6
	v_cndmask_b32_e64 v3, 0, v3, s[2:3]
	s_mov_b32 s2, 0x42b17218
	v_mov_b32_e32 v6, 0x7f800000
	v_cmp_nlt_f32_e64 s[2:3], s2, v12
	v_cndmask_b32_e64 v3, v6, v3, s[2:3]
	v_fma_mixlo_f16 v3, -v2, v3, v8
	global_store_short v[0:1], v3, off offset:320
	s_or_b64 exec, exec, s[4:5]
	s_and_saveexec_b64 s[2:3], s[0:1]
	s_cbranch_execz .LBB293_24
.LBB293_33:
	s_waitcnt vmcnt(0)
	v_mul_f32_e32 v3, 0x3fb8aa3b, v10
	s_mov_b32 s0, 0x3fb8aa3b
	v_rndne_f32_e32 v6, v3
	v_sub_f32_e32 v7, v3, v6
	v_fma_f32 v3, v10, s0, -v3
	v_fmac_f32_e32 v3, 0x32a5705f, v10
	v_add_f32_e32 v3, v7, v3
	v_exp_f32_e32 v3, v3
	v_cvt_i32_f32_e32 v6, v6
	s_mov_b32 s0, 0xc2ce8ed0
	v_cmp_ngt_f32_e64 s[0:1], s0, v10
	v_ldexp_f32 v3, v3, v6
	v_cndmask_b32_e64 v3, 0, v3, s[0:1]
	s_mov_b32 s0, 0x42b17218
	v_mov_b32_e32 v6, 0x7f800000
	v_cmp_nlt_f32_e64 s[0:1], s0, v10
	v_cndmask_b32_e64 v3, v6, v3, s[0:1]
	v_fma_mixlo_f16 v3, -v2, v3, v9
	global_store_short v[0:1], v3, off offset:384
	s_or_b64 exec, exec, s[2:3]
	s_and_b64 exec, exec, vcc
	s_cbranch_execnz .LBB293_25
	s_branch .LBB293_26
	.section	.rodata,"a",@progbits
	.p2align	6, 0x0
	.amdhsa_kernel _ZN12_GLOBAL__N_121softmax_warp_backwardIfN3c104HalfEfLi8ELb1ELb0ELi32EEEvPT0_PKT_S7_iiiPKb
		.amdhsa_group_segment_fixed_size 0
		.amdhsa_private_segment_fixed_size 0
		.amdhsa_kernarg_size 304
		.amdhsa_user_sgpr_count 6
		.amdhsa_user_sgpr_private_segment_buffer 1
		.amdhsa_user_sgpr_dispatch_ptr 0
		.amdhsa_user_sgpr_queue_ptr 0
		.amdhsa_user_sgpr_kernarg_segment_ptr 1
		.amdhsa_user_sgpr_dispatch_id 0
		.amdhsa_user_sgpr_flat_scratch_init 0
		.amdhsa_user_sgpr_kernarg_preload_length 0
		.amdhsa_user_sgpr_kernarg_preload_offset 0
		.amdhsa_user_sgpr_private_segment_size 0
		.amdhsa_uses_dynamic_stack 0
		.amdhsa_system_sgpr_private_segment_wavefront_offset 0
		.amdhsa_system_sgpr_workgroup_id_x 1
		.amdhsa_system_sgpr_workgroup_id_y 0
		.amdhsa_system_sgpr_workgroup_id_z 0
		.amdhsa_system_sgpr_workgroup_info 0
		.amdhsa_system_vgpr_workitem_id 1
		.amdhsa_next_free_vgpr 23
		.amdhsa_next_free_sgpr 24
		.amdhsa_accum_offset 24
		.amdhsa_reserve_vcc 1
		.amdhsa_reserve_flat_scratch 0
		.amdhsa_float_round_mode_32 0
		.amdhsa_float_round_mode_16_64 0
		.amdhsa_float_denorm_mode_32 3
		.amdhsa_float_denorm_mode_16_64 3
		.amdhsa_dx10_clamp 1
		.amdhsa_ieee_mode 1
		.amdhsa_fp16_overflow 0
		.amdhsa_tg_split 0
		.amdhsa_exception_fp_ieee_invalid_op 0
		.amdhsa_exception_fp_denorm_src 0
		.amdhsa_exception_fp_ieee_div_zero 0
		.amdhsa_exception_fp_ieee_overflow 0
		.amdhsa_exception_fp_ieee_underflow 0
		.amdhsa_exception_fp_ieee_inexact 0
		.amdhsa_exception_int_div_zero 0
	.end_amdhsa_kernel
	.section	.text._ZN12_GLOBAL__N_121softmax_warp_backwardIfN3c104HalfEfLi8ELb1ELb0ELi32EEEvPT0_PKT_S7_iiiPKb,"axG",@progbits,_ZN12_GLOBAL__N_121softmax_warp_backwardIfN3c104HalfEfLi8ELb1ELb0ELi32EEEvPT0_PKT_S7_iiiPKb,comdat
.Lfunc_end293:
	.size	_ZN12_GLOBAL__N_121softmax_warp_backwardIfN3c104HalfEfLi8ELb1ELb0ELi32EEEvPT0_PKT_S7_iiiPKb, .Lfunc_end293-_ZN12_GLOBAL__N_121softmax_warp_backwardIfN3c104HalfEfLi8ELb1ELb0ELi32EEEvPT0_PKT_S7_iiiPKb
                                        ; -- End function
	.section	.AMDGPU.csdata,"",@progbits
; Kernel info:
; codeLenInByte = 2108
; NumSgprs: 28
; NumVgprs: 23
; NumAgprs: 0
; TotalNumVgprs: 23
; ScratchSize: 0
; MemoryBound: 0
; FloatMode: 240
; IeeeMode: 1
; LDSByteSize: 0 bytes/workgroup (compile time only)
; SGPRBlocks: 3
; VGPRBlocks: 2
; NumSGPRsForWavesPerEU: 28
; NumVGPRsForWavesPerEU: 23
; AccumOffset: 24
; Occupancy: 8
; WaveLimiterHint : 0
; COMPUTE_PGM_RSRC2:SCRATCH_EN: 0
; COMPUTE_PGM_RSRC2:USER_SGPR: 6
; COMPUTE_PGM_RSRC2:TRAP_HANDLER: 0
; COMPUTE_PGM_RSRC2:TGID_X_EN: 1
; COMPUTE_PGM_RSRC2:TGID_Y_EN: 0
; COMPUTE_PGM_RSRC2:TGID_Z_EN: 0
; COMPUTE_PGM_RSRC2:TIDIG_COMP_CNT: 1
; COMPUTE_PGM_RSRC3_GFX90A:ACCUM_OFFSET: 5
; COMPUTE_PGM_RSRC3_GFX90A:TG_SPLIT: 0
	.section	.text._ZN12_GLOBAL__N_121softmax_warp_backwardIfN3c104HalfEfLi9ELb1ELb0ELi64EEEvPT0_PKT_S7_iiiPKb,"axG",@progbits,_ZN12_GLOBAL__N_121softmax_warp_backwardIfN3c104HalfEfLi9ELb1ELb0ELi64EEEvPT0_PKT_S7_iiiPKb,comdat
	.globl	_ZN12_GLOBAL__N_121softmax_warp_backwardIfN3c104HalfEfLi9ELb1ELb0ELi64EEEvPT0_PKT_S7_iiiPKb ; -- Begin function _ZN12_GLOBAL__N_121softmax_warp_backwardIfN3c104HalfEfLi9ELb1ELb0ELi64EEEvPT0_PKT_S7_iiiPKb
	.p2align	8
	.type	_ZN12_GLOBAL__N_121softmax_warp_backwardIfN3c104HalfEfLi9ELb1ELb0ELi64EEEvPT0_PKT_S7_iiiPKb,@function
_ZN12_GLOBAL__N_121softmax_warp_backwardIfN3c104HalfEfLi9ELb1ELb0ELi64EEEvPT0_PKT_S7_iiiPKb: ; @_ZN12_GLOBAL__N_121softmax_warp_backwardIfN3c104HalfEfLi9ELb1ELb0ELi64EEEvPT0_PKT_S7_iiiPKb
; %bb.0:
	s_load_dword s2, s[4:5], 0x3c
	s_load_dwordx4 s[20:23], s[4:5], 0x18
	s_load_dwordx4 s[16:19], s[4:5], 0x0
	s_load_dwordx2 s[0:1], s[4:5], 0x10
	v_bfe_u32 v1, v0, 10, 10
	s_waitcnt lgkmcnt(0)
	s_lshr_b32 s2, s2, 16
	s_mul_i32 s6, s6, s2
	v_add_u32_e32 v1, s6, v1
	v_and_b32_e32 v4, 63, v0
	v_sub_u32_e32 v22, s20, v1
	v_mad_u64_u32 v[0:1], s[2:3], v1, s21, v[4:5]
	v_ashrrev_i32_e32 v1, 31, v0
	v_lshlrev_b64 v[6:7], 2, v[0:1]
	v_mov_b32_e32 v3, s19
	v_add_co_u32_e32 v2, vcc, s18, v6
	v_addc_co_u32_e32 v3, vcc, v3, v7, vcc
	v_mov_b32_e32 v5, s1
	v_add_co_u32_e32 v6, vcc, s0, v6
	v_cmp_lt_i32_e64 s[14:15], 0, v22
	v_cmp_gt_i32_e64 s[12:13], s22, v4
	v_addc_co_u32_e32 v7, vcc, v5, v7, vcc
	s_and_b64 s[2:3], s[14:15], s[12:13]
	v_mov_b32_e32 v15, 0
	v_mov_b32_e32 v20, 0
	v_mov_b32_e32 v21, 0
	s_and_saveexec_b64 s[0:1], s[2:3]
	s_cbranch_execz .LBB294_2
; %bb.1:
	global_load_dword v20, v[2:3], off
	global_load_dword v21, v[6:7], off
.LBB294_2:
	s_or_b64 exec, exec, s[0:1]
	v_or_b32_e32 v5, 64, v4
	v_cmp_gt_i32_e64 s[10:11], s22, v5
	s_and_b64 s[2:3], s[14:15], s[10:11]
	v_mov_b32_e32 v19, 0
	s_and_saveexec_b64 s[0:1], s[2:3]
	s_cbranch_execz .LBB294_4
; %bb.3:
	global_load_dword v15, v[2:3], off offset:256
	global_load_dword v19, v[6:7], off offset:256
.LBB294_4:
	s_or_b64 exec, exec, s[0:1]
	v_or_b32_e32 v5, 0x80, v4
	v_cmp_gt_i32_e64 s[8:9], s22, v5
	s_and_b64 s[2:3], s[14:15], s[8:9]
	v_mov_b32_e32 v11, 0
	v_mov_b32_e32 v17, 0
	v_mov_b32_e32 v18, 0
	s_and_saveexec_b64 s[0:1], s[2:3]
	s_cbranch_execz .LBB294_6
; %bb.5:
	global_load_dword v17, v[2:3], off offset:512
	global_load_dword v18, v[6:7], off offset:512
.LBB294_6:
	s_or_b64 exec, exec, s[0:1]
	v_or_b32_e32 v5, 0xc0, v4
	v_cmp_gt_i32_e64 s[6:7], s22, v5
	s_and_b64 s[2:3], s[14:15], s[6:7]
	v_mov_b32_e32 v16, 0
	s_and_saveexec_b64 s[0:1], s[2:3]
	s_cbranch_execz .LBB294_8
; %bb.7:
	global_load_dword v11, v[2:3], off offset:768
	global_load_dword v16, v[6:7], off offset:768
.LBB294_8:
	s_or_b64 exec, exec, s[0:1]
	v_or_b32_e32 v5, 0x100, v4
	v_cmp_gt_i32_e64 s[4:5], s22, v5
	s_and_b64 s[2:3], s[14:15], s[4:5]
	v_mov_b32_e32 v8, 0
	v_mov_b32_e32 v13, 0
	v_mov_b32_e32 v14, 0
	s_and_saveexec_b64 s[0:1], s[2:3]
	s_cbranch_execz .LBB294_10
; %bb.9:
	global_load_dword v13, v[2:3], off offset:1024
	global_load_dword v14, v[6:7], off offset:1024
.LBB294_10:
	;; [unrolled: 24-line block ×3, first 2 shown]
	s_or_b64 exec, exec, s[18:19]
	v_or_b32_e32 v4, 0x1c0, v4
	v_cmp_gt_i32_e32 vcc, s22, v4
	s_and_b64 s[18:19], s[14:15], vcc
	v_mov_b32_e32 v4, 0
	s_and_saveexec_b64 s[14:15], s[18:19]
	s_cbranch_execz .LBB294_16
; %bb.15:
	global_load_dword v5, v[2:3], off offset:1792
	global_load_dword v4, v[6:7], off offset:1792
.LBB294_16:
	s_or_b64 exec, exec, s[14:15]
	s_waitcnt vmcnt(1)
	v_add_f32_e32 v2, 0, v20
	v_add_f32_e32 v2, v2, v15
	v_mbcnt_lo_u32_b32 v3, -1, 0
	v_add_f32_e32 v2, v2, v17
	v_mbcnt_hi_u32_b32 v3, -1, v3
	v_add_f32_e32 v2, v2, v11
	v_and_b32_e32 v6, 64, v3
	v_add_f32_e32 v2, v2, v13
	v_add_u32_e32 v6, 64, v6
	v_xor_b32_e32 v7, 32, v3
	v_add_f32_e32 v2, v2, v8
	v_cmp_lt_i32_e64 s[14:15], v7, v6
	v_add_f32_e32 v2, v2, v9
	v_cndmask_b32_e64 v7, v3, v7, s[14:15]
	v_add_f32_e32 v2, v2, v5
	v_lshlrev_b32_e32 v7, 2, v7
	ds_bpermute_b32 v7, v7, v2
	s_waitcnt lgkmcnt(0)
	v_add_f32_e32 v2, v2, v7
	v_xor_b32_e32 v7, 16, v3
	v_cmp_lt_i32_e64 s[14:15], v7, v6
	v_cndmask_b32_e64 v7, v3, v7, s[14:15]
	v_lshlrev_b32_e32 v7, 2, v7
	ds_bpermute_b32 v7, v7, v2
	s_waitcnt lgkmcnt(0)
	v_add_f32_e32 v2, v2, v7
	v_xor_b32_e32 v7, 8, v3
	v_cmp_lt_i32_e64 s[14:15], v7, v6
	v_cndmask_b32_e64 v7, v3, v7, s[14:15]
	;; [unrolled: 7-line block ×5, first 2 shown]
	v_lshlrev_b32_e32 v3, 2, v3
	ds_bpermute_b32 v3, v3, v2
	v_cmp_lt_i32_e64 s[14:15], 0, v22
	s_and_saveexec_b64 s[18:19], s[14:15]
	s_cbranch_execz .LBB294_26
; %bb.17:
	v_lshlrev_b64 v[0:1], 1, v[0:1]
	v_mov_b32_e32 v6, s17
	v_add_co_u32_e64 v0, s[14:15], s16, v0
	v_addc_co_u32_e64 v1, s[14:15], v6, v1, s[14:15]
	s_waitcnt lgkmcnt(0)
	v_add_f32_e32 v2, v2, v3
	s_and_saveexec_b64 s[14:15], s[12:13]
	s_cbranch_execnz .LBB294_27
; %bb.18:
	s_or_b64 exec, exec, s[14:15]
	s_and_saveexec_b64 s[12:13], s[10:11]
	s_cbranch_execnz .LBB294_28
.LBB294_19:
	s_or_b64 exec, exec, s[12:13]
	s_and_saveexec_b64 s[10:11], s[8:9]
	s_cbranch_execnz .LBB294_29
.LBB294_20:
	s_or_b64 exec, exec, s[10:11]
	s_and_saveexec_b64 s[8:9], s[6:7]
	s_cbranch_execnz .LBB294_30
.LBB294_21:
	s_or_b64 exec, exec, s[8:9]
	s_and_saveexec_b64 s[6:7], s[4:5]
	s_cbranch_execnz .LBB294_31
.LBB294_22:
	s_or_b64 exec, exec, s[6:7]
	s_and_saveexec_b64 s[4:5], s[2:3]
	s_cbranch_execnz .LBB294_32
.LBB294_23:
	s_or_b64 exec, exec, s[4:5]
	s_and_saveexec_b64 s[2:3], s[0:1]
	s_cbranch_execnz .LBB294_33
.LBB294_24:
	s_or_b64 exec, exec, s[2:3]
	s_and_b64 exec, exec, vcc
	s_cbranch_execz .LBB294_26
.LBB294_25:
	s_waitcnt vmcnt(0)
	v_mul_f32_e32 v3, 0x3fb8aa3b, v4
	s_mov_b32 s0, 0x3fb8aa3b
	v_rndne_f32_e32 v6, v3
	v_sub_f32_e32 v7, v3, v6
	v_fma_f32 v3, v4, s0, -v3
	v_fmac_f32_e32 v3, 0x32a5705f, v4
	v_add_f32_e32 v3, v7, v3
	v_exp_f32_e32 v3, v3
	v_cvt_i32_f32_e32 v6, v6
	s_mov_b32 s0, 0xc2ce8ed0
	v_cmp_ngt_f32_e32 vcc, s0, v4
	s_mov_b32 s0, 0x42b17218
	v_ldexp_f32 v3, v3, v6
	v_cndmask_b32_e32 v3, 0, v3, vcc
	v_mov_b32_e32 v6, 0x7f800000
	v_cmp_nlt_f32_e32 vcc, s0, v4
	v_cndmask_b32_e32 v3, v6, v3, vcc
	v_fma_mixlo_f16 v2, -v2, v3, v5
	global_store_short v[0:1], v2, off offset:896
.LBB294_26:
	s_endpgm
.LBB294_27:
	s_waitcnt vmcnt(0)
	v_mul_f32_e32 v3, 0x3fb8aa3b, v21
	s_mov_b32 s12, 0x3fb8aa3b
	v_rndne_f32_e32 v6, v3
	v_sub_f32_e32 v7, v3, v6
	v_fma_f32 v3, v21, s12, -v3
	v_fmac_f32_e32 v3, 0x32a5705f, v21
	v_add_f32_e32 v3, v7, v3
	v_exp_f32_e32 v3, v3
	v_cvt_i32_f32_e32 v6, v6
	s_mov_b32 s12, 0xc2ce8ed0
	v_cmp_ngt_f32_e64 s[12:13], s12, v21
	v_ldexp_f32 v3, v3, v6
	v_cndmask_b32_e64 v3, 0, v3, s[12:13]
	s_mov_b32 s12, 0x42b17218
	v_mov_b32_e32 v6, 0x7f800000
	v_cmp_nlt_f32_e64 s[12:13], s12, v21
	v_cndmask_b32_e64 v3, v6, v3, s[12:13]
	v_fma_mixlo_f16 v3, -v2, v3, v20
	global_store_short v[0:1], v3, off
	s_or_b64 exec, exec, s[14:15]
	s_and_saveexec_b64 s[12:13], s[10:11]
	s_cbranch_execz .LBB294_19
.LBB294_28:
	s_waitcnt vmcnt(0)
	v_mul_f32_e32 v3, 0x3fb8aa3b, v19
	s_mov_b32 s10, 0x3fb8aa3b
	v_rndne_f32_e32 v6, v3
	v_sub_f32_e32 v7, v3, v6
	v_fma_f32 v3, v19, s10, -v3
	v_fmac_f32_e32 v3, 0x32a5705f, v19
	v_add_f32_e32 v3, v7, v3
	v_exp_f32_e32 v3, v3
	v_cvt_i32_f32_e32 v6, v6
	s_mov_b32 s10, 0xc2ce8ed0
	v_cmp_ngt_f32_e64 s[10:11], s10, v19
	v_ldexp_f32 v3, v3, v6
	v_cndmask_b32_e64 v3, 0, v3, s[10:11]
	s_mov_b32 s10, 0x42b17218
	v_mov_b32_e32 v6, 0x7f800000
	v_cmp_nlt_f32_e64 s[10:11], s10, v19
	v_cndmask_b32_e64 v3, v6, v3, s[10:11]
	v_fma_mixlo_f16 v3, -v2, v3, v15
	global_store_short v[0:1], v3, off offset:128
	s_or_b64 exec, exec, s[12:13]
	s_and_saveexec_b64 s[10:11], s[8:9]
	s_cbranch_execz .LBB294_20
.LBB294_29:
	s_waitcnt vmcnt(0)
	v_mul_f32_e32 v3, 0x3fb8aa3b, v18
	s_mov_b32 s8, 0x3fb8aa3b
	v_rndne_f32_e32 v6, v3
	v_sub_f32_e32 v7, v3, v6
	v_fma_f32 v3, v18, s8, -v3
	v_fmac_f32_e32 v3, 0x32a5705f, v18
	v_add_f32_e32 v3, v7, v3
	v_exp_f32_e32 v3, v3
	v_cvt_i32_f32_e32 v6, v6
	s_mov_b32 s8, 0xc2ce8ed0
	v_cmp_ngt_f32_e64 s[8:9], s8, v18
	v_ldexp_f32 v3, v3, v6
	v_cndmask_b32_e64 v3, 0, v3, s[8:9]
	s_mov_b32 s8, 0x42b17218
	v_mov_b32_e32 v6, 0x7f800000
	v_cmp_nlt_f32_e64 s[8:9], s8, v18
	v_cndmask_b32_e64 v3, v6, v3, s[8:9]
	v_fma_mixlo_f16 v3, -v2, v3, v17
	global_store_short v[0:1], v3, off offset:256
	s_or_b64 exec, exec, s[10:11]
	s_and_saveexec_b64 s[8:9], s[6:7]
	s_cbranch_execz .LBB294_21
.LBB294_30:
	s_waitcnt vmcnt(0)
	v_mul_f32_e32 v3, 0x3fb8aa3b, v16
	s_mov_b32 s6, 0x3fb8aa3b
	v_rndne_f32_e32 v6, v3
	v_sub_f32_e32 v7, v3, v6
	v_fma_f32 v3, v16, s6, -v3
	v_fmac_f32_e32 v3, 0x32a5705f, v16
	v_add_f32_e32 v3, v7, v3
	v_exp_f32_e32 v3, v3
	v_cvt_i32_f32_e32 v6, v6
	s_mov_b32 s6, 0xc2ce8ed0
	v_cmp_ngt_f32_e64 s[6:7], s6, v16
	v_ldexp_f32 v3, v3, v6
	v_cndmask_b32_e64 v3, 0, v3, s[6:7]
	s_mov_b32 s6, 0x42b17218
	v_mov_b32_e32 v6, 0x7f800000
	v_cmp_nlt_f32_e64 s[6:7], s6, v16
	v_cndmask_b32_e64 v3, v6, v3, s[6:7]
	v_fma_mixlo_f16 v3, -v2, v3, v11
	global_store_short v[0:1], v3, off offset:384
	s_or_b64 exec, exec, s[8:9]
	s_and_saveexec_b64 s[6:7], s[4:5]
	s_cbranch_execz .LBB294_22
.LBB294_31:
	s_waitcnt vmcnt(0)
	v_mul_f32_e32 v3, 0x3fb8aa3b, v14
	s_mov_b32 s4, 0x3fb8aa3b
	v_rndne_f32_e32 v6, v3
	v_sub_f32_e32 v7, v3, v6
	v_fma_f32 v3, v14, s4, -v3
	v_fmac_f32_e32 v3, 0x32a5705f, v14
	v_add_f32_e32 v3, v7, v3
	v_exp_f32_e32 v3, v3
	v_cvt_i32_f32_e32 v6, v6
	s_mov_b32 s4, 0xc2ce8ed0
	v_cmp_ngt_f32_e64 s[4:5], s4, v14
	v_ldexp_f32 v3, v3, v6
	v_cndmask_b32_e64 v3, 0, v3, s[4:5]
	s_mov_b32 s4, 0x42b17218
	v_mov_b32_e32 v6, 0x7f800000
	v_cmp_nlt_f32_e64 s[4:5], s4, v14
	v_cndmask_b32_e64 v3, v6, v3, s[4:5]
	v_fma_mixlo_f16 v3, -v2, v3, v13
	global_store_short v[0:1], v3, off offset:512
	s_or_b64 exec, exec, s[6:7]
	s_and_saveexec_b64 s[4:5], s[2:3]
	s_cbranch_execz .LBB294_23
.LBB294_32:
	s_waitcnt vmcnt(0)
	v_mul_f32_e32 v3, 0x3fb8aa3b, v12
	s_mov_b32 s2, 0x3fb8aa3b
	v_rndne_f32_e32 v6, v3
	v_sub_f32_e32 v7, v3, v6
	v_fma_f32 v3, v12, s2, -v3
	v_fmac_f32_e32 v3, 0x32a5705f, v12
	v_add_f32_e32 v3, v7, v3
	v_exp_f32_e32 v3, v3
	v_cvt_i32_f32_e32 v6, v6
	s_mov_b32 s2, 0xc2ce8ed0
	v_cmp_ngt_f32_e64 s[2:3], s2, v12
	v_ldexp_f32 v3, v3, v6
	v_cndmask_b32_e64 v3, 0, v3, s[2:3]
	s_mov_b32 s2, 0x42b17218
	v_mov_b32_e32 v6, 0x7f800000
	v_cmp_nlt_f32_e64 s[2:3], s2, v12
	v_cndmask_b32_e64 v3, v6, v3, s[2:3]
	v_fma_mixlo_f16 v3, -v2, v3, v8
	global_store_short v[0:1], v3, off offset:640
	s_or_b64 exec, exec, s[4:5]
	s_and_saveexec_b64 s[2:3], s[0:1]
	s_cbranch_execz .LBB294_24
.LBB294_33:
	s_waitcnt vmcnt(0)
	v_mul_f32_e32 v3, 0x3fb8aa3b, v10
	s_mov_b32 s0, 0x3fb8aa3b
	v_rndne_f32_e32 v6, v3
	v_sub_f32_e32 v7, v3, v6
	v_fma_f32 v3, v10, s0, -v3
	v_fmac_f32_e32 v3, 0x32a5705f, v10
	v_add_f32_e32 v3, v7, v3
	v_exp_f32_e32 v3, v3
	v_cvt_i32_f32_e32 v6, v6
	s_mov_b32 s0, 0xc2ce8ed0
	v_cmp_ngt_f32_e64 s[0:1], s0, v10
	v_ldexp_f32 v3, v3, v6
	v_cndmask_b32_e64 v3, 0, v3, s[0:1]
	s_mov_b32 s0, 0x42b17218
	v_mov_b32_e32 v6, 0x7f800000
	v_cmp_nlt_f32_e64 s[0:1], s0, v10
	v_cndmask_b32_e64 v3, v6, v3, s[0:1]
	v_fma_mixlo_f16 v3, -v2, v3, v9
	global_store_short v[0:1], v3, off offset:768
	s_or_b64 exec, exec, s[2:3]
	s_and_b64 exec, exec, vcc
	s_cbranch_execnz .LBB294_25
	s_branch .LBB294_26
	.section	.rodata,"a",@progbits
	.p2align	6, 0x0
	.amdhsa_kernel _ZN12_GLOBAL__N_121softmax_warp_backwardIfN3c104HalfEfLi9ELb1ELb0ELi64EEEvPT0_PKT_S7_iiiPKb
		.amdhsa_group_segment_fixed_size 0
		.amdhsa_private_segment_fixed_size 0
		.amdhsa_kernarg_size 304
		.amdhsa_user_sgpr_count 6
		.amdhsa_user_sgpr_private_segment_buffer 1
		.amdhsa_user_sgpr_dispatch_ptr 0
		.amdhsa_user_sgpr_queue_ptr 0
		.amdhsa_user_sgpr_kernarg_segment_ptr 1
		.amdhsa_user_sgpr_dispatch_id 0
		.amdhsa_user_sgpr_flat_scratch_init 0
		.amdhsa_user_sgpr_kernarg_preload_length 0
		.amdhsa_user_sgpr_kernarg_preload_offset 0
		.amdhsa_user_sgpr_private_segment_size 0
		.amdhsa_uses_dynamic_stack 0
		.amdhsa_system_sgpr_private_segment_wavefront_offset 0
		.amdhsa_system_sgpr_workgroup_id_x 1
		.amdhsa_system_sgpr_workgroup_id_y 0
		.amdhsa_system_sgpr_workgroup_id_z 0
		.amdhsa_system_sgpr_workgroup_info 0
		.amdhsa_system_vgpr_workitem_id 1
		.amdhsa_next_free_vgpr 23
		.amdhsa_next_free_sgpr 24
		.amdhsa_accum_offset 24
		.amdhsa_reserve_vcc 1
		.amdhsa_reserve_flat_scratch 0
		.amdhsa_float_round_mode_32 0
		.amdhsa_float_round_mode_16_64 0
		.amdhsa_float_denorm_mode_32 3
		.amdhsa_float_denorm_mode_16_64 3
		.amdhsa_dx10_clamp 1
		.amdhsa_ieee_mode 1
		.amdhsa_fp16_overflow 0
		.amdhsa_tg_split 0
		.amdhsa_exception_fp_ieee_invalid_op 0
		.amdhsa_exception_fp_denorm_src 0
		.amdhsa_exception_fp_ieee_div_zero 0
		.amdhsa_exception_fp_ieee_overflow 0
		.amdhsa_exception_fp_ieee_underflow 0
		.amdhsa_exception_fp_ieee_inexact 0
		.amdhsa_exception_int_div_zero 0
	.end_amdhsa_kernel
	.section	.text._ZN12_GLOBAL__N_121softmax_warp_backwardIfN3c104HalfEfLi9ELb1ELb0ELi64EEEvPT0_PKT_S7_iiiPKb,"axG",@progbits,_ZN12_GLOBAL__N_121softmax_warp_backwardIfN3c104HalfEfLi9ELb1ELb0ELi64EEEvPT0_PKT_S7_iiiPKb,comdat
.Lfunc_end294:
	.size	_ZN12_GLOBAL__N_121softmax_warp_backwardIfN3c104HalfEfLi9ELb1ELb0ELi64EEEvPT0_PKT_S7_iiiPKb, .Lfunc_end294-_ZN12_GLOBAL__N_121softmax_warp_backwardIfN3c104HalfEfLi9ELb1ELb0ELi64EEEvPT0_PKT_S7_iiiPKb
                                        ; -- End function
	.section	.AMDGPU.csdata,"",@progbits
; Kernel info:
; codeLenInByte = 2148
; NumSgprs: 28
; NumVgprs: 23
; NumAgprs: 0
; TotalNumVgprs: 23
; ScratchSize: 0
; MemoryBound: 0
; FloatMode: 240
; IeeeMode: 1
; LDSByteSize: 0 bytes/workgroup (compile time only)
; SGPRBlocks: 3
; VGPRBlocks: 2
; NumSGPRsForWavesPerEU: 28
; NumVGPRsForWavesPerEU: 23
; AccumOffset: 24
; Occupancy: 8
; WaveLimiterHint : 0
; COMPUTE_PGM_RSRC2:SCRATCH_EN: 0
; COMPUTE_PGM_RSRC2:USER_SGPR: 6
; COMPUTE_PGM_RSRC2:TRAP_HANDLER: 0
; COMPUTE_PGM_RSRC2:TGID_X_EN: 1
; COMPUTE_PGM_RSRC2:TGID_Y_EN: 0
; COMPUTE_PGM_RSRC2:TGID_Z_EN: 0
; COMPUTE_PGM_RSRC2:TIDIG_COMP_CNT: 1
; COMPUTE_PGM_RSRC3_GFX90A:ACCUM_OFFSET: 5
; COMPUTE_PGM_RSRC3_GFX90A:TG_SPLIT: 0
	.section	.text._ZN12_GLOBAL__N_121softmax_warp_backwardIfN3c104HalfEfLi9ELb1ELb0ELi32EEEvPT0_PKT_S7_iiiPKb,"axG",@progbits,_ZN12_GLOBAL__N_121softmax_warp_backwardIfN3c104HalfEfLi9ELb1ELb0ELi32EEEvPT0_PKT_S7_iiiPKb,comdat
	.globl	_ZN12_GLOBAL__N_121softmax_warp_backwardIfN3c104HalfEfLi9ELb1ELb0ELi32EEEvPT0_PKT_S7_iiiPKb ; -- Begin function _ZN12_GLOBAL__N_121softmax_warp_backwardIfN3c104HalfEfLi9ELb1ELb0ELi32EEEvPT0_PKT_S7_iiiPKb
	.p2align	8
	.type	_ZN12_GLOBAL__N_121softmax_warp_backwardIfN3c104HalfEfLi9ELb1ELb0ELi32EEEvPT0_PKT_S7_iiiPKb,@function
_ZN12_GLOBAL__N_121softmax_warp_backwardIfN3c104HalfEfLi9ELb1ELb0ELi32EEEvPT0_PKT_S7_iiiPKb: ; @_ZN12_GLOBAL__N_121softmax_warp_backwardIfN3c104HalfEfLi9ELb1ELb0ELi32EEEvPT0_PKT_S7_iiiPKb
; %bb.0:
	s_load_dword s2, s[4:5], 0x3c
	s_load_dwordx4 s[40:43], s[4:5], 0x18
	s_load_dwordx4 s[36:39], s[4:5], 0x0
	s_load_dwordx2 s[0:1], s[4:5], 0x10
	v_bfe_u32 v1, v0, 10, 10
	s_waitcnt lgkmcnt(0)
	s_lshr_b32 s2, s2, 16
	s_mul_i32 s6, s6, s2
	v_add_u32_e32 v1, s6, v1
	v_and_b32_e32 v4, 31, v0
	v_sub_u32_e32 v38, s40, v1
	v_mad_u64_u32 v[0:1], s[2:3], v1, s41, v[4:5]
	v_ashrrev_i32_e32 v1, 31, v0
	v_lshlrev_b64 v[6:7], 2, v[0:1]
	v_mov_b32_e32 v3, s39
	v_add_co_u32_e32 v2, vcc, s38, v6
	v_addc_co_u32_e32 v3, vcc, v3, v7, vcc
	v_mov_b32_e32 v5, s1
	v_add_co_u32_e32 v6, vcc, s0, v6
	v_cmp_lt_i32_e64 s[30:31], 0, v38
	v_cmp_gt_i32_e64 s[28:29], s42, v4
	v_addc_co_u32_e32 v7, vcc, v5, v7, vcc
	s_and_b64 s[2:3], s[30:31], s[28:29]
	v_mov_b32_e32 v31, 0
	v_mov_b32_e32 v36, 0
	;; [unrolled: 1-line block ×3, first 2 shown]
	s_and_saveexec_b64 s[0:1], s[2:3]
	s_cbranch_execz .LBB295_2
; %bb.1:
	global_load_dword v36, v[2:3], off
	global_load_dword v37, v[6:7], off
.LBB295_2:
	s_or_b64 exec, exec, s[0:1]
	v_or_b32_e32 v5, 32, v4
	v_cmp_gt_i32_e64 s[26:27], s42, v5
	s_and_b64 s[2:3], s[30:31], s[26:27]
	v_mov_b32_e32 v35, 0
	s_and_saveexec_b64 s[0:1], s[2:3]
	s_cbranch_execz .LBB295_4
; %bb.3:
	global_load_dword v31, v[2:3], off offset:128
	global_load_dword v35, v[6:7], off offset:128
.LBB295_4:
	s_or_b64 exec, exec, s[0:1]
	v_or_b32_e32 v5, 64, v4
	v_cmp_gt_i32_e64 s[24:25], s42, v5
	s_and_b64 s[2:3], s[30:31], s[24:25]
	v_mov_b32_e32 v27, 0
	v_mov_b32_e32 v33, 0
	v_mov_b32_e32 v34, 0
	s_and_saveexec_b64 s[0:1], s[2:3]
	s_cbranch_execz .LBB295_6
; %bb.5:
	global_load_dword v33, v[2:3], off offset:256
	global_load_dword v34, v[6:7], off offset:256
.LBB295_6:
	s_or_b64 exec, exec, s[0:1]
	v_or_b32_e32 v5, 0x60, v4
	v_cmp_gt_i32_e64 s[22:23], s42, v5
	s_and_b64 s[2:3], s[30:31], s[22:23]
	v_mov_b32_e32 v32, 0
	s_and_saveexec_b64 s[0:1], s[2:3]
	s_cbranch_execz .LBB295_8
; %bb.7:
	global_load_dword v27, v[2:3], off offset:384
	global_load_dword v32, v[6:7], off offset:384
.LBB295_8:
	s_or_b64 exec, exec, s[0:1]
	v_or_b32_e32 v5, 0x80, v4
	v_cmp_gt_i32_e64 s[20:21], s42, v5
	s_and_b64 s[2:3], s[30:31], s[20:21]
	v_mov_b32_e32 v23, 0
	v_mov_b32_e32 v29, 0
	v_mov_b32_e32 v30, 0
	s_and_saveexec_b64 s[0:1], s[2:3]
	s_cbranch_execz .LBB295_10
; %bb.9:
	global_load_dword v29, v[2:3], off offset:512
	global_load_dword v30, v[6:7], off offset:512
.LBB295_10:
	;; [unrolled: 24-line block ×7, first 2 shown]
	s_or_b64 exec, exec, s[34:35]
	v_or_b32_e32 v4, 0x1e0, v4
	v_cmp_gt_i32_e32 vcc, s42, v4
	s_and_b64 s[34:35], s[30:31], vcc
	v_mov_b32_e32 v4, 0
	s_and_saveexec_b64 s[30:31], s[34:35]
	s_cbranch_execz .LBB295_32
; %bb.31:
	global_load_dword v5, v[2:3], off offset:1920
	global_load_dword v4, v[6:7], off offset:1920
.LBB295_32:
	s_or_b64 exec, exec, s[30:31]
	s_waitcnt vmcnt(1)
	v_add_f32_e32 v2, 0, v36
	v_add_f32_e32 v2, v2, v31
	;; [unrolled: 1-line block ×10, first 2 shown]
	v_mbcnt_lo_u32_b32 v3, -1, 0
	v_add_f32_e32 v2, v2, v17
	v_mbcnt_hi_u32_b32 v3, -1, v3
	v_add_f32_e32 v2, v2, v11
	v_and_b32_e32 v6, 0x60, v3
	v_add_f32_e32 v2, v2, v13
	v_add_u32_e32 v6, 32, v6
	v_xor_b32_e32 v7, 16, v3
	v_add_f32_e32 v2, v2, v8
	v_cmp_lt_i32_e64 s[30:31], v7, v6
	v_add_f32_e32 v2, v2, v9
	v_cndmask_b32_e64 v7, v3, v7, s[30:31]
	v_add_f32_e32 v2, v2, v5
	v_lshlrev_b32_e32 v7, 2, v7
	ds_bpermute_b32 v7, v7, v2
	s_waitcnt lgkmcnt(0)
	v_add_f32_e32 v2, v2, v7
	v_xor_b32_e32 v7, 8, v3
	v_cmp_lt_i32_e64 s[30:31], v7, v6
	v_cndmask_b32_e64 v7, v3, v7, s[30:31]
	v_lshlrev_b32_e32 v7, 2, v7
	ds_bpermute_b32 v7, v7, v2
	s_waitcnt lgkmcnt(0)
	v_add_f32_e32 v2, v2, v7
	v_xor_b32_e32 v7, 4, v3
	v_cmp_lt_i32_e64 s[30:31], v7, v6
	v_cndmask_b32_e64 v7, v3, v7, s[30:31]
	;; [unrolled: 7-line block ×4, first 2 shown]
	v_lshlrev_b32_e32 v3, 2, v3
	ds_bpermute_b32 v3, v3, v2
	v_cmp_lt_i32_e64 s[30:31], 0, v38
	s_and_saveexec_b64 s[34:35], s[30:31]
	s_cbranch_execz .LBB295_50
; %bb.33:
	v_lshlrev_b64 v[0:1], 1, v[0:1]
	v_mov_b32_e32 v6, s37
	v_add_co_u32_e64 v0, s[30:31], s36, v0
	v_addc_co_u32_e64 v1, s[30:31], v6, v1, s[30:31]
	s_waitcnt lgkmcnt(0)
	v_add_f32_e32 v2, v2, v3
	s_and_saveexec_b64 s[30:31], s[28:29]
	s_cbranch_execnz .LBB295_51
; %bb.34:
	s_or_b64 exec, exec, s[30:31]
	s_and_saveexec_b64 s[28:29], s[26:27]
	s_cbranch_execnz .LBB295_52
.LBB295_35:
	s_or_b64 exec, exec, s[28:29]
	s_and_saveexec_b64 s[26:27], s[24:25]
	s_cbranch_execnz .LBB295_53
.LBB295_36:
	s_or_b64 exec, exec, s[26:27]
	s_and_saveexec_b64 s[24:25], s[22:23]
	s_cbranch_execnz .LBB295_54
.LBB295_37:
	s_or_b64 exec, exec, s[24:25]
	s_and_saveexec_b64 s[22:23], s[20:21]
	s_cbranch_execnz .LBB295_55
.LBB295_38:
	s_or_b64 exec, exec, s[22:23]
	s_and_saveexec_b64 s[20:21], s[18:19]
	s_cbranch_execnz .LBB295_56
.LBB295_39:
	s_or_b64 exec, exec, s[20:21]
	s_and_saveexec_b64 s[18:19], s[16:17]
	s_cbranch_execnz .LBB295_57
.LBB295_40:
	s_or_b64 exec, exec, s[18:19]
	s_and_saveexec_b64 s[16:17], s[14:15]
	s_cbranch_execnz .LBB295_58
.LBB295_41:
	s_or_b64 exec, exec, s[16:17]
	s_and_saveexec_b64 s[14:15], s[12:13]
	s_cbranch_execnz .LBB295_59
.LBB295_42:
	s_or_b64 exec, exec, s[14:15]
	s_and_saveexec_b64 s[12:13], s[10:11]
	s_cbranch_execnz .LBB295_60
.LBB295_43:
	s_or_b64 exec, exec, s[12:13]
	s_and_saveexec_b64 s[10:11], s[8:9]
	s_cbranch_execnz .LBB295_61
.LBB295_44:
	s_or_b64 exec, exec, s[10:11]
	s_and_saveexec_b64 s[8:9], s[6:7]
	s_cbranch_execnz .LBB295_62
.LBB295_45:
	s_or_b64 exec, exec, s[8:9]
	s_and_saveexec_b64 s[6:7], s[4:5]
	s_cbranch_execnz .LBB295_63
.LBB295_46:
	s_or_b64 exec, exec, s[6:7]
	s_and_saveexec_b64 s[4:5], s[2:3]
	s_cbranch_execnz .LBB295_64
.LBB295_47:
	s_or_b64 exec, exec, s[4:5]
	s_and_saveexec_b64 s[2:3], s[0:1]
	s_cbranch_execnz .LBB295_65
.LBB295_48:
	s_or_b64 exec, exec, s[2:3]
	s_and_b64 exec, exec, vcc
	s_cbranch_execz .LBB295_50
.LBB295_49:
	s_waitcnt vmcnt(0)
	v_mul_f32_e32 v3, 0x3fb8aa3b, v4
	s_mov_b32 s0, 0x3fb8aa3b
	v_rndne_f32_e32 v6, v3
	v_sub_f32_e32 v7, v3, v6
	v_fma_f32 v3, v4, s0, -v3
	v_fmac_f32_e32 v3, 0x32a5705f, v4
	v_add_f32_e32 v3, v7, v3
	v_exp_f32_e32 v3, v3
	v_cvt_i32_f32_e32 v6, v6
	s_mov_b32 s0, 0xc2ce8ed0
	v_cmp_ngt_f32_e32 vcc, s0, v4
	s_mov_b32 s0, 0x42b17218
	v_ldexp_f32 v3, v3, v6
	v_cndmask_b32_e32 v3, 0, v3, vcc
	v_mov_b32_e32 v6, 0x7f800000
	v_cmp_nlt_f32_e32 vcc, s0, v4
	v_cndmask_b32_e32 v3, v6, v3, vcc
	v_fma_mixlo_f16 v2, -v2, v3, v5
	global_store_short v[0:1], v2, off offset:960
.LBB295_50:
	s_endpgm
.LBB295_51:
	s_waitcnt vmcnt(0)
	v_mul_f32_e32 v3, 0x3fb8aa3b, v37
	s_mov_b32 s28, 0x3fb8aa3b
	v_rndne_f32_e32 v6, v3
	v_sub_f32_e32 v7, v3, v6
	v_fma_f32 v3, v37, s28, -v3
	v_fmac_f32_e32 v3, 0x32a5705f, v37
	v_add_f32_e32 v3, v7, v3
	v_exp_f32_e32 v3, v3
	v_cvt_i32_f32_e32 v6, v6
	s_mov_b32 s28, 0xc2ce8ed0
	v_cmp_ngt_f32_e64 s[28:29], s28, v37
	v_ldexp_f32 v3, v3, v6
	v_cndmask_b32_e64 v3, 0, v3, s[28:29]
	s_mov_b32 s28, 0x42b17218
	v_mov_b32_e32 v6, 0x7f800000
	v_cmp_nlt_f32_e64 s[28:29], s28, v37
	v_cndmask_b32_e64 v3, v6, v3, s[28:29]
	v_fma_mixlo_f16 v3, -v2, v3, v36
	global_store_short v[0:1], v3, off
	s_or_b64 exec, exec, s[30:31]
	s_and_saveexec_b64 s[28:29], s[26:27]
	s_cbranch_execz .LBB295_35
.LBB295_52:
	s_waitcnt vmcnt(0)
	v_mul_f32_e32 v3, 0x3fb8aa3b, v35
	s_mov_b32 s26, 0x3fb8aa3b
	v_rndne_f32_e32 v6, v3
	v_sub_f32_e32 v7, v3, v6
	v_fma_f32 v3, v35, s26, -v3
	v_fmac_f32_e32 v3, 0x32a5705f, v35
	v_add_f32_e32 v3, v7, v3
	v_exp_f32_e32 v3, v3
	v_cvt_i32_f32_e32 v6, v6
	s_mov_b32 s26, 0xc2ce8ed0
	v_cmp_ngt_f32_e64 s[26:27], s26, v35
	v_ldexp_f32 v3, v3, v6
	v_cndmask_b32_e64 v3, 0, v3, s[26:27]
	s_mov_b32 s26, 0x42b17218
	v_mov_b32_e32 v6, 0x7f800000
	v_cmp_nlt_f32_e64 s[26:27], s26, v35
	v_cndmask_b32_e64 v3, v6, v3, s[26:27]
	v_fma_mixlo_f16 v3, -v2, v3, v31
	global_store_short v[0:1], v3, off offset:64
	s_or_b64 exec, exec, s[28:29]
	s_and_saveexec_b64 s[26:27], s[24:25]
	s_cbranch_execz .LBB295_36
.LBB295_53:
	s_waitcnt vmcnt(0)
	v_mul_f32_e32 v3, 0x3fb8aa3b, v34
	s_mov_b32 s24, 0x3fb8aa3b
	v_rndne_f32_e32 v6, v3
	v_sub_f32_e32 v7, v3, v6
	v_fma_f32 v3, v34, s24, -v3
	v_fmac_f32_e32 v3, 0x32a5705f, v34
	v_add_f32_e32 v3, v7, v3
	v_exp_f32_e32 v3, v3
	v_cvt_i32_f32_e32 v6, v6
	s_mov_b32 s24, 0xc2ce8ed0
	v_cmp_ngt_f32_e64 s[24:25], s24, v34
	v_ldexp_f32 v3, v3, v6
	v_cndmask_b32_e64 v3, 0, v3, s[24:25]
	s_mov_b32 s24, 0x42b17218
	v_mov_b32_e32 v6, 0x7f800000
	v_cmp_nlt_f32_e64 s[24:25], s24, v34
	v_cndmask_b32_e64 v3, v6, v3, s[24:25]
	v_fma_mixlo_f16 v3, -v2, v3, v33
	global_store_short v[0:1], v3, off offset:128
	s_or_b64 exec, exec, s[26:27]
	s_and_saveexec_b64 s[24:25], s[22:23]
	s_cbranch_execz .LBB295_37
.LBB295_54:
	s_waitcnt vmcnt(0)
	v_mul_f32_e32 v3, 0x3fb8aa3b, v32
	s_mov_b32 s22, 0x3fb8aa3b
	v_rndne_f32_e32 v6, v3
	v_sub_f32_e32 v7, v3, v6
	v_fma_f32 v3, v32, s22, -v3
	v_fmac_f32_e32 v3, 0x32a5705f, v32
	v_add_f32_e32 v3, v7, v3
	v_exp_f32_e32 v3, v3
	v_cvt_i32_f32_e32 v6, v6
	s_mov_b32 s22, 0xc2ce8ed0
	v_cmp_ngt_f32_e64 s[22:23], s22, v32
	v_ldexp_f32 v3, v3, v6
	v_cndmask_b32_e64 v3, 0, v3, s[22:23]
	s_mov_b32 s22, 0x42b17218
	v_mov_b32_e32 v6, 0x7f800000
	v_cmp_nlt_f32_e64 s[22:23], s22, v32
	v_cndmask_b32_e64 v3, v6, v3, s[22:23]
	v_fma_mixlo_f16 v3, -v2, v3, v27
	global_store_short v[0:1], v3, off offset:192
	s_or_b64 exec, exec, s[24:25]
	s_and_saveexec_b64 s[22:23], s[20:21]
	s_cbranch_execz .LBB295_38
.LBB295_55:
	s_waitcnt vmcnt(0)
	v_mul_f32_e32 v3, 0x3fb8aa3b, v30
	s_mov_b32 s20, 0x3fb8aa3b
	v_rndne_f32_e32 v6, v3
	v_sub_f32_e32 v7, v3, v6
	v_fma_f32 v3, v30, s20, -v3
	v_fmac_f32_e32 v3, 0x32a5705f, v30
	v_add_f32_e32 v3, v7, v3
	v_exp_f32_e32 v3, v3
	v_cvt_i32_f32_e32 v6, v6
	s_mov_b32 s20, 0xc2ce8ed0
	v_cmp_ngt_f32_e64 s[20:21], s20, v30
	v_ldexp_f32 v3, v3, v6
	v_cndmask_b32_e64 v3, 0, v3, s[20:21]
	s_mov_b32 s20, 0x42b17218
	v_mov_b32_e32 v6, 0x7f800000
	v_cmp_nlt_f32_e64 s[20:21], s20, v30
	v_cndmask_b32_e64 v3, v6, v3, s[20:21]
	v_fma_mixlo_f16 v3, -v2, v3, v29
	global_store_short v[0:1], v3, off offset:256
	s_or_b64 exec, exec, s[22:23]
	s_and_saveexec_b64 s[20:21], s[18:19]
	s_cbranch_execz .LBB295_39
.LBB295_56:
	s_waitcnt vmcnt(0)
	v_mul_f32_e32 v3, 0x3fb8aa3b, v28
	s_mov_b32 s18, 0x3fb8aa3b
	v_rndne_f32_e32 v6, v3
	v_sub_f32_e32 v7, v3, v6
	v_fma_f32 v3, v28, s18, -v3
	v_fmac_f32_e32 v3, 0x32a5705f, v28
	v_add_f32_e32 v3, v7, v3
	v_exp_f32_e32 v3, v3
	v_cvt_i32_f32_e32 v6, v6
	s_mov_b32 s18, 0xc2ce8ed0
	v_cmp_ngt_f32_e64 s[18:19], s18, v28
	v_ldexp_f32 v3, v3, v6
	v_cndmask_b32_e64 v3, 0, v3, s[18:19]
	s_mov_b32 s18, 0x42b17218
	v_mov_b32_e32 v6, 0x7f800000
	v_cmp_nlt_f32_e64 s[18:19], s18, v28
	v_cndmask_b32_e64 v3, v6, v3, s[18:19]
	v_fma_mixlo_f16 v3, -v2, v3, v23
	global_store_short v[0:1], v3, off offset:320
	s_or_b64 exec, exec, s[20:21]
	s_and_saveexec_b64 s[18:19], s[16:17]
	s_cbranch_execz .LBB295_40
.LBB295_57:
	s_waitcnt vmcnt(0)
	v_mul_f32_e32 v3, 0x3fb8aa3b, v26
	s_mov_b32 s16, 0x3fb8aa3b
	v_rndne_f32_e32 v6, v3
	v_sub_f32_e32 v7, v3, v6
	v_fma_f32 v3, v26, s16, -v3
	v_fmac_f32_e32 v3, 0x32a5705f, v26
	v_add_f32_e32 v3, v7, v3
	v_exp_f32_e32 v3, v3
	v_cvt_i32_f32_e32 v6, v6
	s_mov_b32 s16, 0xc2ce8ed0
	v_cmp_ngt_f32_e64 s[16:17], s16, v26
	v_ldexp_f32 v3, v3, v6
	v_cndmask_b32_e64 v3, 0, v3, s[16:17]
	s_mov_b32 s16, 0x42b17218
	v_mov_b32_e32 v6, 0x7f800000
	v_cmp_nlt_f32_e64 s[16:17], s16, v26
	v_cndmask_b32_e64 v3, v6, v3, s[16:17]
	v_fma_mixlo_f16 v3, -v2, v3, v25
	global_store_short v[0:1], v3, off offset:384
	s_or_b64 exec, exec, s[18:19]
	s_and_saveexec_b64 s[16:17], s[14:15]
	s_cbranch_execz .LBB295_41
.LBB295_58:
	s_waitcnt vmcnt(0)
	v_mul_f32_e32 v3, 0x3fb8aa3b, v24
	s_mov_b32 s14, 0x3fb8aa3b
	v_rndne_f32_e32 v6, v3
	v_sub_f32_e32 v7, v3, v6
	v_fma_f32 v3, v24, s14, -v3
	v_fmac_f32_e32 v3, 0x32a5705f, v24
	v_add_f32_e32 v3, v7, v3
	v_exp_f32_e32 v3, v3
	v_cvt_i32_f32_e32 v6, v6
	s_mov_b32 s14, 0xc2ce8ed0
	v_cmp_ngt_f32_e64 s[14:15], s14, v24
	v_ldexp_f32 v3, v3, v6
	v_cndmask_b32_e64 v3, 0, v3, s[14:15]
	s_mov_b32 s14, 0x42b17218
	v_mov_b32_e32 v6, 0x7f800000
	v_cmp_nlt_f32_e64 s[14:15], s14, v24
	v_cndmask_b32_e64 v3, v6, v3, s[14:15]
	v_fma_mixlo_f16 v3, -v2, v3, v19
	global_store_short v[0:1], v3, off offset:448
	s_or_b64 exec, exec, s[16:17]
	s_and_saveexec_b64 s[14:15], s[12:13]
	s_cbranch_execz .LBB295_42
.LBB295_59:
	s_waitcnt vmcnt(0)
	v_mul_f32_e32 v3, 0x3fb8aa3b, v22
	s_mov_b32 s12, 0x3fb8aa3b
	v_rndne_f32_e32 v6, v3
	v_sub_f32_e32 v7, v3, v6
	v_fma_f32 v3, v22, s12, -v3
	v_fmac_f32_e32 v3, 0x32a5705f, v22
	v_add_f32_e32 v3, v7, v3
	v_exp_f32_e32 v3, v3
	v_cvt_i32_f32_e32 v6, v6
	s_mov_b32 s12, 0xc2ce8ed0
	v_cmp_ngt_f32_e64 s[12:13], s12, v22
	v_ldexp_f32 v3, v3, v6
	v_cndmask_b32_e64 v3, 0, v3, s[12:13]
	s_mov_b32 s12, 0x42b17218
	v_mov_b32_e32 v6, 0x7f800000
	v_cmp_nlt_f32_e64 s[12:13], s12, v22
	v_cndmask_b32_e64 v3, v6, v3, s[12:13]
	v_fma_mixlo_f16 v3, -v2, v3, v21
	global_store_short v[0:1], v3, off offset:512
	s_or_b64 exec, exec, s[14:15]
	s_and_saveexec_b64 s[12:13], s[10:11]
	s_cbranch_execz .LBB295_43
.LBB295_60:
	s_waitcnt vmcnt(0)
	v_mul_f32_e32 v3, 0x3fb8aa3b, v20
	s_mov_b32 s10, 0x3fb8aa3b
	v_rndne_f32_e32 v6, v3
	v_sub_f32_e32 v7, v3, v6
	v_fma_f32 v3, v20, s10, -v3
	v_fmac_f32_e32 v3, 0x32a5705f, v20
	v_add_f32_e32 v3, v7, v3
	v_exp_f32_e32 v3, v3
	v_cvt_i32_f32_e32 v6, v6
	s_mov_b32 s10, 0xc2ce8ed0
	v_cmp_ngt_f32_e64 s[10:11], s10, v20
	v_ldexp_f32 v3, v3, v6
	v_cndmask_b32_e64 v3, 0, v3, s[10:11]
	s_mov_b32 s10, 0x42b17218
	v_mov_b32_e32 v6, 0x7f800000
	v_cmp_nlt_f32_e64 s[10:11], s10, v20
	v_cndmask_b32_e64 v3, v6, v3, s[10:11]
	v_fma_mixlo_f16 v3, -v2, v3, v15
	global_store_short v[0:1], v3, off offset:576
	s_or_b64 exec, exec, s[12:13]
	s_and_saveexec_b64 s[10:11], s[8:9]
	s_cbranch_execz .LBB295_44
.LBB295_61:
	s_waitcnt vmcnt(0)
	v_mul_f32_e32 v3, 0x3fb8aa3b, v18
	s_mov_b32 s8, 0x3fb8aa3b
	v_rndne_f32_e32 v6, v3
	v_sub_f32_e32 v7, v3, v6
	v_fma_f32 v3, v18, s8, -v3
	v_fmac_f32_e32 v3, 0x32a5705f, v18
	v_add_f32_e32 v3, v7, v3
	v_exp_f32_e32 v3, v3
	v_cvt_i32_f32_e32 v6, v6
	s_mov_b32 s8, 0xc2ce8ed0
	v_cmp_ngt_f32_e64 s[8:9], s8, v18
	v_ldexp_f32 v3, v3, v6
	v_cndmask_b32_e64 v3, 0, v3, s[8:9]
	s_mov_b32 s8, 0x42b17218
	v_mov_b32_e32 v6, 0x7f800000
	v_cmp_nlt_f32_e64 s[8:9], s8, v18
	v_cndmask_b32_e64 v3, v6, v3, s[8:9]
	v_fma_mixlo_f16 v3, -v2, v3, v17
	global_store_short v[0:1], v3, off offset:640
	s_or_b64 exec, exec, s[10:11]
	s_and_saveexec_b64 s[8:9], s[6:7]
	s_cbranch_execz .LBB295_45
.LBB295_62:
	s_waitcnt vmcnt(0)
	v_mul_f32_e32 v3, 0x3fb8aa3b, v16
	s_mov_b32 s6, 0x3fb8aa3b
	v_rndne_f32_e32 v6, v3
	v_sub_f32_e32 v7, v3, v6
	v_fma_f32 v3, v16, s6, -v3
	v_fmac_f32_e32 v3, 0x32a5705f, v16
	v_add_f32_e32 v3, v7, v3
	v_exp_f32_e32 v3, v3
	v_cvt_i32_f32_e32 v6, v6
	s_mov_b32 s6, 0xc2ce8ed0
	v_cmp_ngt_f32_e64 s[6:7], s6, v16
	v_ldexp_f32 v3, v3, v6
	v_cndmask_b32_e64 v3, 0, v3, s[6:7]
	s_mov_b32 s6, 0x42b17218
	v_mov_b32_e32 v6, 0x7f800000
	v_cmp_nlt_f32_e64 s[6:7], s6, v16
	v_cndmask_b32_e64 v3, v6, v3, s[6:7]
	v_fma_mixlo_f16 v3, -v2, v3, v11
	global_store_short v[0:1], v3, off offset:704
	s_or_b64 exec, exec, s[8:9]
	s_and_saveexec_b64 s[6:7], s[4:5]
	s_cbranch_execz .LBB295_46
.LBB295_63:
	s_waitcnt vmcnt(0)
	v_mul_f32_e32 v3, 0x3fb8aa3b, v14
	s_mov_b32 s4, 0x3fb8aa3b
	v_rndne_f32_e32 v6, v3
	v_sub_f32_e32 v7, v3, v6
	v_fma_f32 v3, v14, s4, -v3
	v_fmac_f32_e32 v3, 0x32a5705f, v14
	v_add_f32_e32 v3, v7, v3
	v_exp_f32_e32 v3, v3
	v_cvt_i32_f32_e32 v6, v6
	s_mov_b32 s4, 0xc2ce8ed0
	v_cmp_ngt_f32_e64 s[4:5], s4, v14
	v_ldexp_f32 v3, v3, v6
	v_cndmask_b32_e64 v3, 0, v3, s[4:5]
	s_mov_b32 s4, 0x42b17218
	v_mov_b32_e32 v6, 0x7f800000
	v_cmp_nlt_f32_e64 s[4:5], s4, v14
	v_cndmask_b32_e64 v3, v6, v3, s[4:5]
	v_fma_mixlo_f16 v3, -v2, v3, v13
	global_store_short v[0:1], v3, off offset:768
	s_or_b64 exec, exec, s[6:7]
	s_and_saveexec_b64 s[4:5], s[2:3]
	s_cbranch_execz .LBB295_47
.LBB295_64:
	s_waitcnt vmcnt(0)
	v_mul_f32_e32 v3, 0x3fb8aa3b, v12
	s_mov_b32 s2, 0x3fb8aa3b
	v_rndne_f32_e32 v6, v3
	v_sub_f32_e32 v7, v3, v6
	v_fma_f32 v3, v12, s2, -v3
	v_fmac_f32_e32 v3, 0x32a5705f, v12
	v_add_f32_e32 v3, v7, v3
	v_exp_f32_e32 v3, v3
	v_cvt_i32_f32_e32 v6, v6
	s_mov_b32 s2, 0xc2ce8ed0
	v_cmp_ngt_f32_e64 s[2:3], s2, v12
	v_ldexp_f32 v3, v3, v6
	v_cndmask_b32_e64 v3, 0, v3, s[2:3]
	s_mov_b32 s2, 0x42b17218
	v_mov_b32_e32 v6, 0x7f800000
	v_cmp_nlt_f32_e64 s[2:3], s2, v12
	v_cndmask_b32_e64 v3, v6, v3, s[2:3]
	v_fma_mixlo_f16 v3, -v2, v3, v8
	global_store_short v[0:1], v3, off offset:832
	s_or_b64 exec, exec, s[4:5]
	s_and_saveexec_b64 s[2:3], s[0:1]
	s_cbranch_execz .LBB295_48
.LBB295_65:
	s_waitcnt vmcnt(0)
	v_mul_f32_e32 v3, 0x3fb8aa3b, v10
	s_mov_b32 s0, 0x3fb8aa3b
	v_rndne_f32_e32 v6, v3
	v_sub_f32_e32 v7, v3, v6
	v_fma_f32 v3, v10, s0, -v3
	v_fmac_f32_e32 v3, 0x32a5705f, v10
	v_add_f32_e32 v3, v7, v3
	v_exp_f32_e32 v3, v3
	v_cvt_i32_f32_e32 v6, v6
	s_mov_b32 s0, 0xc2ce8ed0
	v_cmp_ngt_f32_e64 s[0:1], s0, v10
	v_ldexp_f32 v3, v3, v6
	v_cndmask_b32_e64 v3, 0, v3, s[0:1]
	s_mov_b32 s0, 0x42b17218
	v_mov_b32_e32 v6, 0x7f800000
	v_cmp_nlt_f32_e64 s[0:1], s0, v10
	v_cndmask_b32_e64 v3, v6, v3, s[0:1]
	v_fma_mixlo_f16 v3, -v2, v3, v9
	global_store_short v[0:1], v3, off offset:896
	s_or_b64 exec, exec, s[2:3]
	s_and_b64 exec, exec, vcc
	s_cbranch_execnz .LBB295_49
	s_branch .LBB295_50
	.section	.rodata,"a",@progbits
	.p2align	6, 0x0
	.amdhsa_kernel _ZN12_GLOBAL__N_121softmax_warp_backwardIfN3c104HalfEfLi9ELb1ELb0ELi32EEEvPT0_PKT_S7_iiiPKb
		.amdhsa_group_segment_fixed_size 0
		.amdhsa_private_segment_fixed_size 0
		.amdhsa_kernarg_size 304
		.amdhsa_user_sgpr_count 6
		.amdhsa_user_sgpr_private_segment_buffer 1
		.amdhsa_user_sgpr_dispatch_ptr 0
		.amdhsa_user_sgpr_queue_ptr 0
		.amdhsa_user_sgpr_kernarg_segment_ptr 1
		.amdhsa_user_sgpr_dispatch_id 0
		.amdhsa_user_sgpr_flat_scratch_init 0
		.amdhsa_user_sgpr_kernarg_preload_length 0
		.amdhsa_user_sgpr_kernarg_preload_offset 0
		.amdhsa_user_sgpr_private_segment_size 0
		.amdhsa_uses_dynamic_stack 0
		.amdhsa_system_sgpr_private_segment_wavefront_offset 0
		.amdhsa_system_sgpr_workgroup_id_x 1
		.amdhsa_system_sgpr_workgroup_id_y 0
		.amdhsa_system_sgpr_workgroup_id_z 0
		.amdhsa_system_sgpr_workgroup_info 0
		.amdhsa_system_vgpr_workitem_id 1
		.amdhsa_next_free_vgpr 39
		.amdhsa_next_free_sgpr 44
		.amdhsa_accum_offset 40
		.amdhsa_reserve_vcc 1
		.amdhsa_reserve_flat_scratch 0
		.amdhsa_float_round_mode_32 0
		.amdhsa_float_round_mode_16_64 0
		.amdhsa_float_denorm_mode_32 3
		.amdhsa_float_denorm_mode_16_64 3
		.amdhsa_dx10_clamp 1
		.amdhsa_ieee_mode 1
		.amdhsa_fp16_overflow 0
		.amdhsa_tg_split 0
		.amdhsa_exception_fp_ieee_invalid_op 0
		.amdhsa_exception_fp_denorm_src 0
		.amdhsa_exception_fp_ieee_div_zero 0
		.amdhsa_exception_fp_ieee_overflow 0
		.amdhsa_exception_fp_ieee_underflow 0
		.amdhsa_exception_fp_ieee_inexact 0
		.amdhsa_exception_int_div_zero 0
	.end_amdhsa_kernel
	.section	.text._ZN12_GLOBAL__N_121softmax_warp_backwardIfN3c104HalfEfLi9ELb1ELb0ELi32EEEvPT0_PKT_S7_iiiPKb,"axG",@progbits,_ZN12_GLOBAL__N_121softmax_warp_backwardIfN3c104HalfEfLi9ELb1ELb0ELi32EEEvPT0_PKT_S7_iiiPKb,comdat
.Lfunc_end295:
	.size	_ZN12_GLOBAL__N_121softmax_warp_backwardIfN3c104HalfEfLi9ELb1ELb0ELi32EEEvPT0_PKT_S7_iiiPKb, .Lfunc_end295-_ZN12_GLOBAL__N_121softmax_warp_backwardIfN3c104HalfEfLi9ELb1ELb0ELi32EEEvPT0_PKT_S7_iiiPKb
                                        ; -- End function
	.section	.AMDGPU.csdata,"",@progbits
; Kernel info:
; codeLenInByte = 3868
; NumSgprs: 48
; NumVgprs: 39
; NumAgprs: 0
; TotalNumVgprs: 39
; ScratchSize: 0
; MemoryBound: 0
; FloatMode: 240
; IeeeMode: 1
; LDSByteSize: 0 bytes/workgroup (compile time only)
; SGPRBlocks: 5
; VGPRBlocks: 4
; NumSGPRsForWavesPerEU: 48
; NumVGPRsForWavesPerEU: 39
; AccumOffset: 40
; Occupancy: 8
; WaveLimiterHint : 0
; COMPUTE_PGM_RSRC2:SCRATCH_EN: 0
; COMPUTE_PGM_RSRC2:USER_SGPR: 6
; COMPUTE_PGM_RSRC2:TRAP_HANDLER: 0
; COMPUTE_PGM_RSRC2:TGID_X_EN: 1
; COMPUTE_PGM_RSRC2:TGID_Y_EN: 0
; COMPUTE_PGM_RSRC2:TGID_Z_EN: 0
; COMPUTE_PGM_RSRC2:TIDIG_COMP_CNT: 1
; COMPUTE_PGM_RSRC3_GFX90A:ACCUM_OFFSET: 9
; COMPUTE_PGM_RSRC3_GFX90A:TG_SPLIT: 0
	.section	.text._ZN12_GLOBAL__N_121softmax_warp_backwardIfN3c104HalfEfLi10ELb1ELb0ELi64EEEvPT0_PKT_S7_iiiPKb,"axG",@progbits,_ZN12_GLOBAL__N_121softmax_warp_backwardIfN3c104HalfEfLi10ELb1ELb0ELi64EEEvPT0_PKT_S7_iiiPKb,comdat
	.globl	_ZN12_GLOBAL__N_121softmax_warp_backwardIfN3c104HalfEfLi10ELb1ELb0ELi64EEEvPT0_PKT_S7_iiiPKb ; -- Begin function _ZN12_GLOBAL__N_121softmax_warp_backwardIfN3c104HalfEfLi10ELb1ELb0ELi64EEEvPT0_PKT_S7_iiiPKb
	.p2align	8
	.type	_ZN12_GLOBAL__N_121softmax_warp_backwardIfN3c104HalfEfLi10ELb1ELb0ELi64EEEvPT0_PKT_S7_iiiPKb,@function
_ZN12_GLOBAL__N_121softmax_warp_backwardIfN3c104HalfEfLi10ELb1ELb0ELi64EEEvPT0_PKT_S7_iiiPKb: ; @_ZN12_GLOBAL__N_121softmax_warp_backwardIfN3c104HalfEfLi10ELb1ELb0ELi64EEEvPT0_PKT_S7_iiiPKb
; %bb.0:
	s_load_dword s2, s[4:5], 0x3c
	s_load_dwordx4 s[40:43], s[4:5], 0x18
	s_load_dwordx4 s[36:39], s[4:5], 0x0
	s_load_dwordx2 s[0:1], s[4:5], 0x10
	v_bfe_u32 v1, v0, 10, 10
	s_waitcnt lgkmcnt(0)
	s_lshr_b32 s2, s2, 16
	s_mul_i32 s6, s6, s2
	v_and_b32_e32 v8, 0x3ff, v0
	v_add_u32_e32 v1, s6, v1
	v_and_b32_e32 v6, 63, v8
	v_sub_u32_e32 v38, s40, v1
	v_mad_u64_u32 v[0:1], s[2:3], v1, s41, v[6:7]
	v_ashrrev_i32_e32 v1, 31, v0
	v_lshlrev_b64 v[4:5], 2, v[0:1]
	v_mov_b32_e32 v3, s39
	v_add_co_u32_e32 v2, vcc, s38, v4
	v_addc_co_u32_e32 v3, vcc, v3, v5, vcc
	v_mov_b32_e32 v7, s1
	v_add_co_u32_e32 v4, vcc, s0, v4
	v_cmp_lt_i32_e64 s[30:31], 0, v38
	v_cmp_gt_i32_e64 s[28:29], s42, v6
	v_addc_co_u32_e32 v5, vcc, v7, v5, vcc
	s_and_b64 s[2:3], s[30:31], s[28:29]
	v_mov_b32_e32 v31, 0
	v_mov_b32_e32 v36, 0
	;; [unrolled: 1-line block ×3, first 2 shown]
	s_and_saveexec_b64 s[0:1], s[2:3]
	s_cbranch_execz .LBB296_2
; %bb.1:
	global_load_dword v36, v[2:3], off
	global_load_dword v37, v[4:5], off
.LBB296_2:
	s_or_b64 exec, exec, s[0:1]
	v_or_b32_e32 v7, 64, v6
	v_cmp_gt_i32_e64 s[26:27], s42, v7
	s_and_b64 s[2:3], s[30:31], s[26:27]
	v_mov_b32_e32 v35, 0
	s_and_saveexec_b64 s[0:1], s[2:3]
	s_cbranch_execz .LBB296_4
; %bb.3:
	global_load_dword v31, v[2:3], off offset:256
	global_load_dword v35, v[4:5], off offset:256
.LBB296_4:
	s_or_b64 exec, exec, s[0:1]
	v_or_b32_e32 v7, 0x80, v6
	v_cmp_gt_i32_e64 s[24:25], s42, v7
	s_and_b64 s[2:3], s[30:31], s[24:25]
	v_mov_b32_e32 v27, 0
	v_mov_b32_e32 v33, 0
	v_mov_b32_e32 v34, 0
	s_and_saveexec_b64 s[0:1], s[2:3]
	s_cbranch_execz .LBB296_6
; %bb.5:
	global_load_dword v33, v[2:3], off offset:512
	global_load_dword v34, v[4:5], off offset:512
.LBB296_6:
	s_or_b64 exec, exec, s[0:1]
	v_or_b32_e32 v7, 0xc0, v6
	v_cmp_gt_i32_e64 s[22:23], s42, v7
	s_and_b64 s[2:3], s[30:31], s[22:23]
	v_mov_b32_e32 v32, 0
	s_and_saveexec_b64 s[0:1], s[2:3]
	s_cbranch_execz .LBB296_8
; %bb.7:
	global_load_dword v27, v[2:3], off offset:768
	global_load_dword v32, v[4:5], off offset:768
.LBB296_8:
	s_or_b64 exec, exec, s[0:1]
	v_or_b32_e32 v7, 0x100, v6
	v_cmp_gt_i32_e64 s[20:21], s42, v7
	s_and_b64 s[2:3], s[30:31], s[20:21]
	v_mov_b32_e32 v23, 0
	v_mov_b32_e32 v29, 0
	v_mov_b32_e32 v30, 0
	s_and_saveexec_b64 s[0:1], s[2:3]
	s_cbranch_execz .LBB296_10
; %bb.9:
	global_load_dword v29, v[2:3], off offset:1024
	global_load_dword v30, v[4:5], off offset:1024
.LBB296_10:
	;; [unrolled: 24-line block ×7, first 2 shown]
	s_or_b64 exec, exec, s[34:35]
	v_or_b32_e32 v8, 0x3c0, v8
	v_cmp_gt_i32_e32 vcc, s42, v8
	s_and_b64 s[34:35], s[30:31], vcc
	v_mov_b32_e32 v8, 0
	s_and_saveexec_b64 s[30:31], s[34:35]
	s_cbranch_execz .LBB296_32
; %bb.31:
	global_load_dword v6, v[2:3], off offset:3840
	global_load_dword v8, v[4:5], off offset:3840
.LBB296_32:
	s_or_b64 exec, exec, s[30:31]
	s_waitcnt vmcnt(1)
	v_add_f32_e32 v2, 0, v36
	v_add_f32_e32 v2, v2, v31
	;; [unrolled: 1-line block ×10, first 2 shown]
	v_mbcnt_lo_u32_b32 v3, -1, 0
	v_add_f32_e32 v2, v2, v17
	v_mbcnt_hi_u32_b32 v3, -1, v3
	v_add_f32_e32 v2, v2, v11
	v_and_b32_e32 v4, 64, v3
	v_add_f32_e32 v2, v2, v13
	v_add_u32_e32 v4, 64, v4
	v_xor_b32_e32 v5, 32, v3
	v_add_f32_e32 v2, v2, v7
	v_cmp_lt_i32_e64 s[30:31], v5, v4
	v_add_f32_e32 v2, v2, v9
	v_cndmask_b32_e64 v5, v3, v5, s[30:31]
	v_add_f32_e32 v2, v2, v6
	v_lshlrev_b32_e32 v5, 2, v5
	ds_bpermute_b32 v5, v5, v2
	s_waitcnt lgkmcnt(0)
	v_add_f32_e32 v2, v2, v5
	v_xor_b32_e32 v5, 16, v3
	v_cmp_lt_i32_e64 s[30:31], v5, v4
	v_cndmask_b32_e64 v5, v3, v5, s[30:31]
	v_lshlrev_b32_e32 v5, 2, v5
	ds_bpermute_b32 v5, v5, v2
	s_waitcnt lgkmcnt(0)
	v_add_f32_e32 v2, v2, v5
	v_xor_b32_e32 v5, 8, v3
	v_cmp_lt_i32_e64 s[30:31], v5, v4
	v_cndmask_b32_e64 v5, v3, v5, s[30:31]
	;; [unrolled: 7-line block ×5, first 2 shown]
	v_lshlrev_b32_e32 v3, 2, v3
	ds_bpermute_b32 v3, v3, v2
	v_cmp_lt_i32_e64 s[30:31], 0, v38
	s_and_saveexec_b64 s[34:35], s[30:31]
	s_cbranch_execz .LBB296_50
; %bb.33:
	v_lshlrev_b64 v[0:1], 1, v[0:1]
	v_mov_b32_e32 v4, s37
	v_add_co_u32_e64 v0, s[30:31], s36, v0
	v_addc_co_u32_e64 v1, s[30:31], v4, v1, s[30:31]
	s_waitcnt lgkmcnt(0)
	v_add_f32_e32 v2, v2, v3
	s_and_saveexec_b64 s[30:31], s[28:29]
	s_cbranch_execnz .LBB296_51
; %bb.34:
	s_or_b64 exec, exec, s[30:31]
	s_and_saveexec_b64 s[28:29], s[26:27]
	s_cbranch_execnz .LBB296_52
.LBB296_35:
	s_or_b64 exec, exec, s[28:29]
	s_and_saveexec_b64 s[26:27], s[24:25]
	s_cbranch_execnz .LBB296_53
.LBB296_36:
	s_or_b64 exec, exec, s[26:27]
	s_and_saveexec_b64 s[24:25], s[22:23]
	s_cbranch_execnz .LBB296_54
.LBB296_37:
	s_or_b64 exec, exec, s[24:25]
	s_and_saveexec_b64 s[22:23], s[20:21]
	s_cbranch_execnz .LBB296_55
.LBB296_38:
	s_or_b64 exec, exec, s[22:23]
	s_and_saveexec_b64 s[20:21], s[18:19]
	s_cbranch_execnz .LBB296_56
.LBB296_39:
	s_or_b64 exec, exec, s[20:21]
	s_and_saveexec_b64 s[18:19], s[16:17]
	s_cbranch_execnz .LBB296_57
.LBB296_40:
	s_or_b64 exec, exec, s[18:19]
	s_and_saveexec_b64 s[16:17], s[14:15]
	s_cbranch_execnz .LBB296_58
.LBB296_41:
	s_or_b64 exec, exec, s[16:17]
	s_and_saveexec_b64 s[14:15], s[12:13]
	s_cbranch_execnz .LBB296_59
.LBB296_42:
	s_or_b64 exec, exec, s[14:15]
	s_and_saveexec_b64 s[12:13], s[10:11]
	s_cbranch_execnz .LBB296_60
.LBB296_43:
	s_or_b64 exec, exec, s[12:13]
	s_and_saveexec_b64 s[10:11], s[8:9]
	s_cbranch_execnz .LBB296_61
.LBB296_44:
	s_or_b64 exec, exec, s[10:11]
	s_and_saveexec_b64 s[8:9], s[6:7]
	s_cbranch_execnz .LBB296_62
.LBB296_45:
	s_or_b64 exec, exec, s[8:9]
	s_and_saveexec_b64 s[6:7], s[4:5]
	s_cbranch_execnz .LBB296_63
.LBB296_46:
	s_or_b64 exec, exec, s[6:7]
	s_and_saveexec_b64 s[4:5], s[2:3]
	s_cbranch_execnz .LBB296_64
.LBB296_47:
	s_or_b64 exec, exec, s[4:5]
	s_and_saveexec_b64 s[2:3], s[0:1]
	s_cbranch_execnz .LBB296_65
.LBB296_48:
	s_or_b64 exec, exec, s[2:3]
	s_and_b64 exec, exec, vcc
	s_cbranch_execz .LBB296_50
.LBB296_49:
	s_waitcnt vmcnt(0)
	v_mul_f32_e32 v3, 0x3fb8aa3b, v8
	s_mov_b32 s0, 0x3fb8aa3b
	v_rndne_f32_e32 v4, v3
	v_sub_f32_e32 v5, v3, v4
	v_fma_f32 v3, v8, s0, -v3
	v_fmac_f32_e32 v3, 0x32a5705f, v8
	v_add_f32_e32 v3, v5, v3
	v_exp_f32_e32 v3, v3
	v_cvt_i32_f32_e32 v4, v4
	s_mov_b32 s0, 0xc2ce8ed0
	v_cmp_ngt_f32_e32 vcc, s0, v8
	s_mov_b32 s0, 0x42b17218
	v_ldexp_f32 v3, v3, v4
	v_cndmask_b32_e32 v3, 0, v3, vcc
	v_mov_b32_e32 v4, 0x7f800000
	v_cmp_nlt_f32_e32 vcc, s0, v8
	v_cndmask_b32_e32 v3, v4, v3, vcc
	v_fma_mixlo_f16 v2, -v2, v3, v6
	global_store_short v[0:1], v2, off offset:1920
.LBB296_50:
	s_endpgm
.LBB296_51:
	s_waitcnt vmcnt(0)
	v_mul_f32_e32 v3, 0x3fb8aa3b, v37
	s_mov_b32 s28, 0x3fb8aa3b
	v_rndne_f32_e32 v4, v3
	v_sub_f32_e32 v5, v3, v4
	v_fma_f32 v3, v37, s28, -v3
	v_fmac_f32_e32 v3, 0x32a5705f, v37
	v_add_f32_e32 v3, v5, v3
	v_exp_f32_e32 v3, v3
	v_cvt_i32_f32_e32 v4, v4
	s_mov_b32 s28, 0xc2ce8ed0
	v_cmp_ngt_f32_e64 s[28:29], s28, v37
	v_ldexp_f32 v3, v3, v4
	v_cndmask_b32_e64 v3, 0, v3, s[28:29]
	s_mov_b32 s28, 0x42b17218
	v_mov_b32_e32 v4, 0x7f800000
	v_cmp_nlt_f32_e64 s[28:29], s28, v37
	v_cndmask_b32_e64 v3, v4, v3, s[28:29]
	v_fma_mixlo_f16 v3, -v2, v3, v36
	global_store_short v[0:1], v3, off
	s_or_b64 exec, exec, s[30:31]
	s_and_saveexec_b64 s[28:29], s[26:27]
	s_cbranch_execz .LBB296_35
.LBB296_52:
	s_waitcnt vmcnt(0)
	v_mul_f32_e32 v3, 0x3fb8aa3b, v35
	s_mov_b32 s26, 0x3fb8aa3b
	v_rndne_f32_e32 v4, v3
	v_sub_f32_e32 v5, v3, v4
	v_fma_f32 v3, v35, s26, -v3
	v_fmac_f32_e32 v3, 0x32a5705f, v35
	v_add_f32_e32 v3, v5, v3
	v_exp_f32_e32 v3, v3
	v_cvt_i32_f32_e32 v4, v4
	s_mov_b32 s26, 0xc2ce8ed0
	v_cmp_ngt_f32_e64 s[26:27], s26, v35
	v_ldexp_f32 v3, v3, v4
	v_cndmask_b32_e64 v3, 0, v3, s[26:27]
	s_mov_b32 s26, 0x42b17218
	v_mov_b32_e32 v4, 0x7f800000
	v_cmp_nlt_f32_e64 s[26:27], s26, v35
	v_cndmask_b32_e64 v3, v4, v3, s[26:27]
	v_fma_mixlo_f16 v3, -v2, v3, v31
	global_store_short v[0:1], v3, off offset:128
	s_or_b64 exec, exec, s[28:29]
	s_and_saveexec_b64 s[26:27], s[24:25]
	s_cbranch_execz .LBB296_36
.LBB296_53:
	s_waitcnt vmcnt(0)
	v_mul_f32_e32 v3, 0x3fb8aa3b, v34
	s_mov_b32 s24, 0x3fb8aa3b
	v_rndne_f32_e32 v4, v3
	v_sub_f32_e32 v5, v3, v4
	v_fma_f32 v3, v34, s24, -v3
	v_fmac_f32_e32 v3, 0x32a5705f, v34
	v_add_f32_e32 v3, v5, v3
	v_exp_f32_e32 v3, v3
	v_cvt_i32_f32_e32 v4, v4
	s_mov_b32 s24, 0xc2ce8ed0
	v_cmp_ngt_f32_e64 s[24:25], s24, v34
	v_ldexp_f32 v3, v3, v4
	v_cndmask_b32_e64 v3, 0, v3, s[24:25]
	s_mov_b32 s24, 0x42b17218
	v_mov_b32_e32 v4, 0x7f800000
	v_cmp_nlt_f32_e64 s[24:25], s24, v34
	v_cndmask_b32_e64 v3, v4, v3, s[24:25]
	v_fma_mixlo_f16 v3, -v2, v3, v33
	global_store_short v[0:1], v3, off offset:256
	s_or_b64 exec, exec, s[26:27]
	s_and_saveexec_b64 s[24:25], s[22:23]
	s_cbranch_execz .LBB296_37
.LBB296_54:
	s_waitcnt vmcnt(0)
	v_mul_f32_e32 v3, 0x3fb8aa3b, v32
	s_mov_b32 s22, 0x3fb8aa3b
	v_rndne_f32_e32 v4, v3
	v_sub_f32_e32 v5, v3, v4
	v_fma_f32 v3, v32, s22, -v3
	v_fmac_f32_e32 v3, 0x32a5705f, v32
	v_add_f32_e32 v3, v5, v3
	v_exp_f32_e32 v3, v3
	v_cvt_i32_f32_e32 v4, v4
	s_mov_b32 s22, 0xc2ce8ed0
	v_cmp_ngt_f32_e64 s[22:23], s22, v32
	v_ldexp_f32 v3, v3, v4
	v_cndmask_b32_e64 v3, 0, v3, s[22:23]
	s_mov_b32 s22, 0x42b17218
	v_mov_b32_e32 v4, 0x7f800000
	v_cmp_nlt_f32_e64 s[22:23], s22, v32
	v_cndmask_b32_e64 v3, v4, v3, s[22:23]
	v_fma_mixlo_f16 v3, -v2, v3, v27
	global_store_short v[0:1], v3, off offset:384
	s_or_b64 exec, exec, s[24:25]
	s_and_saveexec_b64 s[22:23], s[20:21]
	s_cbranch_execz .LBB296_38
.LBB296_55:
	s_waitcnt vmcnt(0)
	v_mul_f32_e32 v3, 0x3fb8aa3b, v30
	s_mov_b32 s20, 0x3fb8aa3b
	v_rndne_f32_e32 v4, v3
	v_sub_f32_e32 v5, v3, v4
	v_fma_f32 v3, v30, s20, -v3
	v_fmac_f32_e32 v3, 0x32a5705f, v30
	v_add_f32_e32 v3, v5, v3
	v_exp_f32_e32 v3, v3
	v_cvt_i32_f32_e32 v4, v4
	s_mov_b32 s20, 0xc2ce8ed0
	v_cmp_ngt_f32_e64 s[20:21], s20, v30
	v_ldexp_f32 v3, v3, v4
	v_cndmask_b32_e64 v3, 0, v3, s[20:21]
	s_mov_b32 s20, 0x42b17218
	v_mov_b32_e32 v4, 0x7f800000
	v_cmp_nlt_f32_e64 s[20:21], s20, v30
	v_cndmask_b32_e64 v3, v4, v3, s[20:21]
	v_fma_mixlo_f16 v3, -v2, v3, v29
	global_store_short v[0:1], v3, off offset:512
	s_or_b64 exec, exec, s[22:23]
	s_and_saveexec_b64 s[20:21], s[18:19]
	s_cbranch_execz .LBB296_39
.LBB296_56:
	s_waitcnt vmcnt(0)
	v_mul_f32_e32 v3, 0x3fb8aa3b, v28
	s_mov_b32 s18, 0x3fb8aa3b
	v_rndne_f32_e32 v4, v3
	v_sub_f32_e32 v5, v3, v4
	v_fma_f32 v3, v28, s18, -v3
	v_fmac_f32_e32 v3, 0x32a5705f, v28
	v_add_f32_e32 v3, v5, v3
	v_exp_f32_e32 v3, v3
	v_cvt_i32_f32_e32 v4, v4
	s_mov_b32 s18, 0xc2ce8ed0
	v_cmp_ngt_f32_e64 s[18:19], s18, v28
	v_ldexp_f32 v3, v3, v4
	v_cndmask_b32_e64 v3, 0, v3, s[18:19]
	s_mov_b32 s18, 0x42b17218
	v_mov_b32_e32 v4, 0x7f800000
	v_cmp_nlt_f32_e64 s[18:19], s18, v28
	v_cndmask_b32_e64 v3, v4, v3, s[18:19]
	v_fma_mixlo_f16 v3, -v2, v3, v23
	global_store_short v[0:1], v3, off offset:640
	s_or_b64 exec, exec, s[20:21]
	s_and_saveexec_b64 s[18:19], s[16:17]
	s_cbranch_execz .LBB296_40
.LBB296_57:
	s_waitcnt vmcnt(0)
	v_mul_f32_e32 v3, 0x3fb8aa3b, v26
	s_mov_b32 s16, 0x3fb8aa3b
	v_rndne_f32_e32 v4, v3
	v_sub_f32_e32 v5, v3, v4
	v_fma_f32 v3, v26, s16, -v3
	v_fmac_f32_e32 v3, 0x32a5705f, v26
	v_add_f32_e32 v3, v5, v3
	v_exp_f32_e32 v3, v3
	v_cvt_i32_f32_e32 v4, v4
	s_mov_b32 s16, 0xc2ce8ed0
	v_cmp_ngt_f32_e64 s[16:17], s16, v26
	v_ldexp_f32 v3, v3, v4
	v_cndmask_b32_e64 v3, 0, v3, s[16:17]
	s_mov_b32 s16, 0x42b17218
	v_mov_b32_e32 v4, 0x7f800000
	v_cmp_nlt_f32_e64 s[16:17], s16, v26
	v_cndmask_b32_e64 v3, v4, v3, s[16:17]
	v_fma_mixlo_f16 v3, -v2, v3, v25
	global_store_short v[0:1], v3, off offset:768
	s_or_b64 exec, exec, s[18:19]
	s_and_saveexec_b64 s[16:17], s[14:15]
	s_cbranch_execz .LBB296_41
.LBB296_58:
	s_waitcnt vmcnt(0)
	v_mul_f32_e32 v3, 0x3fb8aa3b, v24
	s_mov_b32 s14, 0x3fb8aa3b
	v_rndne_f32_e32 v4, v3
	v_sub_f32_e32 v5, v3, v4
	v_fma_f32 v3, v24, s14, -v3
	v_fmac_f32_e32 v3, 0x32a5705f, v24
	v_add_f32_e32 v3, v5, v3
	v_exp_f32_e32 v3, v3
	v_cvt_i32_f32_e32 v4, v4
	s_mov_b32 s14, 0xc2ce8ed0
	v_cmp_ngt_f32_e64 s[14:15], s14, v24
	v_ldexp_f32 v3, v3, v4
	v_cndmask_b32_e64 v3, 0, v3, s[14:15]
	s_mov_b32 s14, 0x42b17218
	v_mov_b32_e32 v4, 0x7f800000
	v_cmp_nlt_f32_e64 s[14:15], s14, v24
	v_cndmask_b32_e64 v3, v4, v3, s[14:15]
	v_fma_mixlo_f16 v3, -v2, v3, v19
	global_store_short v[0:1], v3, off offset:896
	s_or_b64 exec, exec, s[16:17]
	s_and_saveexec_b64 s[14:15], s[12:13]
	s_cbranch_execz .LBB296_42
.LBB296_59:
	s_waitcnt vmcnt(0)
	v_mul_f32_e32 v3, 0x3fb8aa3b, v22
	s_mov_b32 s12, 0x3fb8aa3b
	v_rndne_f32_e32 v4, v3
	v_sub_f32_e32 v5, v3, v4
	v_fma_f32 v3, v22, s12, -v3
	v_fmac_f32_e32 v3, 0x32a5705f, v22
	v_add_f32_e32 v3, v5, v3
	v_exp_f32_e32 v3, v3
	v_cvt_i32_f32_e32 v4, v4
	s_mov_b32 s12, 0xc2ce8ed0
	v_cmp_ngt_f32_e64 s[12:13], s12, v22
	v_ldexp_f32 v3, v3, v4
	v_cndmask_b32_e64 v3, 0, v3, s[12:13]
	s_mov_b32 s12, 0x42b17218
	v_mov_b32_e32 v4, 0x7f800000
	v_cmp_nlt_f32_e64 s[12:13], s12, v22
	v_cndmask_b32_e64 v3, v4, v3, s[12:13]
	v_fma_mixlo_f16 v3, -v2, v3, v21
	global_store_short v[0:1], v3, off offset:1024
	s_or_b64 exec, exec, s[14:15]
	s_and_saveexec_b64 s[12:13], s[10:11]
	s_cbranch_execz .LBB296_43
.LBB296_60:
	s_waitcnt vmcnt(0)
	v_mul_f32_e32 v3, 0x3fb8aa3b, v20
	s_mov_b32 s10, 0x3fb8aa3b
	v_rndne_f32_e32 v4, v3
	v_sub_f32_e32 v5, v3, v4
	v_fma_f32 v3, v20, s10, -v3
	v_fmac_f32_e32 v3, 0x32a5705f, v20
	v_add_f32_e32 v3, v5, v3
	v_exp_f32_e32 v3, v3
	v_cvt_i32_f32_e32 v4, v4
	s_mov_b32 s10, 0xc2ce8ed0
	v_cmp_ngt_f32_e64 s[10:11], s10, v20
	v_ldexp_f32 v3, v3, v4
	v_cndmask_b32_e64 v3, 0, v3, s[10:11]
	s_mov_b32 s10, 0x42b17218
	v_mov_b32_e32 v4, 0x7f800000
	v_cmp_nlt_f32_e64 s[10:11], s10, v20
	v_cndmask_b32_e64 v3, v4, v3, s[10:11]
	v_fma_mixlo_f16 v3, -v2, v3, v15
	global_store_short v[0:1], v3, off offset:1152
	s_or_b64 exec, exec, s[12:13]
	s_and_saveexec_b64 s[10:11], s[8:9]
	s_cbranch_execz .LBB296_44
.LBB296_61:
	s_waitcnt vmcnt(0)
	v_mul_f32_e32 v3, 0x3fb8aa3b, v18
	s_mov_b32 s8, 0x3fb8aa3b
	v_rndne_f32_e32 v4, v3
	v_sub_f32_e32 v5, v3, v4
	v_fma_f32 v3, v18, s8, -v3
	v_fmac_f32_e32 v3, 0x32a5705f, v18
	v_add_f32_e32 v3, v5, v3
	v_exp_f32_e32 v3, v3
	v_cvt_i32_f32_e32 v4, v4
	s_mov_b32 s8, 0xc2ce8ed0
	v_cmp_ngt_f32_e64 s[8:9], s8, v18
	v_ldexp_f32 v3, v3, v4
	v_cndmask_b32_e64 v3, 0, v3, s[8:9]
	s_mov_b32 s8, 0x42b17218
	v_mov_b32_e32 v4, 0x7f800000
	v_cmp_nlt_f32_e64 s[8:9], s8, v18
	v_cndmask_b32_e64 v3, v4, v3, s[8:9]
	v_fma_mixlo_f16 v3, -v2, v3, v17
	global_store_short v[0:1], v3, off offset:1280
	s_or_b64 exec, exec, s[10:11]
	s_and_saveexec_b64 s[8:9], s[6:7]
	s_cbranch_execz .LBB296_45
.LBB296_62:
	s_waitcnt vmcnt(0)
	v_mul_f32_e32 v3, 0x3fb8aa3b, v16
	s_mov_b32 s6, 0x3fb8aa3b
	v_rndne_f32_e32 v4, v3
	v_sub_f32_e32 v5, v3, v4
	v_fma_f32 v3, v16, s6, -v3
	v_fmac_f32_e32 v3, 0x32a5705f, v16
	v_add_f32_e32 v3, v5, v3
	v_exp_f32_e32 v3, v3
	v_cvt_i32_f32_e32 v4, v4
	s_mov_b32 s6, 0xc2ce8ed0
	v_cmp_ngt_f32_e64 s[6:7], s6, v16
	v_ldexp_f32 v3, v3, v4
	v_cndmask_b32_e64 v3, 0, v3, s[6:7]
	s_mov_b32 s6, 0x42b17218
	v_mov_b32_e32 v4, 0x7f800000
	v_cmp_nlt_f32_e64 s[6:7], s6, v16
	v_cndmask_b32_e64 v3, v4, v3, s[6:7]
	v_fma_mixlo_f16 v3, -v2, v3, v11
	global_store_short v[0:1], v3, off offset:1408
	s_or_b64 exec, exec, s[8:9]
	s_and_saveexec_b64 s[6:7], s[4:5]
	s_cbranch_execz .LBB296_46
.LBB296_63:
	s_waitcnt vmcnt(0)
	v_mul_f32_e32 v3, 0x3fb8aa3b, v14
	s_mov_b32 s4, 0x3fb8aa3b
	v_rndne_f32_e32 v4, v3
	v_sub_f32_e32 v5, v3, v4
	v_fma_f32 v3, v14, s4, -v3
	v_fmac_f32_e32 v3, 0x32a5705f, v14
	v_add_f32_e32 v3, v5, v3
	v_exp_f32_e32 v3, v3
	v_cvt_i32_f32_e32 v4, v4
	s_mov_b32 s4, 0xc2ce8ed0
	v_cmp_ngt_f32_e64 s[4:5], s4, v14
	v_ldexp_f32 v3, v3, v4
	v_cndmask_b32_e64 v3, 0, v3, s[4:5]
	s_mov_b32 s4, 0x42b17218
	v_mov_b32_e32 v4, 0x7f800000
	v_cmp_nlt_f32_e64 s[4:5], s4, v14
	v_cndmask_b32_e64 v3, v4, v3, s[4:5]
	v_fma_mixlo_f16 v3, -v2, v3, v13
	global_store_short v[0:1], v3, off offset:1536
	s_or_b64 exec, exec, s[6:7]
	s_and_saveexec_b64 s[4:5], s[2:3]
	s_cbranch_execz .LBB296_47
.LBB296_64:
	s_waitcnt vmcnt(0)
	v_mul_f32_e32 v3, 0x3fb8aa3b, v12
	s_mov_b32 s2, 0x3fb8aa3b
	v_rndne_f32_e32 v4, v3
	v_sub_f32_e32 v5, v3, v4
	v_fma_f32 v3, v12, s2, -v3
	v_fmac_f32_e32 v3, 0x32a5705f, v12
	v_add_f32_e32 v3, v5, v3
	v_exp_f32_e32 v3, v3
	v_cvt_i32_f32_e32 v4, v4
	s_mov_b32 s2, 0xc2ce8ed0
	v_cmp_ngt_f32_e64 s[2:3], s2, v12
	v_ldexp_f32 v3, v3, v4
	v_cndmask_b32_e64 v3, 0, v3, s[2:3]
	s_mov_b32 s2, 0x42b17218
	v_mov_b32_e32 v4, 0x7f800000
	v_cmp_nlt_f32_e64 s[2:3], s2, v12
	v_cndmask_b32_e64 v3, v4, v3, s[2:3]
	v_fma_mixlo_f16 v3, -v2, v3, v7
	global_store_short v[0:1], v3, off offset:1664
	s_or_b64 exec, exec, s[4:5]
	s_and_saveexec_b64 s[2:3], s[0:1]
	s_cbranch_execz .LBB296_48
.LBB296_65:
	s_waitcnt vmcnt(0)
	v_mul_f32_e32 v3, 0x3fb8aa3b, v10
	s_mov_b32 s0, 0x3fb8aa3b
	v_rndne_f32_e32 v4, v3
	v_sub_f32_e32 v5, v3, v4
	v_fma_f32 v3, v10, s0, -v3
	v_fmac_f32_e32 v3, 0x32a5705f, v10
	v_add_f32_e32 v3, v5, v3
	v_exp_f32_e32 v3, v3
	v_cvt_i32_f32_e32 v4, v4
	s_mov_b32 s0, 0xc2ce8ed0
	v_cmp_ngt_f32_e64 s[0:1], s0, v10
	v_ldexp_f32 v3, v3, v4
	v_cndmask_b32_e64 v3, 0, v3, s[0:1]
	s_mov_b32 s0, 0x42b17218
	v_mov_b32_e32 v4, 0x7f800000
	v_cmp_nlt_f32_e64 s[0:1], s0, v10
	v_cndmask_b32_e64 v3, v4, v3, s[0:1]
	v_fma_mixlo_f16 v3, -v2, v3, v9
	global_store_short v[0:1], v3, off offset:1792
	s_or_b64 exec, exec, s[2:3]
	s_and_b64 exec, exec, vcc
	s_cbranch_execnz .LBB296_49
	s_branch .LBB296_50
	.section	.rodata,"a",@progbits
	.p2align	6, 0x0
	.amdhsa_kernel _ZN12_GLOBAL__N_121softmax_warp_backwardIfN3c104HalfEfLi10ELb1ELb0ELi64EEEvPT0_PKT_S7_iiiPKb
		.amdhsa_group_segment_fixed_size 0
		.amdhsa_private_segment_fixed_size 0
		.amdhsa_kernarg_size 304
		.amdhsa_user_sgpr_count 6
		.amdhsa_user_sgpr_private_segment_buffer 1
		.amdhsa_user_sgpr_dispatch_ptr 0
		.amdhsa_user_sgpr_queue_ptr 0
		.amdhsa_user_sgpr_kernarg_segment_ptr 1
		.amdhsa_user_sgpr_dispatch_id 0
		.amdhsa_user_sgpr_flat_scratch_init 0
		.amdhsa_user_sgpr_kernarg_preload_length 0
		.amdhsa_user_sgpr_kernarg_preload_offset 0
		.amdhsa_user_sgpr_private_segment_size 0
		.amdhsa_uses_dynamic_stack 0
		.amdhsa_system_sgpr_private_segment_wavefront_offset 0
		.amdhsa_system_sgpr_workgroup_id_x 1
		.amdhsa_system_sgpr_workgroup_id_y 0
		.amdhsa_system_sgpr_workgroup_id_z 0
		.amdhsa_system_sgpr_workgroup_info 0
		.amdhsa_system_vgpr_workitem_id 1
		.amdhsa_next_free_vgpr 39
		.amdhsa_next_free_sgpr 44
		.amdhsa_accum_offset 40
		.amdhsa_reserve_vcc 1
		.amdhsa_reserve_flat_scratch 0
		.amdhsa_float_round_mode_32 0
		.amdhsa_float_round_mode_16_64 0
		.amdhsa_float_denorm_mode_32 3
		.amdhsa_float_denorm_mode_16_64 3
		.amdhsa_dx10_clamp 1
		.amdhsa_ieee_mode 1
		.amdhsa_fp16_overflow 0
		.amdhsa_tg_split 0
		.amdhsa_exception_fp_ieee_invalid_op 0
		.amdhsa_exception_fp_denorm_src 0
		.amdhsa_exception_fp_ieee_div_zero 0
		.amdhsa_exception_fp_ieee_overflow 0
		.amdhsa_exception_fp_ieee_underflow 0
		.amdhsa_exception_fp_ieee_inexact 0
		.amdhsa_exception_int_div_zero 0
	.end_amdhsa_kernel
	.section	.text._ZN12_GLOBAL__N_121softmax_warp_backwardIfN3c104HalfEfLi10ELb1ELb0ELi64EEEvPT0_PKT_S7_iiiPKb,"axG",@progbits,_ZN12_GLOBAL__N_121softmax_warp_backwardIfN3c104HalfEfLi10ELb1ELb0ELi64EEEvPT0_PKT_S7_iiiPKb,comdat
.Lfunc_end296:
	.size	_ZN12_GLOBAL__N_121softmax_warp_backwardIfN3c104HalfEfLi10ELb1ELb0ELi64EEEvPT0_PKT_S7_iiiPKb, .Lfunc_end296-_ZN12_GLOBAL__N_121softmax_warp_backwardIfN3c104HalfEfLi10ELb1ELb0ELi64EEEvPT0_PKT_S7_iiiPKb
                                        ; -- End function
	.section	.AMDGPU.csdata,"",@progbits
; Kernel info:
; codeLenInByte = 3916
; NumSgprs: 48
; NumVgprs: 39
; NumAgprs: 0
; TotalNumVgprs: 39
; ScratchSize: 0
; MemoryBound: 0
; FloatMode: 240
; IeeeMode: 1
; LDSByteSize: 0 bytes/workgroup (compile time only)
; SGPRBlocks: 5
; VGPRBlocks: 4
; NumSGPRsForWavesPerEU: 48
; NumVGPRsForWavesPerEU: 39
; AccumOffset: 40
; Occupancy: 8
; WaveLimiterHint : 0
; COMPUTE_PGM_RSRC2:SCRATCH_EN: 0
; COMPUTE_PGM_RSRC2:USER_SGPR: 6
; COMPUTE_PGM_RSRC2:TRAP_HANDLER: 0
; COMPUTE_PGM_RSRC2:TGID_X_EN: 1
; COMPUTE_PGM_RSRC2:TGID_Y_EN: 0
; COMPUTE_PGM_RSRC2:TGID_Z_EN: 0
; COMPUTE_PGM_RSRC2:TIDIG_COMP_CNT: 1
; COMPUTE_PGM_RSRC3_GFX90A:ACCUM_OFFSET: 9
; COMPUTE_PGM_RSRC3_GFX90A:TG_SPLIT: 0
	.section	.text._ZN12_GLOBAL__N_121softmax_warp_backwardIfN3c104HalfEfLi10ELb1ELb0ELi32EEEvPT0_PKT_S7_iiiPKb,"axG",@progbits,_ZN12_GLOBAL__N_121softmax_warp_backwardIfN3c104HalfEfLi10ELb1ELb0ELi32EEEvPT0_PKT_S7_iiiPKb,comdat
	.globl	_ZN12_GLOBAL__N_121softmax_warp_backwardIfN3c104HalfEfLi10ELb1ELb0ELi32EEEvPT0_PKT_S7_iiiPKb ; -- Begin function _ZN12_GLOBAL__N_121softmax_warp_backwardIfN3c104HalfEfLi10ELb1ELb0ELi32EEEvPT0_PKT_S7_iiiPKb
	.p2align	8
	.type	_ZN12_GLOBAL__N_121softmax_warp_backwardIfN3c104HalfEfLi10ELb1ELb0ELi32EEEvPT0_PKT_S7_iiiPKb,@function
_ZN12_GLOBAL__N_121softmax_warp_backwardIfN3c104HalfEfLi10ELb1ELb0ELi32EEEvPT0_PKT_S7_iiiPKb: ; @_ZN12_GLOBAL__N_121softmax_warp_backwardIfN3c104HalfEfLi10ELb1ELb0ELi32EEEvPT0_PKT_S7_iiiPKb
; %bb.0:
	s_load_dword s2, s[4:5], 0x3c
	s_load_dwordx4 s[64:67], s[4:5], 0x18
	s_load_dwordx4 s[68:71], s[4:5], 0x0
	s_load_dwordx2 s[0:1], s[4:5], 0x10
	v_bfe_u32 v1, v0, 10, 10
	s_waitcnt lgkmcnt(0)
	s_lshr_b32 s2, s2, 16
	s_mul_i32 s6, s6, s2
	v_and_b32_e32 v8, 0x3ff, v0
	v_add_u32_e32 v1, s6, v1
	v_and_b32_e32 v6, 31, v8
	v_sub_u32_e32 v70, s64, v1
	v_mad_u64_u32 v[0:1], s[2:3], v1, s65, v[6:7]
	v_ashrrev_i32_e32 v1, 31, v0
	v_lshlrev_b64 v[4:5], 2, v[0:1]
	v_mov_b32_e32 v3, s71
	v_add_co_u32_e32 v2, vcc, s70, v4
	v_addc_co_u32_e32 v3, vcc, v3, v5, vcc
	v_mov_b32_e32 v7, s1
	v_add_co_u32_e32 v4, vcc, s0, v4
	v_cmp_lt_i32_e64 s[64:65], 0, v70
	v_cmp_gt_i32_e64 s[62:63], s66, v6
	v_addc_co_u32_e32 v5, vcc, v7, v5, vcc
	s_and_b64 s[2:3], s[64:65], s[62:63]
	v_mov_b32_e32 v63, 0
	v_mov_b32_e32 v68, 0
	;; [unrolled: 1-line block ×3, first 2 shown]
	s_and_saveexec_b64 s[0:1], s[2:3]
	s_cbranch_execz .LBB297_2
; %bb.1:
	global_load_dword v68, v[2:3], off
	global_load_dword v69, v[4:5], off
.LBB297_2:
	s_or_b64 exec, exec, s[0:1]
	v_or_b32_e32 v7, 32, v6
	v_cmp_gt_i32_e64 s[60:61], s66, v7
	s_and_b64 s[2:3], s[64:65], s[60:61]
	v_mov_b32_e32 v67, 0
	s_and_saveexec_b64 s[0:1], s[2:3]
	s_cbranch_execz .LBB297_4
; %bb.3:
	global_load_dword v63, v[2:3], off offset:128
	global_load_dword v67, v[4:5], off offset:128
.LBB297_4:
	s_or_b64 exec, exec, s[0:1]
	v_or_b32_e32 v7, 64, v6
	v_cmp_gt_i32_e64 s[58:59], s66, v7
	s_and_b64 s[2:3], s[64:65], s[58:59]
	v_mov_b32_e32 v59, 0
	v_mov_b32_e32 v65, 0
	v_mov_b32_e32 v66, 0
	s_and_saveexec_b64 s[0:1], s[2:3]
	s_cbranch_execz .LBB297_6
; %bb.5:
	global_load_dword v65, v[2:3], off offset:256
	global_load_dword v66, v[4:5], off offset:256
.LBB297_6:
	s_or_b64 exec, exec, s[0:1]
	v_or_b32_e32 v7, 0x60, v6
	v_cmp_gt_i32_e64 s[56:57], s66, v7
	s_and_b64 s[2:3], s[64:65], s[56:57]
	v_mov_b32_e32 v64, 0
	s_and_saveexec_b64 s[0:1], s[2:3]
	s_cbranch_execz .LBB297_8
; %bb.7:
	global_load_dword v59, v[2:3], off offset:384
	global_load_dword v64, v[4:5], off offset:384
.LBB297_8:
	s_or_b64 exec, exec, s[0:1]
	v_or_b32_e32 v7, 0x80, v6
	v_cmp_gt_i32_e64 s[54:55], s66, v7
	s_and_b64 s[2:3], s[64:65], s[54:55]
	v_mov_b32_e32 v55, 0
	v_mov_b32_e32 v61, 0
	v_mov_b32_e32 v62, 0
	s_and_saveexec_b64 s[0:1], s[2:3]
	s_cbranch_execz .LBB297_10
; %bb.9:
	global_load_dword v61, v[2:3], off offset:512
	global_load_dword v62, v[4:5], off offset:512
.LBB297_10:
	;; [unrolled: 24-line block ×15, first 2 shown]
	s_or_b64 exec, exec, s[70:71]
	v_or_b32_e32 v8, 0x3e0, v8
	v_cmp_gt_i32_e32 vcc, s66, v8
	s_and_b64 s[66:67], s[64:65], vcc
	v_mov_b32_e32 v8, 0
	s_and_saveexec_b64 s[64:65], s[66:67]
	s_cbranch_execz .LBB297_64
; %bb.63:
	global_load_dword v6, v[2:3], off offset:3968
	global_load_dword v8, v[4:5], off offset:3968
.LBB297_64:
	s_or_b64 exec, exec, s[64:65]
	s_waitcnt vmcnt(1)
	v_add_f32_e32 v2, 0, v68
	v_add_f32_e32 v2, v2, v63
	;; [unrolled: 1-line block ×26, first 2 shown]
	v_mbcnt_lo_u32_b32 v3, -1, 0
	v_add_f32_e32 v2, v2, v17
	v_mbcnt_hi_u32_b32 v3, -1, v3
	v_add_f32_e32 v2, v2, v11
	v_and_b32_e32 v4, 0x60, v3
	v_add_f32_e32 v2, v2, v13
	v_add_u32_e32 v4, 32, v4
	v_xor_b32_e32 v5, 16, v3
	v_add_f32_e32 v2, v2, v7
	v_cmp_lt_i32_e64 s[64:65], v5, v4
	v_add_f32_e32 v2, v2, v9
	v_cndmask_b32_e64 v5, v3, v5, s[64:65]
	v_add_f32_e32 v2, v2, v6
	v_lshlrev_b32_e32 v5, 2, v5
	ds_bpermute_b32 v5, v5, v2
	s_waitcnt lgkmcnt(0)
	v_add_f32_e32 v2, v2, v5
	v_xor_b32_e32 v5, 8, v3
	v_cmp_lt_i32_e64 s[64:65], v5, v4
	v_cndmask_b32_e64 v5, v3, v5, s[64:65]
	v_lshlrev_b32_e32 v5, 2, v5
	ds_bpermute_b32 v5, v5, v2
	s_waitcnt lgkmcnt(0)
	v_add_f32_e32 v2, v2, v5
	v_xor_b32_e32 v5, 4, v3
	v_cmp_lt_i32_e64 s[64:65], v5, v4
	v_cndmask_b32_e64 v5, v3, v5, s[64:65]
	;; [unrolled: 7-line block ×4, first 2 shown]
	v_lshlrev_b32_e32 v3, 2, v3
	ds_bpermute_b32 v3, v3, v2
	v_cmp_lt_i32_e64 s[64:65], 0, v70
	s_and_saveexec_b64 s[66:67], s[64:65]
	s_cbranch_execz .LBB297_98
; %bb.65:
	v_lshlrev_b64 v[0:1], 1, v[0:1]
	v_mov_b32_e32 v4, s69
	v_add_co_u32_e64 v0, s[64:65], s68, v0
	v_addc_co_u32_e64 v1, s[64:65], v4, v1, s[64:65]
	s_waitcnt lgkmcnt(0)
	v_add_f32_e32 v2, v2, v3
	s_and_saveexec_b64 s[64:65], s[62:63]
	s_cbranch_execnz .LBB297_99
; %bb.66:
	s_or_b64 exec, exec, s[64:65]
	s_and_saveexec_b64 s[62:63], s[60:61]
	s_cbranch_execnz .LBB297_100
.LBB297_67:
	s_or_b64 exec, exec, s[62:63]
	s_and_saveexec_b64 s[60:61], s[58:59]
	s_cbranch_execnz .LBB297_101
.LBB297_68:
	s_or_b64 exec, exec, s[60:61]
	s_and_saveexec_b64 s[58:59], s[56:57]
	s_cbranch_execnz .LBB297_102
.LBB297_69:
	s_or_b64 exec, exec, s[58:59]
	s_and_saveexec_b64 s[56:57], s[54:55]
	s_cbranch_execnz .LBB297_103
.LBB297_70:
	s_or_b64 exec, exec, s[56:57]
	s_and_saveexec_b64 s[54:55], s[52:53]
	s_cbranch_execnz .LBB297_104
.LBB297_71:
	s_or_b64 exec, exec, s[54:55]
	s_and_saveexec_b64 s[52:53], s[50:51]
	s_cbranch_execnz .LBB297_105
.LBB297_72:
	s_or_b64 exec, exec, s[52:53]
	s_and_saveexec_b64 s[50:51], s[48:49]
	s_cbranch_execnz .LBB297_106
.LBB297_73:
	s_or_b64 exec, exec, s[50:51]
	s_and_saveexec_b64 s[48:49], s[46:47]
	s_cbranch_execnz .LBB297_107
.LBB297_74:
	s_or_b64 exec, exec, s[48:49]
	s_and_saveexec_b64 s[46:47], s[44:45]
	s_cbranch_execnz .LBB297_108
.LBB297_75:
	s_or_b64 exec, exec, s[46:47]
	s_and_saveexec_b64 s[44:45], s[42:43]
	s_cbranch_execnz .LBB297_109
.LBB297_76:
	s_or_b64 exec, exec, s[44:45]
	s_and_saveexec_b64 s[42:43], s[40:41]
	s_cbranch_execnz .LBB297_110
.LBB297_77:
	s_or_b64 exec, exec, s[42:43]
	s_and_saveexec_b64 s[40:41], s[38:39]
	s_cbranch_execnz .LBB297_111
.LBB297_78:
	s_or_b64 exec, exec, s[40:41]
	s_and_saveexec_b64 s[38:39], s[36:37]
	s_cbranch_execnz .LBB297_112
.LBB297_79:
	s_or_b64 exec, exec, s[38:39]
	s_and_saveexec_b64 s[36:37], s[34:35]
	s_cbranch_execnz .LBB297_113
.LBB297_80:
	s_or_b64 exec, exec, s[36:37]
	s_and_saveexec_b64 s[34:35], s[30:31]
	s_cbranch_execnz .LBB297_114
.LBB297_81:
	s_or_b64 exec, exec, s[34:35]
	s_and_saveexec_b64 s[30:31], s[28:29]
	s_cbranch_execnz .LBB297_115
.LBB297_82:
	s_or_b64 exec, exec, s[30:31]
	s_and_saveexec_b64 s[28:29], s[26:27]
	s_cbranch_execnz .LBB297_116
.LBB297_83:
	s_or_b64 exec, exec, s[28:29]
	s_and_saveexec_b64 s[26:27], s[24:25]
	s_cbranch_execnz .LBB297_117
.LBB297_84:
	s_or_b64 exec, exec, s[26:27]
	s_and_saveexec_b64 s[24:25], s[22:23]
	s_cbranch_execnz .LBB297_118
.LBB297_85:
	s_or_b64 exec, exec, s[24:25]
	s_and_saveexec_b64 s[22:23], s[20:21]
	s_cbranch_execnz .LBB297_119
.LBB297_86:
	s_or_b64 exec, exec, s[22:23]
	s_and_saveexec_b64 s[20:21], s[18:19]
	s_cbranch_execnz .LBB297_120
.LBB297_87:
	s_or_b64 exec, exec, s[20:21]
	s_and_saveexec_b64 s[18:19], s[16:17]
	s_cbranch_execnz .LBB297_121
.LBB297_88:
	s_or_b64 exec, exec, s[18:19]
	s_and_saveexec_b64 s[16:17], s[14:15]
	s_cbranch_execnz .LBB297_122
.LBB297_89:
	s_or_b64 exec, exec, s[16:17]
	s_and_saveexec_b64 s[14:15], s[12:13]
	s_cbranch_execnz .LBB297_123
.LBB297_90:
	s_or_b64 exec, exec, s[14:15]
	s_and_saveexec_b64 s[12:13], s[10:11]
	s_cbranch_execnz .LBB297_124
.LBB297_91:
	s_or_b64 exec, exec, s[12:13]
	s_and_saveexec_b64 s[10:11], s[8:9]
	s_cbranch_execnz .LBB297_125
.LBB297_92:
	s_or_b64 exec, exec, s[10:11]
	s_and_saveexec_b64 s[8:9], s[6:7]
	s_cbranch_execnz .LBB297_126
.LBB297_93:
	s_or_b64 exec, exec, s[8:9]
	s_and_saveexec_b64 s[6:7], s[4:5]
	s_cbranch_execnz .LBB297_127
.LBB297_94:
	s_or_b64 exec, exec, s[6:7]
	s_and_saveexec_b64 s[4:5], s[2:3]
	s_cbranch_execnz .LBB297_128
.LBB297_95:
	s_or_b64 exec, exec, s[4:5]
	s_and_saveexec_b64 s[2:3], s[0:1]
	s_cbranch_execnz .LBB297_129
.LBB297_96:
	s_or_b64 exec, exec, s[2:3]
	s_and_b64 exec, exec, vcc
	s_cbranch_execz .LBB297_98
.LBB297_97:
	s_waitcnt vmcnt(0)
	v_mul_f32_e32 v3, 0x3fb8aa3b, v8
	s_mov_b32 s0, 0x3fb8aa3b
	v_rndne_f32_e32 v4, v3
	v_sub_f32_e32 v5, v3, v4
	v_fma_f32 v3, v8, s0, -v3
	v_fmac_f32_e32 v3, 0x32a5705f, v8
	v_add_f32_e32 v3, v5, v3
	v_exp_f32_e32 v3, v3
	v_cvt_i32_f32_e32 v4, v4
	s_mov_b32 s0, 0xc2ce8ed0
	v_cmp_ngt_f32_e32 vcc, s0, v8
	s_mov_b32 s0, 0x42b17218
	v_ldexp_f32 v3, v3, v4
	v_cndmask_b32_e32 v3, 0, v3, vcc
	v_mov_b32_e32 v4, 0x7f800000
	v_cmp_nlt_f32_e32 vcc, s0, v8
	v_cndmask_b32_e32 v3, v4, v3, vcc
	v_fma_mixlo_f16 v2, -v2, v3, v6
	global_store_short v[0:1], v2, off offset:1984
.LBB297_98:
	s_endpgm
.LBB297_99:
	s_waitcnt vmcnt(0)
	v_mul_f32_e32 v3, 0x3fb8aa3b, v69
	s_mov_b32 s33, 0x3fb8aa3b
	v_rndne_f32_e32 v4, v3
	v_sub_f32_e32 v5, v3, v4
	v_fma_f32 v3, v69, s33, -v3
	v_fmac_f32_e32 v3, 0x32a5705f, v69
	v_add_f32_e32 v3, v5, v3
	v_exp_f32_e32 v3, v3
	v_cvt_i32_f32_e32 v4, v4
	s_mov_b32 s33, 0xc2ce8ed0
	v_cmp_ngt_f32_e64 s[62:63], s33, v69
	s_mov_b32 s33, 0x42b17218
	v_ldexp_f32 v3, v3, v4
	v_cndmask_b32_e64 v3, 0, v3, s[62:63]
	v_mov_b32_e32 v4, 0x7f800000
	v_cmp_nlt_f32_e64 s[62:63], s33, v69
	v_cndmask_b32_e64 v3, v4, v3, s[62:63]
	v_fma_mixlo_f16 v3, -v2, v3, v68
	global_store_short v[0:1], v3, off
	s_or_b64 exec, exec, s[64:65]
	s_and_saveexec_b64 s[62:63], s[60:61]
	s_cbranch_execz .LBB297_67
.LBB297_100:
	s_waitcnt vmcnt(0)
	v_mul_f32_e32 v3, 0x3fb8aa3b, v67
	s_mov_b32 s33, 0x3fb8aa3b
	v_rndne_f32_e32 v4, v3
	v_sub_f32_e32 v5, v3, v4
	v_fma_f32 v3, v67, s33, -v3
	v_fmac_f32_e32 v3, 0x32a5705f, v67
	v_add_f32_e32 v3, v5, v3
	v_exp_f32_e32 v3, v3
	v_cvt_i32_f32_e32 v4, v4
	s_mov_b32 s33, 0xc2ce8ed0
	v_cmp_ngt_f32_e64 s[60:61], s33, v67
	s_mov_b32 s33, 0x42b17218
	v_ldexp_f32 v3, v3, v4
	v_cndmask_b32_e64 v3, 0, v3, s[60:61]
	v_mov_b32_e32 v4, 0x7f800000
	v_cmp_nlt_f32_e64 s[60:61], s33, v67
	v_cndmask_b32_e64 v3, v4, v3, s[60:61]
	v_fma_mixlo_f16 v3, -v2, v3, v63
	global_store_short v[0:1], v3, off offset:64
	s_or_b64 exec, exec, s[62:63]
	s_and_saveexec_b64 s[60:61], s[58:59]
	s_cbranch_execz .LBB297_68
.LBB297_101:
	s_waitcnt vmcnt(0)
	v_mul_f32_e32 v3, 0x3fb8aa3b, v66
	s_mov_b32 s33, 0x3fb8aa3b
	v_rndne_f32_e32 v4, v3
	v_sub_f32_e32 v5, v3, v4
	v_fma_f32 v3, v66, s33, -v3
	v_fmac_f32_e32 v3, 0x32a5705f, v66
	v_add_f32_e32 v3, v5, v3
	v_exp_f32_e32 v3, v3
	v_cvt_i32_f32_e32 v4, v4
	s_mov_b32 s33, 0xc2ce8ed0
	v_cmp_ngt_f32_e64 s[58:59], s33, v66
	s_mov_b32 s33, 0x42b17218
	v_ldexp_f32 v3, v3, v4
	v_cndmask_b32_e64 v3, 0, v3, s[58:59]
	v_mov_b32_e32 v4, 0x7f800000
	v_cmp_nlt_f32_e64 s[58:59], s33, v66
	v_cndmask_b32_e64 v3, v4, v3, s[58:59]
	v_fma_mixlo_f16 v3, -v2, v3, v65
	global_store_short v[0:1], v3, off offset:128
	s_or_b64 exec, exec, s[60:61]
	s_and_saveexec_b64 s[58:59], s[56:57]
	s_cbranch_execz .LBB297_69
.LBB297_102:
	s_waitcnt vmcnt(0)
	v_mul_f32_e32 v3, 0x3fb8aa3b, v64
	s_mov_b32 s33, 0x3fb8aa3b
	v_rndne_f32_e32 v4, v3
	v_sub_f32_e32 v5, v3, v4
	v_fma_f32 v3, v64, s33, -v3
	v_fmac_f32_e32 v3, 0x32a5705f, v64
	v_add_f32_e32 v3, v5, v3
	v_exp_f32_e32 v3, v3
	v_cvt_i32_f32_e32 v4, v4
	s_mov_b32 s33, 0xc2ce8ed0
	v_cmp_ngt_f32_e64 s[56:57], s33, v64
	s_mov_b32 s33, 0x42b17218
	v_ldexp_f32 v3, v3, v4
	v_cndmask_b32_e64 v3, 0, v3, s[56:57]
	v_mov_b32_e32 v4, 0x7f800000
	v_cmp_nlt_f32_e64 s[56:57], s33, v64
	v_cndmask_b32_e64 v3, v4, v3, s[56:57]
	v_fma_mixlo_f16 v3, -v2, v3, v59
	global_store_short v[0:1], v3, off offset:192
	s_or_b64 exec, exec, s[58:59]
	s_and_saveexec_b64 s[56:57], s[54:55]
	s_cbranch_execz .LBB297_70
.LBB297_103:
	s_waitcnt vmcnt(0)
	v_mul_f32_e32 v3, 0x3fb8aa3b, v62
	s_mov_b32 s33, 0x3fb8aa3b
	v_rndne_f32_e32 v4, v3
	v_sub_f32_e32 v5, v3, v4
	v_fma_f32 v3, v62, s33, -v3
	v_fmac_f32_e32 v3, 0x32a5705f, v62
	v_add_f32_e32 v3, v5, v3
	v_exp_f32_e32 v3, v3
	v_cvt_i32_f32_e32 v4, v4
	s_mov_b32 s33, 0xc2ce8ed0
	v_cmp_ngt_f32_e64 s[54:55], s33, v62
	s_mov_b32 s33, 0x42b17218
	v_ldexp_f32 v3, v3, v4
	v_cndmask_b32_e64 v3, 0, v3, s[54:55]
	v_mov_b32_e32 v4, 0x7f800000
	v_cmp_nlt_f32_e64 s[54:55], s33, v62
	v_cndmask_b32_e64 v3, v4, v3, s[54:55]
	v_fma_mixlo_f16 v3, -v2, v3, v61
	global_store_short v[0:1], v3, off offset:256
	s_or_b64 exec, exec, s[56:57]
	s_and_saveexec_b64 s[54:55], s[52:53]
	s_cbranch_execz .LBB297_71
.LBB297_104:
	s_waitcnt vmcnt(0)
	v_mul_f32_e32 v3, 0x3fb8aa3b, v60
	s_mov_b32 s33, 0x3fb8aa3b
	v_rndne_f32_e32 v4, v3
	v_sub_f32_e32 v5, v3, v4
	v_fma_f32 v3, v60, s33, -v3
	v_fmac_f32_e32 v3, 0x32a5705f, v60
	v_add_f32_e32 v3, v5, v3
	v_exp_f32_e32 v3, v3
	v_cvt_i32_f32_e32 v4, v4
	s_mov_b32 s33, 0xc2ce8ed0
	v_cmp_ngt_f32_e64 s[52:53], s33, v60
	s_mov_b32 s33, 0x42b17218
	v_ldexp_f32 v3, v3, v4
	v_cndmask_b32_e64 v3, 0, v3, s[52:53]
	v_mov_b32_e32 v4, 0x7f800000
	v_cmp_nlt_f32_e64 s[52:53], s33, v60
	v_cndmask_b32_e64 v3, v4, v3, s[52:53]
	v_fma_mixlo_f16 v3, -v2, v3, v55
	global_store_short v[0:1], v3, off offset:320
	s_or_b64 exec, exec, s[54:55]
	s_and_saveexec_b64 s[52:53], s[50:51]
	s_cbranch_execz .LBB297_72
.LBB297_105:
	s_waitcnt vmcnt(0)
	v_mul_f32_e32 v3, 0x3fb8aa3b, v58
	s_mov_b32 s33, 0x3fb8aa3b
	v_rndne_f32_e32 v4, v3
	v_sub_f32_e32 v5, v3, v4
	v_fma_f32 v3, v58, s33, -v3
	v_fmac_f32_e32 v3, 0x32a5705f, v58
	v_add_f32_e32 v3, v5, v3
	v_exp_f32_e32 v3, v3
	v_cvt_i32_f32_e32 v4, v4
	s_mov_b32 s33, 0xc2ce8ed0
	v_cmp_ngt_f32_e64 s[50:51], s33, v58
	s_mov_b32 s33, 0x42b17218
	v_ldexp_f32 v3, v3, v4
	v_cndmask_b32_e64 v3, 0, v3, s[50:51]
	v_mov_b32_e32 v4, 0x7f800000
	v_cmp_nlt_f32_e64 s[50:51], s33, v58
	v_cndmask_b32_e64 v3, v4, v3, s[50:51]
	v_fma_mixlo_f16 v3, -v2, v3, v57
	global_store_short v[0:1], v3, off offset:384
	s_or_b64 exec, exec, s[52:53]
	s_and_saveexec_b64 s[50:51], s[48:49]
	s_cbranch_execz .LBB297_73
.LBB297_106:
	s_waitcnt vmcnt(0)
	v_mul_f32_e32 v3, 0x3fb8aa3b, v56
	s_mov_b32 s33, 0x3fb8aa3b
	v_rndne_f32_e32 v4, v3
	v_sub_f32_e32 v5, v3, v4
	v_fma_f32 v3, v56, s33, -v3
	v_fmac_f32_e32 v3, 0x32a5705f, v56
	v_add_f32_e32 v3, v5, v3
	v_exp_f32_e32 v3, v3
	v_cvt_i32_f32_e32 v4, v4
	s_mov_b32 s33, 0xc2ce8ed0
	v_cmp_ngt_f32_e64 s[48:49], s33, v56
	s_mov_b32 s33, 0x42b17218
	v_ldexp_f32 v3, v3, v4
	v_cndmask_b32_e64 v3, 0, v3, s[48:49]
	v_mov_b32_e32 v4, 0x7f800000
	v_cmp_nlt_f32_e64 s[48:49], s33, v56
	v_cndmask_b32_e64 v3, v4, v3, s[48:49]
	v_fma_mixlo_f16 v3, -v2, v3, v51
	global_store_short v[0:1], v3, off offset:448
	s_or_b64 exec, exec, s[50:51]
	s_and_saveexec_b64 s[48:49], s[46:47]
	s_cbranch_execz .LBB297_74
.LBB297_107:
	s_waitcnt vmcnt(0)
	v_mul_f32_e32 v3, 0x3fb8aa3b, v54
	s_mov_b32 s33, 0x3fb8aa3b
	v_rndne_f32_e32 v4, v3
	v_sub_f32_e32 v5, v3, v4
	v_fma_f32 v3, v54, s33, -v3
	v_fmac_f32_e32 v3, 0x32a5705f, v54
	v_add_f32_e32 v3, v5, v3
	v_exp_f32_e32 v3, v3
	v_cvt_i32_f32_e32 v4, v4
	s_mov_b32 s33, 0xc2ce8ed0
	v_cmp_ngt_f32_e64 s[46:47], s33, v54
	s_mov_b32 s33, 0x42b17218
	v_ldexp_f32 v3, v3, v4
	v_cndmask_b32_e64 v3, 0, v3, s[46:47]
	v_mov_b32_e32 v4, 0x7f800000
	v_cmp_nlt_f32_e64 s[46:47], s33, v54
	v_cndmask_b32_e64 v3, v4, v3, s[46:47]
	v_fma_mixlo_f16 v3, -v2, v3, v53
	global_store_short v[0:1], v3, off offset:512
	s_or_b64 exec, exec, s[48:49]
	s_and_saveexec_b64 s[46:47], s[44:45]
	s_cbranch_execz .LBB297_75
.LBB297_108:
	s_waitcnt vmcnt(0)
	v_mul_f32_e32 v3, 0x3fb8aa3b, v52
	s_mov_b32 s33, 0x3fb8aa3b
	v_rndne_f32_e32 v4, v3
	v_sub_f32_e32 v5, v3, v4
	v_fma_f32 v3, v52, s33, -v3
	v_fmac_f32_e32 v3, 0x32a5705f, v52
	v_add_f32_e32 v3, v5, v3
	v_exp_f32_e32 v3, v3
	v_cvt_i32_f32_e32 v4, v4
	s_mov_b32 s33, 0xc2ce8ed0
	v_cmp_ngt_f32_e64 s[44:45], s33, v52
	s_mov_b32 s33, 0x42b17218
	v_ldexp_f32 v3, v3, v4
	v_cndmask_b32_e64 v3, 0, v3, s[44:45]
	v_mov_b32_e32 v4, 0x7f800000
	v_cmp_nlt_f32_e64 s[44:45], s33, v52
	v_cndmask_b32_e64 v3, v4, v3, s[44:45]
	v_fma_mixlo_f16 v3, -v2, v3, v47
	global_store_short v[0:1], v3, off offset:576
	s_or_b64 exec, exec, s[46:47]
	s_and_saveexec_b64 s[44:45], s[42:43]
	s_cbranch_execz .LBB297_76
.LBB297_109:
	s_waitcnt vmcnt(0)
	v_mul_f32_e32 v3, 0x3fb8aa3b, v50
	s_mov_b32 s33, 0x3fb8aa3b
	v_rndne_f32_e32 v4, v3
	v_sub_f32_e32 v5, v3, v4
	v_fma_f32 v3, v50, s33, -v3
	v_fmac_f32_e32 v3, 0x32a5705f, v50
	v_add_f32_e32 v3, v5, v3
	v_exp_f32_e32 v3, v3
	v_cvt_i32_f32_e32 v4, v4
	s_mov_b32 s33, 0xc2ce8ed0
	v_cmp_ngt_f32_e64 s[42:43], s33, v50
	s_mov_b32 s33, 0x42b17218
	v_ldexp_f32 v3, v3, v4
	v_cndmask_b32_e64 v3, 0, v3, s[42:43]
	v_mov_b32_e32 v4, 0x7f800000
	v_cmp_nlt_f32_e64 s[42:43], s33, v50
	v_cndmask_b32_e64 v3, v4, v3, s[42:43]
	v_fma_mixlo_f16 v3, -v2, v3, v49
	global_store_short v[0:1], v3, off offset:640
	s_or_b64 exec, exec, s[44:45]
	s_and_saveexec_b64 s[42:43], s[40:41]
	s_cbranch_execz .LBB297_77
.LBB297_110:
	s_waitcnt vmcnt(0)
	v_mul_f32_e32 v3, 0x3fb8aa3b, v48
	s_mov_b32 s33, 0x3fb8aa3b
	v_rndne_f32_e32 v4, v3
	v_sub_f32_e32 v5, v3, v4
	v_fma_f32 v3, v48, s33, -v3
	v_fmac_f32_e32 v3, 0x32a5705f, v48
	v_add_f32_e32 v3, v5, v3
	v_exp_f32_e32 v3, v3
	v_cvt_i32_f32_e32 v4, v4
	s_mov_b32 s33, 0xc2ce8ed0
	v_cmp_ngt_f32_e64 s[40:41], s33, v48
	s_mov_b32 s33, 0x42b17218
	v_ldexp_f32 v3, v3, v4
	v_cndmask_b32_e64 v3, 0, v3, s[40:41]
	v_mov_b32_e32 v4, 0x7f800000
	v_cmp_nlt_f32_e64 s[40:41], s33, v48
	v_cndmask_b32_e64 v3, v4, v3, s[40:41]
	v_fma_mixlo_f16 v3, -v2, v3, v43
	global_store_short v[0:1], v3, off offset:704
	s_or_b64 exec, exec, s[42:43]
	s_and_saveexec_b64 s[40:41], s[38:39]
	s_cbranch_execz .LBB297_78
.LBB297_111:
	s_waitcnt vmcnt(0)
	v_mul_f32_e32 v3, 0x3fb8aa3b, v46
	s_mov_b32 s33, 0x3fb8aa3b
	v_rndne_f32_e32 v4, v3
	v_sub_f32_e32 v5, v3, v4
	v_fma_f32 v3, v46, s33, -v3
	v_fmac_f32_e32 v3, 0x32a5705f, v46
	v_add_f32_e32 v3, v5, v3
	v_exp_f32_e32 v3, v3
	v_cvt_i32_f32_e32 v4, v4
	s_mov_b32 s33, 0xc2ce8ed0
	v_cmp_ngt_f32_e64 s[38:39], s33, v46
	s_mov_b32 s33, 0x42b17218
	v_ldexp_f32 v3, v3, v4
	v_cndmask_b32_e64 v3, 0, v3, s[38:39]
	v_mov_b32_e32 v4, 0x7f800000
	v_cmp_nlt_f32_e64 s[38:39], s33, v46
	v_cndmask_b32_e64 v3, v4, v3, s[38:39]
	v_fma_mixlo_f16 v3, -v2, v3, v45
	global_store_short v[0:1], v3, off offset:768
	s_or_b64 exec, exec, s[40:41]
	s_and_saveexec_b64 s[38:39], s[36:37]
	s_cbranch_execz .LBB297_79
.LBB297_112:
	s_waitcnt vmcnt(0)
	v_mul_f32_e32 v3, 0x3fb8aa3b, v44
	s_mov_b32 s33, 0x3fb8aa3b
	v_rndne_f32_e32 v4, v3
	v_sub_f32_e32 v5, v3, v4
	v_fma_f32 v3, v44, s33, -v3
	v_fmac_f32_e32 v3, 0x32a5705f, v44
	v_add_f32_e32 v3, v5, v3
	v_exp_f32_e32 v3, v3
	v_cvt_i32_f32_e32 v4, v4
	s_mov_b32 s33, 0xc2ce8ed0
	v_cmp_ngt_f32_e64 s[36:37], s33, v44
	s_mov_b32 s33, 0x42b17218
	v_ldexp_f32 v3, v3, v4
	v_cndmask_b32_e64 v3, 0, v3, s[36:37]
	v_mov_b32_e32 v4, 0x7f800000
	v_cmp_nlt_f32_e64 s[36:37], s33, v44
	v_cndmask_b32_e64 v3, v4, v3, s[36:37]
	v_fma_mixlo_f16 v3, -v2, v3, v39
	global_store_short v[0:1], v3, off offset:832
	s_or_b64 exec, exec, s[38:39]
	s_and_saveexec_b64 s[36:37], s[34:35]
	s_cbranch_execz .LBB297_80
.LBB297_113:
	s_waitcnt vmcnt(0)
	v_mul_f32_e32 v3, 0x3fb8aa3b, v42
	s_mov_b32 s33, 0x3fb8aa3b
	v_rndne_f32_e32 v4, v3
	v_sub_f32_e32 v5, v3, v4
	v_fma_f32 v3, v42, s33, -v3
	v_fmac_f32_e32 v3, 0x32a5705f, v42
	v_add_f32_e32 v3, v5, v3
	v_exp_f32_e32 v3, v3
	v_cvt_i32_f32_e32 v4, v4
	s_mov_b32 s33, 0xc2ce8ed0
	v_cmp_ngt_f32_e64 s[34:35], s33, v42
	s_mov_b32 s33, 0x42b17218
	v_ldexp_f32 v3, v3, v4
	v_cndmask_b32_e64 v3, 0, v3, s[34:35]
	v_mov_b32_e32 v4, 0x7f800000
	v_cmp_nlt_f32_e64 s[34:35], s33, v42
	v_cndmask_b32_e64 v3, v4, v3, s[34:35]
	v_fma_mixlo_f16 v3, -v2, v3, v41
	global_store_short v[0:1], v3, off offset:896
	s_or_b64 exec, exec, s[36:37]
	s_and_saveexec_b64 s[34:35], s[30:31]
	s_cbranch_execz .LBB297_81
.LBB297_114:
	s_waitcnt vmcnt(0)
	v_mul_f32_e32 v3, 0x3fb8aa3b, v40
	s_mov_b32 s30, 0x3fb8aa3b
	v_rndne_f32_e32 v4, v3
	v_sub_f32_e32 v5, v3, v4
	v_fma_f32 v3, v40, s30, -v3
	v_fmac_f32_e32 v3, 0x32a5705f, v40
	v_add_f32_e32 v3, v5, v3
	v_exp_f32_e32 v3, v3
	v_cvt_i32_f32_e32 v4, v4
	s_mov_b32 s30, 0xc2ce8ed0
	v_cmp_ngt_f32_e64 s[30:31], s30, v40
	v_ldexp_f32 v3, v3, v4
	v_cndmask_b32_e64 v3, 0, v3, s[30:31]
	s_mov_b32 s30, 0x42b17218
	v_mov_b32_e32 v4, 0x7f800000
	v_cmp_nlt_f32_e64 s[30:31], s30, v40
	v_cndmask_b32_e64 v3, v4, v3, s[30:31]
	v_fma_mixlo_f16 v3, -v2, v3, v35
	global_store_short v[0:1], v3, off offset:960
	s_or_b64 exec, exec, s[34:35]
	s_and_saveexec_b64 s[30:31], s[28:29]
	s_cbranch_execz .LBB297_82
.LBB297_115:
	s_waitcnt vmcnt(0)
	v_mul_f32_e32 v3, 0x3fb8aa3b, v38
	s_mov_b32 s28, 0x3fb8aa3b
	v_rndne_f32_e32 v4, v3
	v_sub_f32_e32 v5, v3, v4
	v_fma_f32 v3, v38, s28, -v3
	v_fmac_f32_e32 v3, 0x32a5705f, v38
	v_add_f32_e32 v3, v5, v3
	v_exp_f32_e32 v3, v3
	v_cvt_i32_f32_e32 v4, v4
	s_mov_b32 s28, 0xc2ce8ed0
	v_cmp_ngt_f32_e64 s[28:29], s28, v38
	v_ldexp_f32 v3, v3, v4
	v_cndmask_b32_e64 v3, 0, v3, s[28:29]
	s_mov_b32 s28, 0x42b17218
	v_mov_b32_e32 v4, 0x7f800000
	v_cmp_nlt_f32_e64 s[28:29], s28, v38
	v_cndmask_b32_e64 v3, v4, v3, s[28:29]
	v_fma_mixlo_f16 v3, -v2, v3, v37
	global_store_short v[0:1], v3, off offset:1024
	s_or_b64 exec, exec, s[30:31]
	s_and_saveexec_b64 s[28:29], s[26:27]
	s_cbranch_execz .LBB297_83
.LBB297_116:
	s_waitcnt vmcnt(0)
	v_mul_f32_e32 v3, 0x3fb8aa3b, v36
	s_mov_b32 s26, 0x3fb8aa3b
	v_rndne_f32_e32 v4, v3
	v_sub_f32_e32 v5, v3, v4
	v_fma_f32 v3, v36, s26, -v3
	v_fmac_f32_e32 v3, 0x32a5705f, v36
	v_add_f32_e32 v3, v5, v3
	v_exp_f32_e32 v3, v3
	v_cvt_i32_f32_e32 v4, v4
	s_mov_b32 s26, 0xc2ce8ed0
	v_cmp_ngt_f32_e64 s[26:27], s26, v36
	v_ldexp_f32 v3, v3, v4
	v_cndmask_b32_e64 v3, 0, v3, s[26:27]
	s_mov_b32 s26, 0x42b17218
	v_mov_b32_e32 v4, 0x7f800000
	v_cmp_nlt_f32_e64 s[26:27], s26, v36
	v_cndmask_b32_e64 v3, v4, v3, s[26:27]
	v_fma_mixlo_f16 v3, -v2, v3, v31
	global_store_short v[0:1], v3, off offset:1088
	s_or_b64 exec, exec, s[28:29]
	s_and_saveexec_b64 s[26:27], s[24:25]
	s_cbranch_execz .LBB297_84
.LBB297_117:
	s_waitcnt vmcnt(0)
	v_mul_f32_e32 v3, 0x3fb8aa3b, v34
	s_mov_b32 s24, 0x3fb8aa3b
	v_rndne_f32_e32 v4, v3
	v_sub_f32_e32 v5, v3, v4
	v_fma_f32 v3, v34, s24, -v3
	v_fmac_f32_e32 v3, 0x32a5705f, v34
	v_add_f32_e32 v3, v5, v3
	v_exp_f32_e32 v3, v3
	v_cvt_i32_f32_e32 v4, v4
	s_mov_b32 s24, 0xc2ce8ed0
	v_cmp_ngt_f32_e64 s[24:25], s24, v34
	v_ldexp_f32 v3, v3, v4
	v_cndmask_b32_e64 v3, 0, v3, s[24:25]
	s_mov_b32 s24, 0x42b17218
	v_mov_b32_e32 v4, 0x7f800000
	v_cmp_nlt_f32_e64 s[24:25], s24, v34
	v_cndmask_b32_e64 v3, v4, v3, s[24:25]
	v_fma_mixlo_f16 v3, -v2, v3, v33
	global_store_short v[0:1], v3, off offset:1152
	s_or_b64 exec, exec, s[26:27]
	s_and_saveexec_b64 s[24:25], s[22:23]
	s_cbranch_execz .LBB297_85
.LBB297_118:
	s_waitcnt vmcnt(0)
	v_mul_f32_e32 v3, 0x3fb8aa3b, v32
	s_mov_b32 s22, 0x3fb8aa3b
	v_rndne_f32_e32 v4, v3
	v_sub_f32_e32 v5, v3, v4
	v_fma_f32 v3, v32, s22, -v3
	v_fmac_f32_e32 v3, 0x32a5705f, v32
	v_add_f32_e32 v3, v5, v3
	v_exp_f32_e32 v3, v3
	v_cvt_i32_f32_e32 v4, v4
	s_mov_b32 s22, 0xc2ce8ed0
	v_cmp_ngt_f32_e64 s[22:23], s22, v32
	v_ldexp_f32 v3, v3, v4
	v_cndmask_b32_e64 v3, 0, v3, s[22:23]
	s_mov_b32 s22, 0x42b17218
	v_mov_b32_e32 v4, 0x7f800000
	v_cmp_nlt_f32_e64 s[22:23], s22, v32
	v_cndmask_b32_e64 v3, v4, v3, s[22:23]
	v_fma_mixlo_f16 v3, -v2, v3, v27
	global_store_short v[0:1], v3, off offset:1216
	s_or_b64 exec, exec, s[24:25]
	s_and_saveexec_b64 s[22:23], s[20:21]
	s_cbranch_execz .LBB297_86
.LBB297_119:
	s_waitcnt vmcnt(0)
	v_mul_f32_e32 v3, 0x3fb8aa3b, v30
	s_mov_b32 s20, 0x3fb8aa3b
	v_rndne_f32_e32 v4, v3
	v_sub_f32_e32 v5, v3, v4
	v_fma_f32 v3, v30, s20, -v3
	v_fmac_f32_e32 v3, 0x32a5705f, v30
	v_add_f32_e32 v3, v5, v3
	v_exp_f32_e32 v3, v3
	v_cvt_i32_f32_e32 v4, v4
	s_mov_b32 s20, 0xc2ce8ed0
	v_cmp_ngt_f32_e64 s[20:21], s20, v30
	v_ldexp_f32 v3, v3, v4
	v_cndmask_b32_e64 v3, 0, v3, s[20:21]
	s_mov_b32 s20, 0x42b17218
	v_mov_b32_e32 v4, 0x7f800000
	v_cmp_nlt_f32_e64 s[20:21], s20, v30
	v_cndmask_b32_e64 v3, v4, v3, s[20:21]
	v_fma_mixlo_f16 v3, -v2, v3, v29
	global_store_short v[0:1], v3, off offset:1280
	s_or_b64 exec, exec, s[22:23]
	s_and_saveexec_b64 s[20:21], s[18:19]
	s_cbranch_execz .LBB297_87
.LBB297_120:
	s_waitcnt vmcnt(0)
	v_mul_f32_e32 v3, 0x3fb8aa3b, v28
	s_mov_b32 s18, 0x3fb8aa3b
	v_rndne_f32_e32 v4, v3
	v_sub_f32_e32 v5, v3, v4
	v_fma_f32 v3, v28, s18, -v3
	v_fmac_f32_e32 v3, 0x32a5705f, v28
	v_add_f32_e32 v3, v5, v3
	v_exp_f32_e32 v3, v3
	v_cvt_i32_f32_e32 v4, v4
	s_mov_b32 s18, 0xc2ce8ed0
	v_cmp_ngt_f32_e64 s[18:19], s18, v28
	v_ldexp_f32 v3, v3, v4
	v_cndmask_b32_e64 v3, 0, v3, s[18:19]
	s_mov_b32 s18, 0x42b17218
	v_mov_b32_e32 v4, 0x7f800000
	v_cmp_nlt_f32_e64 s[18:19], s18, v28
	v_cndmask_b32_e64 v3, v4, v3, s[18:19]
	v_fma_mixlo_f16 v3, -v2, v3, v23
	global_store_short v[0:1], v3, off offset:1344
	s_or_b64 exec, exec, s[20:21]
	s_and_saveexec_b64 s[18:19], s[16:17]
	s_cbranch_execz .LBB297_88
.LBB297_121:
	s_waitcnt vmcnt(0)
	v_mul_f32_e32 v3, 0x3fb8aa3b, v26
	s_mov_b32 s16, 0x3fb8aa3b
	v_rndne_f32_e32 v4, v3
	v_sub_f32_e32 v5, v3, v4
	v_fma_f32 v3, v26, s16, -v3
	v_fmac_f32_e32 v3, 0x32a5705f, v26
	v_add_f32_e32 v3, v5, v3
	v_exp_f32_e32 v3, v3
	v_cvt_i32_f32_e32 v4, v4
	s_mov_b32 s16, 0xc2ce8ed0
	v_cmp_ngt_f32_e64 s[16:17], s16, v26
	v_ldexp_f32 v3, v3, v4
	v_cndmask_b32_e64 v3, 0, v3, s[16:17]
	s_mov_b32 s16, 0x42b17218
	v_mov_b32_e32 v4, 0x7f800000
	v_cmp_nlt_f32_e64 s[16:17], s16, v26
	v_cndmask_b32_e64 v3, v4, v3, s[16:17]
	v_fma_mixlo_f16 v3, -v2, v3, v25
	global_store_short v[0:1], v3, off offset:1408
	s_or_b64 exec, exec, s[18:19]
	s_and_saveexec_b64 s[16:17], s[14:15]
	s_cbranch_execz .LBB297_89
.LBB297_122:
	s_waitcnt vmcnt(0)
	v_mul_f32_e32 v3, 0x3fb8aa3b, v24
	s_mov_b32 s14, 0x3fb8aa3b
	v_rndne_f32_e32 v4, v3
	v_sub_f32_e32 v5, v3, v4
	v_fma_f32 v3, v24, s14, -v3
	v_fmac_f32_e32 v3, 0x32a5705f, v24
	v_add_f32_e32 v3, v5, v3
	v_exp_f32_e32 v3, v3
	v_cvt_i32_f32_e32 v4, v4
	s_mov_b32 s14, 0xc2ce8ed0
	v_cmp_ngt_f32_e64 s[14:15], s14, v24
	v_ldexp_f32 v3, v3, v4
	v_cndmask_b32_e64 v3, 0, v3, s[14:15]
	s_mov_b32 s14, 0x42b17218
	v_mov_b32_e32 v4, 0x7f800000
	v_cmp_nlt_f32_e64 s[14:15], s14, v24
	v_cndmask_b32_e64 v3, v4, v3, s[14:15]
	v_fma_mixlo_f16 v3, -v2, v3, v19
	global_store_short v[0:1], v3, off offset:1472
	s_or_b64 exec, exec, s[16:17]
	s_and_saveexec_b64 s[14:15], s[12:13]
	s_cbranch_execz .LBB297_90
.LBB297_123:
	s_waitcnt vmcnt(0)
	v_mul_f32_e32 v3, 0x3fb8aa3b, v22
	s_mov_b32 s12, 0x3fb8aa3b
	v_rndne_f32_e32 v4, v3
	v_sub_f32_e32 v5, v3, v4
	v_fma_f32 v3, v22, s12, -v3
	v_fmac_f32_e32 v3, 0x32a5705f, v22
	v_add_f32_e32 v3, v5, v3
	v_exp_f32_e32 v3, v3
	v_cvt_i32_f32_e32 v4, v4
	s_mov_b32 s12, 0xc2ce8ed0
	v_cmp_ngt_f32_e64 s[12:13], s12, v22
	v_ldexp_f32 v3, v3, v4
	v_cndmask_b32_e64 v3, 0, v3, s[12:13]
	s_mov_b32 s12, 0x42b17218
	v_mov_b32_e32 v4, 0x7f800000
	v_cmp_nlt_f32_e64 s[12:13], s12, v22
	v_cndmask_b32_e64 v3, v4, v3, s[12:13]
	v_fma_mixlo_f16 v3, -v2, v3, v21
	global_store_short v[0:1], v3, off offset:1536
	s_or_b64 exec, exec, s[14:15]
	s_and_saveexec_b64 s[12:13], s[10:11]
	s_cbranch_execz .LBB297_91
.LBB297_124:
	s_waitcnt vmcnt(0)
	v_mul_f32_e32 v3, 0x3fb8aa3b, v20
	s_mov_b32 s10, 0x3fb8aa3b
	v_rndne_f32_e32 v4, v3
	v_sub_f32_e32 v5, v3, v4
	v_fma_f32 v3, v20, s10, -v3
	v_fmac_f32_e32 v3, 0x32a5705f, v20
	v_add_f32_e32 v3, v5, v3
	v_exp_f32_e32 v3, v3
	v_cvt_i32_f32_e32 v4, v4
	s_mov_b32 s10, 0xc2ce8ed0
	v_cmp_ngt_f32_e64 s[10:11], s10, v20
	v_ldexp_f32 v3, v3, v4
	v_cndmask_b32_e64 v3, 0, v3, s[10:11]
	s_mov_b32 s10, 0x42b17218
	v_mov_b32_e32 v4, 0x7f800000
	v_cmp_nlt_f32_e64 s[10:11], s10, v20
	v_cndmask_b32_e64 v3, v4, v3, s[10:11]
	v_fma_mixlo_f16 v3, -v2, v3, v15
	global_store_short v[0:1], v3, off offset:1600
	s_or_b64 exec, exec, s[12:13]
	s_and_saveexec_b64 s[10:11], s[8:9]
	s_cbranch_execz .LBB297_92
.LBB297_125:
	s_waitcnt vmcnt(0)
	v_mul_f32_e32 v3, 0x3fb8aa3b, v18
	s_mov_b32 s8, 0x3fb8aa3b
	v_rndne_f32_e32 v4, v3
	v_sub_f32_e32 v5, v3, v4
	v_fma_f32 v3, v18, s8, -v3
	v_fmac_f32_e32 v3, 0x32a5705f, v18
	v_add_f32_e32 v3, v5, v3
	v_exp_f32_e32 v3, v3
	v_cvt_i32_f32_e32 v4, v4
	s_mov_b32 s8, 0xc2ce8ed0
	v_cmp_ngt_f32_e64 s[8:9], s8, v18
	v_ldexp_f32 v3, v3, v4
	v_cndmask_b32_e64 v3, 0, v3, s[8:9]
	s_mov_b32 s8, 0x42b17218
	v_mov_b32_e32 v4, 0x7f800000
	v_cmp_nlt_f32_e64 s[8:9], s8, v18
	v_cndmask_b32_e64 v3, v4, v3, s[8:9]
	v_fma_mixlo_f16 v3, -v2, v3, v17
	global_store_short v[0:1], v3, off offset:1664
	s_or_b64 exec, exec, s[10:11]
	s_and_saveexec_b64 s[8:9], s[6:7]
	s_cbranch_execz .LBB297_93
.LBB297_126:
	s_waitcnt vmcnt(0)
	v_mul_f32_e32 v3, 0x3fb8aa3b, v16
	s_mov_b32 s6, 0x3fb8aa3b
	v_rndne_f32_e32 v4, v3
	v_sub_f32_e32 v5, v3, v4
	v_fma_f32 v3, v16, s6, -v3
	v_fmac_f32_e32 v3, 0x32a5705f, v16
	v_add_f32_e32 v3, v5, v3
	v_exp_f32_e32 v3, v3
	v_cvt_i32_f32_e32 v4, v4
	s_mov_b32 s6, 0xc2ce8ed0
	v_cmp_ngt_f32_e64 s[6:7], s6, v16
	v_ldexp_f32 v3, v3, v4
	v_cndmask_b32_e64 v3, 0, v3, s[6:7]
	s_mov_b32 s6, 0x42b17218
	v_mov_b32_e32 v4, 0x7f800000
	v_cmp_nlt_f32_e64 s[6:7], s6, v16
	v_cndmask_b32_e64 v3, v4, v3, s[6:7]
	v_fma_mixlo_f16 v3, -v2, v3, v11
	global_store_short v[0:1], v3, off offset:1728
	s_or_b64 exec, exec, s[8:9]
	s_and_saveexec_b64 s[6:7], s[4:5]
	s_cbranch_execz .LBB297_94
.LBB297_127:
	s_waitcnt vmcnt(0)
	v_mul_f32_e32 v3, 0x3fb8aa3b, v14
	s_mov_b32 s4, 0x3fb8aa3b
	v_rndne_f32_e32 v4, v3
	v_sub_f32_e32 v5, v3, v4
	v_fma_f32 v3, v14, s4, -v3
	v_fmac_f32_e32 v3, 0x32a5705f, v14
	v_add_f32_e32 v3, v5, v3
	v_exp_f32_e32 v3, v3
	v_cvt_i32_f32_e32 v4, v4
	s_mov_b32 s4, 0xc2ce8ed0
	v_cmp_ngt_f32_e64 s[4:5], s4, v14
	v_ldexp_f32 v3, v3, v4
	v_cndmask_b32_e64 v3, 0, v3, s[4:5]
	s_mov_b32 s4, 0x42b17218
	v_mov_b32_e32 v4, 0x7f800000
	v_cmp_nlt_f32_e64 s[4:5], s4, v14
	v_cndmask_b32_e64 v3, v4, v3, s[4:5]
	v_fma_mixlo_f16 v3, -v2, v3, v13
	global_store_short v[0:1], v3, off offset:1792
	s_or_b64 exec, exec, s[6:7]
	s_and_saveexec_b64 s[4:5], s[2:3]
	s_cbranch_execz .LBB297_95
.LBB297_128:
	s_waitcnt vmcnt(0)
	v_mul_f32_e32 v3, 0x3fb8aa3b, v12
	s_mov_b32 s2, 0x3fb8aa3b
	v_rndne_f32_e32 v4, v3
	v_sub_f32_e32 v5, v3, v4
	v_fma_f32 v3, v12, s2, -v3
	v_fmac_f32_e32 v3, 0x32a5705f, v12
	v_add_f32_e32 v3, v5, v3
	v_exp_f32_e32 v3, v3
	v_cvt_i32_f32_e32 v4, v4
	s_mov_b32 s2, 0xc2ce8ed0
	v_cmp_ngt_f32_e64 s[2:3], s2, v12
	v_ldexp_f32 v3, v3, v4
	v_cndmask_b32_e64 v3, 0, v3, s[2:3]
	s_mov_b32 s2, 0x42b17218
	v_mov_b32_e32 v4, 0x7f800000
	v_cmp_nlt_f32_e64 s[2:3], s2, v12
	v_cndmask_b32_e64 v3, v4, v3, s[2:3]
	v_fma_mixlo_f16 v3, -v2, v3, v7
	global_store_short v[0:1], v3, off offset:1856
	s_or_b64 exec, exec, s[4:5]
	s_and_saveexec_b64 s[2:3], s[0:1]
	s_cbranch_execz .LBB297_96
.LBB297_129:
	s_waitcnt vmcnt(0)
	v_mul_f32_e32 v3, 0x3fb8aa3b, v10
	s_mov_b32 s0, 0x3fb8aa3b
	v_rndne_f32_e32 v4, v3
	v_sub_f32_e32 v5, v3, v4
	v_fma_f32 v3, v10, s0, -v3
	v_fmac_f32_e32 v3, 0x32a5705f, v10
	v_add_f32_e32 v3, v5, v3
	v_exp_f32_e32 v3, v3
	v_cvt_i32_f32_e32 v4, v4
	s_mov_b32 s0, 0xc2ce8ed0
	v_cmp_ngt_f32_e64 s[0:1], s0, v10
	v_ldexp_f32 v3, v3, v4
	v_cndmask_b32_e64 v3, 0, v3, s[0:1]
	s_mov_b32 s0, 0x42b17218
	v_mov_b32_e32 v4, 0x7f800000
	v_cmp_nlt_f32_e64 s[0:1], s0, v10
	v_cndmask_b32_e64 v3, v4, v3, s[0:1]
	v_fma_mixlo_f16 v3, -v2, v3, v9
	global_store_short v[0:1], v3, off offset:1920
	s_or_b64 exec, exec, s[2:3]
	s_and_b64 exec, exec, vcc
	s_cbranch_execnz .LBB297_97
	s_branch .LBB297_98
	.section	.rodata,"a",@progbits
	.p2align	6, 0x0
	.amdhsa_kernel _ZN12_GLOBAL__N_121softmax_warp_backwardIfN3c104HalfEfLi10ELb1ELb0ELi32EEEvPT0_PKT_S7_iiiPKb
		.amdhsa_group_segment_fixed_size 0
		.amdhsa_private_segment_fixed_size 0
		.amdhsa_kernarg_size 304
		.amdhsa_user_sgpr_count 6
		.amdhsa_user_sgpr_private_segment_buffer 1
		.amdhsa_user_sgpr_dispatch_ptr 0
		.amdhsa_user_sgpr_queue_ptr 0
		.amdhsa_user_sgpr_kernarg_segment_ptr 1
		.amdhsa_user_sgpr_dispatch_id 0
		.amdhsa_user_sgpr_flat_scratch_init 0
		.amdhsa_user_sgpr_kernarg_preload_length 0
		.amdhsa_user_sgpr_kernarg_preload_offset 0
		.amdhsa_user_sgpr_private_segment_size 0
		.amdhsa_uses_dynamic_stack 0
		.amdhsa_system_sgpr_private_segment_wavefront_offset 0
		.amdhsa_system_sgpr_workgroup_id_x 1
		.amdhsa_system_sgpr_workgroup_id_y 0
		.amdhsa_system_sgpr_workgroup_id_z 0
		.amdhsa_system_sgpr_workgroup_info 0
		.amdhsa_system_vgpr_workitem_id 1
		.amdhsa_next_free_vgpr 71
		.amdhsa_next_free_sgpr 74
		.amdhsa_accum_offset 72
		.amdhsa_reserve_vcc 1
		.amdhsa_reserve_flat_scratch 0
		.amdhsa_float_round_mode_32 0
		.amdhsa_float_round_mode_16_64 0
		.amdhsa_float_denorm_mode_32 3
		.amdhsa_float_denorm_mode_16_64 3
		.amdhsa_dx10_clamp 1
		.amdhsa_ieee_mode 1
		.amdhsa_fp16_overflow 0
		.amdhsa_tg_split 0
		.amdhsa_exception_fp_ieee_invalid_op 0
		.amdhsa_exception_fp_denorm_src 0
		.amdhsa_exception_fp_ieee_div_zero 0
		.amdhsa_exception_fp_ieee_overflow 0
		.amdhsa_exception_fp_ieee_underflow 0
		.amdhsa_exception_fp_ieee_inexact 0
		.amdhsa_exception_int_div_zero 0
	.end_amdhsa_kernel
	.section	.text._ZN12_GLOBAL__N_121softmax_warp_backwardIfN3c104HalfEfLi10ELb1ELb0ELi32EEEvPT0_PKT_S7_iiiPKb,"axG",@progbits,_ZN12_GLOBAL__N_121softmax_warp_backwardIfN3c104HalfEfLi10ELb1ELb0ELi32EEEvPT0_PKT_S7_iiiPKb,comdat
.Lfunc_end297:
	.size	_ZN12_GLOBAL__N_121softmax_warp_backwardIfN3c104HalfEfLi10ELb1ELb0ELi32EEEvPT0_PKT_S7_iiiPKb, .Lfunc_end297-_ZN12_GLOBAL__N_121softmax_warp_backwardIfN3c104HalfEfLi10ELb1ELb0ELi32EEEvPT0_PKT_S7_iiiPKb
                                        ; -- End function
	.section	.AMDGPU.csdata,"",@progbits
; Kernel info:
; codeLenInByte = 7396
; NumSgprs: 78
; NumVgprs: 71
; NumAgprs: 0
; TotalNumVgprs: 71
; ScratchSize: 0
; MemoryBound: 0
; FloatMode: 240
; IeeeMode: 1
; LDSByteSize: 0 bytes/workgroup (compile time only)
; SGPRBlocks: 9
; VGPRBlocks: 8
; NumSGPRsForWavesPerEU: 78
; NumVGPRsForWavesPerEU: 71
; AccumOffset: 72
; Occupancy: 7
; WaveLimiterHint : 0
; COMPUTE_PGM_RSRC2:SCRATCH_EN: 0
; COMPUTE_PGM_RSRC2:USER_SGPR: 6
; COMPUTE_PGM_RSRC2:TRAP_HANDLER: 0
; COMPUTE_PGM_RSRC2:TGID_X_EN: 1
; COMPUTE_PGM_RSRC2:TGID_Y_EN: 0
; COMPUTE_PGM_RSRC2:TGID_Z_EN: 0
; COMPUTE_PGM_RSRC2:TIDIG_COMP_CNT: 1
; COMPUTE_PGM_RSRC3_GFX90A:ACCUM_OFFSET: 17
; COMPUTE_PGM_RSRC3_GFX90A:TG_SPLIT: 0
	.section	.text._ZN2at6native12_GLOBAL__N_124cunn_SoftMaxBackwardSmemILi4EN3c104HalfEffNS1_26LogSoftMaxBackwardEpilogueEEEvPT0_PKT2_SA_l,"axG",@progbits,_ZN2at6native12_GLOBAL__N_124cunn_SoftMaxBackwardSmemILi4EN3c104HalfEffNS1_26LogSoftMaxBackwardEpilogueEEEvPT0_PKT2_SA_l,comdat
	.globl	_ZN2at6native12_GLOBAL__N_124cunn_SoftMaxBackwardSmemILi4EN3c104HalfEffNS1_26LogSoftMaxBackwardEpilogueEEEvPT0_PKT2_SA_l ; -- Begin function _ZN2at6native12_GLOBAL__N_124cunn_SoftMaxBackwardSmemILi4EN3c104HalfEffNS1_26LogSoftMaxBackwardEpilogueEEEvPT0_PKT2_SA_l
	.p2align	8
	.type	_ZN2at6native12_GLOBAL__N_124cunn_SoftMaxBackwardSmemILi4EN3c104HalfEffNS1_26LogSoftMaxBackwardEpilogueEEEvPT0_PKT2_SA_l,@function
_ZN2at6native12_GLOBAL__N_124cunn_SoftMaxBackwardSmemILi4EN3c104HalfEffNS1_26LogSoftMaxBackwardEpilogueEEEvPT0_PKT2_SA_l: ; @_ZN2at6native12_GLOBAL__N_124cunn_SoftMaxBackwardSmemILi4EN3c104HalfEffNS1_26LogSoftMaxBackwardEpilogueEEEvPT0_PKT2_SA_l
; %bb.0:
	s_load_dwordx8 s[8:15], s[4:5], 0x0
	v_lshlrev_b32_e32 v2, 2, v0
	v_mov_b32_e32 v3, 0
	v_lshl_add_u32 v16, v0, 4, 0
	s_waitcnt lgkmcnt(0)
	s_mul_i32 s0, s6, s15
	s_mul_hi_u32 s1, s6, s14
	s_mul_i32 s2, s6, s14
	s_add_i32 s3, s1, s0
	v_cmp_gt_i64_e32 vcc, s[14:15], v[2:3]
	s_and_saveexec_b64 s[6:7], vcc
	s_cbranch_execz .LBB298_4
; %bb.1:
	s_load_dword s17, s[4:5], 0x2c
	s_lshl_b64 s[0:1], s[2:3], 2
	s_add_u32 s16, s12, s0
	s_addc_u32 s0, s13, s1
	v_lshl_add_u32 v1, v0, 4, 0
	s_waitcnt lgkmcnt(0)
	s_and_b32 s17, s17, 0xffff
	v_add_lshl_u32 v4, v0, s17, 2
	s_lshl_b32 s18, s17, 2
	s_lshl_b32 s19, s17, 4
	s_mov_b64 s[12:13], 0
	v_mov_b32_e32 v3, 0
	v_mov_b32_e32 v2, s0
	;; [unrolled: 1-line block ×3, first 2 shown]
.LBB298_2:                              ; =>This Inner Loop Header: Depth=1
	v_ashrrev_i32_e32 v7, 31, v6
	v_lshlrev_b64 v[8:9], 4, v[6:7]
	v_add_co_u32_e64 v8, s[0:1], s16, v8
	v_addc_co_u32_e64 v9, s[0:1], v2, v9, s[0:1]
	global_load_dwordx4 v[8:11], v[8:9], off
	v_ashrrev_i32_e32 v5, 31, v4
	v_cmp_le_i64_e64 s[0:1], s[14:15], v[4:5]
	v_add_u32_e32 v6, s17, v6
	v_add_u32_e32 v4, s18, v4
	s_or_b64 s[12:13], s[0:1], s[12:13]
	s_waitcnt vmcnt(0)
	v_add_f32_e32 v3, v3, v8
	v_add_f32_e32 v3, v3, v9
	;; [unrolled: 1-line block ×3, first 2 shown]
	ds_write_b128 v1, v[8:11]
	v_add_u32_e32 v1, s19, v1
	v_add_f32_e32 v3, v3, v11
	s_andn2_b64 exec, exec, s[12:13]
	s_cbranch_execnz .LBB298_2
; %bb.3:
	s_or_b64 exec, exec, s[12:13]
.LBB298_4:
	s_or_b64 exec, exec, s[6:7]
	v_mbcnt_lo_u32_b32 v1, -1, 0
	v_mbcnt_hi_u32_b32 v6, -1, v1
	v_and_b32_e32 v9, 63, v6
	v_cmp_gt_u32_e64 s[0:1], 32, v9
	v_cndmask_b32_e64 v1, 0, 1, s[0:1]
	v_lshlrev_b32_e32 v1, 5, v1
	v_add_lshl_u32 v1, v1, v6, 2
	ds_bpermute_b32 v2, v1, v3
	v_cmp_gt_u32_e64 s[0:1], 48, v9
	v_cndmask_b32_e64 v4, 0, 1, s[0:1]
	v_lshlrev_b32_e32 v4, 4, v4
	v_cmp_gt_u32_e64 s[0:1], 56, v9
	s_waitcnt lgkmcnt(0)
	v_add_f32_e32 v3, v3, v2
	v_add_lshl_u32 v2, v4, v6, 2
	ds_bpermute_b32 v4, v2, v3
	v_cndmask_b32_e64 v5, 0, 1, s[0:1]
	v_lshlrev_b32_e32 v5, 3, v5
	v_cmp_gt_u32_e64 s[0:1], 60, v9
	v_cndmask_b32_e64 v7, 0, 1, s[0:1]
	s_waitcnt lgkmcnt(0)
	v_add_f32_e32 v4, v3, v4
	v_add_lshl_u32 v3, v5, v6, 2
	ds_bpermute_b32 v5, v3, v4
	v_lshlrev_b32_e32 v7, 2, v7
	v_cmp_gt_u32_e64 s[0:1], 62, v9
	v_cndmask_b32_e64 v8, 0, 1, s[0:1]
	v_lshlrev_b32_e32 v8, 1, v8
	s_waitcnt lgkmcnt(0)
	v_add_f32_e32 v5, v4, v5
	v_add_lshl_u32 v4, v7, v6, 2
	ds_bpermute_b32 v7, v4, v5
	s_lshl_b32 s0, s14, 2
	s_add_i32 s16, s0, 0
	v_cmp_ne_u32_e64 s[0:1], 63, v9
	s_waitcnt lgkmcnt(0)
	v_add_f32_e32 v10, v5, v7
	v_add_lshl_u32 v5, v8, v6, 2
	ds_bpermute_b32 v8, v5, v10
	v_addc_co_u32_e64 v6, s[0:1], 0, v6, s[0:1]
	v_lshlrev_b32_e32 v6, 2, v6
	v_and_b32_e32 v7, 63, v0
	s_waitcnt lgkmcnt(0)
	v_add_f32_e32 v8, v10, v8
	ds_bpermute_b32 v9, v6, v8
	v_cmp_eq_u32_e64 s[0:1], 0, v7
	s_barrier
	s_waitcnt lgkmcnt(0)
	s_and_saveexec_b64 s[6:7], s[0:1]
	s_cbranch_execz .LBB298_6
; %bb.5:
	v_lshrrev_b32_e32 v10, 4, v0
	v_add_u32_e32 v10, s16, v10
	v_add_f32_e32 v8, v8, v9
	ds_write_b32 v10, v8
.LBB298_6:
	s_or_b64 exec, exec, s[6:7]
	s_waitcnt lgkmcnt(0)
	s_barrier
	s_load_dword s6, s[4:5], 0x2c
	v_mov_b32_e32 v8, 0
	s_waitcnt lgkmcnt(0)
	s_bfe_u32 s0, s6, 0xa0006
	v_cmp_gt_u32_e64 s[0:1], s0, v0
	s_and_saveexec_b64 s[4:5], s[0:1]
	s_cbranch_execnz .LBB298_14
; %bb.7:
	s_or_b64 exec, exec, s[4:5]
	v_cmp_gt_u32_e64 s[0:1], 64, v0
	s_and_saveexec_b64 s[4:5], s[0:1]
	s_cbranch_execnz .LBB298_15
.LBB298_8:
	s_or_b64 exec, exec, s[4:5]
	v_cmp_eq_u32_e64 s[0:1], 0, v0
	s_and_saveexec_b64 s[4:5], s[0:1]
	s_cbranch_execz .LBB298_10
.LBB298_9:
	v_mov_b32_e32 v1, s16
	s_waitcnt lgkmcnt(0)
	ds_write_b32 v1, v8
.LBB298_10:
	s_or_b64 exec, exec, s[4:5]
	s_waitcnt lgkmcnt(0)
	s_barrier
	s_and_saveexec_b64 s[0:1], vcc
	s_cbranch_execz .LBB298_13
; %bb.11:
	v_mov_b32_e32 v1, s16
	ds_read_b32 v10, v1
	s_and_b32 s12, s6, 0xffff
	s_lshl_b64 s[0:1], s[2:3], 1
	s_add_u32 s13, s8, s0
	s_addc_u32 s4, s9, s1
	s_lshl_b64 s[0:1], s[2:3], 2
	s_add_u32 s16, s10, s0
	s_addc_u32 s0, s11, s1
	s_waitcnt lgkmcnt(0)
	v_xor_b32_e32 v14, 0x80000000, v10
	v_mov_b32_e32 v11, v10
	v_add_lshl_u32 v12, v0, s12, 2
	s_lshl_b32 s17, s12, 2
	s_lshl_b32 s18, s12, 4
	s_mov_b64 s[10:11], 0
	v_mov_b32_e32 v17, s0
	v_mov_b32_e32 v18, s4
	s_mov_b32 s19, 0x3fb8aa3b
	s_mov_b32 s20, 0xc2ce8ed0
	;; [unrolled: 1-line block ×3, first 2 shown]
	v_mov_b32_e32 v19, 0x7f800000
	v_mov_b32_e32 v15, v14
.LBB298_12:                             ; =>This Inner Loop Header: Depth=1
	v_ashrrev_i32_e32 v1, 31, v0
	v_lshlrev_b64 v[2:3], 4, v[0:1]
	v_add_co_u32_e32 v2, vcc, s16, v2
	v_addc_co_u32_e32 v3, vcc, v17, v3, vcc
	global_load_dwordx4 v[6:9], v[2:3], off
	v_ashrrev_i32_e32 v13, 31, v12
	v_lshlrev_b64 v[20:21], 3, v[0:1]
	v_cmp_le_i64_e32 vcc, s[14:15], v[12:13]
	ds_read_b128 v[2:5], v16
	v_add_co_u32_e64 v20, s[0:1], s13, v20
	v_add_u32_e32 v16, s18, v16
	v_add_u32_e32 v0, s12, v0
	;; [unrolled: 1-line block ×3, first 2 shown]
	v_addc_co_u32_e64 v21, s[0:1], v18, v21, s[0:1]
	s_or_b64 s[10:11], vcc, s[10:11]
	s_waitcnt vmcnt(0)
	v_mul_f32_e32 v1, 0x3fb8aa3b, v9
	v_mul_f32_e32 v13, 0x3fb8aa3b, v8
	;; [unrolled: 1-line block ×4, first 2 shown]
	v_fma_f32 v24, v9, s19, -v1
	v_rndne_f32_e32 v25, v1
	v_fma_f32 v26, v8, s19, -v13
	v_rndne_f32_e32 v27, v13
	;; [unrolled: 2-line block ×4, first 2 shown]
	v_fmac_f32_e32 v24, 0x32a5705f, v9
	v_sub_f32_e32 v1, v1, v25
	v_fmac_f32_e32 v26, 0x32a5705f, v8
	v_sub_f32_e32 v13, v13, v27
	;; [unrolled: 2-line block ×4, first 2 shown]
	v_add_f32_e32 v1, v1, v24
	v_add_f32_e32 v13, v13, v26
	;; [unrolled: 1-line block ×4, first 2 shown]
	v_cvt_i32_f32_e32 v25, v25
	v_cvt_i32_f32_e32 v27, v27
	;; [unrolled: 1-line block ×4, first 2 shown]
	v_exp_f32_e32 v1, v1
	v_exp_f32_e32 v13, v13
	;; [unrolled: 1-line block ×4, first 2 shown]
	v_ldexp_f32 v1, v1, v25
	v_ldexp_f32 v13, v13, v27
	v_cmp_ngt_f32_e64 s[2:3], s20, v8
	v_ldexp_f32 v22, v22, v29
	v_cmp_ngt_f32_e64 s[4:5], s20, v7
	;; [unrolled: 2-line block ×3, first 2 shown]
	v_cmp_ngt_f32_e64 s[8:9], s20, v9
	v_cndmask_b32_e64 v1, 0, v1, s[8:9]
	v_cndmask_b32_e64 v13, 0, v13, s[2:3]
	v_cmp_nlt_f32_e64 s[2:3], s21, v8
	v_cndmask_b32_e64 v8, 0, v22, s[4:5]
	v_cmp_nlt_f32_e64 s[4:5], s21, v7
	v_cndmask_b32_e64 v22, 0, v23, s[6:7]
	v_cmp_nlt_f32_e64 s[6:7], s21, v6
	v_cmp_nlt_f32_e64 s[8:9], s21, v9
	v_cndmask_b32_e64 v7, v19, v1, s[8:9]
	v_cndmask_b32_e64 v6, v19, v13, s[2:3]
	v_cndmask_b32_e64 v9, v19, v8, s[4:5]
	v_cndmask_b32_e64 v8, v19, v22, s[6:7]
	s_waitcnt lgkmcnt(0)
	v_pk_fma_f32 v[2:3], v[10:11], v[8:9], v[2:3] neg_lo:[1,0,0] neg_hi:[1,0,0]
	v_pk_fma_f32 v[4:5], v[14:15], v[6:7], v[4:5]
	v_cvt_f16_f32_e32 v1, v5
	v_cvt_f16_f32_e32 v4, v4
	;; [unrolled: 1-line block ×4, first 2 shown]
	v_pack_b32_f16 v3, v4, v1
	v_pack_b32_f16 v2, v2, v5
	global_store_dwordx2 v[20:21], v[2:3], off
	s_andn2_b64 exec, exec, s[10:11]
	s_cbranch_execnz .LBB298_12
.LBB298_13:
	s_endpgm
.LBB298_14:
	v_lshl_add_u32 v7, v7, 2, s16
	ds_read_b32 v8, v7
	s_or_b64 exec, exec, s[4:5]
	v_cmp_gt_u32_e64 s[0:1], 64, v0
	s_and_saveexec_b64 s[4:5], s[0:1]
	s_cbranch_execz .LBB298_8
.LBB298_15:
	s_waitcnt lgkmcnt(0)
	ds_bpermute_b32 v1, v1, v8
	s_waitcnt lgkmcnt(0)
	v_add_f32_e32 v1, v8, v1
	ds_bpermute_b32 v2, v2, v1
	s_waitcnt lgkmcnt(0)
	v_add_f32_e32 v1, v1, v2
	;; [unrolled: 3-line block ×6, first 2 shown]
	s_or_b64 exec, exec, s[4:5]
	v_cmp_eq_u32_e64 s[0:1], 0, v0
	s_and_saveexec_b64 s[4:5], s[0:1]
	s_cbranch_execnz .LBB298_9
	s_branch .LBB298_10
	.section	.rodata,"a",@progbits
	.p2align	6, 0x0
	.amdhsa_kernel _ZN2at6native12_GLOBAL__N_124cunn_SoftMaxBackwardSmemILi4EN3c104HalfEffNS1_26LogSoftMaxBackwardEpilogueEEEvPT0_PKT2_SA_l
		.amdhsa_group_segment_fixed_size 0
		.amdhsa_private_segment_fixed_size 0
		.amdhsa_kernarg_size 288
		.amdhsa_user_sgpr_count 6
		.amdhsa_user_sgpr_private_segment_buffer 1
		.amdhsa_user_sgpr_dispatch_ptr 0
		.amdhsa_user_sgpr_queue_ptr 0
		.amdhsa_user_sgpr_kernarg_segment_ptr 1
		.amdhsa_user_sgpr_dispatch_id 0
		.amdhsa_user_sgpr_flat_scratch_init 0
		.amdhsa_user_sgpr_kernarg_preload_length 0
		.amdhsa_user_sgpr_kernarg_preload_offset 0
		.amdhsa_user_sgpr_private_segment_size 0
		.amdhsa_uses_dynamic_stack 0
		.amdhsa_system_sgpr_private_segment_wavefront_offset 0
		.amdhsa_system_sgpr_workgroup_id_x 1
		.amdhsa_system_sgpr_workgroup_id_y 0
		.amdhsa_system_sgpr_workgroup_id_z 0
		.amdhsa_system_sgpr_workgroup_info 0
		.amdhsa_system_vgpr_workitem_id 0
		.amdhsa_next_free_vgpr 32
		.amdhsa_next_free_sgpr 22
		.amdhsa_accum_offset 32
		.amdhsa_reserve_vcc 1
		.amdhsa_reserve_flat_scratch 0
		.amdhsa_float_round_mode_32 0
		.amdhsa_float_round_mode_16_64 0
		.amdhsa_float_denorm_mode_32 3
		.amdhsa_float_denorm_mode_16_64 3
		.amdhsa_dx10_clamp 1
		.amdhsa_ieee_mode 1
		.amdhsa_fp16_overflow 0
		.amdhsa_tg_split 0
		.amdhsa_exception_fp_ieee_invalid_op 0
		.amdhsa_exception_fp_denorm_src 0
		.amdhsa_exception_fp_ieee_div_zero 0
		.amdhsa_exception_fp_ieee_overflow 0
		.amdhsa_exception_fp_ieee_underflow 0
		.amdhsa_exception_fp_ieee_inexact 0
		.amdhsa_exception_int_div_zero 0
	.end_amdhsa_kernel
	.section	.text._ZN2at6native12_GLOBAL__N_124cunn_SoftMaxBackwardSmemILi4EN3c104HalfEffNS1_26LogSoftMaxBackwardEpilogueEEEvPT0_PKT2_SA_l,"axG",@progbits,_ZN2at6native12_GLOBAL__N_124cunn_SoftMaxBackwardSmemILi4EN3c104HalfEffNS1_26LogSoftMaxBackwardEpilogueEEEvPT0_PKT2_SA_l,comdat
.Lfunc_end298:
	.size	_ZN2at6native12_GLOBAL__N_124cunn_SoftMaxBackwardSmemILi4EN3c104HalfEffNS1_26LogSoftMaxBackwardEpilogueEEEvPT0_PKT2_SA_l, .Lfunc_end298-_ZN2at6native12_GLOBAL__N_124cunn_SoftMaxBackwardSmemILi4EN3c104HalfEffNS1_26LogSoftMaxBackwardEpilogueEEEvPT0_PKT2_SA_l
                                        ; -- End function
	.section	.AMDGPU.csdata,"",@progbits
; Kernel info:
; codeLenInByte = 1468
; NumSgprs: 26
; NumVgprs: 32
; NumAgprs: 0
; TotalNumVgprs: 32
; ScratchSize: 0
; MemoryBound: 0
; FloatMode: 240
; IeeeMode: 1
; LDSByteSize: 0 bytes/workgroup (compile time only)
; SGPRBlocks: 3
; VGPRBlocks: 3
; NumSGPRsForWavesPerEU: 26
; NumVGPRsForWavesPerEU: 32
; AccumOffset: 32
; Occupancy: 8
; WaveLimiterHint : 0
; COMPUTE_PGM_RSRC2:SCRATCH_EN: 0
; COMPUTE_PGM_RSRC2:USER_SGPR: 6
; COMPUTE_PGM_RSRC2:TRAP_HANDLER: 0
; COMPUTE_PGM_RSRC2:TGID_X_EN: 1
; COMPUTE_PGM_RSRC2:TGID_Y_EN: 0
; COMPUTE_PGM_RSRC2:TGID_Z_EN: 0
; COMPUTE_PGM_RSRC2:TIDIG_COMP_CNT: 0
; COMPUTE_PGM_RSRC3_GFX90A:ACCUM_OFFSET: 7
; COMPUTE_PGM_RSRC3_GFX90A:TG_SPLIT: 0
	.section	.text._ZN2at6native12_GLOBAL__N_120cunn_SoftMaxBackwardILi4EN3c104HalfEffNS1_26LogSoftMaxBackwardEpilogueEEEvPT0_PKT2_SA_l,"axG",@progbits,_ZN2at6native12_GLOBAL__N_120cunn_SoftMaxBackwardILi4EN3c104HalfEffNS1_26LogSoftMaxBackwardEpilogueEEEvPT0_PKT2_SA_l,comdat
	.globl	_ZN2at6native12_GLOBAL__N_120cunn_SoftMaxBackwardILi4EN3c104HalfEffNS1_26LogSoftMaxBackwardEpilogueEEEvPT0_PKT2_SA_l ; -- Begin function _ZN2at6native12_GLOBAL__N_120cunn_SoftMaxBackwardILi4EN3c104HalfEffNS1_26LogSoftMaxBackwardEpilogueEEEvPT0_PKT2_SA_l
	.p2align	8
	.type	_ZN2at6native12_GLOBAL__N_120cunn_SoftMaxBackwardILi4EN3c104HalfEffNS1_26LogSoftMaxBackwardEpilogueEEEvPT0_PKT2_SA_l,@function
_ZN2at6native12_GLOBAL__N_120cunn_SoftMaxBackwardILi4EN3c104HalfEffNS1_26LogSoftMaxBackwardEpilogueEEEvPT0_PKT2_SA_l: ; @_ZN2at6native12_GLOBAL__N_120cunn_SoftMaxBackwardILi4EN3c104HalfEffNS1_26LogSoftMaxBackwardEpilogueEEEvPT0_PKT2_SA_l
; %bb.0:
	s_load_dwordx8 s[20:27], s[4:5], 0x0
	v_mov_b32_e32 v2, 0x7ffffffe
	v_mov_b32_e32 v3, 0
	s_mov_b32 s11, 0
	s_waitcnt lgkmcnt(0)
	s_mul_i32 s0, s6, s27
	s_mul_hi_u32 s1, s6, s26
	s_mul_i32 s8, s6, s26
	s_add_i32 s9, s1, s0
	s_lshl_b64 s[42:43], s[8:9], 2
	s_add_u32 s18, s24, s42
	s_addc_u32 s19, s25, s43
	s_bfe_u32 s10, s18, 0x20002
	v_cmp_gt_i64_e64 s[0:1], s[26:27], v[2:3]
	s_cmp_lg_u32 s10, 0
	s_cselect_b64 s[2:3], -1, 0
	s_and_b64 vcc, exec, s[0:1]
	s_cbranch_vccz .LBB299_16
; %bb.1:
	v_mov_b32_e32 v1, 0
	s_and_b64 vcc, exec, s[2:3]
	s_cbranch_vccz .LBB299_39
; %bb.2:
	s_lshl_b32 s7, s10, 2
	s_sub_u32 s14, s18, s7
	s_subb_u32 s15, s19, 0
	v_cmp_le_u64_e32 vcc, s[10:11], v[0:1]
	v_mov_b32_e32 v8, v1
	s_and_saveexec_b64 s[12:13], vcc
	s_cbranch_execz .LBB299_4
; %bb.3:
	v_lshlrev_b32_e32 v2, 2, v0
	global_load_dword v2, v2, s[14:15]
	s_waitcnt vmcnt(0)
	v_add_f32_e32 v8, 0, v2
.LBB299_4:
	s_or_b64 exec, exec, s[12:13]
	s_load_dword s7, s[4:5], 0x2c
	s_add_u32 s12, s10, s26
	s_addc_u32 s13, 0, s27
	s_add_u32 s16, s4, 32
	s_addc_u32 s17, s5, 0
	s_waitcnt lgkmcnt(0)
	s_and_b32 s7, s7, 0xffff
	s_sub_u32 s12, s12, s7
	s_subb_u32 s13, s13, 0
	s_lshl_b32 s7, s7, 2
	s_add_u32 s14, s14, s7
	s_addc_u32 s15, s15, 0
	s_branch .LBB299_6
.LBB299_5:
	s_add_u32 s16, s4, 32
	s_addc_u32 s17, s5, 0
	v_mov_b32_e32 v8, 0
	s_mov_b64 s[12:13], s[26:27]
	s_mov_b64 s[14:15], s[18:19]
.LBB299_6:
	s_load_dword s7, s[16:17], 0x0
	v_mov_b32_e32 v2, 0
	s_waitcnt lgkmcnt(0)
	s_cmp_lt_u32 s6, s7
	s_cselect_b32 s7, 12, 18
	s_add_u32 s16, s16, s7
	s_addc_u32 s17, s17, 0
	global_load_ushort v2, v2, s[16:17]
	s_mov_b32 s16, 0
	s_mov_b32 s17, s13
	s_waitcnt vmcnt(0)
	v_readfirstlane_b32 s7, v2
	s_and_b32 s7, 0xffff, s7
	s_lshl_b32 s7, s7, 2
	s_cmp_lg_u64 s[16:17], 0
	v_and_b32_e32 v9, 0xffff, v2
	s_cbranch_scc0 .LBB299_40
; %bb.7:
	v_cvt_f32_u32_e32 v2, s7
	v_mov_b32_e32 v3, 0x4f800000
	s_sub_u32 s28, 0, s7
	s_subb_u32 s29, 0, 0
	v_mac_f32_e32 v2, 0, v3
	v_rcp_f32_e32 v2, v2
	v_mul_f32_e32 v2, 0x5f7ffffc, v2
	v_mul_f32_e32 v3, 0x2f800000, v2
	v_trunc_f32_e32 v3, v3
	v_madmk_f32 v2, v3, 0xcf800000, v2
	v_cvt_u32_f32_e32 v3, v3
	v_cvt_u32_f32_e32 v2, v2
	v_readfirstlane_b32 s30, v3
	v_readfirstlane_b32 s31, v2
	s_mul_i32 s33, s28, s30
	s_mul_hi_u32 s35, s28, s31
	s_mul_i32 s34, s29, s31
	s_add_i32 s33, s35, s33
	s_add_i32 s33, s33, s34
	s_mul_i32 s36, s28, s31
	s_mul_hi_u32 s34, s31, s33
	s_mul_i32 s35, s31, s33
	s_mul_hi_u32 s31, s31, s36
	s_add_u32 s31, s31, s35
	s_addc_u32 s34, 0, s34
	s_mul_hi_u32 s37, s30, s36
	s_mul_i32 s36, s30, s36
	s_add_u32 s31, s31, s36
	s_mul_hi_u32 s35, s30, s33
	s_addc_u32 s31, s34, s37
	s_addc_u32 s34, s35, 0
	s_mul_i32 s33, s30, s33
	s_add_u32 s31, s31, s33
	s_addc_u32 s33, 0, s34
	v_add_co_u32_e32 v2, vcc, s31, v2
	s_cmp_lg_u64 vcc, 0
	s_addc_u32 s30, s30, s33
	v_readfirstlane_b32 s33, v2
	s_mul_i32 s31, s28, s30
	s_mul_hi_u32 s34, s28, s33
	s_add_i32 s31, s34, s31
	s_mul_i32 s29, s29, s33
	s_add_i32 s31, s31, s29
	s_mul_i32 s28, s28, s33
	s_mul_hi_u32 s34, s30, s28
	s_mul_i32 s35, s30, s28
	s_mul_i32 s37, s33, s31
	s_mul_hi_u32 s28, s33, s28
	s_mul_hi_u32 s36, s33, s31
	s_add_u32 s28, s28, s37
	s_addc_u32 s33, 0, s36
	s_add_u32 s28, s28, s35
	s_mul_hi_u32 s29, s30, s31
	s_addc_u32 s28, s33, s34
	s_addc_u32 s29, s29, 0
	s_mul_i32 s31, s30, s31
	s_add_u32 s28, s28, s31
	s_addc_u32 s29, 0, s29
	v_add_co_u32_e32 v2, vcc, s28, v2
	s_cmp_lg_u64 vcc, 0
	s_addc_u32 s28, s30, s29
	v_readfirstlane_b32 s31, v2
	s_mul_i32 s30, s12, s28
	s_mul_hi_u32 s33, s12, s31
	s_mul_hi_u32 s29, s12, s28
	s_add_u32 s30, s33, s30
	s_addc_u32 s29, 0, s29
	s_mul_hi_u32 s34, s13, s31
	s_mul_i32 s31, s13, s31
	s_add_u32 s30, s30, s31
	s_mul_hi_u32 s33, s13, s28
	s_addc_u32 s29, s29, s34
	s_addc_u32 s30, s33, 0
	s_mul_i32 s28, s13, s28
	s_add_u32 s28, s29, s28
	s_addc_u32 s29, 0, s30
	s_mul_hi_u32 s30, s7, s28
	s_mul_i32 s28, s7, s28
	s_mul_i32 s29, s7, s29
	v_mov_b32_e32 v2, s28
	s_add_i32 s30, s30, s29
	v_sub_co_u32_e32 v2, vcc, s12, v2
	s_cmp_lg_u64 vcc, 0
	s_subb_u32 s28, s13, s30
	v_subrev_co_u32_e32 v3, vcc, s7, v2
	s_cmp_lg_u64 vcc, 0
	s_subb_u32 s29, s28, 0
	v_subrev_co_u32_e32 v4, vcc, s7, v3
	s_cmp_lg_u64 vcc, 0
	s_subb_u32 s30, s29, 0
	v_cmp_le_u32_e32 vcc, s7, v3
	s_cmp_eq_u32 s29, 0
	v_cndmask_b32_e64 v5, 0, -1, vcc
	s_cselect_b64 vcc, -1, 0
	v_cndmask_b32_e32 v5, -1, v5, vcc
	v_mov_b32_e32 v6, s29
	v_mov_b32_e32 v7, s30
	v_cmp_ne_u32_e32 vcc, 0, v5
	v_cndmask_b32_e32 v5, v6, v7, vcc
	v_cndmask_b32_e32 v4, v3, v4, vcc
	v_cmp_le_u32_e32 vcc, s7, v2
	s_cmp_eq_u32 s28, 0
	v_cndmask_b32_e64 v3, 0, -1, vcc
	s_cselect_b64 vcc, -1, 0
	v_cndmask_b32_e32 v3, -1, v3, vcc
	v_mov_b32_e32 v6, s28
	v_cmp_ne_u32_e32 vcc, 0, v3
	v_cndmask_b32_e32 v3, v6, v5, vcc
	v_cndmask_b32_e32 v2, v2, v4, vcc
	s_cbranch_execnz .LBB299_9
.LBB299_8:
	v_cvt_f32_u32_e32 v2, s7
	s_sub_i32 s16, 0, s7
	v_rcp_iflag_f32_e32 v2, v2
	v_mul_f32_e32 v2, 0x4f7ffffe, v2
	v_cvt_u32_f32_e32 v2, v2
	v_mul_lo_u32 v3, s16, v2
	v_mul_hi_u32 v3, v2, v3
	v_add_u32_e32 v2, v2, v3
	v_mul_hi_u32 v2, s12, v2
	v_mul_lo_u32 v2, v2, s7
	v_sub_u32_e32 v2, s12, v2
	v_subrev_u32_e32 v3, s7, v2
	v_cmp_le_u32_e32 vcc, s7, v2
	v_cndmask_b32_e32 v2, v2, v3, vcc
	v_subrev_u32_e32 v3, s7, v2
	v_cmp_le_u32_e32 vcc, s7, v2
	v_cndmask_b32_e32 v2, v2, v3, vcc
	v_mov_b32_e32 v3, 0
.LBB299_9:
	v_mov_b32_e32 v4, s13
	v_sub_co_u32_e32 v2, vcc, s12, v2
	v_subb_co_u32_e32 v3, vcc, v4, v3, vcc
	v_lshlrev_b32_e32 v4, 4, v0
	v_mov_b32_e32 v5, s15
	v_add_co_u32_e32 v4, vcc, s14, v4
	v_addc_co_u32_e32 v5, vcc, 0, v5, vcc
	v_add_co_u32_e32 v4, vcc, 8, v4
	v_addc_co_u32_e32 v5, vcc, 0, v5, vcc
	v_lshlrev_b32_e32 v10, 4, v9
	s_mov_b64 s[16:17], 0
	v_pk_mov_b32 v[6:7], v[0:1], v[0:1] op_sel:[0,1]
.LBB299_10:                             ; =>This Inner Loop Header: Depth=1
	global_load_dwordx4 v[12:15], v[4:5], off offset:-8
	v_add_co_u32_e32 v6, vcc, v6, v9
	v_addc_co_u32_e32 v7, vcc, 0, v7, vcc
	v_add_co_u32_e32 v4, vcc, v4, v10
	v_addc_co_u32_e32 v5, vcc, 0, v5, vcc
	v_lshlrev_b64 v[16:17], 2, v[6:7]
	v_cmp_ge_i64_e32 vcc, v[16:17], v[2:3]
	s_or_b64 s[16:17], vcc, s[16:17]
	s_waitcnt vmcnt(0)
	v_add_f32_e32 v1, v8, v12
	v_add_f32_e32 v1, v1, v13
	;; [unrolled: 1-line block ×4, first 2 shown]
	s_andn2_b64 exec, exec, s[16:17]
	s_cbranch_execnz .LBB299_10
; %bb.11:
	s_or_b64 exec, exec, s[16:17]
	v_add_co_u32_e32 v2, vcc, v2, v0
	v_addc_co_u32_e32 v3, vcc, 0, v3, vcc
	v_cmp_gt_i64_e32 vcc, s[12:13], v[2:3]
	s_and_saveexec_b64 s[16:17], vcc
	s_cbranch_execz .LBB299_15
; %bb.12:
	s_mov_b64 s[28:29], 0
	v_mov_b32_e32 v1, s15
.LBB299_13:                             ; =>This Inner Loop Header: Depth=1
	v_lshlrev_b64 v[4:5], 2, v[2:3]
	v_add_co_u32_e32 v4, vcc, s14, v4
	v_addc_co_u32_e32 v5, vcc, v1, v5, vcc
	global_load_dword v4, v[4:5], off
	v_add_co_u32_e32 v2, vcc, v2, v9
	v_addc_co_u32_e32 v3, vcc, 0, v3, vcc
	v_cmp_le_i64_e32 vcc, s[12:13], v[2:3]
	s_or_b64 s[28:29], vcc, s[28:29]
	s_waitcnt vmcnt(0)
	v_add_f32_e32 v8, v8, v4
	s_andn2_b64 exec, exec, s[28:29]
	s_cbranch_execnz .LBB299_13
; %bb.14:
	s_or_b64 exec, exec, s[28:29]
.LBB299_15:
	s_or_b64 exec, exec, s[16:17]
	s_branch .LBB299_31
.LBB299_16:
                                        ; kill: def $vgpr1 killed $sgpr0 killed $exec
                                        ; implicit-def: $vgpr8
	s_cbranch_execz .LBB299_31
; %bb.17:
	s_and_b64 vcc, exec, s[2:3]
	s_cbranch_vccz .LBB299_41
; %bb.18:
	s_lshl_b64 s[2:3], s[10:11], 2
	s_sub_u32 s14, s18, s2
	s_subb_u32 s15, s19, s3
	s_add_i32 s7, s10, s26
	v_cmp_le_u32_e32 vcc, s10, v0
	v_cmp_gt_i32_e64 s[2:3], s7, v0
	s_and_b64 s[12:13], vcc, s[2:3]
	v_mov_b32_e32 v8, 0
	s_and_saveexec_b64 s[2:3], s[12:13]
	s_cbranch_execz .LBB299_20
; %bb.19:
	v_lshlrev_b32_e32 v1, 2, v0
	global_load_dword v1, v1, s[14:15]
	s_waitcnt vmcnt(0)
	v_add_f32_e32 v8, 0, v1
.LBB299_20:
	s_or_b64 exec, exec, s[2:3]
	s_load_dword s2, s[4:5], 0x2c
	s_add_u32 s12, s4, 32
	s_addc_u32 s13, s5, 0
	s_waitcnt lgkmcnt(0)
	s_and_b32 s2, s2, 0xffff
	v_mov_b32_e32 v1, s2
	s_lshl_b32 s2, s2, 2
	v_sub_u32_e64 v1, s7, v1 clamp
	s_add_u32 s2, s14, s2
	v_readfirstlane_b32 s7, v1
	s_addc_u32 s3, s15, 0
	s_branch .LBB299_22
.LBB299_21:
	s_add_u32 s12, s4, 32
	s_addc_u32 s13, s5, 0
	v_mov_b32_e32 v8, 0
	s_mov_b32 s7, s26
	s_mov_b64 s[2:3], s[18:19]
.LBB299_22:
	s_load_dword s14, s[12:13], 0x0
	v_mov_b32_e32 v1, 0
	s_waitcnt lgkmcnt(0)
	s_cmp_lt_u32 s6, s14
	s_cselect_b32 s14, 12, 18
	s_add_u32 s12, s12, s14
	s_addc_u32 s13, s13, 0
	global_load_ushort v1, v1, s[12:13]
	s_waitcnt vmcnt(0)
	v_readfirstlane_b32 s12, v1
	s_lshl_b32 s12, s12, 2
	v_cvt_f32_u32_e32 v2, s12
	s_sub_i32 s13, 0, s12
	v_rcp_iflag_f32_e32 v2, v2
	v_mul_f32_e32 v2, 0x4f7ffffe, v2
	v_cvt_u32_f32_e32 v2, v2
	v_readfirstlane_b32 s14, v2
	s_mul_i32 s13, s13, s14
	s_mul_hi_u32 s13, s14, s13
	s_add_i32 s14, s14, s13
	s_mul_hi_u32 s13, s7, s14
	s_mul_i32 s13, s13, s12
	s_sub_i32 s13, s7, s13
	s_sub_i32 s14, s13, s12
	s_cmp_ge_u32 s13, s12
	s_cselect_b32 s13, s14, s13
	s_sub_i32 s14, s13, s12
	s_cmp_ge_u32 s13, s12
	s_cselect_b32 s12, s14, s13
	s_sub_i32 s16, s7, s12
	v_lshlrev_b32_e32 v2, 2, v0
	v_cmp_gt_i32_e32 vcc, s16, v2
	s_and_saveexec_b64 s[12:13], vcc
	s_cbranch_execz .LBB299_26
; %bb.23:
	s_mov_b64 s[14:15], 0
	v_mov_b32_e32 v4, s3
	v_mov_b32_e32 v2, v0
.LBB299_24:                             ; =>This Inner Loop Header: Depth=1
	v_ashrrev_i32_e32 v3, 31, v2
	v_lshlrev_b64 v[6:7], 4, v[2:3]
	v_add_co_u32_e32 v6, vcc, s2, v6
	v_addc_co_u32_e32 v7, vcc, v4, v7, vcc
	global_load_dwordx4 v[10:13], v[6:7], off
	v_add_u32_e32 v2, v2, v1
	v_lshlrev_b32_e32 v3, 2, v2
	v_cmp_le_i32_e32 vcc, s16, v3
	s_or_b64 s[14:15], vcc, s[14:15]
	s_waitcnt vmcnt(0)
	v_add_f32_e32 v3, v8, v10
	v_add_f32_e32 v3, v3, v11
	;; [unrolled: 1-line block ×4, first 2 shown]
	s_andn2_b64 exec, exec, s[14:15]
	s_cbranch_execnz .LBB299_24
; %bb.25:
	s_or_b64 exec, exec, s[14:15]
.LBB299_26:
	s_or_b64 exec, exec, s[12:13]
	v_add_u32_e32 v2, s16, v0
	v_cmp_gt_i32_e32 vcc, s7, v2
	s_and_saveexec_b64 s[12:13], vcc
	s_cbranch_execz .LBB299_30
; %bb.27:
	s_mov_b64 s[14:15], 0
	v_mov_b32_e32 v4, s3
.LBB299_28:                             ; =>This Inner Loop Header: Depth=1
	v_ashrrev_i32_e32 v3, 31, v2
	v_lshlrev_b64 v[6:7], 2, v[2:3]
	v_add_co_u32_e32 v6, vcc, s2, v6
	v_addc_co_u32_e32 v7, vcc, v4, v7, vcc
	global_load_dword v3, v[6:7], off
	v_add_u32_e32 v2, v2, v1
	v_cmp_le_i32_e32 vcc, s7, v2
	s_or_b64 s[14:15], vcc, s[14:15]
	s_waitcnt vmcnt(0)
	v_add_f32_e32 v8, v8, v3
	s_andn2_b64 exec, exec, s[14:15]
	s_cbranch_execnz .LBB299_28
; %bb.29:
	s_or_b64 exec, exec, s[14:15]
.LBB299_30:
	s_or_b64 exec, exec, s[12:13]
.LBB299_31:
	v_lshl_add_u32 v1, v0, 2, 0
	s_barrier
	ds_write_b32 v1, v8
	s_waitcnt lgkmcnt(0)
	s_barrier
	s_load_dword s7, s[4:5], 0x2c
	s_add_u32 s28, s4, 32
	s_addc_u32 s29, s5, 0
	s_waitcnt lgkmcnt(0)
	s_bfe_u32 s4, s7, 0xa0006
	s_min_u32 s2, s4, 64
	v_cmp_gt_u32_e32 vcc, s2, v0
	s_and_saveexec_b64 s[2:3], vcc
	s_cbranch_execz .LBB299_33
; %bb.32:
	s_movk_i32 s5, 0xfc
	v_mad_u32_u24 v10, v0, s5, v1
	ds_read2_b32 v[2:3], v10 offset1:1
	ds_read2_b32 v[4:5], v10 offset0:2 offset1:3
	ds_read2_b32 v[6:7], v10 offset0:4 offset1:5
	ds_read2_b32 v[8:9], v10 offset0:6 offset1:7
	s_waitcnt lgkmcnt(3)
	v_add_f32_e32 v2, 0, v2
	v_add_f32_e32 v2, v2, v3
	s_waitcnt lgkmcnt(2)
	v_add_f32_e32 v2, v2, v4
	v_add_f32_e32 v2, v2, v5
	s_waitcnt lgkmcnt(1)
	v_add_f32_e32 v2, v2, v6
	v_add_f32_e32 v2, v2, v7
	s_waitcnt lgkmcnt(0)
	v_add_f32_e32 v4, v2, v8
	ds_read2_b32 v[2:3], v10 offset0:8 offset1:9
	v_add_f32_e32 v11, v4, v9
	ds_read2_b32 v[4:5], v10 offset0:10 offset1:11
	ds_read2_b32 v[6:7], v10 offset0:12 offset1:13
	ds_read2_b32 v[8:9], v10 offset0:14 offset1:15
	s_waitcnt lgkmcnt(3)
	v_add_f32_e32 v2, v11, v2
	v_add_f32_e32 v2, v2, v3
	s_waitcnt lgkmcnt(2)
	v_add_f32_e32 v2, v2, v4
	v_add_f32_e32 v2, v2, v5
	s_waitcnt lgkmcnt(1)
	v_add_f32_e32 v2, v2, v6
	v_add_f32_e32 v2, v2, v7
	s_waitcnt lgkmcnt(0)
	v_add_f32_e32 v4, v2, v8
	ds_read2_b32 v[2:3], v10 offset0:16 offset1:17
	v_add_f32_e32 v11, v4, v9
	;; [unrolled: 16-line block ×7, first 2 shown]
	ds_read2_b32 v[4:5], v10 offset0:58 offset1:59
	ds_read2_b32 v[6:7], v10 offset0:60 offset1:61
	;; [unrolled: 1-line block ×3, first 2 shown]
	s_waitcnt lgkmcnt(3)
	v_add_f32_e32 v2, v11, v2
	v_add_f32_e32 v2, v2, v3
	s_waitcnt lgkmcnt(2)
	v_add_f32_e32 v2, v2, v4
	v_add_f32_e32 v2, v2, v5
	;; [unrolled: 3-line block ×4, first 2 shown]
	ds_write_b32 v1, v2
.LBB299_33:
	s_or_b64 exec, exec, s[2:3]
	s_and_b32 s38, s7, 0xffff
	v_cmp_eq_u32_e32 vcc, 0, v0
	s_waitcnt lgkmcnt(0)
	s_barrier
	s_and_saveexec_b64 s[2:3], vcc
	s_cbranch_execz .LBB299_46
; %bb.34:
	s_cmp_lt_u32 s38, 64
	v_mov_b32_e32 v1, 0
	s_cbranch_scc1 .LBB299_45
; %bb.35:
	s_add_i32 s5, s4, -1
	s_cmp_lt_u32 s5, 7
	s_cbranch_scc1 .LBB299_42
; %bb.36:
	s_and_b32 s5, s4, 0x3f8
	s_mov_b32 s7, 0
	s_mov_b32 s12, 0
	v_mov_b32_e32 v1, 0
.LBB299_37:                             ; =>This Inner Loop Header: Depth=1
	v_mov_b32_e32 v8, s12
	ds_read2_b32 v[2:3], v8 offset1:1
	ds_read2_b32 v[4:5], v8 offset0:2 offset1:3
	ds_read2_b32 v[6:7], v8 offset0:4 offset1:5
	;; [unrolled: 1-line block ×3, first 2 shown]
	s_add_i32 s7, s7, 8
	s_waitcnt lgkmcnt(3)
	v_add_f32_e32 v1, v1, v2
	v_add_f32_e32 v1, v1, v3
	s_waitcnt lgkmcnt(2)
	v_add_f32_e32 v1, v1, v4
	v_add_f32_e32 v1, v1, v5
	;; [unrolled: 3-line block ×3, first 2 shown]
	s_add_i32 s12, s12, 32
	s_waitcnt lgkmcnt(0)
	v_add_f32_e32 v1, v1, v8
	s_cmp_eq_u32 s5, s7
	v_add_f32_e32 v1, v1, v9
	s_cbranch_scc0 .LBB299_37
; %bb.38:
	s_and_b32 s4, s4, 7
	s_cmp_eq_u32 s4, 0
	s_cbranch_scc0 .LBB299_43
	s_branch .LBB299_45
.LBB299_39:
                                        ; implicit-def: $sgpr14_sgpr15
                                        ; implicit-def: $sgpr12_sgpr13
                                        ; implicit-def: $vgpr8
                                        ; implicit-def: $sgpr16_sgpr17
	s_cbranch_execnz .LBB299_5
	s_branch .LBB299_6
.LBB299_40:
                                        ; implicit-def: $vgpr2_vgpr3
	s_branch .LBB299_8
.LBB299_41:
                                        ; kill: def $vgpr1 killed $sgpr0 killed $exec
                                        ; implicit-def: $sgpr2_sgpr3
                                        ; implicit-def: $sgpr7
                                        ; implicit-def: $vgpr8
                                        ; implicit-def: $sgpr12_sgpr13
	s_cbranch_execnz .LBB299_21
	s_branch .LBB299_22
.LBB299_42:
	s_mov_b32 s5, 0
	v_mov_b32_e32 v1, 0
	s_and_b32 s4, s4, 7
	s_cmp_eq_u32 s4, 0
	s_cbranch_scc1 .LBB299_45
.LBB299_43:
	s_lshl_b32 s5, s5, 2
	s_add_i32 s5, s5, 0
.LBB299_44:                             ; =>This Inner Loop Header: Depth=1
	v_mov_b32_e32 v2, s5
	ds_read_b32 v2, v2
	s_add_i32 s5, s5, 4
	s_add_i32 s4, s4, -1
	s_cmp_lg_u32 s4, 0
	s_waitcnt lgkmcnt(0)
	v_add_f32_e32 v1, v1, v2
	s_cbranch_scc1 .LBB299_44
.LBB299_45:
	v_mov_b32_e32 v2, 0
	ds_write_b32 v2, v1
.LBB299_46:
	s_or_b64 exec, exec, s[2:3]
	s_lshl_b64 s[46:47], s[8:9], 1
	s_add_u32 s34, s20, s46
	s_addc_u32 s35, s21, s47
	s_add_u32 s36, s22, s42
	v_mov_b32_e32 v1, 0
	s_mov_b32 s41, 0
	s_addc_u32 s37, s23, s43
	s_waitcnt lgkmcnt(0)
	s_barrier
	ds_read_b32 v1, v1
	s_bfe_u32 s40, s34, 0x30001
	s_bfe_u32 s2, s36, 0x20002
	s_mov_b32 s3, s41
	s_cmp_eq_u64 s[40:41], s[2:3]
	s_cselect_b64 s[2:3], -1, 0
	s_cmp_eq_u64 s[40:41], s[10:11]
	s_cselect_b64 s[4:5], -1, 0
	s_and_b64 s[2:3], s[2:3], s[4:5]
	s_waitcnt lgkmcnt(0)
	v_readfirstlane_b32 s30, v1
	s_andn2_b64 vcc, exec, s[2:3]
	s_mov_b64 s[2:3], -1
	s_cbranch_vccz .LBB299_76
; %bb.47:
	s_and_b64 vcc, exec, s[0:1]
	s_cbranch_vccz .LBB299_67
; %bb.48:
	s_lshl_b32 s7, s38, 2
	v_cvt_f32_u32_e32 v1, s7
	s_sub_i32 s3, 0, s7
	s_mov_b32 s2, 0
	v_rcp_iflag_f32_e32 v1, v1
	v_mul_f32_e32 v1, 0x4f7ffffe, v1
	v_cvt_u32_f32_e32 v2, v1
	v_mov_b32_e32 v1, 0
	v_readfirstlane_b32 s4, v2
	s_mul_i32 s3, s3, s4
	s_mul_hi_u32 s3, s4, s3
	s_add_i32 s4, s4, s3
	s_mul_hi_u32 s3, s26, s4
	s_mul_i32 s3, s3, s7
	s_sub_i32 s3, s26, s3
	s_sub_i32 s4, s3, s7
	s_cmp_ge_u32 s3, s7
	s_cselect_b32 s3, s4, s3
	s_sub_i32 s4, s3, s7
	s_cmp_ge_u32 s3, s7
	s_cselect_b32 s3, s4, s3
	s_bfe_i64 s[44:45], s[26:27], 0x200000
	s_sub_u32 s48, s44, s3
	s_subb_u32 s49, s45, 0
	v_cmp_gt_i64_e32 vcc, s[48:49], v[0:1]
	v_pk_mov_b32 v[2:3], v[0:1], v[0:1] op_sel:[0,1]
	s_and_saveexec_b64 s[50:51], vcc
	s_cbranch_execz .LBB299_52
; %bb.49:
	s_lshl_b32 s31, s38, 1
	s_lshl_b32 s33, s38, 4
	s_lshl_b64 s[4:5], s[8:9], 2
	s_add_u32 s10, s4, s7
	s_addc_u32 s11, s5, 0
	s_add_u32 s39, s22, s10
	s_addc_u32 s58, s23, s11
	s_lshl_b32 s59, s38, 3
	s_add_u32 s13, s4, s59
	s_addc_u32 s14, s5, 0
	s_add_u32 s60, s22, s13
	s_addc_u32 s61, s23, s14
	s_mul_i32 s15, s38, 12
	s_add_u32 s4, s4, s15
	s_addc_u32 s5, s5, 0
	s_add_u32 s62, s22, s4
	s_addc_u32 s63, s23, s5
	;; [unrolled: 2-line block ×5, first 2 shown]
	s_lshl_b64 s[4:5], s[8:9], 1
	s_add_u32 s4, s20, s4
	v_lshlrev_b64 v[2:3], 1, v[0:1]
	s_addc_u32 s5, s21, s5
	v_mov_b32_e32 v7, s5
	v_add_co_u32_e32 v6, vcc, s4, v2
	v_lshlrev_b64 v[4:5], 2, v[0:1]
	v_addc_co_u32_e32 v7, vcc, v7, v3, vcc
	s_mul_i32 s70, s38, 6
	s_mov_b64 s[52:53], 0
	s_mov_b32 s71, 0x3fb8aa3b
	s_mov_b32 s72, 0xc2ce8ed0
	;; [unrolled: 1-line block ×3, first 2 shown]
	v_mov_b32_e32 v20, 0x7f800000
	v_mov_b32_e32 v21, s2
	;; [unrolled: 1-line block ×5, first 2 shown]
	s_mov_b64 s[54:55], s[18:19]
	s_mov_b64 s[56:57], s[36:37]
	v_pk_mov_b32 v[2:3], v[0:1], v[0:1] op_sel:[0,1]
.LBB299_50:                             ; =>This Inner Loop Header: Depth=1
	v_add_co_u32_e64 v8, s[16:17], s31, v6
	v_addc_co_u32_e64 v9, s[16:17], v7, v21, s[16:17]
	v_add_co_u32_e64 v10, s[16:17], s7, v6
	v_addc_co_u32_e64 v11, s[16:17], v7, v22, s[16:17]
	;; [unrolled: 2-line block ×4, first 2 shown]
	v_mov_b32_e32 v1, s57
	v_mov_b32_e32 v13, s55
	v_add_co_u32_e32 v12, vcc, s54, v4
	v_mov_b32_e32 v17, s58
	v_add_co_u32_e64 v16, s[2:3], s39, v4
	v_mov_b32_e32 v19, s65
	v_add_co_u32_e64 v18, s[4:5], s64, v4
	v_add_co_u32_e64 v34, s[16:17], s56, v4
	v_mov_b32_e32 v25, s61
	v_add_co_u32_e64 v26, s[12:13], s60, v4
	v_mov_b32_e32 v29, s67
	;; [unrolled: 2-line block ×4, first 2 shown]
	v_add_co_u32_e64 v32, s[14:15], s68, v4
	v_addc_co_u32_e64 v35, s[16:17], v1, v5, s[16:17]
	v_addc_co_u32_e32 v13, vcc, v13, v5, vcc
	v_addc_co_u32_e64 v17, vcc, v17, v5, s[2:3]
	v_addc_co_u32_e64 v19, vcc, v19, v5, s[4:5]
	;; [unrolled: 1-line block ×6, first 2 shown]
	global_load_dword v1, v[34:35], off
	s_nop 0
	global_load_dword v16, v[16:17], off
	s_nop 0
	global_load_dword v17, v[26:27], off
	global_load_dword v25, v[30:31], off
	s_nop 0
	global_load_dword v12, v[12:13], off
	s_nop 0
	;; [unrolled: 2-line block ×3, first 2 shown]
	global_load_dword v18, v[28:29], off
	global_load_dword v19, v[32:33], off
	s_add_u32 s56, s56, s33
	s_addc_u32 s57, s57, 0
	s_add_u32 s39, s39, s33
	s_addc_u32 s58, s58, 0
	;; [unrolled: 2-line block ×7, first 2 shown]
	s_add_u32 s68, s68, s33
	v_cmp_le_i64_e32 vcc, s[48:49], v[2:3]
	s_addc_u32 s69, s69, 0
	s_or_b64 s[52:53], vcc, s[52:53]
	s_waitcnt vmcnt(7)
	v_mul_f32_e32 v26, 0x3fb8aa3b, v1
	s_waitcnt vmcnt(6)
	v_mul_f32_e32 v27, 0x3fb8aa3b, v16
	;; [unrolled: 2-line block ×4, first 2 shown]
	v_fma_f32 v30, v1, s71, -v26
	v_rndne_f32_e32 v31, v26
	v_fma_f32 v32, v16, s71, -v27
	v_rndne_f32_e32 v33, v27
	;; [unrolled: 2-line block ×4, first 2 shown]
	v_fmac_f32_e32 v30, 0x32a5705f, v1
	v_sub_f32_e32 v26, v26, v31
	v_fmac_f32_e32 v32, 0x32a5705f, v16
	v_sub_f32_e32 v27, v27, v33
	;; [unrolled: 2-line block ×4, first 2 shown]
	v_add_f32_e32 v26, v26, v30
	v_cvt_i32_f32_e32 v31, v31
	v_add_f32_e32 v27, v27, v32
	v_add_f32_e32 v28, v28, v34
	;; [unrolled: 1-line block ×3, first 2 shown]
	v_exp_f32_e32 v26, v26
	v_cvt_i32_f32_e32 v33, v33
	v_cvt_i32_f32_e32 v35, v35
	;; [unrolled: 1-line block ×3, first 2 shown]
	v_exp_f32_e32 v27, v27
	v_exp_f32_e32 v28, v28
	;; [unrolled: 1-line block ×3, first 2 shown]
	v_ldexp_f32 v26, v26, v31
	v_cmp_ngt_f32_e64 s[8:9], s72, v1
	v_ldexp_f32 v27, v27, v33
	v_cmp_ngt_f32_e32 vcc, s72, v16
	v_ldexp_f32 v28, v28, v35
	v_cmp_ngt_f32_e64 s[2:3], s72, v17
	v_ldexp_f32 v29, v29, v37
	v_cmp_ngt_f32_e64 s[4:5], s72, v25
	v_cndmask_b32_e64 v26, 0, v26, s[8:9]
	v_cmp_nlt_f32_e64 s[8:9], s73, v1
	v_cndmask_b32_e32 v27, 0, v27, vcc
	v_cmp_nlt_f32_e32 vcc, s73, v16
	v_cndmask_b32_e64 v16, 0, v28, s[2:3]
	v_cmp_nlt_f32_e64 s[2:3], s73, v17
	v_cndmask_b32_e64 v17, 0, v29, s[4:5]
	v_cmp_nlt_f32_e64 s[4:5], s73, v25
	v_cndmask_b32_e64 v1, v20, v26, s[8:9]
	v_cndmask_b32_e32 v25, v20, v27, vcc
	v_cndmask_b32_e64 v16, v20, v16, s[2:3]
	v_cndmask_b32_e64 v17, v20, v17, s[4:5]
	s_waitcnt vmcnt(3)
	v_fma_mixlo_f16 v1, -s30, v1, v12
	s_waitcnt vmcnt(2)
	v_fma_mixlo_f16 v12, -s30, v25, v13
	;; [unrolled: 2-line block ×4, first 2 shown]
	global_store_short v[6:7], v1, off
	global_store_short v[8:9], v12, off
	;; [unrolled: 1-line block ×4, first 2 shown]
	v_add_co_u32_e32 v6, vcc, s59, v6
	v_addc_co_u32_e32 v7, vcc, v7, v24, vcc
	s_andn2_b64 exec, exec, s[52:53]
	s_cbranch_execnz .LBB299_50
; %bb.51:
	s_or_b64 exec, exec, s[52:53]
.LBB299_52:
	s_or_b64 exec, exec, s[50:51]
	v_cmp_gt_i64_e32 vcc, s[44:45], v[2:3]
	s_and_saveexec_b64 s[4:5], vcc
	s_cbranch_execz .LBB299_66
; %bb.53:
	v_add_co_u32_e32 v6, vcc, s38, v2
	v_addc_co_u32_e32 v7, vcc, 0, v3, vcc
	v_mov_b32_e32 v1, s45
	v_cmp_lt_i64_e32 vcc, s[44:45], v[6:7]
	v_cndmask_b32_e32 v5, v1, v7, vcc
	v_mov_b32_e32 v1, s44
	v_cndmask_b32_e32 v1, v1, v6, vcc
	v_cmp_gt_i64_e32 vcc, s[44:45], v[6:7]
	v_cndmask_b32_e64 v4, 0, 1, vcc
	v_add_co_u32_e32 v6, vcc, v6, v4
	v_addc_co_u32_e32 v7, vcc, 0, v7, vcc
	v_sub_co_u32_e32 v1, vcc, v1, v6
	v_subb_co_u32_e32 v7, vcc, v5, v7, vcc
	v_mov_b32_e32 v6, 0
	s_mov_b32 s7, 0
	v_cmp_ne_u64_e32 vcc, 0, v[6:7]
                                        ; implicit-def: $vgpr8_vgpr9
	s_and_saveexec_b64 s[2:3], vcc
	s_xor_b64 s[8:9], exec, s[2:3]
	s_cbranch_execz .LBB299_55
; %bb.54:
	v_cvt_f32_u32_e32 v5, s38
	v_mov_b32_e32 v6, 0x4f800000
	s_sub_u32 s2, 0, s38
	s_subb_u32 s3, 0, 0
	v_mac_f32_e32 v5, 0, v6
	v_rcp_f32_e32 v5, v5
	v_mul_f32_e32 v5, 0x5f7ffffc, v5
	v_mul_f32_e32 v6, 0x2f800000, v5
	v_trunc_f32_e32 v6, v6
	v_madmk_f32 v5, v6, 0xcf800000, v5
	v_cvt_u32_f32_e32 v6, v6
	v_cvt_u32_f32_e32 v5, v5
	v_mul_lo_u32 v8, s2, v6
	v_mul_hi_u32 v10, s2, v5
	v_mul_lo_u32 v9, s3, v5
	v_add_u32_e32 v8, v10, v8
	v_mul_lo_u32 v11, s2, v5
	v_add_u32_e32 v8, v8, v9
	v_mul_hi_u32 v10, v5, v11
	v_mul_lo_u32 v12, v5, v8
	v_mul_hi_u32 v9, v5, v8
	v_add_co_u32_e32 v10, vcc, v10, v12
	v_addc_co_u32_e32 v9, vcc, 0, v9, vcc
	v_mul_hi_u32 v13, v6, v11
	v_mul_lo_u32 v11, v6, v11
	v_add_co_u32_e32 v10, vcc, v10, v11
	v_mul_hi_u32 v12, v6, v8
	v_addc_co_u32_e32 v9, vcc, v9, v13, vcc
	v_addc_co_u32_e32 v10, vcc, 0, v12, vcc
	v_mul_lo_u32 v8, v6, v8
	v_add_co_u32_e32 v8, vcc, v9, v8
	v_addc_co_u32_e32 v9, vcc, 0, v10, vcc
	v_add_co_u32_e32 v5, vcc, v5, v8
	v_addc_co_u32_e32 v6, vcc, v6, v9, vcc
	v_mul_lo_u32 v8, s2, v6
	v_mul_hi_u32 v9, s2, v5
	v_add_u32_e32 v8, v9, v8
	v_mul_lo_u32 v9, s3, v5
	v_add_u32_e32 v8, v8, v9
	v_mul_lo_u32 v10, s2, v5
	v_mul_hi_u32 v11, v6, v10
	v_mul_lo_u32 v12, v6, v10
	v_mul_lo_u32 v14, v5, v8
	v_mul_hi_u32 v10, v5, v10
	v_mul_hi_u32 v13, v5, v8
	v_add_co_u32_e32 v10, vcc, v10, v14
	v_addc_co_u32_e32 v13, vcc, 0, v13, vcc
	v_add_co_u32_e32 v10, vcc, v10, v12
	v_mul_hi_u32 v9, v6, v8
	v_addc_co_u32_e32 v10, vcc, v13, v11, vcc
	v_addc_co_u32_e32 v9, vcc, 0, v9, vcc
	v_mul_lo_u32 v8, v6, v8
	v_add_co_u32_e32 v8, vcc, v10, v8
	v_addc_co_u32_e32 v9, vcc, 0, v9, vcc
	v_add_co_u32_e32 v5, vcc, v5, v8
	v_addc_co_u32_e32 v6, vcc, v6, v9, vcc
	v_mad_u64_u32 v[8:9], s[2:3], v1, v6, 0
	v_mul_hi_u32 v10, v1, v5
	v_add_co_u32_e32 v12, vcc, v10, v8
	v_addc_co_u32_e32 v13, vcc, 0, v9, vcc
	v_mad_u64_u32 v[10:11], s[2:3], v7, v5, 0
	v_add_co_u32_e32 v5, vcc, v12, v10
	v_mad_u64_u32 v[8:9], s[2:3], v7, v6, 0
	v_addc_co_u32_e32 v5, vcc, v13, v11, vcc
	v_addc_co_u32_e32 v6, vcc, 0, v9, vcc
	v_add_co_u32_e32 v5, vcc, v5, v8
	v_mad_u64_u32 v[8:9], s[2:3], s38, v5, 0
	v_addc_co_u32_e32 v12, vcc, 0, v6, vcc
	v_mov_b32_e32 v6, v9
	v_mad_u64_u32 v[10:11], s[2:3], s38, v12, v[6:7]
	v_sub_co_u32_e32 v1, vcc, v1, v8
	v_subb_co_u32_e32 v6, vcc, v7, v10, vcc
	v_subrev_co_u32_e32 v7, vcc, s38, v1
	v_subbrev_co_u32_e32 v8, vcc, 0, v6, vcc
	v_cmp_le_u32_e32 vcc, s38, v7
	v_cndmask_b32_e64 v7, 0, -1, vcc
	v_cmp_eq_u32_e32 vcc, 0, v8
	v_cndmask_b32_e32 v7, -1, v7, vcc
	v_add_co_u32_e32 v8, vcc, 2, v5
	v_addc_co_u32_e32 v9, vcc, 0, v12, vcc
	v_add_co_u32_e32 v10, vcc, 1, v5
	v_cmp_le_u32_e64 s[2:3], s38, v1
	v_addc_co_u32_e32 v11, vcc, 0, v12, vcc
	v_cndmask_b32_e64 v1, 0, -1, s[2:3]
	v_cmp_eq_u32_e64 s[2:3], 0, v6
	v_cmp_ne_u32_e32 vcc, 0, v7
	v_cndmask_b32_e64 v1, -1, v1, s[2:3]
	v_cndmask_b32_e32 v7, v11, v9, vcc
	v_cmp_ne_u32_e64 s[2:3], 0, v1
	v_cndmask_b32_e32 v1, v10, v8, vcc
	v_cndmask_b32_e64 v9, v12, v7, s[2:3]
	v_cndmask_b32_e64 v8, v5, v1, s[2:3]
                                        ; implicit-def: $vgpr1
.LBB299_55:
	s_andn2_saveexec_b64 s[2:3], s[8:9]
	s_cbranch_execz .LBB299_57
; %bb.56:
	v_cvt_f32_u32_e32 v5, s38
	s_sub_i32 s8, 0, s38
	v_mov_b32_e32 v9, 0
	v_rcp_iflag_f32_e32 v5, v5
	v_mul_f32_e32 v5, 0x4f7ffffe, v5
	v_cvt_u32_f32_e32 v5, v5
	v_mul_lo_u32 v6, s8, v5
	v_mul_hi_u32 v6, v5, v6
	v_add_u32_e32 v5, v5, v6
	v_mul_hi_u32 v5, v1, v5
	v_mul_lo_u32 v6, v5, s38
	v_sub_u32_e32 v1, v1, v6
	v_add_u32_e32 v7, 1, v5
	v_subrev_u32_e32 v6, s38, v1
	v_cmp_le_u32_e32 vcc, s38, v1
	v_cndmask_b32_e32 v1, v1, v6, vcc
	v_cndmask_b32_e32 v5, v5, v7, vcc
	v_add_u32_e32 v6, 1, v5
	v_cmp_le_u32_e32 vcc, s38, v1
	v_cndmask_b32_e32 v8, v5, v6, vcc
.LBB299_57:
	s_or_b64 exec, exec, s[2:3]
	v_add_co_u32_e32 v1, vcc, v8, v4
	v_addc_co_u32_e32 v5, vcc, 0, v9, vcc
	v_add_co_u32_e32 v4, vcc, 1, v1
	v_addc_co_u32_e32 v5, vcc, 0, v5, vcc
	s_cmp_lg_u32 s38, 1
	v_cmp_gt_u64_e32 vcc, 2, v[4:5]
	s_cselect_b64 s[2:3], -1, 0
                                        ; kill: def $vgpr6_vgpr7 killed $sgpr0_sgpr1 killed $exec
	s_or_b64 s[10:11], vcc, s[2:3]
	s_mov_b64 s[8:9], 0
	v_mov_b32_e32 v7, v5
                                        ; implicit-def: $sgpr2_sgpr3
	s_and_saveexec_b64 s[12:13], s[10:11]
	s_xor_b64 s[10:11], exec, s[12:13]
; %bb.58:
	s_mov_b64 s[8:9], exec
	s_lshl_b32 s2, s38, 2
	s_mov_b32 s3, 0
                                        ; implicit-def: $vgpr4_vgpr5
                                        ; implicit-def: $vgpr7
; %bb.59:
	s_or_saveexec_b64 s[10:11], s[10:11]
	v_pk_mov_b32 v[10:11], s[42:43], s[42:43] op_sel:[0,1]
	v_pk_mov_b32 v[8:9], s[2:3], s[2:3] op_sel:[0,1]
	;; [unrolled: 1-line block ×3, first 2 shown]
	s_xor_b64 exec, exec, s[10:11]
	s_cbranch_execz .LBB299_63
; %bb.60:
	v_lshlrev_b64 v[8:9], 2, v[2:3]
	s_lshl_b32 s16, s38, 3
	v_mov_b32_e32 v1, s43
	v_add_co_u32_e32 v8, vcc, s42, v8
	s_add_u32 s3, s20, s46
	v_addc_co_u32_e32 v1, vcc, v1, v9, vcc
	v_lshlrev_b64 v[10:11], 1, v[2:3]
	s_addc_u32 s12, s21, s47
	v_and_b32_e32 v6, -2, v4
	s_mov_b32 s2, 0
	v_mov_b32_e32 v9, s12
	v_add_co_u32_e32 v10, vcc, s3, v10
	s_mov_b32 s31, s30
	v_addc_co_u32_e32 v11, vcc, v9, v11, vcc
	s_lshl_b32 s12, s38, 2
	s_mov_b32 s13, s2
	s_mov_b64 s[14:15], 0
	v_mov_b32_e32 v9, s25
	v_mov_b32_e32 v14, s23
	s_mov_b32 s17, 0x3fb8aa3b
	s_mov_b32 s33, 0xc2ce8ed0
	;; [unrolled: 1-line block ×3, first 2 shown]
	v_mov_b32_e32 v15, 0x7f800000
	v_mov_b32_e32 v16, s2
	;; [unrolled: 1-line block ×3, first 2 shown]
	v_pk_mov_b32 v[12:13], v[6:7], v[6:7] op_sel:[0,1]
.LBB299_61:                             ; =>This Inner Loop Header: Depth=1
	v_add_co_u32_e32 v18, vcc, s22, v8
	v_addc_co_u32_e32 v19, vcc, v14, v1, vcc
	global_load_dwordx2 v[18:19], v[18:19], off
	v_add_co_u32_e32 v20, vcc, s24, v8
	v_addc_co_u32_e32 v21, vcc, v9, v1, vcc
	global_load_dwordx2 v[20:21], v[20:21], off
	v_add_co_u32_e32 v12, vcc, -2, v12
	v_addc_co_u32_e32 v13, vcc, -1, v13, vcc
	v_add_co_u32_e32 v8, vcc, s16, v8
	v_addc_co_u32_e32 v1, vcc, v1, v16, vcc
	v_cmp_eq_u64_e32 vcc, 0, v[12:13]
	s_or_b64 s[14:15], vcc, s[14:15]
	s_waitcnt vmcnt(1)
	v_mul_f32_e32 v22, 0x3fb8aa3b, v19
	v_mul_f32_e32 v23, 0x3fb8aa3b, v18
	v_fma_f32 v24, v19, s17, -v22
	v_rndne_f32_e32 v25, v22
	v_fma_f32 v26, v18, s17, -v23
	v_rndne_f32_e32 v27, v23
	v_fmac_f32_e32 v24, 0x32a5705f, v19
	v_sub_f32_e32 v22, v22, v25
	v_fmac_f32_e32 v26, 0x32a5705f, v18
	v_sub_f32_e32 v23, v23, v27
	v_add_f32_e32 v22, v22, v24
	v_add_f32_e32 v23, v23, v26
	v_cvt_i32_f32_e32 v25, v25
	v_cvt_i32_f32_e32 v27, v27
	v_exp_f32_e32 v22, v22
	v_exp_f32_e32 v23, v23
	v_cmp_ngt_f32_e32 vcc, s33, v18
	v_cmp_ngt_f32_e64 s[2:3], s33, v19
	v_ldexp_f32 v22, v22, v25
	v_ldexp_f32 v23, v23, v27
	v_cndmask_b32_e64 v22, 0, v22, s[2:3]
	v_cndmask_b32_e32 v23, 0, v23, vcc
	v_cmp_nlt_f32_e32 vcc, s39, v18
	v_cmp_nlt_f32_e64 s[2:3], s39, v19
	v_cndmask_b32_e64 v19, v15, v22, s[2:3]
	v_cndmask_b32_e32 v18, v15, v23, vcc
	s_waitcnt vmcnt(0)
	v_pk_fma_f32 v[18:19], s[30:31], v[18:19], v[20:21] neg_lo:[1,0,0] neg_hi:[1,0,0]
	v_cvt_f16_f32_e32 v19, v19
	v_cvt_f16_f32_e32 v18, v18
	v_pack_b32_f16 v18, v18, v19
	global_store_dword v[10:11], v18, off
	v_add_co_u32_e32 v10, vcc, s12, v10
	v_addc_co_u32_e32 v11, vcc, v11, v17, vcc
	s_andn2_b64 exec, exec, s[14:15]
	s_cbranch_execnz .LBB299_61
; %bb.62:
	s_or_b64 exec, exec, s[14:15]
	v_mad_u64_u32 v[2:3], s[2:3], v6, s38, v[2:3]
	v_mov_b32_e32 v8, v3
	v_mad_u64_u32 v[8:9], s[2:3], v7, s38, v[8:9]
	v_cmp_ne_u64_e32 vcc, v[4:5], v[6:7]
	s_andn2_b64 s[2:3], s[8:9], exec
	s_and_b64 s[8:9], vcc, exec
	v_mov_b32_e32 v3, v8
	v_pk_mov_b32 v[10:11], s[42:43], s[42:43] op_sel:[0,1]
	v_pk_mov_b32 v[8:9], s[12:13], s[12:13] op_sel:[0,1]
	;; [unrolled: 1-line block ×3, first 2 shown]
	s_or_b64 s[8:9], s[2:3], s[8:9]
                                        ; kill: def $vgpr1 killed $sgpr0 killed $exec
.LBB299_63:
	s_or_b64 exec, exec, s[10:11]
	s_and_b64 exec, exec, s[8:9]
	s_cbranch_execz .LBB299_66
; %bb.64:
	v_lshlrev_b64 v[4:5], 2, v[2:3]
	v_add_co_u32_e32 v4, vcc, v10, v4
	v_addc_co_u32_e32 v1, vcc, v11, v5, vcc
	v_lshlrev_b64 v[6:7], 1, v[2:3]
	v_add_co_u32_e32 v5, vcc, v12, v6
	v_addc_co_u32_e32 v7, vcc, v13, v7, vcc
	v_mov_b32_e32 v10, s21
	v_add_co_u32_e32 v6, vcc, s20, v5
	s_mov_b32 s12, 0
	v_addc_co_u32_e32 v7, vcc, v10, v7, vcc
	s_lshl_b32 s8, s38, 1
	s_mov_b64 s[2:3], 0
	v_mov_b32_e32 v5, s25
	v_mov_b32_e32 v10, s23
	s_mov_b32 s9, 0x3fb8aa3b
	s_mov_b32 s10, 0xc2ce8ed0
	;; [unrolled: 1-line block ×3, first 2 shown]
	v_mov_b32_e32 v11, 0x7f800000
	v_mov_b32_e32 v12, s7
	;; [unrolled: 1-line block ×3, first 2 shown]
.LBB299_65:                             ; =>This Inner Loop Header: Depth=1
	v_add_co_u32_e32 v14, vcc, s22, v4
	v_addc_co_u32_e32 v15, vcc, v10, v1, vcc
	global_load_dword v16, v[14:15], off
	v_add_co_u32_e32 v14, vcc, s24, v4
	v_addc_co_u32_e32 v15, vcc, v5, v1, vcc
	global_load_dword v14, v[14:15], off
	v_add_co_u32_e32 v2, vcc, s38, v2
	v_addc_co_u32_e32 v3, vcc, v3, v12, vcc
	v_add_co_u32_e32 v4, vcc, v4, v8
	v_addc_co_u32_e32 v1, vcc, v1, v9, vcc
	v_cmp_le_i64_e32 vcc, s[44:45], v[2:3]
	s_or_b64 s[2:3], vcc, s[2:3]
	s_waitcnt vmcnt(1)
	v_mul_f32_e32 v15, 0x3fb8aa3b, v16
	v_fma_f32 v17, v16, s9, -v15
	v_rndne_f32_e32 v18, v15
	v_fmac_f32_e32 v17, 0x32a5705f, v16
	v_sub_f32_e32 v15, v15, v18
	v_add_f32_e32 v15, v15, v17
	v_cvt_i32_f32_e32 v18, v18
	v_exp_f32_e32 v15, v15
	v_cmp_ngt_f32_e32 vcc, s10, v16
	v_ldexp_f32 v15, v15, v18
	v_cndmask_b32_e32 v15, 0, v15, vcc
	v_cmp_nlt_f32_e32 vcc, s11, v16
	v_cndmask_b32_e32 v15, v11, v15, vcc
	s_waitcnt vmcnt(0)
	v_fma_mixlo_f16 v14, -s30, v15, v14
	global_store_short v[6:7], v14, off
	v_add_co_u32_e32 v6, vcc, s8, v6
	v_addc_co_u32_e32 v7, vcc, v7, v13, vcc
	s_andn2_b64 exec, exec, s[2:3]
	s_cbranch_execnz .LBB299_65
.LBB299_66:
	s_or_b64 exec, exec, s[4:5]
	s_mov_b64 s[2:3], 0
.LBB299_67:
	s_and_b64 vcc, exec, s[2:3]
	s_cbranch_vccz .LBB299_112
; %bb.68:
	s_lshl_b32 s2, s38, 2
	v_cvt_f32_u32_e32 v1, s2
	s_sub_i32 s3, 0, s2
	v_mov_b32_e32 v2, v0
	v_rcp_iflag_f32_e32 v1, v1
	v_mul_f32_e32 v1, 0x4f7ffffe, v1
	v_cvt_u32_f32_e32 v1, v1
	v_readfirstlane_b32 s4, v1
	s_mul_i32 s3, s3, s4
	s_mul_hi_u32 s3, s4, s3
	s_add_i32 s4, s4, s3
	s_mul_hi_u32 s3, s26, s4
	s_mul_i32 s3, s3, s2
	s_sub_i32 s3, s26, s3
	s_sub_i32 s4, s3, s2
	s_cmp_ge_u32 s3, s2
	s_cselect_b32 s3, s4, s3
	s_sub_i32 s4, s3, s2
	s_cmp_ge_u32 s3, s2
	s_cselect_b32 s2, s4, s3
	s_sub_i32 s7, s26, s2
	v_cmp_gt_i32_e32 vcc, s7, v0
	s_and_saveexec_b64 s[10:11], vcc
	s_cbranch_execz .LBB299_72
; %bb.69:
	s_add_i32 s21, s38, s38
	s_lshl_b32 s14, s38, 1
	s_mul_i32 s15, s38, 3
	s_mov_b64 s[12:13], 0
	v_mov_b32_e32 v1, s37
	v_mov_b32_e32 v8, s19
	s_mov_b32 s16, 0x3fb8aa3b
	s_mov_b32 s17, 0xc2ce8ed0
	;; [unrolled: 1-line block ×3, first 2 shown]
	v_mov_b32_e32 v9, 0x7f800000
	v_mov_b32_e32 v10, s35
	s_add_i32 s21, s21, s38
	v_mov_b32_e32 v3, 0
	v_mov_b32_e32 v2, v0
.LBB299_70:                             ; =>This Inner Loop Header: Depth=1
	v_lshlrev_b64 v[6:7], 2, v[2:3]
	v_add_co_u32_e32 v18, vcc, s36, v6
	v_addc_co_u32_e32 v19, vcc, v1, v7, vcc
	v_add_u32_e32 v4, s38, v2
	v_mov_b32_e32 v5, v3
	v_add_co_u32_e32 v6, vcc, s18, v6
	v_addc_co_u32_e32 v7, vcc, v8, v7, vcc
	v_lshlrev_b64 v[20:21], 2, v[4:5]
	global_load_dword v11, v[18:19], off
	global_load_dword v28, v[6:7], off
	v_add_co_u32_e32 v6, vcc, s36, v20
	v_addc_co_u32_e32 v7, vcc, v1, v21, vcc
	v_add_u32_e32 v12, s14, v2
	v_mov_b32_e32 v13, v3
	v_add_co_u32_e32 v18, vcc, s18, v20
	v_lshlrev_b64 v[22:23], 2, v[12:13]
	v_addc_co_u32_e32 v19, vcc, v8, v21, vcc
	v_add_u32_e32 v14, s15, v2
	v_mov_b32_e32 v15, v3
	v_add_co_u32_e32 v20, vcc, s36, v22
	v_lshlrev_b64 v[24:25], 2, v[14:15]
	v_addc_co_u32_e32 v21, vcc, v1, v23, vcc
	v_add_co_u32_e32 v26, vcc, s36, v24
	v_addc_co_u32_e32 v27, vcc, v1, v25, vcc
	global_load_dword v29, v[6:7], off
	global_load_dword v30, v[20:21], off
	;; [unrolled: 1-line block ×3, first 2 shown]
	v_add_co_u32_e32 v22, vcc, s18, v22
	v_addc_co_u32_e32 v23, vcc, v8, v23, vcc
	v_add_co_u32_e32 v6, vcc, s18, v24
	v_addc_co_u32_e32 v7, vcc, v8, v25, vcc
	global_load_dword v20, v[18:19], off
	global_load_dword v21, v[22:23], off
	;; [unrolled: 1-line block ×3, first 2 shown]
	v_lshlrev_b64 v[16:17], 1, v[2:3]
	v_add_co_u32_e32 v6, vcc, s34, v16
	v_addc_co_u32_e32 v7, vcc, v10, v17, vcc
	v_lshlrev_b64 v[16:17], 1, v[4:5]
	v_add_u32_e32 v2, s21, v4
	v_add_co_u32_e32 v4, vcc, s34, v16
	v_addc_co_u32_e32 v5, vcc, v10, v17, vcc
	v_lshlrev_b64 v[12:13], 1, v[12:13]
	v_add_co_u32_e32 v12, vcc, s34, v12
	v_lshlrev_b64 v[14:15], 1, v[14:15]
	v_addc_co_u32_e32 v13, vcc, v10, v13, vcc
	v_add_co_u32_e32 v14, vcc, s34, v14
	v_addc_co_u32_e32 v15, vcc, v10, v15, vcc
	v_cmp_le_i32_e32 vcc, s7, v2
	s_or_b64 s[12:13], vcc, s[12:13]
	s_waitcnt vmcnt(7)
	v_mul_f32_e32 v16, 0x3fb8aa3b, v11
	v_fma_f32 v17, v11, s16, -v16
	v_rndne_f32_e32 v18, v16
	v_fmac_f32_e32 v17, 0x32a5705f, v11
	v_sub_f32_e32 v16, v16, v18
	v_add_f32_e32 v16, v16, v17
	v_cvt_i32_f32_e32 v18, v18
	v_exp_f32_e32 v16, v16
	v_cmp_ngt_f32_e32 vcc, s17, v11
	v_cmp_nlt_f32_e64 s[8:9], s20, v11
	v_ldexp_f32 v16, v16, v18
	v_cndmask_b32_e32 v16, 0, v16, vcc
	v_cndmask_b32_e64 v11, v9, v16, s[8:9]
	s_waitcnt vmcnt(6)
	v_fma_mixlo_f16 v11, -s30, v11, v28
	global_store_short v[6:7], v11, off
	s_waitcnt vmcnt(6)
	v_mul_f32_e32 v19, 0x3fb8aa3b, v29
	s_waitcnt vmcnt(5)
	v_mul_f32_e32 v22, 0x3fb8aa3b, v30
	;; [unrolled: 2-line block ×3, first 2 shown]
	v_fma_f32 v25, v29, s16, -v19
	v_rndne_f32_e32 v26, v19
	v_fma_f32 v27, v30, s16, -v22
	v_rndne_f32_e32 v32, v22
	;; [unrolled: 2-line block ×3, first 2 shown]
	v_fmac_f32_e32 v25, 0x32a5705f, v29
	v_sub_f32_e32 v17, v19, v26
	v_fmac_f32_e32 v27, 0x32a5705f, v30
	v_sub_f32_e32 v22, v22, v32
	;; [unrolled: 2-line block ×3, first 2 shown]
	v_add_f32_e32 v17, v17, v25
	v_add_f32_e32 v22, v22, v27
	;; [unrolled: 1-line block ×3, first 2 shown]
	v_cvt_i32_f32_e32 v19, v26
	v_cvt_i32_f32_e32 v26, v32
	;; [unrolled: 1-line block ×3, first 2 shown]
	v_exp_f32_e32 v17, v17
	v_exp_f32_e32 v22, v22
	;; [unrolled: 1-line block ×3, first 2 shown]
	v_cmp_ngt_f32_e32 vcc, s17, v29
	v_ldexp_f32 v17, v17, v19
	v_ldexp_f32 v18, v22, v26
	v_cmp_ngt_f32_e64 s[2:3], s17, v30
	v_ldexp_f32 v19, v23, v32
	v_cmp_ngt_f32_e64 s[4:5], s17, v31
	v_cndmask_b32_e32 v16, 0, v17, vcc
	v_cndmask_b32_e64 v17, 0, v18, s[2:3]
	v_cndmask_b32_e64 v18, 0, v19, s[4:5]
	v_cmp_nlt_f32_e64 s[4:5], s20, v29
	v_cmp_nlt_f32_e32 vcc, s20, v30
	v_cmp_nlt_f32_e64 s[2:3], s20, v31
	v_cndmask_b32_e64 v16, v9, v16, s[4:5]
	v_cndmask_b32_e32 v17, v9, v17, vcc
	v_cndmask_b32_e64 v18, v9, v18, s[2:3]
	s_waitcnt vmcnt(3)
	v_fma_mixlo_f16 v6, -s30, v16, v20
	s_waitcnt vmcnt(2)
	v_fma_mixlo_f16 v7, -s30, v17, v21
	;; [unrolled: 2-line block ×3, first 2 shown]
	global_store_short v[4:5], v6, off
	global_store_short v[12:13], v7, off
	;; [unrolled: 1-line block ×3, first 2 shown]
	s_andn2_b64 exec, exec, s[12:13]
	s_cbranch_execnz .LBB299_70
; %bb.71:
	s_or_b64 exec, exec, s[12:13]
.LBB299_72:
	s_or_b64 exec, exec, s[10:11]
	v_cmp_gt_i32_e32 vcc, s26, v2
	s_and_saveexec_b64 s[4:5], vcc
	s_cbranch_execz .LBB299_75
; %bb.73:
	s_mov_b64 s[8:9], 0
	v_mov_b32_e32 v1, s19
	v_mov_b32_e32 v4, s37
	s_mov_b32 s7, 0x3fb8aa3b
	s_mov_b32 s10, 0xc2ce8ed0
	;; [unrolled: 1-line block ×3, first 2 shown]
	v_mov_b32_e32 v5, 0x7f800000
	v_mov_b32_e32 v6, s35
                                        ; kill: def $vgpr3 killed $sgpr0 killed $exec
.LBB299_74:                             ; =>This Inner Loop Header: Depth=1
	v_ashrrev_i32_e32 v3, 31, v2
	v_lshlrev_b64 v[8:9], 2, v[2:3]
	v_add_co_u32_e32 v10, vcc, s36, v8
	v_addc_co_u32_e32 v11, vcc, v4, v9, vcc
	global_load_dword v7, v[10:11], off
	v_add_co_u32_e32 v8, vcc, s18, v8
	v_addc_co_u32_e32 v9, vcc, v1, v9, vcc
	global_load_dword v10, v[8:9], off
	v_lshlrev_b64 v[8:9], 1, v[2:3]
	v_add_co_u32_e32 v8, vcc, s34, v8
	v_add_u32_e32 v2, s38, v2
	v_addc_co_u32_e32 v9, vcc, v6, v9, vcc
	v_cmp_le_i32_e32 vcc, s26, v2
	s_or_b64 s[8:9], vcc, s[8:9]
	s_waitcnt vmcnt(1)
	v_mul_f32_e32 v3, 0x3fb8aa3b, v7
	v_fma_f32 v11, v7, s7, -v3
	v_rndne_f32_e32 v12, v3
	v_fmac_f32_e32 v11, 0x32a5705f, v7
	v_sub_f32_e32 v3, v3, v12
	v_add_f32_e32 v3, v3, v11
	v_cvt_i32_f32_e32 v12, v12
	v_exp_f32_e32 v3, v3
	v_cmp_ngt_f32_e64 s[2:3], s10, v7
	v_ldexp_f32 v3, v3, v12
	v_cndmask_b32_e64 v3, 0, v3, s[2:3]
	v_cmp_nlt_f32_e64 s[2:3], s11, v7
	v_cndmask_b32_e64 v3, v5, v3, s[2:3]
	s_waitcnt vmcnt(0)
	v_fma_mixlo_f16 v3, -s30, v3, v10
	global_store_short v[8:9], v3, off
	s_andn2_b64 exec, exec, s[8:9]
	s_cbranch_execnz .LBB299_74
.LBB299_75:
	s_or_b64 exec, exec, s[4:5]
	s_mov_b64 s[2:3], 0
.LBB299_76:
	s_andn2_b64 vcc, exec, s[2:3]
	s_cbranch_vccnz .LBB299_113
.LBB299_77:
	s_cmp_lg_u64 s[40:41], 0
	s_cselect_b64 s[4:5], -1, 0
	v_cndmask_b32_e64 v1, 0, 1, s[4:5]
	s_mov_b64 s[2:3], -1
	s_and_b64 vcc, exec, s[0:1]
	v_cmp_ne_u32_e64 s[0:1], 1, v1
	s_cbranch_vccz .LBB299_101
; %bb.78:
	v_mov_b32_e32 v1, 0
	s_and_b64 vcc, exec, s[0:1]
	s_mov_b64 s[10:11], s[26:27]
	s_mov_b64 s[16:17], s[34:35]
	;; [unrolled: 1-line block ×4, first 2 shown]
	s_cbranch_vccnz .LBB299_82
; %bb.79:
	s_lshl_b32 s2, s40, 1
	s_sub_u32 s9, s34, s2
	s_subb_u32 s12, s35, 0
	s_lshl_b32 s2, s40, 2
	s_sub_u32 s7, s36, s2
	s_subb_u32 s8, s37, 0
	s_sub_u32 s4, s18, s2
	s_mov_b32 s39, 0
	s_subb_u32 s5, s19, 0
	v_cmp_le_u64_e32 vcc, s[40:41], v[0:1]
	s_and_saveexec_b64 s[2:3], vcc
	s_cbranch_execz .LBB299_81
; %bb.80:
	v_lshlrev_b64 v[2:3], 2, v[0:1]
	v_mov_b32_e32 v5, s8
	v_add_co_u32_e32 v4, vcc, s7, v2
	v_addc_co_u32_e32 v5, vcc, v5, v3, vcc
	global_load_dword v4, v[4:5], off
	v_mov_b32_e32 v5, s5
	v_add_co_u32_e32 v2, vcc, s4, v2
	v_addc_co_u32_e32 v3, vcc, v5, v3, vcc
	global_load_dword v5, v[2:3], off
	s_mov_b32 s10, 0x3fb8aa3b
	s_mov_b32 s11, 0xc2ce8ed0
	;; [unrolled: 1-line block ×3, first 2 shown]
	v_mov_b32_e32 v6, 0x7f800000
	v_mov_b32_e32 v9, s12
	s_waitcnt vmcnt(1)
	v_mul_f32_e32 v2, 0x3fb8aa3b, v4
	v_fma_f32 v3, v4, s10, -v2
	v_rndne_f32_e32 v7, v2
	v_fmac_f32_e32 v3, 0x32a5705f, v4
	v_sub_f32_e32 v2, v2, v7
	v_add_f32_e32 v2, v2, v3
	v_cvt_i32_f32_e32 v7, v7
	v_exp_f32_e32 v8, v2
	v_cmp_ngt_f32_e32 vcc, s11, v4
	v_lshlrev_b64 v[2:3], 1, v[0:1]
	v_ldexp_f32 v7, v8, v7
	v_cndmask_b32_e32 v7, 0, v7, vcc
	v_cmp_nlt_f32_e32 vcc, s13, v4
	v_cndmask_b32_e32 v4, v6, v7, vcc
	v_add_co_u32_e32 v2, vcc, s9, v2
	s_waitcnt vmcnt(0)
	v_fma_mixlo_f16 v4, -s30, v4, v5
	v_addc_co_u32_e32 v3, vcc, v9, v3, vcc
	global_store_short v[2:3], v4, off
.LBB299_81:
	s_or_b64 exec, exec, s[2:3]
	s_add_u32 s2, s40, s26
	s_addc_u32 s3, 0, s27
	v_pk_mov_b32 v[2:3], s[38:39], s[38:39] op_sel:[0,1]
	v_cmp_lt_i64_e32 vcc, s[2:3], v[2:3]
	s_and_b64 s[10:11], vcc, exec
	s_cselect_b32 s10, s2, s38
	s_cselect_b32 s11, s3, 0
	s_sub_u32 s10, s2, s10
	s_subb_u32 s11, s3, s11
	s_lshl_b32 s2, s38, 1
	s_add_u32 s16, s9, s2
	s_addc_u32 s17, s12, 0
	s_lshl_b32 s2, s38, 2
	s_add_u32 s12, s7, s2
	s_addc_u32 s13, s8, 0
	s_add_u32 s14, s4, s2
	s_addc_u32 s15, s5, 0
.LBB299_82:
	s_load_dword s2, s[28:29], 0x0
	v_mov_b32_e32 v2, 0
	s_mov_b32 s33, 0
	s_waitcnt lgkmcnt(0)
	s_cmp_lt_u32 s6, s2
	s_cselect_b32 s2, 12, 18
	s_add_u32 s2, s28, s2
	s_addc_u32 s3, s29, 0
	global_load_ushort v2, v2, s[2:3]
	s_mov_b32 s2, s33
	s_waitcnt vmcnt(0)
	v_readfirstlane_b32 s3, v2
	s_and_b32 s7, s3, 0xffff
	s_lshl_b32 s27, s7, 2
	s_mov_b32 s3, s11
	s_cmp_lg_u64 s[2:3], 0
	s_cbranch_scc0 .LBB299_114
; %bb.83:
	v_cvt_f32_u32_e32 v2, s27
	v_cvt_f32_ubyte0_e32 v3, 0
	s_sub_u32 s4, 0, s27
	s_subb_u32 s5, 0, 0
	v_madmk_f32 v2, v3, 0x4f800000, v2
	v_rcp_f32_e32 v2, v2
	v_mul_f32_e32 v2, 0x5f7ffffc, v2
	v_mul_f32_e32 v3, 0x2f800000, v2
	v_trunc_f32_e32 v3, v3
	v_madmk_f32 v2, v3, 0xcf800000, v2
	v_cvt_u32_f32_e32 v3, v3
	v_cvt_u32_f32_e32 v2, v2
	v_readfirstlane_b32 s8, v3
	v_readfirstlane_b32 s9, v2
	s_mul_i32 s20, s4, s8
	s_mul_hi_u32 s22, s4, s9
	s_mul_i32 s21, s5, s9
	s_add_i32 s20, s22, s20
	s_add_i32 s20, s20, s21
	s_mul_i32 s23, s4, s9
	s_mul_hi_u32 s21, s9, s20
	s_mul_i32 s22, s9, s20
	s_mul_hi_u32 s9, s9, s23
	s_add_u32 s9, s9, s22
	s_addc_u32 s21, 0, s21
	s_mul_hi_u32 s24, s8, s23
	s_mul_i32 s23, s8, s23
	s_add_u32 s9, s9, s23
	s_mul_hi_u32 s22, s8, s20
	s_addc_u32 s9, s21, s24
	s_addc_u32 s21, s22, 0
	s_mul_i32 s20, s8, s20
	s_add_u32 s9, s9, s20
	s_addc_u32 s20, 0, s21
	v_add_co_u32_e32 v2, vcc, s9, v2
	s_cmp_lg_u64 vcc, 0
	s_addc_u32 s8, s8, s20
	v_readfirstlane_b32 s20, v2
	s_mul_i32 s9, s4, s8
	s_mul_hi_u32 s21, s4, s20
	s_add_i32 s9, s21, s9
	s_mul_i32 s5, s5, s20
	s_add_i32 s9, s9, s5
	s_mul_i32 s4, s4, s20
	s_mul_hi_u32 s21, s8, s4
	s_mul_i32 s22, s8, s4
	s_mul_i32 s24, s20, s9
	s_mul_hi_u32 s4, s20, s4
	s_mul_hi_u32 s23, s20, s9
	s_add_u32 s4, s4, s24
	s_addc_u32 s20, 0, s23
	s_add_u32 s4, s4, s22
	s_mul_hi_u32 s5, s8, s9
	s_addc_u32 s4, s20, s21
	s_addc_u32 s5, s5, 0
	s_mul_i32 s9, s8, s9
	s_add_u32 s4, s4, s9
	s_addc_u32 s5, 0, s5
	v_add_co_u32_e32 v2, vcc, s4, v2
	s_cmp_lg_u64 vcc, 0
	s_addc_u32 s20, s8, s5
	s_ashr_i32 s4, s11, 31
	s_add_u32 s8, s10, s4
	s_mov_b32 s5, s4
	s_addc_u32 s9, s11, s4
	s_xor_b64 s[8:9], s[8:9], s[4:5]
	v_readfirstlane_b32 s22, v2
	s_mul_i32 s21, s8, s20
	s_mul_hi_u32 s23, s8, s22
	s_mul_hi_u32 s5, s8, s20
	s_add_u32 s21, s23, s21
	s_addc_u32 s5, 0, s5
	s_mul_hi_u32 s24, s9, s22
	s_mul_i32 s22, s9, s22
	s_add_u32 s21, s21, s22
	s_mul_hi_u32 s23, s9, s20
	s_addc_u32 s5, s5, s24
	s_addc_u32 s21, s23, 0
	s_mul_i32 s20, s9, s20
	s_add_u32 s5, s5, s20
	s_addc_u32 s20, 0, s21
	s_mul_hi_u32 s21, s27, s5
	s_mul_i32 s5, s27, s5
	s_mul_i32 s20, s27, s20
	v_mov_b32_e32 v2, s5
	s_add_i32 s21, s21, s20
	v_sub_co_u32_e32 v2, vcc, s8, v2
	s_cmp_lg_u64 vcc, 0
	s_subb_u32 s5, s9, s21
	v_subrev_co_u32_e32 v3, vcc, s27, v2
	s_cmp_lg_u64 vcc, 0
	s_subb_u32 s8, s5, 0
	v_subrev_co_u32_e32 v4, vcc, s27, v3
	s_cmp_lg_u64 vcc, 0
	s_subb_u32 s9, s8, 0
	v_cmp_le_u32_e32 vcc, s27, v3
	s_cmp_eq_u32 s8, 0
	v_cndmask_b32_e64 v5, 0, -1, vcc
	s_cselect_b64 vcc, -1, 0
	v_cndmask_b32_e32 v5, -1, v5, vcc
	v_mov_b32_e32 v6, s8
	v_mov_b32_e32 v7, s9
	v_cmp_ne_u32_e32 vcc, 0, v5
	v_cndmask_b32_e32 v5, v6, v7, vcc
	v_cndmask_b32_e32 v3, v3, v4, vcc
	v_cmp_le_u32_e32 vcc, s27, v2
	s_cmp_eq_u32 s5, 0
	v_cndmask_b32_e64 v4, 0, -1, vcc
	s_cselect_b64 vcc, -1, 0
	v_cndmask_b32_e32 v4, -1, v4, vcc
	v_cmp_ne_u32_e32 vcc, 0, v4
	v_mov_b32_e32 v6, s5
	v_cndmask_b32_e32 v2, v2, v3, vcc
	v_cndmask_b32_e32 v4, v6, v5, vcc
	v_xor_b32_e32 v2, s4, v2
	v_xor_b32_e32 v3, s4, v4
	v_mov_b32_e32 v4, s4
	v_subrev_co_u32_e32 v10, vcc, s4, v2
	v_subb_co_u32_e32 v11, vcc, v3, v4, vcc
	s_cbranch_execnz .LBB299_85
.LBB299_84:
	v_cvt_f32_u32_e32 v2, s27
	s_sub_i32 s2, 0, s27
	v_mov_b32_e32 v11, 0
	v_rcp_iflag_f32_e32 v2, v2
	v_mul_f32_e32 v2, 0x4f7ffffe, v2
	v_cvt_u32_f32_e32 v2, v2
	v_mul_lo_u32 v3, s2, v2
	v_mul_hi_u32 v3, v2, v3
	v_add_u32_e32 v2, v2, v3
	v_mul_hi_u32 v2, s10, v2
	v_mul_lo_u32 v2, v2, s27
	v_sub_u32_e32 v2, s10, v2
	v_subrev_u32_e32 v3, s27, v2
	v_cmp_le_u32_e32 vcc, s27, v2
	v_cndmask_b32_e32 v2, v2, v3, vcc
	v_subrev_u32_e32 v3, s27, v2
	v_cmp_le_u32_e32 vcc, s27, v2
	v_cndmask_b32_e32 v10, v2, v3, vcc
.LBB299_85:
	v_mov_b32_e32 v2, s11
	v_sub_co_u32_e32 v12, vcc, s10, v10
	v_subb_co_u32_e32 v13, vcc, v2, v11, vcc
	v_lshlrev_b64 v[2:3], 2, v[0:1]
	v_cmp_lt_i64_e32 vcc, v[2:3], v[12:13]
	s_and_saveexec_b64 s[20:21], vcc
	s_cbranch_execz .LBB299_88
; %bb.86:
	v_lshlrev_b64 v[2:3], 3, v[0:1]
	s_mov_b32 s4, 0
	v_mov_b32_e32 v4, s17
	v_add_co_u32_e32 v16, vcc, s16, v2
	s_mov_b32 s31, s30
	v_lshlrev_b64 v[14:15], 4, v[0:1]
	s_lshl_b32 s39, s7, 4
	v_addc_co_u32_e32 v17, vcc, v4, v3, vcc
	s_lshl_b32 s41, s7, 3
	s_mov_b64 s[22:23], 0
	v_mov_b32_e32 v20, s13
	v_mov_b32_e32 v21, s15
	s_mov_b32 s42, 0x3fb8aa3b
	s_mov_b32 s43, 0xc2ce8ed0
	;; [unrolled: 1-line block ×3, first 2 shown]
	v_mov_b32_e32 v22, 0x7f800000
	s_xor_b32 s25, s30, 0x80000000
	s_xor_b32 s24, s30, 0x80000000
	v_mov_b32_e32 v23, s33
	v_mov_b32_e32 v24, s4
	;; [unrolled: 1-line block ×3, first 2 shown]
	v_pk_mov_b32 v[18:19], v[0:1], v[0:1] op_sel:[0,1]
.LBB299_87:                             ; =>This Inner Loop Header: Depth=1
	v_add_co_u32_e32 v2, vcc, s12, v14
	v_addc_co_u32_e32 v3, vcc, v20, v15, vcc
	global_load_dwordx4 v[6:9], v[2:3], off
	v_add_co_u32_e32 v4, vcc, s14, v14
	v_addc_co_u32_e32 v5, vcc, v21, v15, vcc
	global_load_dwordx4 v[2:5], v[4:5], off
	v_add_co_u32_e32 v18, vcc, s7, v18
	v_addc_co_u32_e32 v19, vcc, v19, v23, vcc
	v_add_co_u32_e32 v14, vcc, s39, v14
	v_addc_co_u32_e32 v15, vcc, v15, v24, vcc
	v_lshlrev_b64 v[26:27], 2, v[18:19]
	v_cmp_ge_i64_e32 vcc, v[26:27], v[12:13]
	s_or_b64 s[22:23], vcc, s[22:23]
	s_waitcnt vmcnt(1)
	v_mul_f32_e32 v1, 0x3fb8aa3b, v9
	v_mul_f32_e32 v26, 0x3fb8aa3b, v8
	;; [unrolled: 1-line block ×4, first 2 shown]
	v_fma_f32 v29, v9, s42, -v1
	v_rndne_f32_e32 v30, v1
	v_fma_f32 v31, v8, s42, -v26
	v_rndne_f32_e32 v32, v26
	;; [unrolled: 2-line block ×4, first 2 shown]
	v_fmac_f32_e32 v29, 0x32a5705f, v9
	v_sub_f32_e32 v1, v1, v30
	v_fmac_f32_e32 v31, 0x32a5705f, v8
	v_sub_f32_e32 v26, v26, v32
	;; [unrolled: 2-line block ×4, first 2 shown]
	v_add_f32_e32 v1, v1, v29
	v_add_f32_e32 v26, v26, v31
	;; [unrolled: 1-line block ×4, first 2 shown]
	v_cvt_i32_f32_e32 v30, v30
	v_cvt_i32_f32_e32 v32, v32
	;; [unrolled: 1-line block ×4, first 2 shown]
	v_exp_f32_e32 v1, v1
	v_exp_f32_e32 v26, v26
	;; [unrolled: 1-line block ×4, first 2 shown]
	v_ldexp_f32 v1, v1, v30
	v_ldexp_f32 v26, v26, v32
	v_cmp_ngt_f32_e32 vcc, s43, v8
	v_ldexp_f32 v27, v27, v34
	v_cmp_ngt_f32_e64 s[2:3], s43, v7
	v_ldexp_f32 v28, v28, v36
	v_cmp_ngt_f32_e64 s[4:5], s43, v6
	v_cmp_ngt_f32_e64 s[8:9], s43, v9
	v_cndmask_b32_e64 v1, 0, v1, s[8:9]
	v_cndmask_b32_e32 v26, 0, v26, vcc
	v_cmp_nlt_f32_e32 vcc, s44, v8
	v_cndmask_b32_e64 v8, 0, v27, s[2:3]
	v_cmp_nlt_f32_e64 s[2:3], s44, v7
	v_cndmask_b32_e64 v27, 0, v28, s[4:5]
	v_cmp_nlt_f32_e64 s[4:5], s44, v6
	v_cmp_nlt_f32_e64 s[8:9], s44, v9
	v_cndmask_b32_e64 v7, v22, v1, s[8:9]
	v_cndmask_b32_e32 v6, v22, v26, vcc
	v_cndmask_b32_e64 v9, v22, v8, s[2:3]
	v_cndmask_b32_e64 v8, v22, v27, s[4:5]
	s_waitcnt vmcnt(0)
	v_pk_fma_f32 v[2:3], s[30:31], v[8:9], v[2:3] neg_lo:[1,0,0] neg_hi:[1,0,0]
	v_pk_fma_f32 v[4:5], s[24:25], v[6:7], v[4:5]
	v_cvt_f16_f32_e32 v1, v5
	v_cvt_f16_f32_e32 v4, v4
	;; [unrolled: 1-line block ×4, first 2 shown]
	v_pack_b32_f16 v3, v4, v1
	v_pack_b32_f16 v2, v2, v5
	global_store_dwordx2 v[16:17], v[2:3], off
	v_add_co_u32_e32 v16, vcc, s41, v16
	v_addc_co_u32_e32 v17, vcc, v17, v25, vcc
	s_andn2_b64 exec, exec, s[22:23]
	s_cbranch_execnz .LBB299_87
.LBB299_88:
	s_or_b64 exec, exec, s[20:21]
	v_add_co_u32_e32 v2, vcc, v12, v0
	v_addc_co_u32_e32 v3, vcc, 0, v13, vcc
	v_cmp_gt_i64_e32 vcc, s[10:11], v[2:3]
	s_and_saveexec_b64 s[4:5], vcc
	s_cbranch_execz .LBB299_100
; %bb.89:
	v_mov_b32_e32 v1, s33
	v_add_co_u32_e32 v6, vcc, s7, v0
	v_addc_co_u32_e32 v7, vcc, 0, v1, vcc
	v_mov_b32_e32 v1, s11
	v_add_co_u32_e32 v4, vcc, s10, v6
	v_addc_co_u32_e32 v5, vcc, v7, v1, vcc
	v_sub_co_u32_e32 v4, vcc, v4, v10
	v_subb_co_u32_e32 v5, vcc, v5, v11, vcc
	v_mov_b32_e32 v8, s11
	v_cmp_gt_i64_e32 vcc, s[10:11], v[4:5]
	v_cndmask_b32_e32 v5, v5, v8, vcc
	v_mov_b32_e32 v8, s10
	v_cndmask_b32_e32 v4, v4, v8, vcc
	v_add_co_u32_e32 v4, vcc, v10, v4
	v_addc_co_u32_e32 v5, vcc, v11, v5, vcc
	v_subrev_co_u32_e32 v8, vcc, s10, v4
	v_subb_co_u32_e32 v9, vcc, v5, v1, vcc
	v_cmp_ne_u64_e32 vcc, v[8:9], v[6:7]
	v_cndmask_b32_e64 v4, 0, 1, vcc
	v_add_co_u32_e32 v1, vcc, v6, v4
	v_addc_co_u32_e32 v5, vcc, 0, v7, vcc
	v_sub_co_u32_e32 v1, vcc, v8, v1
	v_subb_co_u32_e32 v7, vcc, v9, v5, vcc
	v_mov_b32_e32 v6, 0
	v_cmp_ne_u64_e32 vcc, 0, v[6:7]
                                        ; implicit-def: $vgpr8_vgpr9
	s_and_saveexec_b64 s[2:3], vcc
	s_xor_b64 s[8:9], exec, s[2:3]
	s_cbranch_execz .LBB299_91
; %bb.90:
	v_cvt_f32_u32_e32 v5, s7
	v_mov_b32_e32 v6, 0x4f800000
	s_sub_u32 s2, 0, s7
	s_subb_u32 s3, 0, 0
	v_mac_f32_e32 v5, 0, v6
	v_rcp_f32_e32 v5, v5
	v_mul_f32_e32 v5, 0x5f7ffffc, v5
	v_mul_f32_e32 v6, 0x2f800000, v5
	v_trunc_f32_e32 v6, v6
	v_madmk_f32 v5, v6, 0xcf800000, v5
	v_cvt_u32_f32_e32 v6, v6
	v_cvt_u32_f32_e32 v5, v5
	v_mul_lo_u32 v8, s2, v6
	v_mul_hi_u32 v10, s2, v5
	v_mul_lo_u32 v9, s3, v5
	v_add_u32_e32 v8, v10, v8
	v_mul_lo_u32 v11, s2, v5
	v_add_u32_e32 v8, v8, v9
	v_mul_hi_u32 v10, v5, v11
	v_mul_lo_u32 v12, v5, v8
	v_mul_hi_u32 v9, v5, v8
	v_add_co_u32_e32 v10, vcc, v10, v12
	v_addc_co_u32_e32 v9, vcc, 0, v9, vcc
	v_mul_hi_u32 v13, v6, v11
	v_mul_lo_u32 v11, v6, v11
	v_add_co_u32_e32 v10, vcc, v10, v11
	v_mul_hi_u32 v12, v6, v8
	v_addc_co_u32_e32 v9, vcc, v9, v13, vcc
	v_addc_co_u32_e32 v10, vcc, 0, v12, vcc
	v_mul_lo_u32 v8, v6, v8
	v_add_co_u32_e32 v8, vcc, v9, v8
	v_addc_co_u32_e32 v9, vcc, 0, v10, vcc
	v_add_co_u32_e32 v5, vcc, v5, v8
	v_addc_co_u32_e32 v6, vcc, v6, v9, vcc
	v_mul_lo_u32 v8, s2, v6
	v_mul_hi_u32 v9, s2, v5
	v_add_u32_e32 v8, v9, v8
	v_mul_lo_u32 v9, s3, v5
	v_add_u32_e32 v8, v8, v9
	v_mul_lo_u32 v10, s2, v5
	v_mul_hi_u32 v11, v6, v10
	v_mul_lo_u32 v12, v6, v10
	v_mul_lo_u32 v14, v5, v8
	v_mul_hi_u32 v10, v5, v10
	v_mul_hi_u32 v13, v5, v8
	v_add_co_u32_e32 v10, vcc, v10, v14
	v_addc_co_u32_e32 v13, vcc, 0, v13, vcc
	v_add_co_u32_e32 v10, vcc, v10, v12
	v_mul_hi_u32 v9, v6, v8
	v_addc_co_u32_e32 v10, vcc, v13, v11, vcc
	v_addc_co_u32_e32 v9, vcc, 0, v9, vcc
	v_mul_lo_u32 v8, v6, v8
	v_add_co_u32_e32 v8, vcc, v10, v8
	v_addc_co_u32_e32 v9, vcc, 0, v9, vcc
	v_add_co_u32_e32 v5, vcc, v5, v8
	v_addc_co_u32_e32 v6, vcc, v6, v9, vcc
	v_mad_u64_u32 v[8:9], s[2:3], v1, v6, 0
	v_mul_hi_u32 v10, v1, v5
	v_add_co_u32_e32 v12, vcc, v10, v8
	v_addc_co_u32_e32 v13, vcc, 0, v9, vcc
	v_mad_u64_u32 v[10:11], s[2:3], v7, v5, 0
	v_add_co_u32_e32 v5, vcc, v12, v10
	v_mad_u64_u32 v[8:9], s[2:3], v7, v6, 0
	v_addc_co_u32_e32 v5, vcc, v13, v11, vcc
	v_addc_co_u32_e32 v6, vcc, 0, v9, vcc
	v_add_co_u32_e32 v5, vcc, v5, v8
	v_mad_u64_u32 v[8:9], s[2:3], s7, v5, 0
	v_addc_co_u32_e32 v12, vcc, 0, v6, vcc
	v_mov_b32_e32 v6, v9
	v_mad_u64_u32 v[10:11], s[2:3], s7, v12, v[6:7]
	v_sub_co_u32_e32 v1, vcc, v1, v8
	v_subb_co_u32_e32 v6, vcc, v7, v10, vcc
	v_subrev_co_u32_e32 v7, vcc, s7, v1
	v_subbrev_co_u32_e32 v8, vcc, 0, v6, vcc
	v_cmp_le_u32_e32 vcc, s7, v7
	v_cndmask_b32_e64 v7, 0, -1, vcc
	v_cmp_eq_u32_e32 vcc, 0, v8
	v_cndmask_b32_e32 v7, -1, v7, vcc
	v_add_co_u32_e32 v8, vcc, 2, v5
	v_addc_co_u32_e32 v9, vcc, 0, v12, vcc
	v_add_co_u32_e32 v10, vcc, 1, v5
	v_cmp_le_u32_e64 s[2:3], s7, v1
	v_addc_co_u32_e32 v11, vcc, 0, v12, vcc
	v_cndmask_b32_e64 v1, 0, -1, s[2:3]
	v_cmp_eq_u32_e64 s[2:3], 0, v6
	v_cmp_ne_u32_e32 vcc, 0, v7
	v_cndmask_b32_e64 v1, -1, v1, s[2:3]
	v_cndmask_b32_e32 v7, v11, v9, vcc
	v_cmp_ne_u32_e64 s[2:3], 0, v1
	v_cndmask_b32_e32 v1, v10, v8, vcc
	v_cndmask_b32_e64 v9, v12, v7, s[2:3]
	v_cndmask_b32_e64 v8, v5, v1, s[2:3]
                                        ; implicit-def: $vgpr1
.LBB299_91:
	s_andn2_saveexec_b64 s[2:3], s[8:9]
	s_cbranch_execz .LBB299_93
; %bb.92:
	v_cvt_f32_u32_e32 v5, s7
	s_sub_i32 s8, 0, s7
	v_mov_b32_e32 v9, 0
	v_rcp_iflag_f32_e32 v5, v5
	v_mul_f32_e32 v5, 0x4f7ffffe, v5
	v_cvt_u32_f32_e32 v5, v5
	v_mul_lo_u32 v6, s8, v5
	v_mul_hi_u32 v6, v5, v6
	v_add_u32_e32 v5, v5, v6
	v_mul_hi_u32 v5, v1, v5
	v_mul_lo_u32 v6, v5, s7
	v_sub_u32_e32 v1, v1, v6
	v_add_u32_e32 v7, 1, v5
	v_subrev_u32_e32 v6, s7, v1
	v_cmp_le_u32_e32 vcc, s7, v1
	v_cndmask_b32_e32 v1, v1, v6, vcc
	v_cndmask_b32_e32 v5, v5, v7, vcc
	v_add_u32_e32 v6, 1, v5
	v_cmp_le_u32_e32 vcc, s7, v1
	v_cndmask_b32_e32 v8, v5, v6, vcc
.LBB299_93:
	s_or_b64 exec, exec, s[2:3]
	v_add_co_u32_e32 v1, vcc, v8, v4
	v_addc_co_u32_e32 v5, vcc, 0, v9, vcc
	v_add_co_u32_e32 v4, vcc, 1, v1
	v_addc_co_u32_e32 v5, vcc, 0, v5, vcc
	v_cmp_lt_u64_e32 vcc, 1, v[4:5]
	v_cmp_eq_u16_e64 s[2:3], s7, 1
	s_and_b64 s[20:21], vcc, s[2:3]
	s_mov_b64 s[2:3], -1
	s_and_saveexec_b64 s[8:9], s[20:21]
	s_cbranch_execz .LBB299_97
; %bb.94:
	v_lshlrev_b64 v[10:11], 1, v[2:3]
	v_and_b32_e32 v6, -2, v4
	v_mov_b32_e32 v7, v5
	s_mov_b32 s2, 0
	v_mov_b32_e32 v1, s17
	v_add_co_u32_e32 v10, vcc, s16, v10
	s_mov_b32 s31, s30
	v_lshlrev_b64 v[8:9], 2, v[2:3]
	s_lshl_b32 s22, s7, 3
	v_addc_co_u32_e32 v11, vcc, v1, v11, vcc
	s_mov_b64 s[20:21], 0
	v_mov_b32_e32 v1, s15
	v_mov_b32_e32 v14, s13
	s_mov_b32 s23, 0x3fb8aa3b
	s_mov_b32 s24, 0xc2ce8ed0
	;; [unrolled: 1-line block ×3, first 2 shown]
	v_mov_b32_e32 v15, 0x7f800000
	v_mov_b32_e32 v16, s2
	v_pk_mov_b32 v[12:13], v[6:7], v[6:7] op_sel:[0,1]
.LBB299_95:                             ; =>This Inner Loop Header: Depth=1
	v_add_co_u32_e32 v18, vcc, s12, v8
	v_addc_co_u32_e32 v19, vcc, v14, v9, vcc
	global_load_dwordx2 v[18:19], v[18:19], off
	v_add_co_u32_e32 v20, vcc, s14, v8
	v_addc_co_u32_e32 v21, vcc, v1, v9, vcc
	global_load_dwordx2 v[20:21], v[20:21], off
	v_add_co_u32_e32 v12, vcc, -2, v12
	v_addc_co_u32_e32 v13, vcc, -1, v13, vcc
	v_add_co_u32_e32 v8, vcc, s22, v8
	v_addc_co_u32_e32 v9, vcc, v9, v16, vcc
	v_cmp_eq_u64_e32 vcc, 0, v[12:13]
	s_or_b64 s[20:21], vcc, s[20:21]
	s_waitcnt vmcnt(1)
	v_mul_f32_e32 v17, 0x3fb8aa3b, v19
	v_mul_f32_e32 v22, 0x3fb8aa3b, v18
	v_fma_f32 v23, v19, s23, -v17
	v_rndne_f32_e32 v24, v17
	v_fma_f32 v25, v18, s23, -v22
	v_rndne_f32_e32 v26, v22
	v_fmac_f32_e32 v23, 0x32a5705f, v19
	v_sub_f32_e32 v17, v17, v24
	v_fmac_f32_e32 v25, 0x32a5705f, v18
	v_sub_f32_e32 v22, v22, v26
	v_add_f32_e32 v17, v17, v23
	v_add_f32_e32 v22, v22, v25
	v_cvt_i32_f32_e32 v24, v24
	v_cvt_i32_f32_e32 v26, v26
	v_exp_f32_e32 v17, v17
	v_exp_f32_e32 v22, v22
	v_cmp_ngt_f32_e32 vcc, s24, v18
	v_cmp_ngt_f32_e64 s[2:3], s24, v19
	v_ldexp_f32 v17, v17, v24
	v_ldexp_f32 v22, v22, v26
	v_cndmask_b32_e64 v17, 0, v17, s[2:3]
	v_cndmask_b32_e32 v22, 0, v22, vcc
	v_cmp_nlt_f32_e32 vcc, s25, v18
	v_cmp_nlt_f32_e64 s[2:3], s25, v19
	v_cndmask_b32_e64 v19, v15, v17, s[2:3]
	v_cndmask_b32_e32 v18, v15, v22, vcc
	s_waitcnt vmcnt(0)
	v_pk_fma_f32 v[18:19], s[30:31], v[18:19], v[20:21] neg_lo:[1,0,0] neg_hi:[1,0,0]
	v_cvt_f16_f32_e32 v17, v19
	v_cvt_f16_f32_e32 v18, v18
	v_pack_b32_f16 v17, v18, v17
	global_store_dword v[10:11], v17, off
	v_add_co_u32_e32 v10, vcc, s27, v10
	v_addc_co_u32_e32 v11, vcc, 0, v11, vcc
	s_andn2_b64 exec, exec, s[20:21]
	s_cbranch_execnz .LBB299_95
; %bb.96:
	s_or_b64 exec, exec, s[20:21]
	v_mad_u64_u32 v[2:3], s[2:3], v6, s7, v[2:3]
	v_mov_b32_e32 v8, v3
	v_mad_u64_u32 v[8:9], s[2:3], v7, s7, v[8:9]
	v_cmp_ne_u64_e32 vcc, v[4:5], v[6:7]
	v_mov_b32_e32 v3, v8
	s_orn2_b64 s[2:3], vcc, exec
                                        ; kill: def $vgpr1 killed $sgpr0 killed $exec
.LBB299_97:
	s_or_b64 exec, exec, s[8:9]
	s_and_b64 exec, exec, s[2:3]
	s_cbranch_execz .LBB299_100
; %bb.98:
	v_lshlrev_b64 v[6:7], 1, v[2:3]
	v_mov_b32_e32 v1, s17
	v_add_co_u32_e32 v6, vcc, s16, v6
	s_mov_b32 s16, 0
	v_lshlrev_b64 v[4:5], 2, v[2:3]
	v_addc_co_u32_e32 v7, vcc, v1, v7, vcc
	s_lshl_b32 s8, s7, 1
	s_mov_b64 s[2:3], 0
	v_mov_b32_e32 v1, s15
	v_mov_b32_e32 v8, s13
	s_mov_b32 s9, 0x3fb8aa3b
	s_mov_b32 s13, 0xc2ce8ed0
	s_mov_b32 s15, 0x42b17218
	v_mov_b32_e32 v9, 0x7f800000
	v_mov_b32_e32 v10, s33
	;; [unrolled: 1-line block ×3, first 2 shown]
.LBB299_99:                             ; =>This Inner Loop Header: Depth=1
	v_add_co_u32_e32 v12, vcc, s12, v4
	v_addc_co_u32_e32 v13, vcc, v8, v5, vcc
	global_load_dword v14, v[12:13], off
	v_add_co_u32_e32 v12, vcc, s14, v4
	v_addc_co_u32_e32 v13, vcc, v1, v5, vcc
	global_load_dword v12, v[12:13], off
	v_add_co_u32_e32 v2, vcc, s7, v2
	v_addc_co_u32_e32 v3, vcc, v3, v10, vcc
	v_add_co_u32_e32 v4, vcc, s27, v4
	v_addc_co_u32_e32 v5, vcc, 0, v5, vcc
	v_cmp_le_i64_e32 vcc, s[10:11], v[2:3]
	s_or_b64 s[2:3], vcc, s[2:3]
	s_waitcnt vmcnt(1)
	v_mul_f32_e32 v13, 0x3fb8aa3b, v14
	v_fma_f32 v15, v14, s9, -v13
	v_rndne_f32_e32 v16, v13
	v_fmac_f32_e32 v15, 0x32a5705f, v14
	v_sub_f32_e32 v13, v13, v16
	v_add_f32_e32 v13, v13, v15
	v_cvt_i32_f32_e32 v16, v16
	v_exp_f32_e32 v13, v13
	v_cmp_ngt_f32_e32 vcc, s13, v14
	v_ldexp_f32 v13, v13, v16
	v_cndmask_b32_e32 v13, 0, v13, vcc
	v_cmp_nlt_f32_e32 vcc, s15, v14
	v_cndmask_b32_e32 v13, v9, v13, vcc
	s_waitcnt vmcnt(0)
	v_fma_mixlo_f16 v12, -s30, v13, v12
	global_store_short v[6:7], v12, off
	v_add_co_u32_e32 v6, vcc, s8, v6
	v_addc_co_u32_e32 v7, vcc, v7, v11, vcc
	s_andn2_b64 exec, exec, s[2:3]
	s_cbranch_execnz .LBB299_99
.LBB299_100:
	s_or_b64 exec, exec, s[4:5]
	s_mov_b64 s[2:3], 0
.LBB299_101:
	s_and_b64 vcc, exec, s[2:3]
	s_cbranch_vccz .LBB299_113
; %bb.102:
	s_and_b64 vcc, exec, s[0:1]
	s_cbranch_vccnz .LBB299_106
; %bb.103:
	s_lshl_b32 s0, s40, 1
	s_sub_u32 s7, s34, s0
	s_subb_u32 s8, s35, 0
	s_lshl_b32 s0, s40, 2
	s_sub_u32 s4, s36, s0
	s_subb_u32 s5, s37, 0
	s_sub_u32 s2, s18, s0
	s_subb_u32 s3, s19, 0
	v_cmp_le_u32_e32 vcc, s40, v0
	s_and_saveexec_b64 s[0:1], vcc
	s_cbranch_execz .LBB299_105
; %bb.104:
	v_mov_b32_e32 v1, 0
	v_lshlrev_b64 v[2:3], 2, v[0:1]
	v_mov_b32_e32 v5, s5
	v_add_co_u32_e32 v4, vcc, s4, v2
	v_addc_co_u32_e32 v5, vcc, v5, v3, vcc
	global_load_dword v4, v[4:5], off
	v_mov_b32_e32 v5, s3
	v_add_co_u32_e32 v2, vcc, s2, v2
	v_addc_co_u32_e32 v3, vcc, v5, v3, vcc
	global_load_dword v5, v[2:3], off
	s_mov_b32 s9, 0x3fb8aa3b
	s_mov_b32 s10, 0xc2ce8ed0
	;; [unrolled: 1-line block ×3, first 2 shown]
	v_mov_b32_e32 v6, 0x7f800000
	v_mov_b32_e32 v9, s8
	s_waitcnt vmcnt(1)
	v_mul_f32_e32 v2, 0x3fb8aa3b, v4
	v_fma_f32 v3, v4, s9, -v2
	v_rndne_f32_e32 v7, v2
	v_fmac_f32_e32 v3, 0x32a5705f, v4
	v_sub_f32_e32 v2, v2, v7
	v_add_f32_e32 v2, v2, v3
	v_cvt_i32_f32_e32 v7, v7
	v_exp_f32_e32 v8, v2
	v_lshlrev_b64 v[2:3], 1, v[0:1]
	v_cmp_ngt_f32_e32 vcc, s10, v4
	v_ldexp_f32 v1, v8, v7
	v_cndmask_b32_e32 v1, 0, v1, vcc
	v_cmp_nlt_f32_e32 vcc, s11, v4
	v_cndmask_b32_e32 v1, v6, v1, vcc
	v_add_co_u32_e32 v2, vcc, s7, v2
	s_waitcnt vmcnt(0)
	v_fma_mixlo_f16 v1, -s30, v1, v5
	v_addc_co_u32_e32 v3, vcc, v9, v3, vcc
	global_store_short v[2:3], v1, off
.LBB299_105:
	s_or_b64 exec, exec, s[0:1]
	s_add_i32 s0, s40, s26
	v_mov_b32_e32 v1, s38
	v_sub_u32_e64 v1, s0, v1 clamp
	s_lshl_b32 s0, s38, 1
	s_add_u32 s34, s7, s0
	s_addc_u32 s35, s8, 0
	s_lshl_b32 s0, s38, 2
	s_add_u32 s36, s4, s0
	s_addc_u32 s37, s5, 0
	s_add_u32 s18, s2, s0
	v_readfirstlane_b32 s26, v1
	s_addc_u32 s19, s3, 0
.LBB299_106:
	s_load_dword s0, s[28:29], 0x0
	v_mov_b32_e32 v1, 0
	s_waitcnt lgkmcnt(0)
	s_cmp_lt_u32 s6, s0
	s_cselect_b32 s0, 12, 18
	s_add_u32 s0, s28, s0
	s_addc_u32 s1, s29, 0
	global_load_ushort v12, v1, s[0:1]
	s_waitcnt vmcnt(0)
	v_readfirstlane_b32 s0, v12
	s_lshl_b32 s0, s0, 2
	v_cvt_f32_u32_e32 v1, s0
	s_sub_i32 s1, 0, s0
	v_rcp_iflag_f32_e32 v1, v1
	v_mul_f32_e32 v1, 0x4f7ffffe, v1
	v_cvt_u32_f32_e32 v1, v1
	v_readfirstlane_b32 s2, v1
	s_mul_i32 s1, s1, s2
	s_mul_hi_u32 s1, s2, s1
	s_add_i32 s2, s2, s1
	s_mul_hi_u32 s1, s26, s2
	s_mul_i32 s1, s1, s0
	s_sub_i32 s1, s26, s1
	s_sub_i32 s2, s1, s0
	s_cmp_ge_u32 s1, s0
	s_cselect_b32 s1, s2, s1
	s_sub_i32 s2, s1, s0
	s_cmp_ge_u32 s1, s0
	s_cselect_b32 s0, s2, s1
	s_sub_i32 s6, s26, s0
	v_lshlrev_b32_e32 v1, 2, v0
	v_cmp_gt_i32_e32 vcc, s6, v1
	s_and_saveexec_b64 s[0:1], vcc
	s_cbranch_execz .LBB299_109
; %bb.107:
	s_mov_b32 s31, s30
	s_mov_b64 s[2:3], 0
	v_mov_b32_e32 v1, s37
	v_mov_b32_e32 v13, s19
	;; [unrolled: 1-line block ×3, first 2 shown]
	s_mov_b32 s7, 0x3fb8aa3b
	s_mov_b32 s8, 0xc2ce8ed0
	;; [unrolled: 1-line block ×3, first 2 shown]
	v_mov_b32_e32 v15, 0x7f800000
	s_xor_b32 s5, s30, 0x80000000
	s_xor_b32 s4, s30, 0x80000000
	v_mov_b32_e32 v10, v0
.LBB299_108:                            ; =>This Inner Loop Header: Depth=1
	v_ashrrev_i32_e32 v11, 31, v10
	v_lshlrev_b64 v[6:7], 4, v[10:11]
	v_add_co_u32_e32 v2, vcc, s36, v6
	v_addc_co_u32_e32 v3, vcc, v1, v7, vcc
	global_load_dwordx4 v[2:5], v[2:3], off
	v_add_co_u32_e32 v6, vcc, s18, v6
	v_addc_co_u32_e32 v7, vcc, v13, v7, vcc
	global_load_dwordx4 v[6:9], v[6:7], off
	v_lshlrev_b64 v[16:17], 3, v[10:11]
	v_add_co_u32_e32 v16, vcc, s34, v16
	v_addc_co_u32_e32 v17, vcc, v14, v17, vcc
	v_add_u32_e32 v10, v10, v12
	s_waitcnt vmcnt(1)
	v_mul_f32_e32 v11, 0x3fb8aa3b, v5
	v_mul_f32_e32 v18, 0x3fb8aa3b, v4
	v_fma_f32 v21, v5, s7, -v11
	v_rndne_f32_e32 v22, v11
	v_mul_f32_e32 v19, 0x3fb8aa3b, v3
	v_fma_f32 v23, v4, s7, -v18
	v_rndne_f32_e32 v24, v18
	v_fmac_f32_e32 v21, 0x32a5705f, v5
	v_sub_f32_e32 v11, v11, v22
	v_mul_f32_e32 v20, 0x3fb8aa3b, v2
	v_fma_f32 v25, v3, s7, -v19
	v_rndne_f32_e32 v26, v19
	v_fmac_f32_e32 v23, 0x32a5705f, v4
	v_sub_f32_e32 v18, v18, v24
	v_add_f32_e32 v11, v11, v21
	v_fma_f32 v27, v2, s7, -v20
	v_rndne_f32_e32 v28, v20
	v_cvt_i32_f32_e32 v22, v22
	v_fmac_f32_e32 v25, 0x32a5705f, v3
	v_sub_f32_e32 v19, v19, v26
	v_add_f32_e32 v18, v18, v23
	v_exp_f32_e32 v11, v11
	v_cvt_i32_f32_e32 v24, v24
	v_fmac_f32_e32 v27, 0x32a5705f, v2
	v_sub_f32_e32 v20, v20, v28
	v_add_f32_e32 v19, v19, v25
	v_exp_f32_e32 v18, v18
	v_cvt_i32_f32_e32 v26, v26
	v_add_f32_e32 v20, v20, v27
	v_exp_f32_e32 v19, v19
	v_cvt_i32_f32_e32 v28, v28
	v_exp_f32_e32 v20, v20
	v_ldexp_f32 v11, v11, v22
	v_cmp_ngt_f32_e32 vcc, s8, v5
	v_ldexp_f32 v18, v18, v24
	v_cndmask_b32_e32 v11, 0, v11, vcc
	v_cmp_ngt_f32_e32 vcc, s8, v4
	v_ldexp_f32 v19, v19, v26
	v_cndmask_b32_e32 v18, 0, v18, vcc
	;; [unrolled: 3-line block ×3, first 2 shown]
	v_cmp_ngt_f32_e32 vcc, s8, v2
	v_cndmask_b32_e32 v20, 0, v20, vcc
	v_cmp_nlt_f32_e32 vcc, s9, v5
	v_cndmask_b32_e32 v5, v15, v11, vcc
	v_cmp_nlt_f32_e32 vcc, s9, v4
	;; [unrolled: 2-line block ×4, first 2 shown]
	v_cndmask_b32_e32 v2, v15, v20, vcc
	s_waitcnt vmcnt(0)
	v_pk_fma_f32 v[2:3], s[30:31], v[2:3], v[6:7] neg_lo:[1,0,0] neg_hi:[1,0,0]
	v_pk_fma_f32 v[4:5], s[4:5], v[4:5], v[8:9]
	v_cvt_f16_f32_e32 v5, v5
	v_cvt_f16_f32_e32 v4, v4
	;; [unrolled: 1-line block ×4, first 2 shown]
	v_lshlrev_b32_e32 v3, 2, v10
	v_cmp_le_i32_e32 vcc, s6, v3
	v_pack_b32_f16 v3, v4, v5
	v_pack_b32_f16 v2, v2, v6
	s_or_b64 s[2:3], vcc, s[2:3]
	global_store_dwordx2 v[16:17], v[2:3], off
	s_andn2_b64 exec, exec, s[2:3]
	s_cbranch_execnz .LBB299_108
.LBB299_109:
	s_or_b64 exec, exec, s[0:1]
	v_add_u32_e32 v0, s6, v0
	v_cmp_gt_i32_e32 vcc, s26, v0
	s_and_saveexec_b64 s[0:1], vcc
	s_cbranch_execz .LBB299_113
; %bb.110:
	s_mov_b64 s[2:3], 0
	v_mov_b32_e32 v2, s19
	v_mov_b32_e32 v3, s37
	s_mov_b32 s4, 0x3fb8aa3b
	s_mov_b32 s5, 0xc2ce8ed0
	;; [unrolled: 1-line block ×3, first 2 shown]
	v_mov_b32_e32 v4, 0x7f800000
	v_mov_b32_e32 v5, s35
                                        ; kill: def $vgpr1 killed $sgpr0 killed $exec
.LBB299_111:                            ; =>This Inner Loop Header: Depth=1
	v_ashrrev_i32_e32 v1, 31, v0
	v_lshlrev_b64 v[6:7], 2, v[0:1]
	v_add_co_u32_e32 v8, vcc, s36, v6
	v_addc_co_u32_e32 v9, vcc, v3, v7, vcc
	global_load_dword v8, v[8:9], off
	v_add_co_u32_e32 v6, vcc, s18, v6
	v_addc_co_u32_e32 v7, vcc, v2, v7, vcc
	global_load_dword v9, v[6:7], off
	v_lshlrev_b64 v[6:7], 1, v[0:1]
	v_add_co_u32_e32 v6, vcc, s34, v6
	v_add_u32_e32 v0, v0, v12
	v_addc_co_u32_e32 v7, vcc, v5, v7, vcc
	v_cmp_le_i32_e32 vcc, s26, v0
	s_or_b64 s[2:3], vcc, s[2:3]
	s_waitcnt vmcnt(1)
	v_mul_f32_e32 v1, 0x3fb8aa3b, v8
	v_fma_f32 v10, v8, s4, -v1
	v_rndne_f32_e32 v11, v1
	v_fmac_f32_e32 v10, 0x32a5705f, v8
	v_sub_f32_e32 v1, v1, v11
	v_add_f32_e32 v1, v1, v10
	v_cvt_i32_f32_e32 v11, v11
	v_exp_f32_e32 v1, v1
	v_cmp_ngt_f32_e64 s[0:1], s5, v8
	v_ldexp_f32 v1, v1, v11
	v_cndmask_b32_e64 v1, 0, v1, s[0:1]
	v_cmp_nlt_f32_e64 s[0:1], s6, v8
	v_cndmask_b32_e64 v1, v4, v1, s[0:1]
	s_waitcnt vmcnt(0)
	v_fma_mixlo_f16 v1, -s30, v1, v9
	global_store_short v[6:7], v1, off
	s_andn2_b64 exec, exec, s[2:3]
	s_cbranch_execnz .LBB299_111
	s_branch .LBB299_113
.LBB299_112:
	s_cbranch_execz .LBB299_77
.LBB299_113:
	s_endpgm
.LBB299_114:
                                        ; implicit-def: $vgpr10_vgpr11
	s_branch .LBB299_84
	.section	.rodata,"a",@progbits
	.p2align	6, 0x0
	.amdhsa_kernel _ZN2at6native12_GLOBAL__N_120cunn_SoftMaxBackwardILi4EN3c104HalfEffNS1_26LogSoftMaxBackwardEpilogueEEEvPT0_PKT2_SA_l
		.amdhsa_group_segment_fixed_size 0
		.amdhsa_private_segment_fixed_size 0
		.amdhsa_kernarg_size 288
		.amdhsa_user_sgpr_count 6
		.amdhsa_user_sgpr_private_segment_buffer 1
		.amdhsa_user_sgpr_dispatch_ptr 0
		.amdhsa_user_sgpr_queue_ptr 0
		.amdhsa_user_sgpr_kernarg_segment_ptr 1
		.amdhsa_user_sgpr_dispatch_id 0
		.amdhsa_user_sgpr_flat_scratch_init 0
		.amdhsa_user_sgpr_kernarg_preload_length 0
		.amdhsa_user_sgpr_kernarg_preload_offset 0
		.amdhsa_user_sgpr_private_segment_size 0
		.amdhsa_uses_dynamic_stack 0
		.amdhsa_system_sgpr_private_segment_wavefront_offset 0
		.amdhsa_system_sgpr_workgroup_id_x 1
		.amdhsa_system_sgpr_workgroup_id_y 0
		.amdhsa_system_sgpr_workgroup_id_z 0
		.amdhsa_system_sgpr_workgroup_info 0
		.amdhsa_system_vgpr_workitem_id 0
		.amdhsa_next_free_vgpr 38
		.amdhsa_next_free_sgpr 74
		.amdhsa_accum_offset 40
		.amdhsa_reserve_vcc 1
		.amdhsa_reserve_flat_scratch 0
		.amdhsa_float_round_mode_32 0
		.amdhsa_float_round_mode_16_64 0
		.amdhsa_float_denorm_mode_32 3
		.amdhsa_float_denorm_mode_16_64 3
		.amdhsa_dx10_clamp 1
		.amdhsa_ieee_mode 1
		.amdhsa_fp16_overflow 0
		.amdhsa_tg_split 0
		.amdhsa_exception_fp_ieee_invalid_op 0
		.amdhsa_exception_fp_denorm_src 0
		.amdhsa_exception_fp_ieee_div_zero 0
		.amdhsa_exception_fp_ieee_overflow 0
		.amdhsa_exception_fp_ieee_underflow 0
		.amdhsa_exception_fp_ieee_inexact 0
		.amdhsa_exception_int_div_zero 0
	.end_amdhsa_kernel
	.section	.text._ZN2at6native12_GLOBAL__N_120cunn_SoftMaxBackwardILi4EN3c104HalfEffNS1_26LogSoftMaxBackwardEpilogueEEEvPT0_PKT2_SA_l,"axG",@progbits,_ZN2at6native12_GLOBAL__N_120cunn_SoftMaxBackwardILi4EN3c104HalfEffNS1_26LogSoftMaxBackwardEpilogueEEEvPT0_PKT2_SA_l,comdat
.Lfunc_end299:
	.size	_ZN2at6native12_GLOBAL__N_120cunn_SoftMaxBackwardILi4EN3c104HalfEffNS1_26LogSoftMaxBackwardEpilogueEEEvPT0_PKT2_SA_l, .Lfunc_end299-_ZN2at6native12_GLOBAL__N_120cunn_SoftMaxBackwardILi4EN3c104HalfEffNS1_26LogSoftMaxBackwardEpilogueEEEvPT0_PKT2_SA_l
                                        ; -- End function
	.section	.AMDGPU.csdata,"",@progbits
; Kernel info:
; codeLenInByte = 10984
; NumSgprs: 78
; NumVgprs: 38
; NumAgprs: 0
; TotalNumVgprs: 38
; ScratchSize: 0
; MemoryBound: 0
; FloatMode: 240
; IeeeMode: 1
; LDSByteSize: 0 bytes/workgroup (compile time only)
; SGPRBlocks: 9
; VGPRBlocks: 4
; NumSGPRsForWavesPerEU: 78
; NumVGPRsForWavesPerEU: 38
; AccumOffset: 40
; Occupancy: 8
; WaveLimiterHint : 0
; COMPUTE_PGM_RSRC2:SCRATCH_EN: 0
; COMPUTE_PGM_RSRC2:USER_SGPR: 6
; COMPUTE_PGM_RSRC2:TRAP_HANDLER: 0
; COMPUTE_PGM_RSRC2:TGID_X_EN: 1
; COMPUTE_PGM_RSRC2:TGID_Y_EN: 0
; COMPUTE_PGM_RSRC2:TGID_Z_EN: 0
; COMPUTE_PGM_RSRC2:TIDIG_COMP_CNT: 0
; COMPUTE_PGM_RSRC3_GFX90A:ACCUM_OFFSET: 9
; COMPUTE_PGM_RSRC3_GFX90A:TG_SPLIT: 0
	.section	.text._ZN12_GLOBAL__N_121softmax_warp_backwardIN3c108BFloat16ES2_fLi0ELb1ELb0ELi64EEEvPT0_PKT_S7_iiiPKb,"axG",@progbits,_ZN12_GLOBAL__N_121softmax_warp_backwardIN3c108BFloat16ES2_fLi0ELb1ELb0ELi64EEEvPT0_PKT_S7_iiiPKb,comdat
	.globl	_ZN12_GLOBAL__N_121softmax_warp_backwardIN3c108BFloat16ES2_fLi0ELb1ELb0ELi64EEEvPT0_PKT_S7_iiiPKb ; -- Begin function _ZN12_GLOBAL__N_121softmax_warp_backwardIN3c108BFloat16ES2_fLi0ELb1ELb0ELi64EEEvPT0_PKT_S7_iiiPKb
	.p2align	8
	.type	_ZN12_GLOBAL__N_121softmax_warp_backwardIN3c108BFloat16ES2_fLi0ELb1ELb0ELi64EEEvPT0_PKT_S7_iiiPKb,@function
_ZN12_GLOBAL__N_121softmax_warp_backwardIN3c108BFloat16ES2_fLi0ELb1ELb0ELi64EEEvPT0_PKT_S7_iiiPKb: ; @_ZN12_GLOBAL__N_121softmax_warp_backwardIN3c108BFloat16ES2_fLi0ELb1ELb0ELi64EEEvPT0_PKT_S7_iiiPKb
; %bb.0:
	s_load_dword s2, s[4:5], 0x3c
	s_load_dwordx4 s[8:11], s[4:5], 0x18
	s_load_dwordx4 s[12:15], s[4:5], 0x0
	s_load_dwordx2 s[0:1], s[4:5], 0x10
	v_bfe_u32 v0, v0, 10, 10
	s_waitcnt lgkmcnt(0)
	s_lshr_b32 s2, s2, 16
	s_mul_i32 s6, s6, s2
	v_add_lshl_u32 v0, s6, v0, 1
	v_sub_u32_e32 v6, s8, v0
	v_mul_lo_u32 v0, v0, s9
	v_ashrrev_i32_e32 v1, 31, v0
	v_lshlrev_b64 v[0:1], 1, v[0:1]
	v_mov_b32_e32 v3, s15
	v_add_co_u32_e32 v2, vcc, s14, v0
	v_addc_co_u32_e32 v3, vcc, v3, v1, vcc
	v_mov_b32_e32 v5, s1
	v_add_co_u32_e32 v4, vcc, s0, v0
	v_addc_co_u32_e32 v5, vcc, v5, v1, vcc
	s_cmp_gt_i32 s10, 0
	s_cselect_b64 s[2:3], -1, 0
	v_cmp_lt_i32_e32 vcc, 0, v6
	s_and_b64 s[4:5], s[2:3], vcc
	v_mov_b32_e32 v7, 0
	v_mov_b32_e32 v10, 0
	;; [unrolled: 1-line block ×3, first 2 shown]
	s_and_saveexec_b64 s[0:1], s[4:5]
	s_cbranch_execz .LBB300_2
; %bb.1:
	global_load_ushort v8, v[4:5], off
	global_load_ushort v9, v[2:3], off
	s_waitcnt vmcnt(1)
	v_lshlrev_b32_e32 v10, 16, v8
	s_waitcnt vmcnt(0)
	v_lshlrev_b32_e32 v9, 16, v9
.LBB300_2:
	s_or_b64 exec, exec, s[0:1]
	v_cmp_lt_i32_e64 s[0:1], 1, v6
	s_and_b64 s[0:1], s[2:3], s[0:1]
	s_mov_b32 s11, 0
	v_mov_b32_e32 v8, 0
	s_and_saveexec_b64 s[4:5], s[0:1]
	s_cbranch_execz .LBB300_4
; %bb.3:
	s_lshl_b64 s[6:7], s[10:11], 1
	v_mov_b32_e32 v7, s7
	v_add_co_u32_e64 v2, s[0:1], s6, v2
	v_addc_co_u32_e64 v3, s[0:1], v3, v7, s[0:1]
	v_add_co_u32_e64 v4, s[0:1], s6, v4
	v_addc_co_u32_e64 v5, s[0:1], v5, v7, s[0:1]
	global_load_ushort v7, v[4:5], off
	global_load_ushort v8, v[2:3], off
	s_waitcnt vmcnt(1)
	v_lshlrev_b32_e32 v7, 16, v7
	s_waitcnt vmcnt(0)
	v_lshlrev_b32_e32 v8, 16, v8
.LBB300_4:
	s_or_b64 exec, exec, s[4:5]
	s_and_saveexec_b64 s[0:1], vcc
	s_cbranch_execz .LBB300_10
; %bb.5:
	v_mov_b32_e32 v2, s13
	v_cndmask_b32_e64 v3, 0, 1, s[2:3]
	s_andn2_b64 vcc, exec, s[2:3]
	v_add_co_u32_e64 v0, s[2:3], s12, v0
	v_cmp_ne_u32_e64 s[0:1], 1, v3
	v_addc_co_u32_e64 v1, s[2:3], v2, v1, s[2:3]
	s_cbranch_vccnz .LBB300_7
; %bb.6:
	v_mul_f32_e32 v2, 0x3fb8aa3b, v10
	s_mov_b32 s2, 0x3fb8aa3b
	v_rndne_f32_e32 v3, v2
	v_sub_f32_e32 v4, v2, v3
	v_fma_f32 v2, v10, s2, -v2
	v_fmac_f32_e32 v2, 0x32a5705f, v10
	v_add_f32_e32 v2, v4, v2
	v_exp_f32_e32 v2, v2
	v_cvt_i32_f32_e32 v3, v3
	s_mov_b32 s2, 0xc2ce8ed0
	v_cmp_ngt_f32_e32 vcc, s2, v10
	s_mov_b32 s2, 0x42b17218
	v_ldexp_f32 v2, v2, v3
	v_cndmask_b32_e32 v2, 0, v2, vcc
	v_mov_b32_e32 v3, 0x7f800000
	v_cmp_nlt_f32_e32 vcc, s2, v10
	v_cndmask_b32_e32 v2, v3, v2, vcc
	v_add_f32_e32 v3, 0, v9
	v_fma_f32 v2, -v3, v2, v9
	v_bfe_u32 v3, v2, 16, 1
	s_movk_i32 s2, 0x7fff
	v_add3_u32 v3, v2, v3, s2
	v_lshrrev_b32_e32 v3, 16, v3
	v_mov_b32_e32 v4, 0x7fc0
	v_cmp_o_f32_e32 vcc, v2, v2
	v_cndmask_b32_e32 v2, v4, v3, vcc
	global_store_short v[0:1], v2, off
.LBB300_7:
	v_cmp_ne_u32_e32 vcc, 1, v6
	s_and_b64 exec, exec, vcc
	s_cbranch_execz .LBB300_10
; %bb.8:
	s_and_b64 vcc, exec, s[0:1]
	s_cbranch_vccnz .LBB300_10
; %bb.9:
	v_mul_f32_e32 v2, 0x3fb8aa3b, v7
	s_mov_b32 s0, 0x3fb8aa3b
	v_rndne_f32_e32 v3, v2
	v_sub_f32_e32 v4, v2, v3
	v_fma_f32 v2, v7, s0, -v2
	v_fmac_f32_e32 v2, 0x32a5705f, v7
	v_add_f32_e32 v2, v4, v2
	v_exp_f32_e32 v2, v2
	v_cvt_i32_f32_e32 v3, v3
	s_mov_b32 s0, 0xc2ce8ed0
	v_cmp_ngt_f32_e32 vcc, s0, v7
	s_mov_b32 s0, 0x42b17218
	v_ldexp_f32 v2, v2, v3
	v_cndmask_b32_e32 v2, 0, v2, vcc
	v_mov_b32_e32 v3, 0x7f800000
	v_cmp_nlt_f32_e32 vcc, s0, v7
	v_cndmask_b32_e32 v2, v3, v2, vcc
	v_add_f32_e32 v3, 0, v8
	v_fma_f32 v2, -v3, v2, v8
	v_bfe_u32 v3, v2, 16, 1
	s_movk_i32 s0, 0x7fff
	v_add3_u32 v3, v2, v3, s0
	v_lshrrev_b32_e32 v3, 16, v3
	v_mov_b32_e32 v4, 0x7fc0
	v_cmp_o_f32_e32 vcc, v2, v2
	s_lshl_b64 s[0:1], s[10:11], 1
	v_cndmask_b32_e32 v2, v4, v3, vcc
	v_mov_b32_e32 v3, s1
	v_add_co_u32_e32 v0, vcc, s0, v0
	v_addc_co_u32_e32 v1, vcc, v1, v3, vcc
	global_store_short v[0:1], v2, off
.LBB300_10:
	s_endpgm
	.section	.rodata,"a",@progbits
	.p2align	6, 0x0
	.amdhsa_kernel _ZN12_GLOBAL__N_121softmax_warp_backwardIN3c108BFloat16ES2_fLi0ELb1ELb0ELi64EEEvPT0_PKT_S7_iiiPKb
		.amdhsa_group_segment_fixed_size 0
		.amdhsa_private_segment_fixed_size 0
		.amdhsa_kernarg_size 304
		.amdhsa_user_sgpr_count 6
		.amdhsa_user_sgpr_private_segment_buffer 1
		.amdhsa_user_sgpr_dispatch_ptr 0
		.amdhsa_user_sgpr_queue_ptr 0
		.amdhsa_user_sgpr_kernarg_segment_ptr 1
		.amdhsa_user_sgpr_dispatch_id 0
		.amdhsa_user_sgpr_flat_scratch_init 0
		.amdhsa_user_sgpr_kernarg_preload_length 0
		.amdhsa_user_sgpr_kernarg_preload_offset 0
		.amdhsa_user_sgpr_private_segment_size 0
		.amdhsa_uses_dynamic_stack 0
		.amdhsa_system_sgpr_private_segment_wavefront_offset 0
		.amdhsa_system_sgpr_workgroup_id_x 1
		.amdhsa_system_sgpr_workgroup_id_y 0
		.amdhsa_system_sgpr_workgroup_id_z 0
		.amdhsa_system_sgpr_workgroup_info 0
		.amdhsa_system_vgpr_workitem_id 1
		.amdhsa_next_free_vgpr 11
		.amdhsa_next_free_sgpr 16
		.amdhsa_accum_offset 12
		.amdhsa_reserve_vcc 1
		.amdhsa_reserve_flat_scratch 0
		.amdhsa_float_round_mode_32 0
		.amdhsa_float_round_mode_16_64 0
		.amdhsa_float_denorm_mode_32 3
		.amdhsa_float_denorm_mode_16_64 3
		.amdhsa_dx10_clamp 1
		.amdhsa_ieee_mode 1
		.amdhsa_fp16_overflow 0
		.amdhsa_tg_split 0
		.amdhsa_exception_fp_ieee_invalid_op 0
		.amdhsa_exception_fp_denorm_src 0
		.amdhsa_exception_fp_ieee_div_zero 0
		.amdhsa_exception_fp_ieee_overflow 0
		.amdhsa_exception_fp_ieee_underflow 0
		.amdhsa_exception_fp_ieee_inexact 0
		.amdhsa_exception_int_div_zero 0
	.end_amdhsa_kernel
	.section	.text._ZN12_GLOBAL__N_121softmax_warp_backwardIN3c108BFloat16ES2_fLi0ELb1ELb0ELi64EEEvPT0_PKT_S7_iiiPKb,"axG",@progbits,_ZN12_GLOBAL__N_121softmax_warp_backwardIN3c108BFloat16ES2_fLi0ELb1ELb0ELi64EEEvPT0_PKT_S7_iiiPKb,comdat
.Lfunc_end300:
	.size	_ZN12_GLOBAL__N_121softmax_warp_backwardIN3c108BFloat16ES2_fLi0ELb1ELb0ELi64EEEvPT0_PKT_S7_iiiPKb, .Lfunc_end300-_ZN12_GLOBAL__N_121softmax_warp_backwardIN3c108BFloat16ES2_fLi0ELb1ELb0ELi64EEEvPT0_PKT_S7_iiiPKb
                                        ; -- End function
	.section	.AMDGPU.csdata,"",@progbits
; Kernel info:
; codeLenInByte = 696
; NumSgprs: 20
; NumVgprs: 11
; NumAgprs: 0
; TotalNumVgprs: 11
; ScratchSize: 0
; MemoryBound: 0
; FloatMode: 240
; IeeeMode: 1
; LDSByteSize: 0 bytes/workgroup (compile time only)
; SGPRBlocks: 2
; VGPRBlocks: 1
; NumSGPRsForWavesPerEU: 20
; NumVGPRsForWavesPerEU: 11
; AccumOffset: 12
; Occupancy: 8
; WaveLimiterHint : 0
; COMPUTE_PGM_RSRC2:SCRATCH_EN: 0
; COMPUTE_PGM_RSRC2:USER_SGPR: 6
; COMPUTE_PGM_RSRC2:TRAP_HANDLER: 0
; COMPUTE_PGM_RSRC2:TGID_X_EN: 1
; COMPUTE_PGM_RSRC2:TGID_Y_EN: 0
; COMPUTE_PGM_RSRC2:TGID_Z_EN: 0
; COMPUTE_PGM_RSRC2:TIDIG_COMP_CNT: 1
; COMPUTE_PGM_RSRC3_GFX90A:ACCUM_OFFSET: 2
; COMPUTE_PGM_RSRC3_GFX90A:TG_SPLIT: 0
	.section	.text._ZN12_GLOBAL__N_121softmax_warp_backwardIN3c108BFloat16ES2_fLi0ELb1ELb0ELi32EEEvPT0_PKT_S7_iiiPKb,"axG",@progbits,_ZN12_GLOBAL__N_121softmax_warp_backwardIN3c108BFloat16ES2_fLi0ELb1ELb0ELi32EEEvPT0_PKT_S7_iiiPKb,comdat
	.globl	_ZN12_GLOBAL__N_121softmax_warp_backwardIN3c108BFloat16ES2_fLi0ELb1ELb0ELi32EEEvPT0_PKT_S7_iiiPKb ; -- Begin function _ZN12_GLOBAL__N_121softmax_warp_backwardIN3c108BFloat16ES2_fLi0ELb1ELb0ELi32EEEvPT0_PKT_S7_iiiPKb
	.p2align	8
	.type	_ZN12_GLOBAL__N_121softmax_warp_backwardIN3c108BFloat16ES2_fLi0ELb1ELb0ELi32EEEvPT0_PKT_S7_iiiPKb,@function
_ZN12_GLOBAL__N_121softmax_warp_backwardIN3c108BFloat16ES2_fLi0ELb1ELb0ELi32EEEvPT0_PKT_S7_iiiPKb: ; @_ZN12_GLOBAL__N_121softmax_warp_backwardIN3c108BFloat16ES2_fLi0ELb1ELb0ELi32EEEvPT0_PKT_S7_iiiPKb
; %bb.0:
	s_load_dword s2, s[4:5], 0x3c
	s_load_dwordx4 s[8:11], s[4:5], 0x18
	s_load_dwordx4 s[12:15], s[4:5], 0x0
	s_load_dwordx2 s[0:1], s[4:5], 0x10
	v_bfe_u32 v0, v0, 10, 10
	s_waitcnt lgkmcnt(0)
	s_lshr_b32 s2, s2, 16
	s_mul_i32 s6, s6, s2
	v_add_lshl_u32 v0, s6, v0, 1
	v_sub_u32_e32 v6, s8, v0
	v_mul_lo_u32 v0, v0, s9
	v_ashrrev_i32_e32 v1, 31, v0
	v_lshlrev_b64 v[0:1], 1, v[0:1]
	v_mov_b32_e32 v3, s15
	v_add_co_u32_e32 v2, vcc, s14, v0
	v_addc_co_u32_e32 v3, vcc, v3, v1, vcc
	v_mov_b32_e32 v5, s1
	v_add_co_u32_e32 v4, vcc, s0, v0
	v_addc_co_u32_e32 v5, vcc, v5, v1, vcc
	s_cmp_gt_i32 s10, 0
	s_cselect_b64 s[2:3], -1, 0
	v_cmp_lt_i32_e32 vcc, 0, v6
	s_and_b64 s[4:5], s[2:3], vcc
	v_mov_b32_e32 v7, 0
	v_mov_b32_e32 v10, 0
	;; [unrolled: 1-line block ×3, first 2 shown]
	s_and_saveexec_b64 s[0:1], s[4:5]
	s_cbranch_execz .LBB301_2
; %bb.1:
	global_load_ushort v8, v[4:5], off
	global_load_ushort v9, v[2:3], off
	s_waitcnt vmcnt(1)
	v_lshlrev_b32_e32 v10, 16, v8
	s_waitcnt vmcnt(0)
	v_lshlrev_b32_e32 v9, 16, v9
.LBB301_2:
	s_or_b64 exec, exec, s[0:1]
	v_cmp_lt_i32_e64 s[0:1], 1, v6
	s_and_b64 s[0:1], s[2:3], s[0:1]
	s_mov_b32 s11, 0
	v_mov_b32_e32 v8, 0
	s_and_saveexec_b64 s[4:5], s[0:1]
	s_cbranch_execz .LBB301_4
; %bb.3:
	s_lshl_b64 s[6:7], s[10:11], 1
	v_mov_b32_e32 v7, s7
	v_add_co_u32_e64 v2, s[0:1], s6, v2
	v_addc_co_u32_e64 v3, s[0:1], v3, v7, s[0:1]
	v_add_co_u32_e64 v4, s[0:1], s6, v4
	v_addc_co_u32_e64 v5, s[0:1], v5, v7, s[0:1]
	global_load_ushort v7, v[4:5], off
	global_load_ushort v8, v[2:3], off
	s_waitcnt vmcnt(1)
	v_lshlrev_b32_e32 v7, 16, v7
	s_waitcnt vmcnt(0)
	v_lshlrev_b32_e32 v8, 16, v8
.LBB301_4:
	s_or_b64 exec, exec, s[4:5]
	s_and_saveexec_b64 s[0:1], vcc
	s_cbranch_execz .LBB301_10
; %bb.5:
	v_mov_b32_e32 v2, s13
	v_cndmask_b32_e64 v3, 0, 1, s[2:3]
	s_andn2_b64 vcc, exec, s[2:3]
	v_add_co_u32_e64 v0, s[2:3], s12, v0
	v_cmp_ne_u32_e64 s[0:1], 1, v3
	v_addc_co_u32_e64 v1, s[2:3], v2, v1, s[2:3]
	s_cbranch_vccnz .LBB301_7
; %bb.6:
	v_mul_f32_e32 v2, 0x3fb8aa3b, v10
	s_mov_b32 s2, 0x3fb8aa3b
	v_rndne_f32_e32 v3, v2
	v_sub_f32_e32 v4, v2, v3
	v_fma_f32 v2, v10, s2, -v2
	v_fmac_f32_e32 v2, 0x32a5705f, v10
	v_add_f32_e32 v2, v4, v2
	v_exp_f32_e32 v2, v2
	v_cvt_i32_f32_e32 v3, v3
	s_mov_b32 s2, 0xc2ce8ed0
	v_cmp_ngt_f32_e32 vcc, s2, v10
	s_mov_b32 s2, 0x42b17218
	v_ldexp_f32 v2, v2, v3
	v_cndmask_b32_e32 v2, 0, v2, vcc
	v_mov_b32_e32 v3, 0x7f800000
	v_cmp_nlt_f32_e32 vcc, s2, v10
	v_cndmask_b32_e32 v2, v3, v2, vcc
	v_add_f32_e32 v3, 0, v9
	v_fma_f32 v2, -v3, v2, v9
	v_bfe_u32 v3, v2, 16, 1
	s_movk_i32 s2, 0x7fff
	v_add3_u32 v3, v2, v3, s2
	v_lshrrev_b32_e32 v3, 16, v3
	v_mov_b32_e32 v4, 0x7fc0
	v_cmp_o_f32_e32 vcc, v2, v2
	v_cndmask_b32_e32 v2, v4, v3, vcc
	global_store_short v[0:1], v2, off
.LBB301_7:
	v_cmp_ne_u32_e32 vcc, 1, v6
	s_and_b64 exec, exec, vcc
	s_cbranch_execz .LBB301_10
; %bb.8:
	s_and_b64 vcc, exec, s[0:1]
	s_cbranch_vccnz .LBB301_10
; %bb.9:
	v_mul_f32_e32 v2, 0x3fb8aa3b, v7
	s_mov_b32 s0, 0x3fb8aa3b
	v_rndne_f32_e32 v3, v2
	v_sub_f32_e32 v4, v2, v3
	v_fma_f32 v2, v7, s0, -v2
	v_fmac_f32_e32 v2, 0x32a5705f, v7
	v_add_f32_e32 v2, v4, v2
	v_exp_f32_e32 v2, v2
	v_cvt_i32_f32_e32 v3, v3
	s_mov_b32 s0, 0xc2ce8ed0
	v_cmp_ngt_f32_e32 vcc, s0, v7
	s_mov_b32 s0, 0x42b17218
	v_ldexp_f32 v2, v2, v3
	v_cndmask_b32_e32 v2, 0, v2, vcc
	v_mov_b32_e32 v3, 0x7f800000
	v_cmp_nlt_f32_e32 vcc, s0, v7
	v_cndmask_b32_e32 v2, v3, v2, vcc
	v_add_f32_e32 v3, 0, v8
	v_fma_f32 v2, -v3, v2, v8
	v_bfe_u32 v3, v2, 16, 1
	s_movk_i32 s0, 0x7fff
	v_add3_u32 v3, v2, v3, s0
	v_lshrrev_b32_e32 v3, 16, v3
	v_mov_b32_e32 v4, 0x7fc0
	v_cmp_o_f32_e32 vcc, v2, v2
	s_lshl_b64 s[0:1], s[10:11], 1
	v_cndmask_b32_e32 v2, v4, v3, vcc
	v_mov_b32_e32 v3, s1
	v_add_co_u32_e32 v0, vcc, s0, v0
	v_addc_co_u32_e32 v1, vcc, v1, v3, vcc
	global_store_short v[0:1], v2, off
.LBB301_10:
	s_endpgm
	.section	.rodata,"a",@progbits
	.p2align	6, 0x0
	.amdhsa_kernel _ZN12_GLOBAL__N_121softmax_warp_backwardIN3c108BFloat16ES2_fLi0ELb1ELb0ELi32EEEvPT0_PKT_S7_iiiPKb
		.amdhsa_group_segment_fixed_size 0
		.amdhsa_private_segment_fixed_size 0
		.amdhsa_kernarg_size 304
		.amdhsa_user_sgpr_count 6
		.amdhsa_user_sgpr_private_segment_buffer 1
		.amdhsa_user_sgpr_dispatch_ptr 0
		.amdhsa_user_sgpr_queue_ptr 0
		.amdhsa_user_sgpr_kernarg_segment_ptr 1
		.amdhsa_user_sgpr_dispatch_id 0
		.amdhsa_user_sgpr_flat_scratch_init 0
		.amdhsa_user_sgpr_kernarg_preload_length 0
		.amdhsa_user_sgpr_kernarg_preload_offset 0
		.amdhsa_user_sgpr_private_segment_size 0
		.amdhsa_uses_dynamic_stack 0
		.amdhsa_system_sgpr_private_segment_wavefront_offset 0
		.amdhsa_system_sgpr_workgroup_id_x 1
		.amdhsa_system_sgpr_workgroup_id_y 0
		.amdhsa_system_sgpr_workgroup_id_z 0
		.amdhsa_system_sgpr_workgroup_info 0
		.amdhsa_system_vgpr_workitem_id 1
		.amdhsa_next_free_vgpr 11
		.amdhsa_next_free_sgpr 16
		.amdhsa_accum_offset 12
		.amdhsa_reserve_vcc 1
		.amdhsa_reserve_flat_scratch 0
		.amdhsa_float_round_mode_32 0
		.amdhsa_float_round_mode_16_64 0
		.amdhsa_float_denorm_mode_32 3
		.amdhsa_float_denorm_mode_16_64 3
		.amdhsa_dx10_clamp 1
		.amdhsa_ieee_mode 1
		.amdhsa_fp16_overflow 0
		.amdhsa_tg_split 0
		.amdhsa_exception_fp_ieee_invalid_op 0
		.amdhsa_exception_fp_denorm_src 0
		.amdhsa_exception_fp_ieee_div_zero 0
		.amdhsa_exception_fp_ieee_overflow 0
		.amdhsa_exception_fp_ieee_underflow 0
		.amdhsa_exception_fp_ieee_inexact 0
		.amdhsa_exception_int_div_zero 0
	.end_amdhsa_kernel
	.section	.text._ZN12_GLOBAL__N_121softmax_warp_backwardIN3c108BFloat16ES2_fLi0ELb1ELb0ELi32EEEvPT0_PKT_S7_iiiPKb,"axG",@progbits,_ZN12_GLOBAL__N_121softmax_warp_backwardIN3c108BFloat16ES2_fLi0ELb1ELb0ELi32EEEvPT0_PKT_S7_iiiPKb,comdat
.Lfunc_end301:
	.size	_ZN12_GLOBAL__N_121softmax_warp_backwardIN3c108BFloat16ES2_fLi0ELb1ELb0ELi32EEEvPT0_PKT_S7_iiiPKb, .Lfunc_end301-_ZN12_GLOBAL__N_121softmax_warp_backwardIN3c108BFloat16ES2_fLi0ELb1ELb0ELi32EEEvPT0_PKT_S7_iiiPKb
                                        ; -- End function
	.section	.AMDGPU.csdata,"",@progbits
; Kernel info:
; codeLenInByte = 696
; NumSgprs: 20
; NumVgprs: 11
; NumAgprs: 0
; TotalNumVgprs: 11
; ScratchSize: 0
; MemoryBound: 0
; FloatMode: 240
; IeeeMode: 1
; LDSByteSize: 0 bytes/workgroup (compile time only)
; SGPRBlocks: 2
; VGPRBlocks: 1
; NumSGPRsForWavesPerEU: 20
; NumVGPRsForWavesPerEU: 11
; AccumOffset: 12
; Occupancy: 8
; WaveLimiterHint : 0
; COMPUTE_PGM_RSRC2:SCRATCH_EN: 0
; COMPUTE_PGM_RSRC2:USER_SGPR: 6
; COMPUTE_PGM_RSRC2:TRAP_HANDLER: 0
; COMPUTE_PGM_RSRC2:TGID_X_EN: 1
; COMPUTE_PGM_RSRC2:TGID_Y_EN: 0
; COMPUTE_PGM_RSRC2:TGID_Z_EN: 0
; COMPUTE_PGM_RSRC2:TIDIG_COMP_CNT: 1
; COMPUTE_PGM_RSRC3_GFX90A:ACCUM_OFFSET: 2
; COMPUTE_PGM_RSRC3_GFX90A:TG_SPLIT: 0
	.section	.text._ZN12_GLOBAL__N_121softmax_warp_backwardIN3c108BFloat16ES2_fLi1ELb1ELb0ELi64EEEvPT0_PKT_S7_iiiPKb,"axG",@progbits,_ZN12_GLOBAL__N_121softmax_warp_backwardIN3c108BFloat16ES2_fLi1ELb1ELb0ELi64EEEvPT0_PKT_S7_iiiPKb,comdat
	.globl	_ZN12_GLOBAL__N_121softmax_warp_backwardIN3c108BFloat16ES2_fLi1ELb1ELb0ELi64EEEvPT0_PKT_S7_iiiPKb ; -- Begin function _ZN12_GLOBAL__N_121softmax_warp_backwardIN3c108BFloat16ES2_fLi1ELb1ELb0ELi64EEEvPT0_PKT_S7_iiiPKb
	.p2align	8
	.type	_ZN12_GLOBAL__N_121softmax_warp_backwardIN3c108BFloat16ES2_fLi1ELb1ELb0ELi64EEEvPT0_PKT_S7_iiiPKb,@function
_ZN12_GLOBAL__N_121softmax_warp_backwardIN3c108BFloat16ES2_fLi1ELb1ELb0ELi64EEEvPT0_PKT_S7_iiiPKb: ; @_ZN12_GLOBAL__N_121softmax_warp_backwardIN3c108BFloat16ES2_fLi1ELb1ELb0ELi64EEEvPT0_PKT_S7_iiiPKb
; %bb.0:
	s_load_dword s2, s[4:5], 0x3c
	s_load_dwordx4 s[8:11], s[4:5], 0x18
	s_load_dwordx4 s[12:15], s[4:5], 0x0
	s_load_dwordx2 s[0:1], s[4:5], 0x10
	v_bfe_u32 v1, v0, 10, 10
	s_waitcnt lgkmcnt(0)
	s_lshr_b32 s2, s2, 16
	s_mul_i32 s6, s6, s2
	v_add_lshl_u32 v1, s6, v1, 1
	v_sub_u32_e32 v8, s8, v1
	v_mul_lo_u32 v1, v1, s9
	v_and_b32_e32 v9, 1, v0
	v_or_b32_e32 v0, v1, v9
	v_ashrrev_i32_e32 v1, 31, v0
	v_lshlrev_b64 v[2:3], 1, v[0:1]
	v_mov_b32_e32 v0, s15
	v_add_co_u32_e32 v4, vcc, s14, v2
	v_addc_co_u32_e32 v5, vcc, v0, v3, vcc
	v_mov_b32_e32 v0, s1
	v_add_co_u32_e32 v6, vcc, s0, v2
	v_addc_co_u32_e32 v7, vcc, v0, v3, vcc
	v_cmp_gt_i32_e32 vcc, s10, v9
	v_cmp_lt_i32_e64 s[0:1], 0, v8
	s_and_b64 s[4:5], vcc, s[0:1]
	v_mov_b32_e32 v9, 0
	v_mov_b32_e32 v10, 0
	v_mov_b32_e32 v0, 0
	s_and_saveexec_b64 s[2:3], s[4:5]
	s_cbranch_execz .LBB302_2
; %bb.1:
	global_load_ushort v0, v[6:7], off
	global_load_ushort v1, v[4:5], off
	s_waitcnt vmcnt(1)
	v_lshlrev_b32_e32 v10, 16, v0
	s_waitcnt vmcnt(0)
	v_lshlrev_b32_e32 v0, 16, v1
.LBB302_2:
	s_or_b64 exec, exec, s[2:3]
	v_cmp_lt_i32_e64 s[2:3], 1, v8
	s_and_b64 s[2:3], vcc, s[2:3]
	s_mov_b32 s11, 0
	v_mov_b32_e32 v1, 0
	s_and_saveexec_b64 s[4:5], s[2:3]
	s_cbranch_execz .LBB302_4
; %bb.3:
	s_lshl_b64 s[6:7], s[10:11], 1
	v_mov_b32_e32 v1, s7
	v_add_co_u32_e64 v4, s[2:3], s6, v4
	v_addc_co_u32_e64 v5, s[2:3], v5, v1, s[2:3]
	v_add_co_u32_e64 v6, s[2:3], s6, v6
	v_addc_co_u32_e64 v7, s[2:3], v7, v1, s[2:3]
	global_load_ushort v1, v[6:7], off
	global_load_ushort v11, v[4:5], off
	s_waitcnt vmcnt(1)
	v_lshlrev_b32_e32 v9, 16, v1
	s_waitcnt vmcnt(0)
	v_lshlrev_b32_e32 v1, 16, v11
.LBB302_4:
	s_or_b64 exec, exec, s[4:5]
	v_mbcnt_lo_u32_b32 v4, -1, 0
	v_mbcnt_hi_u32_b32 v4, -1, v4
	v_and_b32_e32 v6, 0x7e, v4
	v_xor_b32_e32 v5, 1, v4
	v_add_u32_e32 v6, 2, v6
	v_cmp_lt_i32_e64 s[2:3], v5, v6
	v_cndmask_b32_e64 v4, v4, v5, s[2:3]
	v_lshlrev_b32_e32 v7, 2, v4
	v_pk_add_f32 v[4:5], v[0:1], 0 op_sel_hi:[1,0]
	ds_bpermute_b32 v6, v7, v4
	ds_bpermute_b32 v7, v7, v5
	s_and_saveexec_b64 s[2:3], s[0:1]
	s_cbranch_execz .LBB302_10
; %bb.5:
	v_mov_b32_e32 v11, s13
	v_add_co_u32_e64 v2, s[0:1], s12, v2
	v_addc_co_u32_e64 v3, s[0:1], v11, v3, s[0:1]
	s_waitcnt lgkmcnt(0)
	v_pk_add_f32 v[4:5], v[4:5], v[6:7]
	s_and_saveexec_b64 s[2:3], vcc
	s_cbranch_execz .LBB302_7
; %bb.6:
	v_mul_f32_e32 v6, 0x3fb8aa3b, v10
	s_mov_b32 s0, 0x3fb8aa3b
	v_rndne_f32_e32 v7, v6
	v_sub_f32_e32 v11, v6, v7
	v_fma_f32 v6, v10, s0, -v6
	v_fmac_f32_e32 v6, 0x32a5705f, v10
	v_add_f32_e32 v6, v11, v6
	v_exp_f32_e32 v6, v6
	v_cvt_i32_f32_e32 v7, v7
	s_mov_b32 s0, 0xc2ce8ed0
	v_cmp_ngt_f32_e64 s[0:1], s0, v10
	v_ldexp_f32 v6, v6, v7
	v_cndmask_b32_e64 v6, 0, v6, s[0:1]
	s_mov_b32 s0, 0x42b17218
	v_mov_b32_e32 v7, 0x7f800000
	v_cmp_nlt_f32_e64 s[0:1], s0, v10
	v_cndmask_b32_e64 v6, v7, v6, s[0:1]
	v_fma_f32 v0, -v4, v6, v0
	v_bfe_u32 v4, v0, 16, 1
	s_movk_i32 s0, 0x7fff
	v_add3_u32 v4, v0, v4, s0
	v_lshrrev_b32_e32 v4, 16, v4
	v_mov_b32_e32 v6, 0x7fc0
	v_cmp_o_f32_e64 s[0:1], v0, v0
	v_cndmask_b32_e64 v0, v6, v4, s[0:1]
	global_store_short v[2:3], v0, off
.LBB302_7:
	s_or_b64 exec, exec, s[2:3]
	v_cmp_ne_u32_e64 s[0:1], 1, v8
	s_and_b64 exec, exec, s[0:1]
	s_cbranch_execz .LBB302_10
; %bb.8:
	s_and_b64 exec, exec, vcc
	s_cbranch_execz .LBB302_10
; %bb.9:
	v_mul_f32_e32 v0, 0x3fb8aa3b, v9
	s_mov_b32 s0, 0x3fb8aa3b
	v_rndne_f32_e32 v4, v0
	v_sub_f32_e32 v6, v0, v4
	v_fma_f32 v0, v9, s0, -v0
	v_fmac_f32_e32 v0, 0x32a5705f, v9
	v_add_f32_e32 v0, v6, v0
	v_exp_f32_e32 v0, v0
	v_cvt_i32_f32_e32 v4, v4
	s_mov_b32 s0, 0xc2ce8ed0
	v_cmp_ngt_f32_e32 vcc, s0, v9
	s_mov_b32 s0, 0x42b17218
	v_ldexp_f32 v0, v0, v4
	v_cndmask_b32_e32 v0, 0, v0, vcc
	v_mov_b32_e32 v4, 0x7f800000
	v_cmp_nlt_f32_e32 vcc, s0, v9
	v_cndmask_b32_e32 v0, v4, v0, vcc
	v_fma_f32 v0, -v5, v0, v1
	v_bfe_u32 v1, v0, 16, 1
	s_movk_i32 s0, 0x7fff
	v_add3_u32 v1, v0, v1, s0
	v_lshrrev_b32_e32 v1, 16, v1
	v_mov_b32_e32 v4, 0x7fc0
	v_cmp_o_f32_e32 vcc, v0, v0
	s_lshl_b64 s[0:1], s[10:11], 1
	v_cndmask_b32_e32 v4, v4, v1, vcc
	v_mov_b32_e32 v1, s1
	v_add_co_u32_e32 v0, vcc, s0, v2
	v_addc_co_u32_e32 v1, vcc, v3, v1, vcc
	global_store_short v[0:1], v4, off
.LBB302_10:
	s_endpgm
	.section	.rodata,"a",@progbits
	.p2align	6, 0x0
	.amdhsa_kernel _ZN12_GLOBAL__N_121softmax_warp_backwardIN3c108BFloat16ES2_fLi1ELb1ELb0ELi64EEEvPT0_PKT_S7_iiiPKb
		.amdhsa_group_segment_fixed_size 0
		.amdhsa_private_segment_fixed_size 0
		.amdhsa_kernarg_size 304
		.amdhsa_user_sgpr_count 6
		.amdhsa_user_sgpr_private_segment_buffer 1
		.amdhsa_user_sgpr_dispatch_ptr 0
		.amdhsa_user_sgpr_queue_ptr 0
		.amdhsa_user_sgpr_kernarg_segment_ptr 1
		.amdhsa_user_sgpr_dispatch_id 0
		.amdhsa_user_sgpr_flat_scratch_init 0
		.amdhsa_user_sgpr_kernarg_preload_length 0
		.amdhsa_user_sgpr_kernarg_preload_offset 0
		.amdhsa_user_sgpr_private_segment_size 0
		.amdhsa_uses_dynamic_stack 0
		.amdhsa_system_sgpr_private_segment_wavefront_offset 0
		.amdhsa_system_sgpr_workgroup_id_x 1
		.amdhsa_system_sgpr_workgroup_id_y 0
		.amdhsa_system_sgpr_workgroup_id_z 0
		.amdhsa_system_sgpr_workgroup_info 0
		.amdhsa_system_vgpr_workitem_id 1
		.amdhsa_next_free_vgpr 12
		.amdhsa_next_free_sgpr 16
		.amdhsa_accum_offset 12
		.amdhsa_reserve_vcc 1
		.amdhsa_reserve_flat_scratch 0
		.amdhsa_float_round_mode_32 0
		.amdhsa_float_round_mode_16_64 0
		.amdhsa_float_denorm_mode_32 3
		.amdhsa_float_denorm_mode_16_64 3
		.amdhsa_dx10_clamp 1
		.amdhsa_ieee_mode 1
		.amdhsa_fp16_overflow 0
		.amdhsa_tg_split 0
		.amdhsa_exception_fp_ieee_invalid_op 0
		.amdhsa_exception_fp_denorm_src 0
		.amdhsa_exception_fp_ieee_div_zero 0
		.amdhsa_exception_fp_ieee_overflow 0
		.amdhsa_exception_fp_ieee_underflow 0
		.amdhsa_exception_fp_ieee_inexact 0
		.amdhsa_exception_int_div_zero 0
	.end_amdhsa_kernel
	.section	.text._ZN12_GLOBAL__N_121softmax_warp_backwardIN3c108BFloat16ES2_fLi1ELb1ELb0ELi64EEEvPT0_PKT_S7_iiiPKb,"axG",@progbits,_ZN12_GLOBAL__N_121softmax_warp_backwardIN3c108BFloat16ES2_fLi1ELb1ELb0ELi64EEEvPT0_PKT_S7_iiiPKb,comdat
.Lfunc_end302:
	.size	_ZN12_GLOBAL__N_121softmax_warp_backwardIN3c108BFloat16ES2_fLi1ELb1ELb0ELi64EEEvPT0_PKT_S7_iiiPKb, .Lfunc_end302-_ZN12_GLOBAL__N_121softmax_warp_backwardIN3c108BFloat16ES2_fLi1ELb1ELb0ELi64EEEvPT0_PKT_S7_iiiPKb
                                        ; -- End function
	.section	.AMDGPU.csdata,"",@progbits
; Kernel info:
; codeLenInByte = 800
; NumSgprs: 20
; NumVgprs: 12
; NumAgprs: 0
; TotalNumVgprs: 12
; ScratchSize: 0
; MemoryBound: 0
; FloatMode: 240
; IeeeMode: 1
; LDSByteSize: 0 bytes/workgroup (compile time only)
; SGPRBlocks: 2
; VGPRBlocks: 1
; NumSGPRsForWavesPerEU: 20
; NumVGPRsForWavesPerEU: 12
; AccumOffset: 12
; Occupancy: 8
; WaveLimiterHint : 0
; COMPUTE_PGM_RSRC2:SCRATCH_EN: 0
; COMPUTE_PGM_RSRC2:USER_SGPR: 6
; COMPUTE_PGM_RSRC2:TRAP_HANDLER: 0
; COMPUTE_PGM_RSRC2:TGID_X_EN: 1
; COMPUTE_PGM_RSRC2:TGID_Y_EN: 0
; COMPUTE_PGM_RSRC2:TGID_Z_EN: 0
; COMPUTE_PGM_RSRC2:TIDIG_COMP_CNT: 1
; COMPUTE_PGM_RSRC3_GFX90A:ACCUM_OFFSET: 2
; COMPUTE_PGM_RSRC3_GFX90A:TG_SPLIT: 0
	.section	.text._ZN12_GLOBAL__N_121softmax_warp_backwardIN3c108BFloat16ES2_fLi1ELb1ELb0ELi32EEEvPT0_PKT_S7_iiiPKb,"axG",@progbits,_ZN12_GLOBAL__N_121softmax_warp_backwardIN3c108BFloat16ES2_fLi1ELb1ELb0ELi32EEEvPT0_PKT_S7_iiiPKb,comdat
	.globl	_ZN12_GLOBAL__N_121softmax_warp_backwardIN3c108BFloat16ES2_fLi1ELb1ELb0ELi32EEEvPT0_PKT_S7_iiiPKb ; -- Begin function _ZN12_GLOBAL__N_121softmax_warp_backwardIN3c108BFloat16ES2_fLi1ELb1ELb0ELi32EEEvPT0_PKT_S7_iiiPKb
	.p2align	8
	.type	_ZN12_GLOBAL__N_121softmax_warp_backwardIN3c108BFloat16ES2_fLi1ELb1ELb0ELi32EEEvPT0_PKT_S7_iiiPKb,@function
_ZN12_GLOBAL__N_121softmax_warp_backwardIN3c108BFloat16ES2_fLi1ELb1ELb0ELi32EEEvPT0_PKT_S7_iiiPKb: ; @_ZN12_GLOBAL__N_121softmax_warp_backwardIN3c108BFloat16ES2_fLi1ELb1ELb0ELi32EEEvPT0_PKT_S7_iiiPKb
; %bb.0:
	s_load_dword s2, s[4:5], 0x3c
	s_load_dwordx4 s[8:11], s[4:5], 0x18
	s_load_dwordx4 s[12:15], s[4:5], 0x0
	s_load_dwordx2 s[0:1], s[4:5], 0x10
	v_bfe_u32 v1, v0, 10, 10
	s_waitcnt lgkmcnt(0)
	s_lshr_b32 s2, s2, 16
	s_mul_i32 s6, s6, s2
	v_add_lshl_u32 v1, s6, v1, 1
	v_sub_u32_e32 v8, s8, v1
	v_mul_lo_u32 v1, v1, s9
	v_and_b32_e32 v9, 1, v0
	v_or_b32_e32 v0, v1, v9
	v_ashrrev_i32_e32 v1, 31, v0
	v_lshlrev_b64 v[2:3], 1, v[0:1]
	v_mov_b32_e32 v0, s15
	v_add_co_u32_e32 v4, vcc, s14, v2
	v_addc_co_u32_e32 v5, vcc, v0, v3, vcc
	v_mov_b32_e32 v0, s1
	v_add_co_u32_e32 v6, vcc, s0, v2
	v_addc_co_u32_e32 v7, vcc, v0, v3, vcc
	v_cmp_gt_i32_e32 vcc, s10, v9
	v_cmp_lt_i32_e64 s[0:1], 0, v8
	s_and_b64 s[4:5], vcc, s[0:1]
	v_mov_b32_e32 v9, 0
	v_mov_b32_e32 v10, 0
	;; [unrolled: 1-line block ×3, first 2 shown]
	s_and_saveexec_b64 s[2:3], s[4:5]
	s_cbranch_execz .LBB303_2
; %bb.1:
	global_load_ushort v0, v[6:7], off
	global_load_ushort v1, v[4:5], off
	s_waitcnt vmcnt(1)
	v_lshlrev_b32_e32 v10, 16, v0
	s_waitcnt vmcnt(0)
	v_lshlrev_b32_e32 v0, 16, v1
.LBB303_2:
	s_or_b64 exec, exec, s[2:3]
	v_cmp_lt_i32_e64 s[2:3], 1, v8
	s_and_b64 s[2:3], vcc, s[2:3]
	s_mov_b32 s11, 0
	v_mov_b32_e32 v1, 0
	s_and_saveexec_b64 s[4:5], s[2:3]
	s_cbranch_execz .LBB303_4
; %bb.3:
	s_lshl_b64 s[6:7], s[10:11], 1
	v_mov_b32_e32 v1, s7
	v_add_co_u32_e64 v4, s[2:3], s6, v4
	v_addc_co_u32_e64 v5, s[2:3], v5, v1, s[2:3]
	v_add_co_u32_e64 v6, s[2:3], s6, v6
	v_addc_co_u32_e64 v7, s[2:3], v7, v1, s[2:3]
	global_load_ushort v1, v[6:7], off
	global_load_ushort v11, v[4:5], off
	s_waitcnt vmcnt(1)
	v_lshlrev_b32_e32 v9, 16, v1
	s_waitcnt vmcnt(0)
	v_lshlrev_b32_e32 v1, 16, v11
.LBB303_4:
	s_or_b64 exec, exec, s[4:5]
	v_mbcnt_lo_u32_b32 v4, -1, 0
	v_mbcnt_hi_u32_b32 v4, -1, v4
	v_and_b32_e32 v6, 0x7e, v4
	v_xor_b32_e32 v5, 1, v4
	v_add_u32_e32 v6, 2, v6
	v_cmp_lt_i32_e64 s[2:3], v5, v6
	v_cndmask_b32_e64 v4, v4, v5, s[2:3]
	v_lshlrev_b32_e32 v7, 2, v4
	v_pk_add_f32 v[4:5], v[0:1], 0 op_sel_hi:[1,0]
	ds_bpermute_b32 v6, v7, v4
	ds_bpermute_b32 v7, v7, v5
	s_and_saveexec_b64 s[2:3], s[0:1]
	s_cbranch_execz .LBB303_10
; %bb.5:
	v_mov_b32_e32 v11, s13
	v_add_co_u32_e64 v2, s[0:1], s12, v2
	v_addc_co_u32_e64 v3, s[0:1], v11, v3, s[0:1]
	s_waitcnt lgkmcnt(0)
	v_pk_add_f32 v[4:5], v[4:5], v[6:7]
	s_and_saveexec_b64 s[2:3], vcc
	s_cbranch_execz .LBB303_7
; %bb.6:
	v_mul_f32_e32 v6, 0x3fb8aa3b, v10
	s_mov_b32 s0, 0x3fb8aa3b
	v_rndne_f32_e32 v7, v6
	v_sub_f32_e32 v11, v6, v7
	v_fma_f32 v6, v10, s0, -v6
	v_fmac_f32_e32 v6, 0x32a5705f, v10
	v_add_f32_e32 v6, v11, v6
	v_exp_f32_e32 v6, v6
	v_cvt_i32_f32_e32 v7, v7
	s_mov_b32 s0, 0xc2ce8ed0
	v_cmp_ngt_f32_e64 s[0:1], s0, v10
	v_ldexp_f32 v6, v6, v7
	v_cndmask_b32_e64 v6, 0, v6, s[0:1]
	s_mov_b32 s0, 0x42b17218
	v_mov_b32_e32 v7, 0x7f800000
	v_cmp_nlt_f32_e64 s[0:1], s0, v10
	v_cndmask_b32_e64 v6, v7, v6, s[0:1]
	v_fma_f32 v0, -v4, v6, v0
	v_bfe_u32 v4, v0, 16, 1
	s_movk_i32 s0, 0x7fff
	v_add3_u32 v4, v0, v4, s0
	v_lshrrev_b32_e32 v4, 16, v4
	v_mov_b32_e32 v6, 0x7fc0
	v_cmp_o_f32_e64 s[0:1], v0, v0
	v_cndmask_b32_e64 v0, v6, v4, s[0:1]
	global_store_short v[2:3], v0, off
.LBB303_7:
	s_or_b64 exec, exec, s[2:3]
	v_cmp_ne_u32_e64 s[0:1], 1, v8
	s_and_b64 exec, exec, s[0:1]
	s_cbranch_execz .LBB303_10
; %bb.8:
	s_and_b64 exec, exec, vcc
	s_cbranch_execz .LBB303_10
; %bb.9:
	v_mul_f32_e32 v0, 0x3fb8aa3b, v9
	s_mov_b32 s0, 0x3fb8aa3b
	v_rndne_f32_e32 v4, v0
	v_sub_f32_e32 v6, v0, v4
	v_fma_f32 v0, v9, s0, -v0
	v_fmac_f32_e32 v0, 0x32a5705f, v9
	v_add_f32_e32 v0, v6, v0
	v_exp_f32_e32 v0, v0
	v_cvt_i32_f32_e32 v4, v4
	s_mov_b32 s0, 0xc2ce8ed0
	v_cmp_ngt_f32_e32 vcc, s0, v9
	s_mov_b32 s0, 0x42b17218
	v_ldexp_f32 v0, v0, v4
	v_cndmask_b32_e32 v0, 0, v0, vcc
	v_mov_b32_e32 v4, 0x7f800000
	v_cmp_nlt_f32_e32 vcc, s0, v9
	v_cndmask_b32_e32 v0, v4, v0, vcc
	v_fma_f32 v0, -v5, v0, v1
	v_bfe_u32 v1, v0, 16, 1
	s_movk_i32 s0, 0x7fff
	v_add3_u32 v1, v0, v1, s0
	v_lshrrev_b32_e32 v1, 16, v1
	v_mov_b32_e32 v4, 0x7fc0
	v_cmp_o_f32_e32 vcc, v0, v0
	s_lshl_b64 s[0:1], s[10:11], 1
	v_cndmask_b32_e32 v4, v4, v1, vcc
	v_mov_b32_e32 v1, s1
	v_add_co_u32_e32 v0, vcc, s0, v2
	v_addc_co_u32_e32 v1, vcc, v3, v1, vcc
	global_store_short v[0:1], v4, off
.LBB303_10:
	s_endpgm
	.section	.rodata,"a",@progbits
	.p2align	6, 0x0
	.amdhsa_kernel _ZN12_GLOBAL__N_121softmax_warp_backwardIN3c108BFloat16ES2_fLi1ELb1ELb0ELi32EEEvPT0_PKT_S7_iiiPKb
		.amdhsa_group_segment_fixed_size 0
		.amdhsa_private_segment_fixed_size 0
		.amdhsa_kernarg_size 304
		.amdhsa_user_sgpr_count 6
		.amdhsa_user_sgpr_private_segment_buffer 1
		.amdhsa_user_sgpr_dispatch_ptr 0
		.amdhsa_user_sgpr_queue_ptr 0
		.amdhsa_user_sgpr_kernarg_segment_ptr 1
		.amdhsa_user_sgpr_dispatch_id 0
		.amdhsa_user_sgpr_flat_scratch_init 0
		.amdhsa_user_sgpr_kernarg_preload_length 0
		.amdhsa_user_sgpr_kernarg_preload_offset 0
		.amdhsa_user_sgpr_private_segment_size 0
		.amdhsa_uses_dynamic_stack 0
		.amdhsa_system_sgpr_private_segment_wavefront_offset 0
		.amdhsa_system_sgpr_workgroup_id_x 1
		.amdhsa_system_sgpr_workgroup_id_y 0
		.amdhsa_system_sgpr_workgroup_id_z 0
		.amdhsa_system_sgpr_workgroup_info 0
		.amdhsa_system_vgpr_workitem_id 1
		.amdhsa_next_free_vgpr 12
		.amdhsa_next_free_sgpr 16
		.amdhsa_accum_offset 12
		.amdhsa_reserve_vcc 1
		.amdhsa_reserve_flat_scratch 0
		.amdhsa_float_round_mode_32 0
		.amdhsa_float_round_mode_16_64 0
		.amdhsa_float_denorm_mode_32 3
		.amdhsa_float_denorm_mode_16_64 3
		.amdhsa_dx10_clamp 1
		.amdhsa_ieee_mode 1
		.amdhsa_fp16_overflow 0
		.amdhsa_tg_split 0
		.amdhsa_exception_fp_ieee_invalid_op 0
		.amdhsa_exception_fp_denorm_src 0
		.amdhsa_exception_fp_ieee_div_zero 0
		.amdhsa_exception_fp_ieee_overflow 0
		.amdhsa_exception_fp_ieee_underflow 0
		.amdhsa_exception_fp_ieee_inexact 0
		.amdhsa_exception_int_div_zero 0
	.end_amdhsa_kernel
	.section	.text._ZN12_GLOBAL__N_121softmax_warp_backwardIN3c108BFloat16ES2_fLi1ELb1ELb0ELi32EEEvPT0_PKT_S7_iiiPKb,"axG",@progbits,_ZN12_GLOBAL__N_121softmax_warp_backwardIN3c108BFloat16ES2_fLi1ELb1ELb0ELi32EEEvPT0_PKT_S7_iiiPKb,comdat
.Lfunc_end303:
	.size	_ZN12_GLOBAL__N_121softmax_warp_backwardIN3c108BFloat16ES2_fLi1ELb1ELb0ELi32EEEvPT0_PKT_S7_iiiPKb, .Lfunc_end303-_ZN12_GLOBAL__N_121softmax_warp_backwardIN3c108BFloat16ES2_fLi1ELb1ELb0ELi32EEEvPT0_PKT_S7_iiiPKb
                                        ; -- End function
	.section	.AMDGPU.csdata,"",@progbits
; Kernel info:
; codeLenInByte = 800
; NumSgprs: 20
; NumVgprs: 12
; NumAgprs: 0
; TotalNumVgprs: 12
; ScratchSize: 0
; MemoryBound: 0
; FloatMode: 240
; IeeeMode: 1
; LDSByteSize: 0 bytes/workgroup (compile time only)
; SGPRBlocks: 2
; VGPRBlocks: 1
; NumSGPRsForWavesPerEU: 20
; NumVGPRsForWavesPerEU: 12
; AccumOffset: 12
; Occupancy: 8
; WaveLimiterHint : 0
; COMPUTE_PGM_RSRC2:SCRATCH_EN: 0
; COMPUTE_PGM_RSRC2:USER_SGPR: 6
; COMPUTE_PGM_RSRC2:TRAP_HANDLER: 0
; COMPUTE_PGM_RSRC2:TGID_X_EN: 1
; COMPUTE_PGM_RSRC2:TGID_Y_EN: 0
; COMPUTE_PGM_RSRC2:TGID_Z_EN: 0
; COMPUTE_PGM_RSRC2:TIDIG_COMP_CNT: 1
; COMPUTE_PGM_RSRC3_GFX90A:ACCUM_OFFSET: 2
; COMPUTE_PGM_RSRC3_GFX90A:TG_SPLIT: 0
	.section	.text._ZN12_GLOBAL__N_121softmax_warp_backwardIN3c108BFloat16ES2_fLi2ELb1ELb0ELi64EEEvPT0_PKT_S7_iiiPKb,"axG",@progbits,_ZN12_GLOBAL__N_121softmax_warp_backwardIN3c108BFloat16ES2_fLi2ELb1ELb0ELi64EEEvPT0_PKT_S7_iiiPKb,comdat
	.globl	_ZN12_GLOBAL__N_121softmax_warp_backwardIN3c108BFloat16ES2_fLi2ELb1ELb0ELi64EEEvPT0_PKT_S7_iiiPKb ; -- Begin function _ZN12_GLOBAL__N_121softmax_warp_backwardIN3c108BFloat16ES2_fLi2ELb1ELb0ELi64EEEvPT0_PKT_S7_iiiPKb
	.p2align	8
	.type	_ZN12_GLOBAL__N_121softmax_warp_backwardIN3c108BFloat16ES2_fLi2ELb1ELb0ELi64EEEvPT0_PKT_S7_iiiPKb,@function
_ZN12_GLOBAL__N_121softmax_warp_backwardIN3c108BFloat16ES2_fLi2ELb1ELb0ELi64EEEvPT0_PKT_S7_iiiPKb: ; @_ZN12_GLOBAL__N_121softmax_warp_backwardIN3c108BFloat16ES2_fLi2ELb1ELb0ELi64EEEvPT0_PKT_S7_iiiPKb
; %bb.0:
	s_load_dword s2, s[4:5], 0x3c
	s_load_dwordx4 s[8:11], s[4:5], 0x18
	s_load_dwordx4 s[12:15], s[4:5], 0x0
	s_load_dwordx2 s[0:1], s[4:5], 0x10
	v_bfe_u32 v1, v0, 10, 10
	s_waitcnt lgkmcnt(0)
	s_lshr_b32 s2, s2, 16
	s_mul_i32 s6, s6, s2
	v_add_lshl_u32 v1, s6, v1, 1
	v_and_b32_e32 v0, 3, v0
	v_mad_u64_u32 v[2:3], s[2:3], v1, s9, v[0:1]
	v_ashrrev_i32_e32 v3, 31, v2
	v_lshlrev_b64 v[2:3], 1, v[2:3]
	v_sub_u32_e32 v8, s8, v1
	v_mov_b32_e32 v1, s15
	v_add_co_u32_e32 v4, vcc, s14, v2
	v_addc_co_u32_e32 v5, vcc, v1, v3, vcc
	v_mov_b32_e32 v1, s1
	v_add_co_u32_e32 v6, vcc, s0, v2
	v_addc_co_u32_e32 v7, vcc, v1, v3, vcc
	v_cmp_gt_i32_e32 vcc, s10, v0
	v_cmp_lt_i32_e64 s[0:1], 0, v8
	s_and_b64 s[4:5], vcc, s[0:1]
	v_mov_b32_e32 v9, 0
	v_mov_b32_e32 v10, 0
	;; [unrolled: 1-line block ×3, first 2 shown]
	s_and_saveexec_b64 s[2:3], s[4:5]
	s_cbranch_execz .LBB304_2
; %bb.1:
	global_load_ushort v0, v[6:7], off
	global_load_ushort v1, v[4:5], off
	s_waitcnt vmcnt(1)
	v_lshlrev_b32_e32 v10, 16, v0
	s_waitcnt vmcnt(0)
	v_lshlrev_b32_e32 v0, 16, v1
.LBB304_2:
	s_or_b64 exec, exec, s[2:3]
	v_cmp_lt_i32_e64 s[2:3], 1, v8
	s_and_b64 s[2:3], vcc, s[2:3]
	s_mov_b32 s11, 0
	v_mov_b32_e32 v1, 0
	s_and_saveexec_b64 s[4:5], s[2:3]
	s_cbranch_execz .LBB304_4
; %bb.3:
	s_lshl_b64 s[6:7], s[10:11], 1
	v_mov_b32_e32 v1, s7
	v_add_co_u32_e64 v4, s[2:3], s6, v4
	v_addc_co_u32_e64 v5, s[2:3], v5, v1, s[2:3]
	v_add_co_u32_e64 v6, s[2:3], s6, v6
	v_addc_co_u32_e64 v7, s[2:3], v7, v1, s[2:3]
	global_load_ushort v1, v[6:7], off
	global_load_ushort v11, v[4:5], off
	s_waitcnt vmcnt(1)
	v_lshlrev_b32_e32 v9, 16, v1
	s_waitcnt vmcnt(0)
	v_lshlrev_b32_e32 v1, 16, v11
.LBB304_4:
	s_or_b64 exec, exec, s[4:5]
	v_mbcnt_lo_u32_b32 v4, -1, 0
	v_mbcnt_hi_u32_b32 v11, -1, v4
	v_and_b32_e32 v4, 0x7c, v11
	v_add_u32_e32 v12, 4, v4
	v_xor_b32_e32 v4, 2, v11
	v_cmp_lt_i32_e64 s[2:3], v4, v12
	v_cndmask_b32_e64 v4, v11, v4, s[2:3]
	v_lshlrev_b32_e32 v7, 2, v4
	v_pk_add_f32 v[4:5], v[0:1], 0 op_sel_hi:[1,0]
	ds_bpermute_b32 v6, v7, v4
	ds_bpermute_b32 v7, v7, v5
	v_xor_b32_e32 v13, 1, v11
	v_cmp_lt_i32_e64 s[2:3], v13, v12
	v_cndmask_b32_e64 v11, v11, v13, s[2:3]
	v_lshlrev_b32_e32 v11, 2, v11
	s_waitcnt lgkmcnt(0)
	v_pk_add_f32 v[4:5], v[4:5], v[6:7]
	ds_bpermute_b32 v6, v11, v4
	ds_bpermute_b32 v7, v11, v5
	s_and_saveexec_b64 s[2:3], s[0:1]
	s_cbranch_execz .LBB304_10
; %bb.5:
	v_mov_b32_e32 v11, s13
	v_add_co_u32_e64 v2, s[0:1], s12, v2
	v_addc_co_u32_e64 v3, s[0:1], v11, v3, s[0:1]
	s_waitcnt lgkmcnt(0)
	v_pk_add_f32 v[4:5], v[4:5], v[6:7]
	s_and_saveexec_b64 s[2:3], vcc
	s_cbranch_execz .LBB304_7
; %bb.6:
	v_mul_f32_e32 v6, 0x3fb8aa3b, v10
	s_mov_b32 s0, 0x3fb8aa3b
	v_rndne_f32_e32 v7, v6
	v_sub_f32_e32 v11, v6, v7
	v_fma_f32 v6, v10, s0, -v6
	v_fmac_f32_e32 v6, 0x32a5705f, v10
	v_add_f32_e32 v6, v11, v6
	v_exp_f32_e32 v6, v6
	v_cvt_i32_f32_e32 v7, v7
	s_mov_b32 s0, 0xc2ce8ed0
	v_cmp_ngt_f32_e64 s[0:1], s0, v10
	v_ldexp_f32 v6, v6, v7
	v_cndmask_b32_e64 v6, 0, v6, s[0:1]
	s_mov_b32 s0, 0x42b17218
	v_mov_b32_e32 v7, 0x7f800000
	v_cmp_nlt_f32_e64 s[0:1], s0, v10
	v_cndmask_b32_e64 v6, v7, v6, s[0:1]
	v_fma_f32 v0, -v4, v6, v0
	v_bfe_u32 v4, v0, 16, 1
	s_movk_i32 s0, 0x7fff
	v_add3_u32 v4, v0, v4, s0
	v_lshrrev_b32_e32 v4, 16, v4
	v_mov_b32_e32 v6, 0x7fc0
	v_cmp_o_f32_e64 s[0:1], v0, v0
	v_cndmask_b32_e64 v0, v6, v4, s[0:1]
	global_store_short v[2:3], v0, off
.LBB304_7:
	s_or_b64 exec, exec, s[2:3]
	v_cmp_ne_u32_e64 s[0:1], 1, v8
	s_and_b64 exec, exec, s[0:1]
	s_cbranch_execz .LBB304_10
; %bb.8:
	s_and_b64 exec, exec, vcc
	s_cbranch_execz .LBB304_10
; %bb.9:
	v_mul_f32_e32 v0, 0x3fb8aa3b, v9
	s_mov_b32 s0, 0x3fb8aa3b
	v_rndne_f32_e32 v4, v0
	v_sub_f32_e32 v6, v0, v4
	v_fma_f32 v0, v9, s0, -v0
	v_fmac_f32_e32 v0, 0x32a5705f, v9
	v_add_f32_e32 v0, v6, v0
	v_exp_f32_e32 v0, v0
	v_cvt_i32_f32_e32 v4, v4
	s_mov_b32 s0, 0xc2ce8ed0
	v_cmp_ngt_f32_e32 vcc, s0, v9
	s_mov_b32 s0, 0x42b17218
	v_ldexp_f32 v0, v0, v4
	v_cndmask_b32_e32 v0, 0, v0, vcc
	v_mov_b32_e32 v4, 0x7f800000
	v_cmp_nlt_f32_e32 vcc, s0, v9
	v_cndmask_b32_e32 v0, v4, v0, vcc
	v_fma_f32 v0, -v5, v0, v1
	v_bfe_u32 v1, v0, 16, 1
	s_movk_i32 s0, 0x7fff
	v_add3_u32 v1, v0, v1, s0
	v_lshrrev_b32_e32 v1, 16, v1
	v_mov_b32_e32 v4, 0x7fc0
	v_cmp_o_f32_e32 vcc, v0, v0
	s_lshl_b64 s[0:1], s[10:11], 1
	v_cndmask_b32_e32 v4, v4, v1, vcc
	v_mov_b32_e32 v1, s1
	v_add_co_u32_e32 v0, vcc, s0, v2
	v_addc_co_u32_e32 v1, vcc, v3, v1, vcc
	global_store_short v[0:1], v4, off
.LBB304_10:
	s_endpgm
	.section	.rodata,"a",@progbits
	.p2align	6, 0x0
	.amdhsa_kernel _ZN12_GLOBAL__N_121softmax_warp_backwardIN3c108BFloat16ES2_fLi2ELb1ELb0ELi64EEEvPT0_PKT_S7_iiiPKb
		.amdhsa_group_segment_fixed_size 0
		.amdhsa_private_segment_fixed_size 0
		.amdhsa_kernarg_size 304
		.amdhsa_user_sgpr_count 6
		.amdhsa_user_sgpr_private_segment_buffer 1
		.amdhsa_user_sgpr_dispatch_ptr 0
		.amdhsa_user_sgpr_queue_ptr 0
		.amdhsa_user_sgpr_kernarg_segment_ptr 1
		.amdhsa_user_sgpr_dispatch_id 0
		.amdhsa_user_sgpr_flat_scratch_init 0
		.amdhsa_user_sgpr_kernarg_preload_length 0
		.amdhsa_user_sgpr_kernarg_preload_offset 0
		.amdhsa_user_sgpr_private_segment_size 0
		.amdhsa_uses_dynamic_stack 0
		.amdhsa_system_sgpr_private_segment_wavefront_offset 0
		.amdhsa_system_sgpr_workgroup_id_x 1
		.amdhsa_system_sgpr_workgroup_id_y 0
		.amdhsa_system_sgpr_workgroup_id_z 0
		.amdhsa_system_sgpr_workgroup_info 0
		.amdhsa_system_vgpr_workitem_id 1
		.amdhsa_next_free_vgpr 14
		.amdhsa_next_free_sgpr 16
		.amdhsa_accum_offset 16
		.amdhsa_reserve_vcc 1
		.amdhsa_reserve_flat_scratch 0
		.amdhsa_float_round_mode_32 0
		.amdhsa_float_round_mode_16_64 0
		.amdhsa_float_denorm_mode_32 3
		.amdhsa_float_denorm_mode_16_64 3
		.amdhsa_dx10_clamp 1
		.amdhsa_ieee_mode 1
		.amdhsa_fp16_overflow 0
		.amdhsa_tg_split 0
		.amdhsa_exception_fp_ieee_invalid_op 0
		.amdhsa_exception_fp_denorm_src 0
		.amdhsa_exception_fp_ieee_div_zero 0
		.amdhsa_exception_fp_ieee_overflow 0
		.amdhsa_exception_fp_ieee_underflow 0
		.amdhsa_exception_fp_ieee_inexact 0
		.amdhsa_exception_int_div_zero 0
	.end_amdhsa_kernel
	.section	.text._ZN12_GLOBAL__N_121softmax_warp_backwardIN3c108BFloat16ES2_fLi2ELb1ELb0ELi64EEEvPT0_PKT_S7_iiiPKb,"axG",@progbits,_ZN12_GLOBAL__N_121softmax_warp_backwardIN3c108BFloat16ES2_fLi2ELb1ELb0ELi64EEEvPT0_PKT_S7_iiiPKb,comdat
.Lfunc_end304:
	.size	_ZN12_GLOBAL__N_121softmax_warp_backwardIN3c108BFloat16ES2_fLi2ELb1ELb0ELi64EEEvPT0_PKT_S7_iiiPKb, .Lfunc_end304-_ZN12_GLOBAL__N_121softmax_warp_backwardIN3c108BFloat16ES2_fLi2ELb1ELb0ELi64EEEvPT0_PKT_S7_iiiPKb
                                        ; -- End function
	.section	.AMDGPU.csdata,"",@progbits
; Kernel info:
; codeLenInByte = 848
; NumSgprs: 20
; NumVgprs: 14
; NumAgprs: 0
; TotalNumVgprs: 14
; ScratchSize: 0
; MemoryBound: 0
; FloatMode: 240
; IeeeMode: 1
; LDSByteSize: 0 bytes/workgroup (compile time only)
; SGPRBlocks: 2
; VGPRBlocks: 1
; NumSGPRsForWavesPerEU: 20
; NumVGPRsForWavesPerEU: 14
; AccumOffset: 16
; Occupancy: 8
; WaveLimiterHint : 0
; COMPUTE_PGM_RSRC2:SCRATCH_EN: 0
; COMPUTE_PGM_RSRC2:USER_SGPR: 6
; COMPUTE_PGM_RSRC2:TRAP_HANDLER: 0
; COMPUTE_PGM_RSRC2:TGID_X_EN: 1
; COMPUTE_PGM_RSRC2:TGID_Y_EN: 0
; COMPUTE_PGM_RSRC2:TGID_Z_EN: 0
; COMPUTE_PGM_RSRC2:TIDIG_COMP_CNT: 1
; COMPUTE_PGM_RSRC3_GFX90A:ACCUM_OFFSET: 3
; COMPUTE_PGM_RSRC3_GFX90A:TG_SPLIT: 0
	.section	.text._ZN12_GLOBAL__N_121softmax_warp_backwardIN3c108BFloat16ES2_fLi2ELb1ELb0ELi32EEEvPT0_PKT_S7_iiiPKb,"axG",@progbits,_ZN12_GLOBAL__N_121softmax_warp_backwardIN3c108BFloat16ES2_fLi2ELb1ELb0ELi32EEEvPT0_PKT_S7_iiiPKb,comdat
	.globl	_ZN12_GLOBAL__N_121softmax_warp_backwardIN3c108BFloat16ES2_fLi2ELb1ELb0ELi32EEEvPT0_PKT_S7_iiiPKb ; -- Begin function _ZN12_GLOBAL__N_121softmax_warp_backwardIN3c108BFloat16ES2_fLi2ELb1ELb0ELi32EEEvPT0_PKT_S7_iiiPKb
	.p2align	8
	.type	_ZN12_GLOBAL__N_121softmax_warp_backwardIN3c108BFloat16ES2_fLi2ELb1ELb0ELi32EEEvPT0_PKT_S7_iiiPKb,@function
_ZN12_GLOBAL__N_121softmax_warp_backwardIN3c108BFloat16ES2_fLi2ELb1ELb0ELi32EEEvPT0_PKT_S7_iiiPKb: ; @_ZN12_GLOBAL__N_121softmax_warp_backwardIN3c108BFloat16ES2_fLi2ELb1ELb0ELi32EEEvPT0_PKT_S7_iiiPKb
; %bb.0:
	s_load_dword s2, s[4:5], 0x3c
	s_load_dwordx4 s[8:11], s[4:5], 0x18
	s_load_dwordx4 s[12:15], s[4:5], 0x0
	s_load_dwordx2 s[0:1], s[4:5], 0x10
	v_bfe_u32 v1, v0, 10, 10
	s_waitcnt lgkmcnt(0)
	s_lshr_b32 s2, s2, 16
	s_mul_i32 s6, s6, s2
	v_add_lshl_u32 v1, s6, v1, 1
	v_and_b32_e32 v0, 3, v0
	v_mad_u64_u32 v[2:3], s[2:3], v1, s9, v[0:1]
	v_ashrrev_i32_e32 v3, 31, v2
	v_lshlrev_b64 v[2:3], 1, v[2:3]
	v_sub_u32_e32 v8, s8, v1
	v_mov_b32_e32 v1, s15
	v_add_co_u32_e32 v4, vcc, s14, v2
	v_addc_co_u32_e32 v5, vcc, v1, v3, vcc
	v_mov_b32_e32 v1, s1
	v_add_co_u32_e32 v6, vcc, s0, v2
	v_addc_co_u32_e32 v7, vcc, v1, v3, vcc
	v_cmp_gt_i32_e32 vcc, s10, v0
	v_cmp_lt_i32_e64 s[0:1], 0, v8
	s_and_b64 s[4:5], vcc, s[0:1]
	v_mov_b32_e32 v9, 0
	v_mov_b32_e32 v10, 0
	;; [unrolled: 1-line block ×3, first 2 shown]
	s_and_saveexec_b64 s[2:3], s[4:5]
	s_cbranch_execz .LBB305_2
; %bb.1:
	global_load_ushort v0, v[6:7], off
	global_load_ushort v1, v[4:5], off
	s_waitcnt vmcnt(1)
	v_lshlrev_b32_e32 v10, 16, v0
	s_waitcnt vmcnt(0)
	v_lshlrev_b32_e32 v0, 16, v1
.LBB305_2:
	s_or_b64 exec, exec, s[2:3]
	v_cmp_lt_i32_e64 s[2:3], 1, v8
	s_and_b64 s[2:3], vcc, s[2:3]
	s_mov_b32 s11, 0
	v_mov_b32_e32 v1, 0
	s_and_saveexec_b64 s[4:5], s[2:3]
	s_cbranch_execz .LBB305_4
; %bb.3:
	s_lshl_b64 s[6:7], s[10:11], 1
	v_mov_b32_e32 v1, s7
	v_add_co_u32_e64 v4, s[2:3], s6, v4
	v_addc_co_u32_e64 v5, s[2:3], v5, v1, s[2:3]
	v_add_co_u32_e64 v6, s[2:3], s6, v6
	v_addc_co_u32_e64 v7, s[2:3], v7, v1, s[2:3]
	global_load_ushort v1, v[6:7], off
	global_load_ushort v11, v[4:5], off
	s_waitcnt vmcnt(1)
	v_lshlrev_b32_e32 v9, 16, v1
	s_waitcnt vmcnt(0)
	v_lshlrev_b32_e32 v1, 16, v11
.LBB305_4:
	s_or_b64 exec, exec, s[4:5]
	v_mbcnt_lo_u32_b32 v4, -1, 0
	v_mbcnt_hi_u32_b32 v11, -1, v4
	v_and_b32_e32 v4, 0x7c, v11
	v_add_u32_e32 v12, 4, v4
	v_xor_b32_e32 v4, 2, v11
	v_cmp_lt_i32_e64 s[2:3], v4, v12
	v_cndmask_b32_e64 v4, v11, v4, s[2:3]
	v_lshlrev_b32_e32 v7, 2, v4
	v_pk_add_f32 v[4:5], v[0:1], 0 op_sel_hi:[1,0]
	ds_bpermute_b32 v6, v7, v4
	ds_bpermute_b32 v7, v7, v5
	v_xor_b32_e32 v13, 1, v11
	v_cmp_lt_i32_e64 s[2:3], v13, v12
	v_cndmask_b32_e64 v11, v11, v13, s[2:3]
	v_lshlrev_b32_e32 v11, 2, v11
	s_waitcnt lgkmcnt(0)
	v_pk_add_f32 v[4:5], v[4:5], v[6:7]
	ds_bpermute_b32 v6, v11, v4
	ds_bpermute_b32 v7, v11, v5
	s_and_saveexec_b64 s[2:3], s[0:1]
	s_cbranch_execz .LBB305_10
; %bb.5:
	v_mov_b32_e32 v11, s13
	v_add_co_u32_e64 v2, s[0:1], s12, v2
	v_addc_co_u32_e64 v3, s[0:1], v11, v3, s[0:1]
	s_waitcnt lgkmcnt(0)
	v_pk_add_f32 v[4:5], v[4:5], v[6:7]
	s_and_saveexec_b64 s[2:3], vcc
	s_cbranch_execz .LBB305_7
; %bb.6:
	v_mul_f32_e32 v6, 0x3fb8aa3b, v10
	s_mov_b32 s0, 0x3fb8aa3b
	v_rndne_f32_e32 v7, v6
	v_sub_f32_e32 v11, v6, v7
	v_fma_f32 v6, v10, s0, -v6
	v_fmac_f32_e32 v6, 0x32a5705f, v10
	v_add_f32_e32 v6, v11, v6
	v_exp_f32_e32 v6, v6
	v_cvt_i32_f32_e32 v7, v7
	s_mov_b32 s0, 0xc2ce8ed0
	v_cmp_ngt_f32_e64 s[0:1], s0, v10
	v_ldexp_f32 v6, v6, v7
	v_cndmask_b32_e64 v6, 0, v6, s[0:1]
	s_mov_b32 s0, 0x42b17218
	v_mov_b32_e32 v7, 0x7f800000
	v_cmp_nlt_f32_e64 s[0:1], s0, v10
	v_cndmask_b32_e64 v6, v7, v6, s[0:1]
	v_fma_f32 v0, -v4, v6, v0
	v_bfe_u32 v4, v0, 16, 1
	s_movk_i32 s0, 0x7fff
	v_add3_u32 v4, v0, v4, s0
	v_lshrrev_b32_e32 v4, 16, v4
	v_mov_b32_e32 v6, 0x7fc0
	v_cmp_o_f32_e64 s[0:1], v0, v0
	v_cndmask_b32_e64 v0, v6, v4, s[0:1]
	global_store_short v[2:3], v0, off
.LBB305_7:
	s_or_b64 exec, exec, s[2:3]
	v_cmp_ne_u32_e64 s[0:1], 1, v8
	s_and_b64 exec, exec, s[0:1]
	s_cbranch_execz .LBB305_10
; %bb.8:
	s_and_b64 exec, exec, vcc
	s_cbranch_execz .LBB305_10
; %bb.9:
	v_mul_f32_e32 v0, 0x3fb8aa3b, v9
	s_mov_b32 s0, 0x3fb8aa3b
	v_rndne_f32_e32 v4, v0
	v_sub_f32_e32 v6, v0, v4
	v_fma_f32 v0, v9, s0, -v0
	v_fmac_f32_e32 v0, 0x32a5705f, v9
	v_add_f32_e32 v0, v6, v0
	v_exp_f32_e32 v0, v0
	v_cvt_i32_f32_e32 v4, v4
	s_mov_b32 s0, 0xc2ce8ed0
	v_cmp_ngt_f32_e32 vcc, s0, v9
	s_mov_b32 s0, 0x42b17218
	v_ldexp_f32 v0, v0, v4
	v_cndmask_b32_e32 v0, 0, v0, vcc
	v_mov_b32_e32 v4, 0x7f800000
	v_cmp_nlt_f32_e32 vcc, s0, v9
	v_cndmask_b32_e32 v0, v4, v0, vcc
	v_fma_f32 v0, -v5, v0, v1
	v_bfe_u32 v1, v0, 16, 1
	s_movk_i32 s0, 0x7fff
	v_add3_u32 v1, v0, v1, s0
	v_lshrrev_b32_e32 v1, 16, v1
	v_mov_b32_e32 v4, 0x7fc0
	v_cmp_o_f32_e32 vcc, v0, v0
	s_lshl_b64 s[0:1], s[10:11], 1
	v_cndmask_b32_e32 v4, v4, v1, vcc
	v_mov_b32_e32 v1, s1
	v_add_co_u32_e32 v0, vcc, s0, v2
	v_addc_co_u32_e32 v1, vcc, v3, v1, vcc
	global_store_short v[0:1], v4, off
.LBB305_10:
	s_endpgm
	.section	.rodata,"a",@progbits
	.p2align	6, 0x0
	.amdhsa_kernel _ZN12_GLOBAL__N_121softmax_warp_backwardIN3c108BFloat16ES2_fLi2ELb1ELb0ELi32EEEvPT0_PKT_S7_iiiPKb
		.amdhsa_group_segment_fixed_size 0
		.amdhsa_private_segment_fixed_size 0
		.amdhsa_kernarg_size 304
		.amdhsa_user_sgpr_count 6
		.amdhsa_user_sgpr_private_segment_buffer 1
		.amdhsa_user_sgpr_dispatch_ptr 0
		.amdhsa_user_sgpr_queue_ptr 0
		.amdhsa_user_sgpr_kernarg_segment_ptr 1
		.amdhsa_user_sgpr_dispatch_id 0
		.amdhsa_user_sgpr_flat_scratch_init 0
		.amdhsa_user_sgpr_kernarg_preload_length 0
		.amdhsa_user_sgpr_kernarg_preload_offset 0
		.amdhsa_user_sgpr_private_segment_size 0
		.amdhsa_uses_dynamic_stack 0
		.amdhsa_system_sgpr_private_segment_wavefront_offset 0
		.amdhsa_system_sgpr_workgroup_id_x 1
		.amdhsa_system_sgpr_workgroup_id_y 0
		.amdhsa_system_sgpr_workgroup_id_z 0
		.amdhsa_system_sgpr_workgroup_info 0
		.amdhsa_system_vgpr_workitem_id 1
		.amdhsa_next_free_vgpr 14
		.amdhsa_next_free_sgpr 16
		.amdhsa_accum_offset 16
		.amdhsa_reserve_vcc 1
		.amdhsa_reserve_flat_scratch 0
		.amdhsa_float_round_mode_32 0
		.amdhsa_float_round_mode_16_64 0
		.amdhsa_float_denorm_mode_32 3
		.amdhsa_float_denorm_mode_16_64 3
		.amdhsa_dx10_clamp 1
		.amdhsa_ieee_mode 1
		.amdhsa_fp16_overflow 0
		.amdhsa_tg_split 0
		.amdhsa_exception_fp_ieee_invalid_op 0
		.amdhsa_exception_fp_denorm_src 0
		.amdhsa_exception_fp_ieee_div_zero 0
		.amdhsa_exception_fp_ieee_overflow 0
		.amdhsa_exception_fp_ieee_underflow 0
		.amdhsa_exception_fp_ieee_inexact 0
		.amdhsa_exception_int_div_zero 0
	.end_amdhsa_kernel
	.section	.text._ZN12_GLOBAL__N_121softmax_warp_backwardIN3c108BFloat16ES2_fLi2ELb1ELb0ELi32EEEvPT0_PKT_S7_iiiPKb,"axG",@progbits,_ZN12_GLOBAL__N_121softmax_warp_backwardIN3c108BFloat16ES2_fLi2ELb1ELb0ELi32EEEvPT0_PKT_S7_iiiPKb,comdat
.Lfunc_end305:
	.size	_ZN12_GLOBAL__N_121softmax_warp_backwardIN3c108BFloat16ES2_fLi2ELb1ELb0ELi32EEEvPT0_PKT_S7_iiiPKb, .Lfunc_end305-_ZN12_GLOBAL__N_121softmax_warp_backwardIN3c108BFloat16ES2_fLi2ELb1ELb0ELi32EEEvPT0_PKT_S7_iiiPKb
                                        ; -- End function
	.section	.AMDGPU.csdata,"",@progbits
; Kernel info:
; codeLenInByte = 848
; NumSgprs: 20
; NumVgprs: 14
; NumAgprs: 0
; TotalNumVgprs: 14
; ScratchSize: 0
; MemoryBound: 0
; FloatMode: 240
; IeeeMode: 1
; LDSByteSize: 0 bytes/workgroup (compile time only)
; SGPRBlocks: 2
; VGPRBlocks: 1
; NumSGPRsForWavesPerEU: 20
; NumVGPRsForWavesPerEU: 14
; AccumOffset: 16
; Occupancy: 8
; WaveLimiterHint : 0
; COMPUTE_PGM_RSRC2:SCRATCH_EN: 0
; COMPUTE_PGM_RSRC2:USER_SGPR: 6
; COMPUTE_PGM_RSRC2:TRAP_HANDLER: 0
; COMPUTE_PGM_RSRC2:TGID_X_EN: 1
; COMPUTE_PGM_RSRC2:TGID_Y_EN: 0
; COMPUTE_PGM_RSRC2:TGID_Z_EN: 0
; COMPUTE_PGM_RSRC2:TIDIG_COMP_CNT: 1
; COMPUTE_PGM_RSRC3_GFX90A:ACCUM_OFFSET: 3
; COMPUTE_PGM_RSRC3_GFX90A:TG_SPLIT: 0
	.section	.text._ZN12_GLOBAL__N_121softmax_warp_backwardIN3c108BFloat16ES2_fLi3ELb1ELb0ELi64EEEvPT0_PKT_S7_iiiPKb,"axG",@progbits,_ZN12_GLOBAL__N_121softmax_warp_backwardIN3c108BFloat16ES2_fLi3ELb1ELb0ELi64EEEvPT0_PKT_S7_iiiPKb,comdat
	.globl	_ZN12_GLOBAL__N_121softmax_warp_backwardIN3c108BFloat16ES2_fLi3ELb1ELb0ELi64EEEvPT0_PKT_S7_iiiPKb ; -- Begin function _ZN12_GLOBAL__N_121softmax_warp_backwardIN3c108BFloat16ES2_fLi3ELb1ELb0ELi64EEEvPT0_PKT_S7_iiiPKb
	.p2align	8
	.type	_ZN12_GLOBAL__N_121softmax_warp_backwardIN3c108BFloat16ES2_fLi3ELb1ELb0ELi64EEEvPT0_PKT_S7_iiiPKb,@function
_ZN12_GLOBAL__N_121softmax_warp_backwardIN3c108BFloat16ES2_fLi3ELb1ELb0ELi64EEEvPT0_PKT_S7_iiiPKb: ; @_ZN12_GLOBAL__N_121softmax_warp_backwardIN3c108BFloat16ES2_fLi3ELb1ELb0ELi64EEEvPT0_PKT_S7_iiiPKb
; %bb.0:
	s_load_dword s2, s[4:5], 0x3c
	s_load_dwordx4 s[8:11], s[4:5], 0x18
	s_load_dwordx4 s[12:15], s[4:5], 0x0
	s_load_dwordx2 s[0:1], s[4:5], 0x10
	v_bfe_u32 v1, v0, 10, 10
	s_waitcnt lgkmcnt(0)
	s_lshr_b32 s2, s2, 16
	s_mul_i32 s6, s6, s2
	v_add_lshl_u32 v1, s6, v1, 1
	v_and_b32_e32 v0, 7, v0
	v_mad_u64_u32 v[2:3], s[2:3], v1, s9, v[0:1]
	v_ashrrev_i32_e32 v3, 31, v2
	v_lshlrev_b64 v[2:3], 1, v[2:3]
	v_sub_u32_e32 v8, s8, v1
	v_mov_b32_e32 v1, s15
	v_add_co_u32_e32 v4, vcc, s14, v2
	v_addc_co_u32_e32 v5, vcc, v1, v3, vcc
	v_mov_b32_e32 v1, s1
	v_add_co_u32_e32 v6, vcc, s0, v2
	v_addc_co_u32_e32 v7, vcc, v1, v3, vcc
	v_cmp_gt_i32_e32 vcc, s10, v0
	v_cmp_lt_i32_e64 s[0:1], 0, v8
	s_and_b64 s[4:5], vcc, s[0:1]
	v_mov_b32_e32 v9, 0
	v_mov_b32_e32 v10, 0
	;; [unrolled: 1-line block ×3, first 2 shown]
	s_and_saveexec_b64 s[2:3], s[4:5]
	s_cbranch_execz .LBB306_2
; %bb.1:
	global_load_ushort v0, v[6:7], off
	global_load_ushort v1, v[4:5], off
	s_waitcnt vmcnt(1)
	v_lshlrev_b32_e32 v10, 16, v0
	s_waitcnt vmcnt(0)
	v_lshlrev_b32_e32 v0, 16, v1
.LBB306_2:
	s_or_b64 exec, exec, s[2:3]
	v_cmp_lt_i32_e64 s[2:3], 1, v8
	s_and_b64 s[2:3], vcc, s[2:3]
	s_mov_b32 s11, 0
	v_mov_b32_e32 v1, 0
	s_and_saveexec_b64 s[4:5], s[2:3]
	s_cbranch_execz .LBB306_4
; %bb.3:
	s_lshl_b64 s[6:7], s[10:11], 1
	v_mov_b32_e32 v1, s7
	v_add_co_u32_e64 v4, s[2:3], s6, v4
	v_addc_co_u32_e64 v5, s[2:3], v5, v1, s[2:3]
	v_add_co_u32_e64 v6, s[2:3], s6, v6
	v_addc_co_u32_e64 v7, s[2:3], v7, v1, s[2:3]
	global_load_ushort v1, v[6:7], off
	global_load_ushort v11, v[4:5], off
	s_waitcnt vmcnt(1)
	v_lshlrev_b32_e32 v9, 16, v1
	s_waitcnt vmcnt(0)
	v_lshlrev_b32_e32 v1, 16, v11
.LBB306_4:
	s_or_b64 exec, exec, s[4:5]
	v_mbcnt_lo_u32_b32 v4, -1, 0
	v_mbcnt_hi_u32_b32 v11, -1, v4
	v_and_b32_e32 v4, 0x78, v11
	v_add_u32_e32 v12, 8, v4
	v_xor_b32_e32 v4, 4, v11
	v_cmp_lt_i32_e64 s[2:3], v4, v12
	v_cndmask_b32_e64 v4, v11, v4, s[2:3]
	v_lshlrev_b32_e32 v7, 2, v4
	v_pk_add_f32 v[4:5], v[0:1], 0 op_sel_hi:[1,0]
	ds_bpermute_b32 v6, v7, v4
	ds_bpermute_b32 v7, v7, v5
	v_xor_b32_e32 v13, 2, v11
	v_cmp_lt_i32_e64 s[2:3], v13, v12
	v_cndmask_b32_e64 v13, v11, v13, s[2:3]
	v_lshlrev_b32_e32 v13, 2, v13
	s_waitcnt lgkmcnt(0)
	v_pk_add_f32 v[4:5], v[4:5], v[6:7]
	ds_bpermute_b32 v6, v13, v4
	ds_bpermute_b32 v7, v13, v5
	v_xor_b32_e32 v13, 1, v11
	v_cmp_lt_i32_e64 s[2:3], v13, v12
	v_cndmask_b32_e64 v11, v11, v13, s[2:3]
	v_lshlrev_b32_e32 v11, 2, v11
	s_waitcnt lgkmcnt(0)
	v_pk_add_f32 v[4:5], v[4:5], v[6:7]
	ds_bpermute_b32 v6, v11, v4
	ds_bpermute_b32 v7, v11, v5
	s_and_saveexec_b64 s[2:3], s[0:1]
	s_cbranch_execz .LBB306_10
; %bb.5:
	v_mov_b32_e32 v11, s13
	v_add_co_u32_e64 v2, s[0:1], s12, v2
	v_addc_co_u32_e64 v3, s[0:1], v11, v3, s[0:1]
	s_waitcnt lgkmcnt(0)
	v_pk_add_f32 v[4:5], v[4:5], v[6:7]
	s_and_saveexec_b64 s[2:3], vcc
	s_cbranch_execz .LBB306_7
; %bb.6:
	v_mul_f32_e32 v6, 0x3fb8aa3b, v10
	s_mov_b32 s0, 0x3fb8aa3b
	v_rndne_f32_e32 v7, v6
	v_sub_f32_e32 v11, v6, v7
	v_fma_f32 v6, v10, s0, -v6
	v_fmac_f32_e32 v6, 0x32a5705f, v10
	v_add_f32_e32 v6, v11, v6
	v_exp_f32_e32 v6, v6
	v_cvt_i32_f32_e32 v7, v7
	s_mov_b32 s0, 0xc2ce8ed0
	v_cmp_ngt_f32_e64 s[0:1], s0, v10
	v_ldexp_f32 v6, v6, v7
	v_cndmask_b32_e64 v6, 0, v6, s[0:1]
	s_mov_b32 s0, 0x42b17218
	v_mov_b32_e32 v7, 0x7f800000
	v_cmp_nlt_f32_e64 s[0:1], s0, v10
	v_cndmask_b32_e64 v6, v7, v6, s[0:1]
	v_fma_f32 v0, -v4, v6, v0
	v_bfe_u32 v4, v0, 16, 1
	s_movk_i32 s0, 0x7fff
	v_add3_u32 v4, v0, v4, s0
	v_lshrrev_b32_e32 v4, 16, v4
	v_mov_b32_e32 v6, 0x7fc0
	v_cmp_o_f32_e64 s[0:1], v0, v0
	v_cndmask_b32_e64 v0, v6, v4, s[0:1]
	global_store_short v[2:3], v0, off
.LBB306_7:
	s_or_b64 exec, exec, s[2:3]
	v_cmp_ne_u32_e64 s[0:1], 1, v8
	s_and_b64 exec, exec, s[0:1]
	s_cbranch_execz .LBB306_10
; %bb.8:
	s_and_b64 exec, exec, vcc
	s_cbranch_execz .LBB306_10
; %bb.9:
	v_mul_f32_e32 v0, 0x3fb8aa3b, v9
	s_mov_b32 s0, 0x3fb8aa3b
	v_rndne_f32_e32 v4, v0
	v_sub_f32_e32 v6, v0, v4
	v_fma_f32 v0, v9, s0, -v0
	v_fmac_f32_e32 v0, 0x32a5705f, v9
	v_add_f32_e32 v0, v6, v0
	v_exp_f32_e32 v0, v0
	v_cvt_i32_f32_e32 v4, v4
	s_mov_b32 s0, 0xc2ce8ed0
	v_cmp_ngt_f32_e32 vcc, s0, v9
	s_mov_b32 s0, 0x42b17218
	v_ldexp_f32 v0, v0, v4
	v_cndmask_b32_e32 v0, 0, v0, vcc
	v_mov_b32_e32 v4, 0x7f800000
	v_cmp_nlt_f32_e32 vcc, s0, v9
	v_cndmask_b32_e32 v0, v4, v0, vcc
	v_fma_f32 v0, -v5, v0, v1
	v_bfe_u32 v1, v0, 16, 1
	s_movk_i32 s0, 0x7fff
	v_add3_u32 v1, v0, v1, s0
	v_lshrrev_b32_e32 v1, 16, v1
	v_mov_b32_e32 v4, 0x7fc0
	v_cmp_o_f32_e32 vcc, v0, v0
	s_lshl_b64 s[0:1], s[10:11], 1
	v_cndmask_b32_e32 v4, v4, v1, vcc
	v_mov_b32_e32 v1, s1
	v_add_co_u32_e32 v0, vcc, s0, v2
	v_addc_co_u32_e32 v1, vcc, v3, v1, vcc
	global_store_short v[0:1], v4, off
.LBB306_10:
	s_endpgm
	.section	.rodata,"a",@progbits
	.p2align	6, 0x0
	.amdhsa_kernel _ZN12_GLOBAL__N_121softmax_warp_backwardIN3c108BFloat16ES2_fLi3ELb1ELb0ELi64EEEvPT0_PKT_S7_iiiPKb
		.amdhsa_group_segment_fixed_size 0
		.amdhsa_private_segment_fixed_size 0
		.amdhsa_kernarg_size 304
		.amdhsa_user_sgpr_count 6
		.amdhsa_user_sgpr_private_segment_buffer 1
		.amdhsa_user_sgpr_dispatch_ptr 0
		.amdhsa_user_sgpr_queue_ptr 0
		.amdhsa_user_sgpr_kernarg_segment_ptr 1
		.amdhsa_user_sgpr_dispatch_id 0
		.amdhsa_user_sgpr_flat_scratch_init 0
		.amdhsa_user_sgpr_kernarg_preload_length 0
		.amdhsa_user_sgpr_kernarg_preload_offset 0
		.amdhsa_user_sgpr_private_segment_size 0
		.amdhsa_uses_dynamic_stack 0
		.amdhsa_system_sgpr_private_segment_wavefront_offset 0
		.amdhsa_system_sgpr_workgroup_id_x 1
		.amdhsa_system_sgpr_workgroup_id_y 0
		.amdhsa_system_sgpr_workgroup_id_z 0
		.amdhsa_system_sgpr_workgroup_info 0
		.amdhsa_system_vgpr_workitem_id 1
		.amdhsa_next_free_vgpr 14
		.amdhsa_next_free_sgpr 16
		.amdhsa_accum_offset 16
		.amdhsa_reserve_vcc 1
		.amdhsa_reserve_flat_scratch 0
		.amdhsa_float_round_mode_32 0
		.amdhsa_float_round_mode_16_64 0
		.amdhsa_float_denorm_mode_32 3
		.amdhsa_float_denorm_mode_16_64 3
		.amdhsa_dx10_clamp 1
		.amdhsa_ieee_mode 1
		.amdhsa_fp16_overflow 0
		.amdhsa_tg_split 0
		.amdhsa_exception_fp_ieee_invalid_op 0
		.amdhsa_exception_fp_denorm_src 0
		.amdhsa_exception_fp_ieee_div_zero 0
		.amdhsa_exception_fp_ieee_overflow 0
		.amdhsa_exception_fp_ieee_underflow 0
		.amdhsa_exception_fp_ieee_inexact 0
		.amdhsa_exception_int_div_zero 0
	.end_amdhsa_kernel
	.section	.text._ZN12_GLOBAL__N_121softmax_warp_backwardIN3c108BFloat16ES2_fLi3ELb1ELb0ELi64EEEvPT0_PKT_S7_iiiPKb,"axG",@progbits,_ZN12_GLOBAL__N_121softmax_warp_backwardIN3c108BFloat16ES2_fLi3ELb1ELb0ELi64EEEvPT0_PKT_S7_iiiPKb,comdat
.Lfunc_end306:
	.size	_ZN12_GLOBAL__N_121softmax_warp_backwardIN3c108BFloat16ES2_fLi3ELb1ELb0ELi64EEEvPT0_PKT_S7_iiiPKb, .Lfunc_end306-_ZN12_GLOBAL__N_121softmax_warp_backwardIN3c108BFloat16ES2_fLi3ELb1ELb0ELi64EEEvPT0_PKT_S7_iiiPKb
                                        ; -- End function
	.section	.AMDGPU.csdata,"",@progbits
; Kernel info:
; codeLenInByte = 900
; NumSgprs: 20
; NumVgprs: 14
; NumAgprs: 0
; TotalNumVgprs: 14
; ScratchSize: 0
; MemoryBound: 0
; FloatMode: 240
; IeeeMode: 1
; LDSByteSize: 0 bytes/workgroup (compile time only)
; SGPRBlocks: 2
; VGPRBlocks: 1
; NumSGPRsForWavesPerEU: 20
; NumVGPRsForWavesPerEU: 14
; AccumOffset: 16
; Occupancy: 8
; WaveLimiterHint : 0
; COMPUTE_PGM_RSRC2:SCRATCH_EN: 0
; COMPUTE_PGM_RSRC2:USER_SGPR: 6
; COMPUTE_PGM_RSRC2:TRAP_HANDLER: 0
; COMPUTE_PGM_RSRC2:TGID_X_EN: 1
; COMPUTE_PGM_RSRC2:TGID_Y_EN: 0
; COMPUTE_PGM_RSRC2:TGID_Z_EN: 0
; COMPUTE_PGM_RSRC2:TIDIG_COMP_CNT: 1
; COMPUTE_PGM_RSRC3_GFX90A:ACCUM_OFFSET: 3
; COMPUTE_PGM_RSRC3_GFX90A:TG_SPLIT: 0
	.section	.text._ZN12_GLOBAL__N_121softmax_warp_backwardIN3c108BFloat16ES2_fLi3ELb1ELb0ELi32EEEvPT0_PKT_S7_iiiPKb,"axG",@progbits,_ZN12_GLOBAL__N_121softmax_warp_backwardIN3c108BFloat16ES2_fLi3ELb1ELb0ELi32EEEvPT0_PKT_S7_iiiPKb,comdat
	.globl	_ZN12_GLOBAL__N_121softmax_warp_backwardIN3c108BFloat16ES2_fLi3ELb1ELb0ELi32EEEvPT0_PKT_S7_iiiPKb ; -- Begin function _ZN12_GLOBAL__N_121softmax_warp_backwardIN3c108BFloat16ES2_fLi3ELb1ELb0ELi32EEEvPT0_PKT_S7_iiiPKb
	.p2align	8
	.type	_ZN12_GLOBAL__N_121softmax_warp_backwardIN3c108BFloat16ES2_fLi3ELb1ELb0ELi32EEEvPT0_PKT_S7_iiiPKb,@function
_ZN12_GLOBAL__N_121softmax_warp_backwardIN3c108BFloat16ES2_fLi3ELb1ELb0ELi32EEEvPT0_PKT_S7_iiiPKb: ; @_ZN12_GLOBAL__N_121softmax_warp_backwardIN3c108BFloat16ES2_fLi3ELb1ELb0ELi32EEEvPT0_PKT_S7_iiiPKb
; %bb.0:
	s_load_dword s2, s[4:5], 0x3c
	s_load_dwordx4 s[8:11], s[4:5], 0x18
	s_load_dwordx4 s[12:15], s[4:5], 0x0
	s_load_dwordx2 s[0:1], s[4:5], 0x10
	v_bfe_u32 v1, v0, 10, 10
	s_waitcnt lgkmcnt(0)
	s_lshr_b32 s2, s2, 16
	s_mul_i32 s6, s6, s2
	v_add_lshl_u32 v1, s6, v1, 1
	v_and_b32_e32 v0, 7, v0
	v_mad_u64_u32 v[2:3], s[2:3], v1, s9, v[0:1]
	v_ashrrev_i32_e32 v3, 31, v2
	v_lshlrev_b64 v[2:3], 1, v[2:3]
	v_sub_u32_e32 v8, s8, v1
	v_mov_b32_e32 v1, s15
	v_add_co_u32_e32 v4, vcc, s14, v2
	v_addc_co_u32_e32 v5, vcc, v1, v3, vcc
	v_mov_b32_e32 v1, s1
	v_add_co_u32_e32 v6, vcc, s0, v2
	v_addc_co_u32_e32 v7, vcc, v1, v3, vcc
	v_cmp_gt_i32_e32 vcc, s10, v0
	v_cmp_lt_i32_e64 s[0:1], 0, v8
	s_and_b64 s[4:5], vcc, s[0:1]
	v_mov_b32_e32 v9, 0
	v_mov_b32_e32 v10, 0
	v_mov_b32_e32 v0, 0
	s_and_saveexec_b64 s[2:3], s[4:5]
	s_cbranch_execz .LBB307_2
; %bb.1:
	global_load_ushort v0, v[6:7], off
	global_load_ushort v1, v[4:5], off
	s_waitcnt vmcnt(1)
	v_lshlrev_b32_e32 v10, 16, v0
	s_waitcnt vmcnt(0)
	v_lshlrev_b32_e32 v0, 16, v1
.LBB307_2:
	s_or_b64 exec, exec, s[2:3]
	v_cmp_lt_i32_e64 s[2:3], 1, v8
	s_and_b64 s[2:3], vcc, s[2:3]
	s_mov_b32 s11, 0
	v_mov_b32_e32 v1, 0
	s_and_saveexec_b64 s[4:5], s[2:3]
	s_cbranch_execz .LBB307_4
; %bb.3:
	s_lshl_b64 s[6:7], s[10:11], 1
	v_mov_b32_e32 v1, s7
	v_add_co_u32_e64 v4, s[2:3], s6, v4
	v_addc_co_u32_e64 v5, s[2:3], v5, v1, s[2:3]
	v_add_co_u32_e64 v6, s[2:3], s6, v6
	v_addc_co_u32_e64 v7, s[2:3], v7, v1, s[2:3]
	global_load_ushort v1, v[6:7], off
	global_load_ushort v11, v[4:5], off
	s_waitcnt vmcnt(1)
	v_lshlrev_b32_e32 v9, 16, v1
	s_waitcnt vmcnt(0)
	v_lshlrev_b32_e32 v1, 16, v11
.LBB307_4:
	s_or_b64 exec, exec, s[4:5]
	v_mbcnt_lo_u32_b32 v4, -1, 0
	v_mbcnt_hi_u32_b32 v11, -1, v4
	v_and_b32_e32 v4, 0x78, v11
	v_add_u32_e32 v12, 8, v4
	v_xor_b32_e32 v4, 4, v11
	v_cmp_lt_i32_e64 s[2:3], v4, v12
	v_cndmask_b32_e64 v4, v11, v4, s[2:3]
	v_lshlrev_b32_e32 v7, 2, v4
	v_pk_add_f32 v[4:5], v[0:1], 0 op_sel_hi:[1,0]
	ds_bpermute_b32 v6, v7, v4
	ds_bpermute_b32 v7, v7, v5
	v_xor_b32_e32 v13, 2, v11
	v_cmp_lt_i32_e64 s[2:3], v13, v12
	v_cndmask_b32_e64 v13, v11, v13, s[2:3]
	v_lshlrev_b32_e32 v13, 2, v13
	s_waitcnt lgkmcnt(0)
	v_pk_add_f32 v[4:5], v[4:5], v[6:7]
	ds_bpermute_b32 v6, v13, v4
	ds_bpermute_b32 v7, v13, v5
	v_xor_b32_e32 v13, 1, v11
	v_cmp_lt_i32_e64 s[2:3], v13, v12
	v_cndmask_b32_e64 v11, v11, v13, s[2:3]
	v_lshlrev_b32_e32 v11, 2, v11
	s_waitcnt lgkmcnt(0)
	v_pk_add_f32 v[4:5], v[4:5], v[6:7]
	ds_bpermute_b32 v6, v11, v4
	ds_bpermute_b32 v7, v11, v5
	s_and_saveexec_b64 s[2:3], s[0:1]
	s_cbranch_execz .LBB307_10
; %bb.5:
	v_mov_b32_e32 v11, s13
	v_add_co_u32_e64 v2, s[0:1], s12, v2
	v_addc_co_u32_e64 v3, s[0:1], v11, v3, s[0:1]
	s_waitcnt lgkmcnt(0)
	v_pk_add_f32 v[4:5], v[4:5], v[6:7]
	s_and_saveexec_b64 s[2:3], vcc
	s_cbranch_execz .LBB307_7
; %bb.6:
	v_mul_f32_e32 v6, 0x3fb8aa3b, v10
	s_mov_b32 s0, 0x3fb8aa3b
	v_rndne_f32_e32 v7, v6
	v_sub_f32_e32 v11, v6, v7
	v_fma_f32 v6, v10, s0, -v6
	v_fmac_f32_e32 v6, 0x32a5705f, v10
	v_add_f32_e32 v6, v11, v6
	v_exp_f32_e32 v6, v6
	v_cvt_i32_f32_e32 v7, v7
	s_mov_b32 s0, 0xc2ce8ed0
	v_cmp_ngt_f32_e64 s[0:1], s0, v10
	v_ldexp_f32 v6, v6, v7
	v_cndmask_b32_e64 v6, 0, v6, s[0:1]
	s_mov_b32 s0, 0x42b17218
	v_mov_b32_e32 v7, 0x7f800000
	v_cmp_nlt_f32_e64 s[0:1], s0, v10
	v_cndmask_b32_e64 v6, v7, v6, s[0:1]
	v_fma_f32 v0, -v4, v6, v0
	v_bfe_u32 v4, v0, 16, 1
	s_movk_i32 s0, 0x7fff
	v_add3_u32 v4, v0, v4, s0
	v_lshrrev_b32_e32 v4, 16, v4
	v_mov_b32_e32 v6, 0x7fc0
	v_cmp_o_f32_e64 s[0:1], v0, v0
	v_cndmask_b32_e64 v0, v6, v4, s[0:1]
	global_store_short v[2:3], v0, off
.LBB307_7:
	s_or_b64 exec, exec, s[2:3]
	v_cmp_ne_u32_e64 s[0:1], 1, v8
	s_and_b64 exec, exec, s[0:1]
	s_cbranch_execz .LBB307_10
; %bb.8:
	s_and_b64 exec, exec, vcc
	s_cbranch_execz .LBB307_10
; %bb.9:
	v_mul_f32_e32 v0, 0x3fb8aa3b, v9
	s_mov_b32 s0, 0x3fb8aa3b
	v_rndne_f32_e32 v4, v0
	v_sub_f32_e32 v6, v0, v4
	v_fma_f32 v0, v9, s0, -v0
	v_fmac_f32_e32 v0, 0x32a5705f, v9
	v_add_f32_e32 v0, v6, v0
	v_exp_f32_e32 v0, v0
	v_cvt_i32_f32_e32 v4, v4
	s_mov_b32 s0, 0xc2ce8ed0
	v_cmp_ngt_f32_e32 vcc, s0, v9
	s_mov_b32 s0, 0x42b17218
	v_ldexp_f32 v0, v0, v4
	v_cndmask_b32_e32 v0, 0, v0, vcc
	v_mov_b32_e32 v4, 0x7f800000
	v_cmp_nlt_f32_e32 vcc, s0, v9
	v_cndmask_b32_e32 v0, v4, v0, vcc
	v_fma_f32 v0, -v5, v0, v1
	v_bfe_u32 v1, v0, 16, 1
	s_movk_i32 s0, 0x7fff
	v_add3_u32 v1, v0, v1, s0
	v_lshrrev_b32_e32 v1, 16, v1
	v_mov_b32_e32 v4, 0x7fc0
	v_cmp_o_f32_e32 vcc, v0, v0
	s_lshl_b64 s[0:1], s[10:11], 1
	v_cndmask_b32_e32 v4, v4, v1, vcc
	v_mov_b32_e32 v1, s1
	v_add_co_u32_e32 v0, vcc, s0, v2
	v_addc_co_u32_e32 v1, vcc, v3, v1, vcc
	global_store_short v[0:1], v4, off
.LBB307_10:
	s_endpgm
	.section	.rodata,"a",@progbits
	.p2align	6, 0x0
	.amdhsa_kernel _ZN12_GLOBAL__N_121softmax_warp_backwardIN3c108BFloat16ES2_fLi3ELb1ELb0ELi32EEEvPT0_PKT_S7_iiiPKb
		.amdhsa_group_segment_fixed_size 0
		.amdhsa_private_segment_fixed_size 0
		.amdhsa_kernarg_size 304
		.amdhsa_user_sgpr_count 6
		.amdhsa_user_sgpr_private_segment_buffer 1
		.amdhsa_user_sgpr_dispatch_ptr 0
		.amdhsa_user_sgpr_queue_ptr 0
		.amdhsa_user_sgpr_kernarg_segment_ptr 1
		.amdhsa_user_sgpr_dispatch_id 0
		.amdhsa_user_sgpr_flat_scratch_init 0
		.amdhsa_user_sgpr_kernarg_preload_length 0
		.amdhsa_user_sgpr_kernarg_preload_offset 0
		.amdhsa_user_sgpr_private_segment_size 0
		.amdhsa_uses_dynamic_stack 0
		.amdhsa_system_sgpr_private_segment_wavefront_offset 0
		.amdhsa_system_sgpr_workgroup_id_x 1
		.amdhsa_system_sgpr_workgroup_id_y 0
		.amdhsa_system_sgpr_workgroup_id_z 0
		.amdhsa_system_sgpr_workgroup_info 0
		.amdhsa_system_vgpr_workitem_id 1
		.amdhsa_next_free_vgpr 14
		.amdhsa_next_free_sgpr 16
		.amdhsa_accum_offset 16
		.amdhsa_reserve_vcc 1
		.amdhsa_reserve_flat_scratch 0
		.amdhsa_float_round_mode_32 0
		.amdhsa_float_round_mode_16_64 0
		.amdhsa_float_denorm_mode_32 3
		.amdhsa_float_denorm_mode_16_64 3
		.amdhsa_dx10_clamp 1
		.amdhsa_ieee_mode 1
		.amdhsa_fp16_overflow 0
		.amdhsa_tg_split 0
		.amdhsa_exception_fp_ieee_invalid_op 0
		.amdhsa_exception_fp_denorm_src 0
		.amdhsa_exception_fp_ieee_div_zero 0
		.amdhsa_exception_fp_ieee_overflow 0
		.amdhsa_exception_fp_ieee_underflow 0
		.amdhsa_exception_fp_ieee_inexact 0
		.amdhsa_exception_int_div_zero 0
	.end_amdhsa_kernel
	.section	.text._ZN12_GLOBAL__N_121softmax_warp_backwardIN3c108BFloat16ES2_fLi3ELb1ELb0ELi32EEEvPT0_PKT_S7_iiiPKb,"axG",@progbits,_ZN12_GLOBAL__N_121softmax_warp_backwardIN3c108BFloat16ES2_fLi3ELb1ELb0ELi32EEEvPT0_PKT_S7_iiiPKb,comdat
.Lfunc_end307:
	.size	_ZN12_GLOBAL__N_121softmax_warp_backwardIN3c108BFloat16ES2_fLi3ELb1ELb0ELi32EEEvPT0_PKT_S7_iiiPKb, .Lfunc_end307-_ZN12_GLOBAL__N_121softmax_warp_backwardIN3c108BFloat16ES2_fLi3ELb1ELb0ELi32EEEvPT0_PKT_S7_iiiPKb
                                        ; -- End function
	.section	.AMDGPU.csdata,"",@progbits
; Kernel info:
; codeLenInByte = 900
; NumSgprs: 20
; NumVgprs: 14
; NumAgprs: 0
; TotalNumVgprs: 14
; ScratchSize: 0
; MemoryBound: 0
; FloatMode: 240
; IeeeMode: 1
; LDSByteSize: 0 bytes/workgroup (compile time only)
; SGPRBlocks: 2
; VGPRBlocks: 1
; NumSGPRsForWavesPerEU: 20
; NumVGPRsForWavesPerEU: 14
; AccumOffset: 16
; Occupancy: 8
; WaveLimiterHint : 0
; COMPUTE_PGM_RSRC2:SCRATCH_EN: 0
; COMPUTE_PGM_RSRC2:USER_SGPR: 6
; COMPUTE_PGM_RSRC2:TRAP_HANDLER: 0
; COMPUTE_PGM_RSRC2:TGID_X_EN: 1
; COMPUTE_PGM_RSRC2:TGID_Y_EN: 0
; COMPUTE_PGM_RSRC2:TGID_Z_EN: 0
; COMPUTE_PGM_RSRC2:TIDIG_COMP_CNT: 1
; COMPUTE_PGM_RSRC3_GFX90A:ACCUM_OFFSET: 3
; COMPUTE_PGM_RSRC3_GFX90A:TG_SPLIT: 0
	.section	.text._ZN12_GLOBAL__N_121softmax_warp_backwardIN3c108BFloat16ES2_fLi4ELb1ELb0ELi64EEEvPT0_PKT_S7_iiiPKb,"axG",@progbits,_ZN12_GLOBAL__N_121softmax_warp_backwardIN3c108BFloat16ES2_fLi4ELb1ELb0ELi64EEEvPT0_PKT_S7_iiiPKb,comdat
	.globl	_ZN12_GLOBAL__N_121softmax_warp_backwardIN3c108BFloat16ES2_fLi4ELb1ELb0ELi64EEEvPT0_PKT_S7_iiiPKb ; -- Begin function _ZN12_GLOBAL__N_121softmax_warp_backwardIN3c108BFloat16ES2_fLi4ELb1ELb0ELi64EEEvPT0_PKT_S7_iiiPKb
	.p2align	8
	.type	_ZN12_GLOBAL__N_121softmax_warp_backwardIN3c108BFloat16ES2_fLi4ELb1ELb0ELi64EEEvPT0_PKT_S7_iiiPKb,@function
_ZN12_GLOBAL__N_121softmax_warp_backwardIN3c108BFloat16ES2_fLi4ELb1ELb0ELi64EEEvPT0_PKT_S7_iiiPKb: ; @_ZN12_GLOBAL__N_121softmax_warp_backwardIN3c108BFloat16ES2_fLi4ELb1ELb0ELi64EEEvPT0_PKT_S7_iiiPKb
; %bb.0:
	s_load_dword s2, s[4:5], 0x3c
	s_load_dwordx4 s[8:11], s[4:5], 0x18
	s_load_dwordx4 s[12:15], s[4:5], 0x0
	s_load_dwordx2 s[0:1], s[4:5], 0x10
	v_bfe_u32 v1, v0, 10, 10
	s_waitcnt lgkmcnt(0)
	s_lshr_b32 s2, s2, 16
	s_mul_i32 s6, s6, s2
	v_add_lshl_u32 v1, s6, v1, 1
	v_and_b32_e32 v0, 15, v0
	v_mad_u64_u32 v[2:3], s[2:3], v1, s9, v[0:1]
	v_ashrrev_i32_e32 v3, 31, v2
	v_lshlrev_b64 v[2:3], 1, v[2:3]
	v_sub_u32_e32 v8, s8, v1
	v_mov_b32_e32 v1, s15
	v_add_co_u32_e32 v4, vcc, s14, v2
	v_addc_co_u32_e32 v5, vcc, v1, v3, vcc
	v_mov_b32_e32 v1, s1
	v_add_co_u32_e32 v6, vcc, s0, v2
	v_addc_co_u32_e32 v7, vcc, v1, v3, vcc
	v_cmp_gt_i32_e32 vcc, s10, v0
	v_cmp_lt_i32_e64 s[0:1], 0, v8
	s_and_b64 s[4:5], vcc, s[0:1]
	v_mov_b32_e32 v9, 0
	v_mov_b32_e32 v10, 0
	;; [unrolled: 1-line block ×3, first 2 shown]
	s_and_saveexec_b64 s[2:3], s[4:5]
	s_cbranch_execz .LBB308_2
; %bb.1:
	global_load_ushort v0, v[6:7], off
	global_load_ushort v1, v[4:5], off
	s_waitcnt vmcnt(1)
	v_lshlrev_b32_e32 v10, 16, v0
	s_waitcnt vmcnt(0)
	v_lshlrev_b32_e32 v0, 16, v1
.LBB308_2:
	s_or_b64 exec, exec, s[2:3]
	v_cmp_lt_i32_e64 s[2:3], 1, v8
	s_and_b64 s[2:3], vcc, s[2:3]
	s_mov_b32 s11, 0
	v_mov_b32_e32 v1, 0
	s_and_saveexec_b64 s[4:5], s[2:3]
	s_cbranch_execz .LBB308_4
; %bb.3:
	s_lshl_b64 s[6:7], s[10:11], 1
	v_mov_b32_e32 v1, s7
	v_add_co_u32_e64 v4, s[2:3], s6, v4
	v_addc_co_u32_e64 v5, s[2:3], v5, v1, s[2:3]
	v_add_co_u32_e64 v6, s[2:3], s6, v6
	v_addc_co_u32_e64 v7, s[2:3], v7, v1, s[2:3]
	global_load_ushort v1, v[6:7], off
	global_load_ushort v11, v[4:5], off
	s_waitcnt vmcnt(1)
	v_lshlrev_b32_e32 v9, 16, v1
	s_waitcnt vmcnt(0)
	v_lshlrev_b32_e32 v1, 16, v11
.LBB308_4:
	s_or_b64 exec, exec, s[4:5]
	v_mbcnt_lo_u32_b32 v4, -1, 0
	v_mbcnt_hi_u32_b32 v11, -1, v4
	v_and_b32_e32 v4, 0x70, v11
	v_add_u32_e32 v12, 16, v4
	v_xor_b32_e32 v4, 8, v11
	v_cmp_lt_i32_e64 s[2:3], v4, v12
	v_cndmask_b32_e64 v4, v11, v4, s[2:3]
	v_lshlrev_b32_e32 v7, 2, v4
	v_pk_add_f32 v[4:5], v[0:1], 0 op_sel_hi:[1,0]
	ds_bpermute_b32 v6, v7, v4
	ds_bpermute_b32 v7, v7, v5
	v_xor_b32_e32 v13, 4, v11
	v_cmp_lt_i32_e64 s[2:3], v13, v12
	v_cndmask_b32_e64 v13, v11, v13, s[2:3]
	v_lshlrev_b32_e32 v13, 2, v13
	s_waitcnt lgkmcnt(0)
	v_pk_add_f32 v[4:5], v[4:5], v[6:7]
	ds_bpermute_b32 v6, v13, v4
	ds_bpermute_b32 v7, v13, v5
	v_xor_b32_e32 v13, 2, v11
	v_cmp_lt_i32_e64 s[2:3], v13, v12
	v_cndmask_b32_e64 v13, v11, v13, s[2:3]
	v_lshlrev_b32_e32 v13, 2, v13
	s_waitcnt lgkmcnt(0)
	v_pk_add_f32 v[4:5], v[4:5], v[6:7]
	;; [unrolled: 8-line block ×3, first 2 shown]
	ds_bpermute_b32 v6, v11, v4
	ds_bpermute_b32 v7, v11, v5
	s_and_saveexec_b64 s[2:3], s[0:1]
	s_cbranch_execz .LBB308_10
; %bb.5:
	v_mov_b32_e32 v11, s13
	v_add_co_u32_e64 v2, s[0:1], s12, v2
	v_addc_co_u32_e64 v3, s[0:1], v11, v3, s[0:1]
	s_waitcnt lgkmcnt(0)
	v_pk_add_f32 v[4:5], v[4:5], v[6:7]
	s_and_saveexec_b64 s[2:3], vcc
	s_cbranch_execz .LBB308_7
; %bb.6:
	v_mul_f32_e32 v6, 0x3fb8aa3b, v10
	s_mov_b32 s0, 0x3fb8aa3b
	v_rndne_f32_e32 v7, v6
	v_sub_f32_e32 v11, v6, v7
	v_fma_f32 v6, v10, s0, -v6
	v_fmac_f32_e32 v6, 0x32a5705f, v10
	v_add_f32_e32 v6, v11, v6
	v_exp_f32_e32 v6, v6
	v_cvt_i32_f32_e32 v7, v7
	s_mov_b32 s0, 0xc2ce8ed0
	v_cmp_ngt_f32_e64 s[0:1], s0, v10
	v_ldexp_f32 v6, v6, v7
	v_cndmask_b32_e64 v6, 0, v6, s[0:1]
	s_mov_b32 s0, 0x42b17218
	v_mov_b32_e32 v7, 0x7f800000
	v_cmp_nlt_f32_e64 s[0:1], s0, v10
	v_cndmask_b32_e64 v6, v7, v6, s[0:1]
	v_fma_f32 v0, -v4, v6, v0
	v_bfe_u32 v4, v0, 16, 1
	s_movk_i32 s0, 0x7fff
	v_add3_u32 v4, v0, v4, s0
	v_lshrrev_b32_e32 v4, 16, v4
	v_mov_b32_e32 v6, 0x7fc0
	v_cmp_o_f32_e64 s[0:1], v0, v0
	v_cndmask_b32_e64 v0, v6, v4, s[0:1]
	global_store_short v[2:3], v0, off
.LBB308_7:
	s_or_b64 exec, exec, s[2:3]
	v_cmp_ne_u32_e64 s[0:1], 1, v8
	s_and_b64 exec, exec, s[0:1]
	s_cbranch_execz .LBB308_10
; %bb.8:
	s_and_b64 exec, exec, vcc
	s_cbranch_execz .LBB308_10
; %bb.9:
	v_mul_f32_e32 v0, 0x3fb8aa3b, v9
	s_mov_b32 s0, 0x3fb8aa3b
	v_rndne_f32_e32 v4, v0
	v_sub_f32_e32 v6, v0, v4
	v_fma_f32 v0, v9, s0, -v0
	v_fmac_f32_e32 v0, 0x32a5705f, v9
	v_add_f32_e32 v0, v6, v0
	v_exp_f32_e32 v0, v0
	v_cvt_i32_f32_e32 v4, v4
	s_mov_b32 s0, 0xc2ce8ed0
	v_cmp_ngt_f32_e32 vcc, s0, v9
	s_mov_b32 s0, 0x42b17218
	v_ldexp_f32 v0, v0, v4
	v_cndmask_b32_e32 v0, 0, v0, vcc
	v_mov_b32_e32 v4, 0x7f800000
	v_cmp_nlt_f32_e32 vcc, s0, v9
	v_cndmask_b32_e32 v0, v4, v0, vcc
	v_fma_f32 v0, -v5, v0, v1
	v_bfe_u32 v1, v0, 16, 1
	s_movk_i32 s0, 0x7fff
	v_add3_u32 v1, v0, v1, s0
	v_lshrrev_b32_e32 v1, 16, v1
	v_mov_b32_e32 v4, 0x7fc0
	v_cmp_o_f32_e32 vcc, v0, v0
	s_lshl_b64 s[0:1], s[10:11], 1
	v_cndmask_b32_e32 v4, v4, v1, vcc
	v_mov_b32_e32 v1, s1
	v_add_co_u32_e32 v0, vcc, s0, v2
	v_addc_co_u32_e32 v1, vcc, v3, v1, vcc
	global_store_short v[0:1], v4, off
.LBB308_10:
	s_endpgm
	.section	.rodata,"a",@progbits
	.p2align	6, 0x0
	.amdhsa_kernel _ZN12_GLOBAL__N_121softmax_warp_backwardIN3c108BFloat16ES2_fLi4ELb1ELb0ELi64EEEvPT0_PKT_S7_iiiPKb
		.amdhsa_group_segment_fixed_size 0
		.amdhsa_private_segment_fixed_size 0
		.amdhsa_kernarg_size 304
		.amdhsa_user_sgpr_count 6
		.amdhsa_user_sgpr_private_segment_buffer 1
		.amdhsa_user_sgpr_dispatch_ptr 0
		.amdhsa_user_sgpr_queue_ptr 0
		.amdhsa_user_sgpr_kernarg_segment_ptr 1
		.amdhsa_user_sgpr_dispatch_id 0
		.amdhsa_user_sgpr_flat_scratch_init 0
		.amdhsa_user_sgpr_kernarg_preload_length 0
		.amdhsa_user_sgpr_kernarg_preload_offset 0
		.amdhsa_user_sgpr_private_segment_size 0
		.amdhsa_uses_dynamic_stack 0
		.amdhsa_system_sgpr_private_segment_wavefront_offset 0
		.amdhsa_system_sgpr_workgroup_id_x 1
		.amdhsa_system_sgpr_workgroup_id_y 0
		.amdhsa_system_sgpr_workgroup_id_z 0
		.amdhsa_system_sgpr_workgroup_info 0
		.amdhsa_system_vgpr_workitem_id 1
		.amdhsa_next_free_vgpr 14
		.amdhsa_next_free_sgpr 16
		.amdhsa_accum_offset 16
		.amdhsa_reserve_vcc 1
		.amdhsa_reserve_flat_scratch 0
		.amdhsa_float_round_mode_32 0
		.amdhsa_float_round_mode_16_64 0
		.amdhsa_float_denorm_mode_32 3
		.amdhsa_float_denorm_mode_16_64 3
		.amdhsa_dx10_clamp 1
		.amdhsa_ieee_mode 1
		.amdhsa_fp16_overflow 0
		.amdhsa_tg_split 0
		.amdhsa_exception_fp_ieee_invalid_op 0
		.amdhsa_exception_fp_denorm_src 0
		.amdhsa_exception_fp_ieee_div_zero 0
		.amdhsa_exception_fp_ieee_overflow 0
		.amdhsa_exception_fp_ieee_underflow 0
		.amdhsa_exception_fp_ieee_inexact 0
		.amdhsa_exception_int_div_zero 0
	.end_amdhsa_kernel
	.section	.text._ZN12_GLOBAL__N_121softmax_warp_backwardIN3c108BFloat16ES2_fLi4ELb1ELb0ELi64EEEvPT0_PKT_S7_iiiPKb,"axG",@progbits,_ZN12_GLOBAL__N_121softmax_warp_backwardIN3c108BFloat16ES2_fLi4ELb1ELb0ELi64EEEvPT0_PKT_S7_iiiPKb,comdat
.Lfunc_end308:
	.size	_ZN12_GLOBAL__N_121softmax_warp_backwardIN3c108BFloat16ES2_fLi4ELb1ELb0ELi64EEEvPT0_PKT_S7_iiiPKb, .Lfunc_end308-_ZN12_GLOBAL__N_121softmax_warp_backwardIN3c108BFloat16ES2_fLi4ELb1ELb0ELi64EEEvPT0_PKT_S7_iiiPKb
                                        ; -- End function
	.section	.AMDGPU.csdata,"",@progbits
; Kernel info:
; codeLenInByte = 952
; NumSgprs: 20
; NumVgprs: 14
; NumAgprs: 0
; TotalNumVgprs: 14
; ScratchSize: 0
; MemoryBound: 0
; FloatMode: 240
; IeeeMode: 1
; LDSByteSize: 0 bytes/workgroup (compile time only)
; SGPRBlocks: 2
; VGPRBlocks: 1
; NumSGPRsForWavesPerEU: 20
; NumVGPRsForWavesPerEU: 14
; AccumOffset: 16
; Occupancy: 8
; WaveLimiterHint : 0
; COMPUTE_PGM_RSRC2:SCRATCH_EN: 0
; COMPUTE_PGM_RSRC2:USER_SGPR: 6
; COMPUTE_PGM_RSRC2:TRAP_HANDLER: 0
; COMPUTE_PGM_RSRC2:TGID_X_EN: 1
; COMPUTE_PGM_RSRC2:TGID_Y_EN: 0
; COMPUTE_PGM_RSRC2:TGID_Z_EN: 0
; COMPUTE_PGM_RSRC2:TIDIG_COMP_CNT: 1
; COMPUTE_PGM_RSRC3_GFX90A:ACCUM_OFFSET: 3
; COMPUTE_PGM_RSRC3_GFX90A:TG_SPLIT: 0
	.section	.text._ZN12_GLOBAL__N_121softmax_warp_backwardIN3c108BFloat16ES2_fLi4ELb1ELb0ELi32EEEvPT0_PKT_S7_iiiPKb,"axG",@progbits,_ZN12_GLOBAL__N_121softmax_warp_backwardIN3c108BFloat16ES2_fLi4ELb1ELb0ELi32EEEvPT0_PKT_S7_iiiPKb,comdat
	.globl	_ZN12_GLOBAL__N_121softmax_warp_backwardIN3c108BFloat16ES2_fLi4ELb1ELb0ELi32EEEvPT0_PKT_S7_iiiPKb ; -- Begin function _ZN12_GLOBAL__N_121softmax_warp_backwardIN3c108BFloat16ES2_fLi4ELb1ELb0ELi32EEEvPT0_PKT_S7_iiiPKb
	.p2align	8
	.type	_ZN12_GLOBAL__N_121softmax_warp_backwardIN3c108BFloat16ES2_fLi4ELb1ELb0ELi32EEEvPT0_PKT_S7_iiiPKb,@function
_ZN12_GLOBAL__N_121softmax_warp_backwardIN3c108BFloat16ES2_fLi4ELb1ELb0ELi32EEEvPT0_PKT_S7_iiiPKb: ; @_ZN12_GLOBAL__N_121softmax_warp_backwardIN3c108BFloat16ES2_fLi4ELb1ELb0ELi32EEEvPT0_PKT_S7_iiiPKb
; %bb.0:
	s_load_dword s2, s[4:5], 0x3c
	s_load_dwordx4 s[8:11], s[4:5], 0x18
	s_load_dwordx4 s[12:15], s[4:5], 0x0
	s_load_dwordx2 s[0:1], s[4:5], 0x10
	v_bfe_u32 v1, v0, 10, 10
	s_waitcnt lgkmcnt(0)
	s_lshr_b32 s2, s2, 16
	s_mul_i32 s6, s6, s2
	v_add_lshl_u32 v1, s6, v1, 1
	v_and_b32_e32 v0, 15, v0
	v_mad_u64_u32 v[2:3], s[2:3], v1, s9, v[0:1]
	v_ashrrev_i32_e32 v3, 31, v2
	v_lshlrev_b64 v[2:3], 1, v[2:3]
	v_sub_u32_e32 v8, s8, v1
	v_mov_b32_e32 v1, s15
	v_add_co_u32_e32 v4, vcc, s14, v2
	v_addc_co_u32_e32 v5, vcc, v1, v3, vcc
	v_mov_b32_e32 v1, s1
	v_add_co_u32_e32 v6, vcc, s0, v2
	v_addc_co_u32_e32 v7, vcc, v1, v3, vcc
	v_cmp_gt_i32_e32 vcc, s10, v0
	v_cmp_lt_i32_e64 s[0:1], 0, v8
	s_and_b64 s[4:5], vcc, s[0:1]
	v_mov_b32_e32 v9, 0
	v_mov_b32_e32 v10, 0
	;; [unrolled: 1-line block ×3, first 2 shown]
	s_and_saveexec_b64 s[2:3], s[4:5]
	s_cbranch_execz .LBB309_2
; %bb.1:
	global_load_ushort v0, v[6:7], off
	global_load_ushort v1, v[4:5], off
	s_waitcnt vmcnt(1)
	v_lshlrev_b32_e32 v10, 16, v0
	s_waitcnt vmcnt(0)
	v_lshlrev_b32_e32 v0, 16, v1
.LBB309_2:
	s_or_b64 exec, exec, s[2:3]
	v_cmp_lt_i32_e64 s[2:3], 1, v8
	s_and_b64 s[2:3], vcc, s[2:3]
	s_mov_b32 s11, 0
	v_mov_b32_e32 v1, 0
	s_and_saveexec_b64 s[4:5], s[2:3]
	s_cbranch_execz .LBB309_4
; %bb.3:
	s_lshl_b64 s[6:7], s[10:11], 1
	v_mov_b32_e32 v1, s7
	v_add_co_u32_e64 v4, s[2:3], s6, v4
	v_addc_co_u32_e64 v5, s[2:3], v5, v1, s[2:3]
	v_add_co_u32_e64 v6, s[2:3], s6, v6
	v_addc_co_u32_e64 v7, s[2:3], v7, v1, s[2:3]
	global_load_ushort v1, v[6:7], off
	global_load_ushort v11, v[4:5], off
	s_waitcnt vmcnt(1)
	v_lshlrev_b32_e32 v9, 16, v1
	s_waitcnt vmcnt(0)
	v_lshlrev_b32_e32 v1, 16, v11
.LBB309_4:
	s_or_b64 exec, exec, s[4:5]
	v_mbcnt_lo_u32_b32 v4, -1, 0
	v_mbcnt_hi_u32_b32 v11, -1, v4
	v_and_b32_e32 v4, 0x70, v11
	v_add_u32_e32 v12, 16, v4
	v_xor_b32_e32 v4, 8, v11
	v_cmp_lt_i32_e64 s[2:3], v4, v12
	v_cndmask_b32_e64 v4, v11, v4, s[2:3]
	v_lshlrev_b32_e32 v7, 2, v4
	v_pk_add_f32 v[4:5], v[0:1], 0 op_sel_hi:[1,0]
	ds_bpermute_b32 v6, v7, v4
	ds_bpermute_b32 v7, v7, v5
	v_xor_b32_e32 v13, 4, v11
	v_cmp_lt_i32_e64 s[2:3], v13, v12
	v_cndmask_b32_e64 v13, v11, v13, s[2:3]
	v_lshlrev_b32_e32 v13, 2, v13
	s_waitcnt lgkmcnt(0)
	v_pk_add_f32 v[4:5], v[4:5], v[6:7]
	ds_bpermute_b32 v6, v13, v4
	ds_bpermute_b32 v7, v13, v5
	v_xor_b32_e32 v13, 2, v11
	v_cmp_lt_i32_e64 s[2:3], v13, v12
	v_cndmask_b32_e64 v13, v11, v13, s[2:3]
	v_lshlrev_b32_e32 v13, 2, v13
	s_waitcnt lgkmcnt(0)
	v_pk_add_f32 v[4:5], v[4:5], v[6:7]
	;; [unrolled: 8-line block ×3, first 2 shown]
	ds_bpermute_b32 v6, v11, v4
	ds_bpermute_b32 v7, v11, v5
	s_and_saveexec_b64 s[2:3], s[0:1]
	s_cbranch_execz .LBB309_10
; %bb.5:
	v_mov_b32_e32 v11, s13
	v_add_co_u32_e64 v2, s[0:1], s12, v2
	v_addc_co_u32_e64 v3, s[0:1], v11, v3, s[0:1]
	s_waitcnt lgkmcnt(0)
	v_pk_add_f32 v[4:5], v[4:5], v[6:7]
	s_and_saveexec_b64 s[2:3], vcc
	s_cbranch_execz .LBB309_7
; %bb.6:
	v_mul_f32_e32 v6, 0x3fb8aa3b, v10
	s_mov_b32 s0, 0x3fb8aa3b
	v_rndne_f32_e32 v7, v6
	v_sub_f32_e32 v11, v6, v7
	v_fma_f32 v6, v10, s0, -v6
	v_fmac_f32_e32 v6, 0x32a5705f, v10
	v_add_f32_e32 v6, v11, v6
	v_exp_f32_e32 v6, v6
	v_cvt_i32_f32_e32 v7, v7
	s_mov_b32 s0, 0xc2ce8ed0
	v_cmp_ngt_f32_e64 s[0:1], s0, v10
	v_ldexp_f32 v6, v6, v7
	v_cndmask_b32_e64 v6, 0, v6, s[0:1]
	s_mov_b32 s0, 0x42b17218
	v_mov_b32_e32 v7, 0x7f800000
	v_cmp_nlt_f32_e64 s[0:1], s0, v10
	v_cndmask_b32_e64 v6, v7, v6, s[0:1]
	v_fma_f32 v0, -v4, v6, v0
	v_bfe_u32 v4, v0, 16, 1
	s_movk_i32 s0, 0x7fff
	v_add3_u32 v4, v0, v4, s0
	v_lshrrev_b32_e32 v4, 16, v4
	v_mov_b32_e32 v6, 0x7fc0
	v_cmp_o_f32_e64 s[0:1], v0, v0
	v_cndmask_b32_e64 v0, v6, v4, s[0:1]
	global_store_short v[2:3], v0, off
.LBB309_7:
	s_or_b64 exec, exec, s[2:3]
	v_cmp_ne_u32_e64 s[0:1], 1, v8
	s_and_b64 exec, exec, s[0:1]
	s_cbranch_execz .LBB309_10
; %bb.8:
	s_and_b64 exec, exec, vcc
	s_cbranch_execz .LBB309_10
; %bb.9:
	v_mul_f32_e32 v0, 0x3fb8aa3b, v9
	s_mov_b32 s0, 0x3fb8aa3b
	v_rndne_f32_e32 v4, v0
	v_sub_f32_e32 v6, v0, v4
	v_fma_f32 v0, v9, s0, -v0
	v_fmac_f32_e32 v0, 0x32a5705f, v9
	v_add_f32_e32 v0, v6, v0
	v_exp_f32_e32 v0, v0
	v_cvt_i32_f32_e32 v4, v4
	s_mov_b32 s0, 0xc2ce8ed0
	v_cmp_ngt_f32_e32 vcc, s0, v9
	s_mov_b32 s0, 0x42b17218
	v_ldexp_f32 v0, v0, v4
	v_cndmask_b32_e32 v0, 0, v0, vcc
	v_mov_b32_e32 v4, 0x7f800000
	v_cmp_nlt_f32_e32 vcc, s0, v9
	v_cndmask_b32_e32 v0, v4, v0, vcc
	v_fma_f32 v0, -v5, v0, v1
	v_bfe_u32 v1, v0, 16, 1
	s_movk_i32 s0, 0x7fff
	v_add3_u32 v1, v0, v1, s0
	v_lshrrev_b32_e32 v1, 16, v1
	v_mov_b32_e32 v4, 0x7fc0
	v_cmp_o_f32_e32 vcc, v0, v0
	s_lshl_b64 s[0:1], s[10:11], 1
	v_cndmask_b32_e32 v4, v4, v1, vcc
	v_mov_b32_e32 v1, s1
	v_add_co_u32_e32 v0, vcc, s0, v2
	v_addc_co_u32_e32 v1, vcc, v3, v1, vcc
	global_store_short v[0:1], v4, off
.LBB309_10:
	s_endpgm
	.section	.rodata,"a",@progbits
	.p2align	6, 0x0
	.amdhsa_kernel _ZN12_GLOBAL__N_121softmax_warp_backwardIN3c108BFloat16ES2_fLi4ELb1ELb0ELi32EEEvPT0_PKT_S7_iiiPKb
		.amdhsa_group_segment_fixed_size 0
		.amdhsa_private_segment_fixed_size 0
		.amdhsa_kernarg_size 304
		.amdhsa_user_sgpr_count 6
		.amdhsa_user_sgpr_private_segment_buffer 1
		.amdhsa_user_sgpr_dispatch_ptr 0
		.amdhsa_user_sgpr_queue_ptr 0
		.amdhsa_user_sgpr_kernarg_segment_ptr 1
		.amdhsa_user_sgpr_dispatch_id 0
		.amdhsa_user_sgpr_flat_scratch_init 0
		.amdhsa_user_sgpr_kernarg_preload_length 0
		.amdhsa_user_sgpr_kernarg_preload_offset 0
		.amdhsa_user_sgpr_private_segment_size 0
		.amdhsa_uses_dynamic_stack 0
		.amdhsa_system_sgpr_private_segment_wavefront_offset 0
		.amdhsa_system_sgpr_workgroup_id_x 1
		.amdhsa_system_sgpr_workgroup_id_y 0
		.amdhsa_system_sgpr_workgroup_id_z 0
		.amdhsa_system_sgpr_workgroup_info 0
		.amdhsa_system_vgpr_workitem_id 1
		.amdhsa_next_free_vgpr 14
		.amdhsa_next_free_sgpr 16
		.amdhsa_accum_offset 16
		.amdhsa_reserve_vcc 1
		.amdhsa_reserve_flat_scratch 0
		.amdhsa_float_round_mode_32 0
		.amdhsa_float_round_mode_16_64 0
		.amdhsa_float_denorm_mode_32 3
		.amdhsa_float_denorm_mode_16_64 3
		.amdhsa_dx10_clamp 1
		.amdhsa_ieee_mode 1
		.amdhsa_fp16_overflow 0
		.amdhsa_tg_split 0
		.amdhsa_exception_fp_ieee_invalid_op 0
		.amdhsa_exception_fp_denorm_src 0
		.amdhsa_exception_fp_ieee_div_zero 0
		.amdhsa_exception_fp_ieee_overflow 0
		.amdhsa_exception_fp_ieee_underflow 0
		.amdhsa_exception_fp_ieee_inexact 0
		.amdhsa_exception_int_div_zero 0
	.end_amdhsa_kernel
	.section	.text._ZN12_GLOBAL__N_121softmax_warp_backwardIN3c108BFloat16ES2_fLi4ELb1ELb0ELi32EEEvPT0_PKT_S7_iiiPKb,"axG",@progbits,_ZN12_GLOBAL__N_121softmax_warp_backwardIN3c108BFloat16ES2_fLi4ELb1ELb0ELi32EEEvPT0_PKT_S7_iiiPKb,comdat
.Lfunc_end309:
	.size	_ZN12_GLOBAL__N_121softmax_warp_backwardIN3c108BFloat16ES2_fLi4ELb1ELb0ELi32EEEvPT0_PKT_S7_iiiPKb, .Lfunc_end309-_ZN12_GLOBAL__N_121softmax_warp_backwardIN3c108BFloat16ES2_fLi4ELb1ELb0ELi32EEEvPT0_PKT_S7_iiiPKb
                                        ; -- End function
	.section	.AMDGPU.csdata,"",@progbits
; Kernel info:
; codeLenInByte = 952
; NumSgprs: 20
; NumVgprs: 14
; NumAgprs: 0
; TotalNumVgprs: 14
; ScratchSize: 0
; MemoryBound: 0
; FloatMode: 240
; IeeeMode: 1
; LDSByteSize: 0 bytes/workgroup (compile time only)
; SGPRBlocks: 2
; VGPRBlocks: 1
; NumSGPRsForWavesPerEU: 20
; NumVGPRsForWavesPerEU: 14
; AccumOffset: 16
; Occupancy: 8
; WaveLimiterHint : 0
; COMPUTE_PGM_RSRC2:SCRATCH_EN: 0
; COMPUTE_PGM_RSRC2:USER_SGPR: 6
; COMPUTE_PGM_RSRC2:TRAP_HANDLER: 0
; COMPUTE_PGM_RSRC2:TGID_X_EN: 1
; COMPUTE_PGM_RSRC2:TGID_Y_EN: 0
; COMPUTE_PGM_RSRC2:TGID_Z_EN: 0
; COMPUTE_PGM_RSRC2:TIDIG_COMP_CNT: 1
; COMPUTE_PGM_RSRC3_GFX90A:ACCUM_OFFSET: 3
; COMPUTE_PGM_RSRC3_GFX90A:TG_SPLIT: 0
	.section	.text._ZN12_GLOBAL__N_121softmax_warp_backwardIN3c108BFloat16ES2_fLi5ELb1ELb0ELi64EEEvPT0_PKT_S7_iiiPKb,"axG",@progbits,_ZN12_GLOBAL__N_121softmax_warp_backwardIN3c108BFloat16ES2_fLi5ELb1ELb0ELi64EEEvPT0_PKT_S7_iiiPKb,comdat
	.globl	_ZN12_GLOBAL__N_121softmax_warp_backwardIN3c108BFloat16ES2_fLi5ELb1ELb0ELi64EEEvPT0_PKT_S7_iiiPKb ; -- Begin function _ZN12_GLOBAL__N_121softmax_warp_backwardIN3c108BFloat16ES2_fLi5ELb1ELb0ELi64EEEvPT0_PKT_S7_iiiPKb
	.p2align	8
	.type	_ZN12_GLOBAL__N_121softmax_warp_backwardIN3c108BFloat16ES2_fLi5ELb1ELb0ELi64EEEvPT0_PKT_S7_iiiPKb,@function
_ZN12_GLOBAL__N_121softmax_warp_backwardIN3c108BFloat16ES2_fLi5ELb1ELb0ELi64EEEvPT0_PKT_S7_iiiPKb: ; @_ZN12_GLOBAL__N_121softmax_warp_backwardIN3c108BFloat16ES2_fLi5ELb1ELb0ELi64EEEvPT0_PKT_S7_iiiPKb
; %bb.0:
	s_load_dword s2, s[4:5], 0x3c
	s_load_dwordx4 s[8:11], s[4:5], 0x18
	s_load_dwordx4 s[12:15], s[4:5], 0x0
	s_load_dwordx2 s[0:1], s[4:5], 0x10
	v_bfe_u32 v1, v0, 10, 10
	s_waitcnt lgkmcnt(0)
	s_lshr_b32 s2, s2, 16
	s_mul_i32 s6, s6, s2
	v_add_lshl_u32 v1, s6, v1, 1
	v_and_b32_e32 v0, 31, v0
	v_mad_u64_u32 v[2:3], s[2:3], v1, s9, v[0:1]
	v_ashrrev_i32_e32 v3, 31, v2
	v_lshlrev_b64 v[2:3], 1, v[2:3]
	v_sub_u32_e32 v8, s8, v1
	v_mov_b32_e32 v1, s15
	v_add_co_u32_e32 v4, vcc, s14, v2
	v_addc_co_u32_e32 v5, vcc, v1, v3, vcc
	v_mov_b32_e32 v1, s1
	v_add_co_u32_e32 v6, vcc, s0, v2
	v_addc_co_u32_e32 v7, vcc, v1, v3, vcc
	v_cmp_gt_i32_e32 vcc, s10, v0
	v_cmp_lt_i32_e64 s[0:1], 0, v8
	s_and_b64 s[4:5], vcc, s[0:1]
	v_mov_b32_e32 v9, 0
	v_mov_b32_e32 v10, 0
	;; [unrolled: 1-line block ×3, first 2 shown]
	s_and_saveexec_b64 s[2:3], s[4:5]
	s_cbranch_execz .LBB310_2
; %bb.1:
	global_load_ushort v0, v[6:7], off
	global_load_ushort v1, v[4:5], off
	s_waitcnt vmcnt(1)
	v_lshlrev_b32_e32 v10, 16, v0
	s_waitcnt vmcnt(0)
	v_lshlrev_b32_e32 v0, 16, v1
.LBB310_2:
	s_or_b64 exec, exec, s[2:3]
	v_cmp_lt_i32_e64 s[2:3], 1, v8
	s_and_b64 s[2:3], vcc, s[2:3]
	s_mov_b32 s11, 0
	v_mov_b32_e32 v1, 0
	s_and_saveexec_b64 s[4:5], s[2:3]
	s_cbranch_execz .LBB310_4
; %bb.3:
	s_lshl_b64 s[6:7], s[10:11], 1
	v_mov_b32_e32 v1, s7
	v_add_co_u32_e64 v4, s[2:3], s6, v4
	v_addc_co_u32_e64 v5, s[2:3], v5, v1, s[2:3]
	v_add_co_u32_e64 v6, s[2:3], s6, v6
	v_addc_co_u32_e64 v7, s[2:3], v7, v1, s[2:3]
	global_load_ushort v1, v[6:7], off
	global_load_ushort v11, v[4:5], off
	s_waitcnt vmcnt(1)
	v_lshlrev_b32_e32 v9, 16, v1
	s_waitcnt vmcnt(0)
	v_lshlrev_b32_e32 v1, 16, v11
.LBB310_4:
	s_or_b64 exec, exec, s[4:5]
	v_mbcnt_lo_u32_b32 v4, -1, 0
	v_mbcnt_hi_u32_b32 v11, -1, v4
	v_and_b32_e32 v4, 0x60, v11
	v_add_u32_e32 v12, 32, v4
	v_xor_b32_e32 v4, 16, v11
	v_cmp_lt_i32_e64 s[2:3], v4, v12
	v_cndmask_b32_e64 v4, v11, v4, s[2:3]
	v_lshlrev_b32_e32 v7, 2, v4
	v_pk_add_f32 v[4:5], v[0:1], 0 op_sel_hi:[1,0]
	ds_bpermute_b32 v6, v7, v4
	ds_bpermute_b32 v7, v7, v5
	v_xor_b32_e32 v13, 8, v11
	v_cmp_lt_i32_e64 s[2:3], v13, v12
	v_cndmask_b32_e64 v13, v11, v13, s[2:3]
	v_lshlrev_b32_e32 v13, 2, v13
	s_waitcnt lgkmcnt(0)
	v_pk_add_f32 v[4:5], v[4:5], v[6:7]
	ds_bpermute_b32 v6, v13, v4
	ds_bpermute_b32 v7, v13, v5
	v_xor_b32_e32 v13, 4, v11
	v_cmp_lt_i32_e64 s[2:3], v13, v12
	v_cndmask_b32_e64 v13, v11, v13, s[2:3]
	v_lshlrev_b32_e32 v13, 2, v13
	s_waitcnt lgkmcnt(0)
	v_pk_add_f32 v[4:5], v[4:5], v[6:7]
	ds_bpermute_b32 v6, v13, v4
	ds_bpermute_b32 v7, v13, v5
	v_xor_b32_e32 v13, 2, v11
	v_cmp_lt_i32_e64 s[2:3], v13, v12
	v_cndmask_b32_e64 v13, v11, v13, s[2:3]
	v_lshlrev_b32_e32 v13, 2, v13
	s_waitcnt lgkmcnt(0)
	v_pk_add_f32 v[4:5], v[4:5], v[6:7]
	ds_bpermute_b32 v6, v13, v4
	ds_bpermute_b32 v7, v13, v5
	v_xor_b32_e32 v13, 1, v11
	v_cmp_lt_i32_e64 s[2:3], v13, v12
	v_cndmask_b32_e64 v11, v11, v13, s[2:3]
	v_lshlrev_b32_e32 v11, 2, v11
	s_waitcnt lgkmcnt(0)
	v_pk_add_f32 v[4:5], v[4:5], v[6:7]
	ds_bpermute_b32 v6, v11, v4
	ds_bpermute_b32 v7, v11, v5
	s_and_saveexec_b64 s[2:3], s[0:1]
	s_cbranch_execz .LBB310_10
; %bb.5:
	v_mov_b32_e32 v11, s13
	v_add_co_u32_e64 v2, s[0:1], s12, v2
	v_addc_co_u32_e64 v3, s[0:1], v11, v3, s[0:1]
	s_waitcnt lgkmcnt(0)
	v_pk_add_f32 v[4:5], v[4:5], v[6:7]
	s_and_saveexec_b64 s[2:3], vcc
	s_cbranch_execz .LBB310_7
; %bb.6:
	v_mul_f32_e32 v6, 0x3fb8aa3b, v10
	s_mov_b32 s0, 0x3fb8aa3b
	v_rndne_f32_e32 v7, v6
	v_sub_f32_e32 v11, v6, v7
	v_fma_f32 v6, v10, s0, -v6
	v_fmac_f32_e32 v6, 0x32a5705f, v10
	v_add_f32_e32 v6, v11, v6
	v_exp_f32_e32 v6, v6
	v_cvt_i32_f32_e32 v7, v7
	s_mov_b32 s0, 0xc2ce8ed0
	v_cmp_ngt_f32_e64 s[0:1], s0, v10
	v_ldexp_f32 v6, v6, v7
	v_cndmask_b32_e64 v6, 0, v6, s[0:1]
	s_mov_b32 s0, 0x42b17218
	v_mov_b32_e32 v7, 0x7f800000
	v_cmp_nlt_f32_e64 s[0:1], s0, v10
	v_cndmask_b32_e64 v6, v7, v6, s[0:1]
	v_fma_f32 v0, -v4, v6, v0
	v_bfe_u32 v4, v0, 16, 1
	s_movk_i32 s0, 0x7fff
	v_add3_u32 v4, v0, v4, s0
	v_lshrrev_b32_e32 v4, 16, v4
	v_mov_b32_e32 v6, 0x7fc0
	v_cmp_o_f32_e64 s[0:1], v0, v0
	v_cndmask_b32_e64 v0, v6, v4, s[0:1]
	global_store_short v[2:3], v0, off
.LBB310_7:
	s_or_b64 exec, exec, s[2:3]
	v_cmp_ne_u32_e64 s[0:1], 1, v8
	s_and_b64 exec, exec, s[0:1]
	s_cbranch_execz .LBB310_10
; %bb.8:
	s_and_b64 exec, exec, vcc
	s_cbranch_execz .LBB310_10
; %bb.9:
	v_mul_f32_e32 v0, 0x3fb8aa3b, v9
	s_mov_b32 s0, 0x3fb8aa3b
	v_rndne_f32_e32 v4, v0
	v_sub_f32_e32 v6, v0, v4
	v_fma_f32 v0, v9, s0, -v0
	v_fmac_f32_e32 v0, 0x32a5705f, v9
	v_add_f32_e32 v0, v6, v0
	v_exp_f32_e32 v0, v0
	v_cvt_i32_f32_e32 v4, v4
	s_mov_b32 s0, 0xc2ce8ed0
	v_cmp_ngt_f32_e32 vcc, s0, v9
	s_mov_b32 s0, 0x42b17218
	v_ldexp_f32 v0, v0, v4
	v_cndmask_b32_e32 v0, 0, v0, vcc
	v_mov_b32_e32 v4, 0x7f800000
	v_cmp_nlt_f32_e32 vcc, s0, v9
	v_cndmask_b32_e32 v0, v4, v0, vcc
	v_fma_f32 v0, -v5, v0, v1
	v_bfe_u32 v1, v0, 16, 1
	s_movk_i32 s0, 0x7fff
	v_add3_u32 v1, v0, v1, s0
	v_lshrrev_b32_e32 v1, 16, v1
	v_mov_b32_e32 v4, 0x7fc0
	v_cmp_o_f32_e32 vcc, v0, v0
	s_lshl_b64 s[0:1], s[10:11], 1
	v_cndmask_b32_e32 v4, v4, v1, vcc
	v_mov_b32_e32 v1, s1
	v_add_co_u32_e32 v0, vcc, s0, v2
	v_addc_co_u32_e32 v1, vcc, v3, v1, vcc
	global_store_short v[0:1], v4, off
.LBB310_10:
	s_endpgm
	.section	.rodata,"a",@progbits
	.p2align	6, 0x0
	.amdhsa_kernel _ZN12_GLOBAL__N_121softmax_warp_backwardIN3c108BFloat16ES2_fLi5ELb1ELb0ELi64EEEvPT0_PKT_S7_iiiPKb
		.amdhsa_group_segment_fixed_size 0
		.amdhsa_private_segment_fixed_size 0
		.amdhsa_kernarg_size 304
		.amdhsa_user_sgpr_count 6
		.amdhsa_user_sgpr_private_segment_buffer 1
		.amdhsa_user_sgpr_dispatch_ptr 0
		.amdhsa_user_sgpr_queue_ptr 0
		.amdhsa_user_sgpr_kernarg_segment_ptr 1
		.amdhsa_user_sgpr_dispatch_id 0
		.amdhsa_user_sgpr_flat_scratch_init 0
		.amdhsa_user_sgpr_kernarg_preload_length 0
		.amdhsa_user_sgpr_kernarg_preload_offset 0
		.amdhsa_user_sgpr_private_segment_size 0
		.amdhsa_uses_dynamic_stack 0
		.amdhsa_system_sgpr_private_segment_wavefront_offset 0
		.amdhsa_system_sgpr_workgroup_id_x 1
		.amdhsa_system_sgpr_workgroup_id_y 0
		.amdhsa_system_sgpr_workgroup_id_z 0
		.amdhsa_system_sgpr_workgroup_info 0
		.amdhsa_system_vgpr_workitem_id 1
		.amdhsa_next_free_vgpr 14
		.amdhsa_next_free_sgpr 16
		.amdhsa_accum_offset 16
		.amdhsa_reserve_vcc 1
		.amdhsa_reserve_flat_scratch 0
		.amdhsa_float_round_mode_32 0
		.amdhsa_float_round_mode_16_64 0
		.amdhsa_float_denorm_mode_32 3
		.amdhsa_float_denorm_mode_16_64 3
		.amdhsa_dx10_clamp 1
		.amdhsa_ieee_mode 1
		.amdhsa_fp16_overflow 0
		.amdhsa_tg_split 0
		.amdhsa_exception_fp_ieee_invalid_op 0
		.amdhsa_exception_fp_denorm_src 0
		.amdhsa_exception_fp_ieee_div_zero 0
		.amdhsa_exception_fp_ieee_overflow 0
		.amdhsa_exception_fp_ieee_underflow 0
		.amdhsa_exception_fp_ieee_inexact 0
		.amdhsa_exception_int_div_zero 0
	.end_amdhsa_kernel
	.section	.text._ZN12_GLOBAL__N_121softmax_warp_backwardIN3c108BFloat16ES2_fLi5ELb1ELb0ELi64EEEvPT0_PKT_S7_iiiPKb,"axG",@progbits,_ZN12_GLOBAL__N_121softmax_warp_backwardIN3c108BFloat16ES2_fLi5ELb1ELb0ELi64EEEvPT0_PKT_S7_iiiPKb,comdat
.Lfunc_end310:
	.size	_ZN12_GLOBAL__N_121softmax_warp_backwardIN3c108BFloat16ES2_fLi5ELb1ELb0ELi64EEEvPT0_PKT_S7_iiiPKb, .Lfunc_end310-_ZN12_GLOBAL__N_121softmax_warp_backwardIN3c108BFloat16ES2_fLi5ELb1ELb0ELi64EEEvPT0_PKT_S7_iiiPKb
                                        ; -- End function
	.section	.AMDGPU.csdata,"",@progbits
; Kernel info:
; codeLenInByte = 1004
; NumSgprs: 20
; NumVgprs: 14
; NumAgprs: 0
; TotalNumVgprs: 14
; ScratchSize: 0
; MemoryBound: 0
; FloatMode: 240
; IeeeMode: 1
; LDSByteSize: 0 bytes/workgroup (compile time only)
; SGPRBlocks: 2
; VGPRBlocks: 1
; NumSGPRsForWavesPerEU: 20
; NumVGPRsForWavesPerEU: 14
; AccumOffset: 16
; Occupancy: 8
; WaveLimiterHint : 0
; COMPUTE_PGM_RSRC2:SCRATCH_EN: 0
; COMPUTE_PGM_RSRC2:USER_SGPR: 6
; COMPUTE_PGM_RSRC2:TRAP_HANDLER: 0
; COMPUTE_PGM_RSRC2:TGID_X_EN: 1
; COMPUTE_PGM_RSRC2:TGID_Y_EN: 0
; COMPUTE_PGM_RSRC2:TGID_Z_EN: 0
; COMPUTE_PGM_RSRC2:TIDIG_COMP_CNT: 1
; COMPUTE_PGM_RSRC3_GFX90A:ACCUM_OFFSET: 3
; COMPUTE_PGM_RSRC3_GFX90A:TG_SPLIT: 0
	.section	.text._ZN12_GLOBAL__N_121softmax_warp_backwardIN3c108BFloat16ES2_fLi5ELb1ELb0ELi32EEEvPT0_PKT_S7_iiiPKb,"axG",@progbits,_ZN12_GLOBAL__N_121softmax_warp_backwardIN3c108BFloat16ES2_fLi5ELb1ELb0ELi32EEEvPT0_PKT_S7_iiiPKb,comdat
	.globl	_ZN12_GLOBAL__N_121softmax_warp_backwardIN3c108BFloat16ES2_fLi5ELb1ELb0ELi32EEEvPT0_PKT_S7_iiiPKb ; -- Begin function _ZN12_GLOBAL__N_121softmax_warp_backwardIN3c108BFloat16ES2_fLi5ELb1ELb0ELi32EEEvPT0_PKT_S7_iiiPKb
	.p2align	8
	.type	_ZN12_GLOBAL__N_121softmax_warp_backwardIN3c108BFloat16ES2_fLi5ELb1ELb0ELi32EEEvPT0_PKT_S7_iiiPKb,@function
_ZN12_GLOBAL__N_121softmax_warp_backwardIN3c108BFloat16ES2_fLi5ELb1ELb0ELi32EEEvPT0_PKT_S7_iiiPKb: ; @_ZN12_GLOBAL__N_121softmax_warp_backwardIN3c108BFloat16ES2_fLi5ELb1ELb0ELi32EEEvPT0_PKT_S7_iiiPKb
; %bb.0:
	s_load_dword s2, s[4:5], 0x3c
	s_load_dwordx4 s[8:11], s[4:5], 0x18
	s_load_dwordx4 s[12:15], s[4:5], 0x0
	s_load_dwordx2 s[0:1], s[4:5], 0x10
	v_bfe_u32 v1, v0, 10, 10
	s_waitcnt lgkmcnt(0)
	s_lshr_b32 s2, s2, 16
	s_mul_i32 s6, s6, s2
	v_add_lshl_u32 v1, s6, v1, 1
	v_and_b32_e32 v0, 31, v0
	v_mad_u64_u32 v[2:3], s[2:3], v1, s9, v[0:1]
	v_ashrrev_i32_e32 v3, 31, v2
	v_lshlrev_b64 v[2:3], 1, v[2:3]
	v_sub_u32_e32 v8, s8, v1
	v_mov_b32_e32 v1, s15
	v_add_co_u32_e32 v4, vcc, s14, v2
	v_addc_co_u32_e32 v5, vcc, v1, v3, vcc
	v_mov_b32_e32 v1, s1
	v_add_co_u32_e32 v6, vcc, s0, v2
	v_addc_co_u32_e32 v7, vcc, v1, v3, vcc
	v_cmp_gt_i32_e32 vcc, s10, v0
	v_cmp_lt_i32_e64 s[0:1], 0, v8
	s_and_b64 s[4:5], vcc, s[0:1]
	v_mov_b32_e32 v9, 0
	v_mov_b32_e32 v10, 0
	;; [unrolled: 1-line block ×3, first 2 shown]
	s_and_saveexec_b64 s[2:3], s[4:5]
	s_cbranch_execz .LBB311_2
; %bb.1:
	global_load_ushort v0, v[6:7], off
	global_load_ushort v1, v[4:5], off
	s_waitcnt vmcnt(1)
	v_lshlrev_b32_e32 v10, 16, v0
	s_waitcnt vmcnt(0)
	v_lshlrev_b32_e32 v0, 16, v1
.LBB311_2:
	s_or_b64 exec, exec, s[2:3]
	v_cmp_lt_i32_e64 s[2:3], 1, v8
	s_and_b64 s[2:3], vcc, s[2:3]
	s_mov_b32 s11, 0
	v_mov_b32_e32 v1, 0
	s_and_saveexec_b64 s[4:5], s[2:3]
	s_cbranch_execz .LBB311_4
; %bb.3:
	s_lshl_b64 s[6:7], s[10:11], 1
	v_mov_b32_e32 v1, s7
	v_add_co_u32_e64 v4, s[2:3], s6, v4
	v_addc_co_u32_e64 v5, s[2:3], v5, v1, s[2:3]
	v_add_co_u32_e64 v6, s[2:3], s6, v6
	v_addc_co_u32_e64 v7, s[2:3], v7, v1, s[2:3]
	global_load_ushort v1, v[6:7], off
	global_load_ushort v11, v[4:5], off
	s_waitcnt vmcnt(1)
	v_lshlrev_b32_e32 v9, 16, v1
	s_waitcnt vmcnt(0)
	v_lshlrev_b32_e32 v1, 16, v11
.LBB311_4:
	s_or_b64 exec, exec, s[4:5]
	v_mbcnt_lo_u32_b32 v4, -1, 0
	v_mbcnt_hi_u32_b32 v11, -1, v4
	v_and_b32_e32 v4, 0x60, v11
	v_add_u32_e32 v12, 32, v4
	v_xor_b32_e32 v4, 16, v11
	v_cmp_lt_i32_e64 s[2:3], v4, v12
	v_cndmask_b32_e64 v4, v11, v4, s[2:3]
	v_lshlrev_b32_e32 v7, 2, v4
	v_pk_add_f32 v[4:5], v[0:1], 0 op_sel_hi:[1,0]
	ds_bpermute_b32 v6, v7, v4
	ds_bpermute_b32 v7, v7, v5
	v_xor_b32_e32 v13, 8, v11
	v_cmp_lt_i32_e64 s[2:3], v13, v12
	v_cndmask_b32_e64 v13, v11, v13, s[2:3]
	v_lshlrev_b32_e32 v13, 2, v13
	s_waitcnt lgkmcnt(0)
	v_pk_add_f32 v[4:5], v[4:5], v[6:7]
	ds_bpermute_b32 v6, v13, v4
	ds_bpermute_b32 v7, v13, v5
	v_xor_b32_e32 v13, 4, v11
	v_cmp_lt_i32_e64 s[2:3], v13, v12
	v_cndmask_b32_e64 v13, v11, v13, s[2:3]
	v_lshlrev_b32_e32 v13, 2, v13
	s_waitcnt lgkmcnt(0)
	v_pk_add_f32 v[4:5], v[4:5], v[6:7]
	;; [unrolled: 8-line block ×4, first 2 shown]
	ds_bpermute_b32 v6, v11, v4
	ds_bpermute_b32 v7, v11, v5
	s_and_saveexec_b64 s[2:3], s[0:1]
	s_cbranch_execz .LBB311_10
; %bb.5:
	v_mov_b32_e32 v11, s13
	v_add_co_u32_e64 v2, s[0:1], s12, v2
	v_addc_co_u32_e64 v3, s[0:1], v11, v3, s[0:1]
	s_waitcnt lgkmcnt(0)
	v_pk_add_f32 v[4:5], v[4:5], v[6:7]
	s_and_saveexec_b64 s[2:3], vcc
	s_cbranch_execz .LBB311_7
; %bb.6:
	v_mul_f32_e32 v6, 0x3fb8aa3b, v10
	s_mov_b32 s0, 0x3fb8aa3b
	v_rndne_f32_e32 v7, v6
	v_sub_f32_e32 v11, v6, v7
	v_fma_f32 v6, v10, s0, -v6
	v_fmac_f32_e32 v6, 0x32a5705f, v10
	v_add_f32_e32 v6, v11, v6
	v_exp_f32_e32 v6, v6
	v_cvt_i32_f32_e32 v7, v7
	s_mov_b32 s0, 0xc2ce8ed0
	v_cmp_ngt_f32_e64 s[0:1], s0, v10
	v_ldexp_f32 v6, v6, v7
	v_cndmask_b32_e64 v6, 0, v6, s[0:1]
	s_mov_b32 s0, 0x42b17218
	v_mov_b32_e32 v7, 0x7f800000
	v_cmp_nlt_f32_e64 s[0:1], s0, v10
	v_cndmask_b32_e64 v6, v7, v6, s[0:1]
	v_fma_f32 v0, -v4, v6, v0
	v_bfe_u32 v4, v0, 16, 1
	s_movk_i32 s0, 0x7fff
	v_add3_u32 v4, v0, v4, s0
	v_lshrrev_b32_e32 v4, 16, v4
	v_mov_b32_e32 v6, 0x7fc0
	v_cmp_o_f32_e64 s[0:1], v0, v0
	v_cndmask_b32_e64 v0, v6, v4, s[0:1]
	global_store_short v[2:3], v0, off
.LBB311_7:
	s_or_b64 exec, exec, s[2:3]
	v_cmp_ne_u32_e64 s[0:1], 1, v8
	s_and_b64 exec, exec, s[0:1]
	s_cbranch_execz .LBB311_10
; %bb.8:
	s_and_b64 exec, exec, vcc
	s_cbranch_execz .LBB311_10
; %bb.9:
	v_mul_f32_e32 v0, 0x3fb8aa3b, v9
	s_mov_b32 s0, 0x3fb8aa3b
	v_rndne_f32_e32 v4, v0
	v_sub_f32_e32 v6, v0, v4
	v_fma_f32 v0, v9, s0, -v0
	v_fmac_f32_e32 v0, 0x32a5705f, v9
	v_add_f32_e32 v0, v6, v0
	v_exp_f32_e32 v0, v0
	v_cvt_i32_f32_e32 v4, v4
	s_mov_b32 s0, 0xc2ce8ed0
	v_cmp_ngt_f32_e32 vcc, s0, v9
	s_mov_b32 s0, 0x42b17218
	v_ldexp_f32 v0, v0, v4
	v_cndmask_b32_e32 v0, 0, v0, vcc
	v_mov_b32_e32 v4, 0x7f800000
	v_cmp_nlt_f32_e32 vcc, s0, v9
	v_cndmask_b32_e32 v0, v4, v0, vcc
	v_fma_f32 v0, -v5, v0, v1
	v_bfe_u32 v1, v0, 16, 1
	s_movk_i32 s0, 0x7fff
	v_add3_u32 v1, v0, v1, s0
	v_lshrrev_b32_e32 v1, 16, v1
	v_mov_b32_e32 v4, 0x7fc0
	v_cmp_o_f32_e32 vcc, v0, v0
	s_lshl_b64 s[0:1], s[10:11], 1
	v_cndmask_b32_e32 v4, v4, v1, vcc
	v_mov_b32_e32 v1, s1
	v_add_co_u32_e32 v0, vcc, s0, v2
	v_addc_co_u32_e32 v1, vcc, v3, v1, vcc
	global_store_short v[0:1], v4, off
.LBB311_10:
	s_endpgm
	.section	.rodata,"a",@progbits
	.p2align	6, 0x0
	.amdhsa_kernel _ZN12_GLOBAL__N_121softmax_warp_backwardIN3c108BFloat16ES2_fLi5ELb1ELb0ELi32EEEvPT0_PKT_S7_iiiPKb
		.amdhsa_group_segment_fixed_size 0
		.amdhsa_private_segment_fixed_size 0
		.amdhsa_kernarg_size 304
		.amdhsa_user_sgpr_count 6
		.amdhsa_user_sgpr_private_segment_buffer 1
		.amdhsa_user_sgpr_dispatch_ptr 0
		.amdhsa_user_sgpr_queue_ptr 0
		.amdhsa_user_sgpr_kernarg_segment_ptr 1
		.amdhsa_user_sgpr_dispatch_id 0
		.amdhsa_user_sgpr_flat_scratch_init 0
		.amdhsa_user_sgpr_kernarg_preload_length 0
		.amdhsa_user_sgpr_kernarg_preload_offset 0
		.amdhsa_user_sgpr_private_segment_size 0
		.amdhsa_uses_dynamic_stack 0
		.amdhsa_system_sgpr_private_segment_wavefront_offset 0
		.amdhsa_system_sgpr_workgroup_id_x 1
		.amdhsa_system_sgpr_workgroup_id_y 0
		.amdhsa_system_sgpr_workgroup_id_z 0
		.amdhsa_system_sgpr_workgroup_info 0
		.amdhsa_system_vgpr_workitem_id 1
		.amdhsa_next_free_vgpr 14
		.amdhsa_next_free_sgpr 16
		.amdhsa_accum_offset 16
		.amdhsa_reserve_vcc 1
		.amdhsa_reserve_flat_scratch 0
		.amdhsa_float_round_mode_32 0
		.amdhsa_float_round_mode_16_64 0
		.amdhsa_float_denorm_mode_32 3
		.amdhsa_float_denorm_mode_16_64 3
		.amdhsa_dx10_clamp 1
		.amdhsa_ieee_mode 1
		.amdhsa_fp16_overflow 0
		.amdhsa_tg_split 0
		.amdhsa_exception_fp_ieee_invalid_op 0
		.amdhsa_exception_fp_denorm_src 0
		.amdhsa_exception_fp_ieee_div_zero 0
		.amdhsa_exception_fp_ieee_overflow 0
		.amdhsa_exception_fp_ieee_underflow 0
		.amdhsa_exception_fp_ieee_inexact 0
		.amdhsa_exception_int_div_zero 0
	.end_amdhsa_kernel
	.section	.text._ZN12_GLOBAL__N_121softmax_warp_backwardIN3c108BFloat16ES2_fLi5ELb1ELb0ELi32EEEvPT0_PKT_S7_iiiPKb,"axG",@progbits,_ZN12_GLOBAL__N_121softmax_warp_backwardIN3c108BFloat16ES2_fLi5ELb1ELb0ELi32EEEvPT0_PKT_S7_iiiPKb,comdat
.Lfunc_end311:
	.size	_ZN12_GLOBAL__N_121softmax_warp_backwardIN3c108BFloat16ES2_fLi5ELb1ELb0ELi32EEEvPT0_PKT_S7_iiiPKb, .Lfunc_end311-_ZN12_GLOBAL__N_121softmax_warp_backwardIN3c108BFloat16ES2_fLi5ELb1ELb0ELi32EEEvPT0_PKT_S7_iiiPKb
                                        ; -- End function
	.section	.AMDGPU.csdata,"",@progbits
; Kernel info:
; codeLenInByte = 1004
; NumSgprs: 20
; NumVgprs: 14
; NumAgprs: 0
; TotalNumVgprs: 14
; ScratchSize: 0
; MemoryBound: 0
; FloatMode: 240
; IeeeMode: 1
; LDSByteSize: 0 bytes/workgroup (compile time only)
; SGPRBlocks: 2
; VGPRBlocks: 1
; NumSGPRsForWavesPerEU: 20
; NumVGPRsForWavesPerEU: 14
; AccumOffset: 16
; Occupancy: 8
; WaveLimiterHint : 0
; COMPUTE_PGM_RSRC2:SCRATCH_EN: 0
; COMPUTE_PGM_RSRC2:USER_SGPR: 6
; COMPUTE_PGM_RSRC2:TRAP_HANDLER: 0
; COMPUTE_PGM_RSRC2:TGID_X_EN: 1
; COMPUTE_PGM_RSRC2:TGID_Y_EN: 0
; COMPUTE_PGM_RSRC2:TGID_Z_EN: 0
; COMPUTE_PGM_RSRC2:TIDIG_COMP_CNT: 1
; COMPUTE_PGM_RSRC3_GFX90A:ACCUM_OFFSET: 3
; COMPUTE_PGM_RSRC3_GFX90A:TG_SPLIT: 0
	.section	.text._ZN12_GLOBAL__N_121softmax_warp_backwardIN3c108BFloat16ES2_fLi6ELb1ELb0ELi64EEEvPT0_PKT_S7_iiiPKb,"axG",@progbits,_ZN12_GLOBAL__N_121softmax_warp_backwardIN3c108BFloat16ES2_fLi6ELb1ELb0ELi64EEEvPT0_PKT_S7_iiiPKb,comdat
	.globl	_ZN12_GLOBAL__N_121softmax_warp_backwardIN3c108BFloat16ES2_fLi6ELb1ELb0ELi64EEEvPT0_PKT_S7_iiiPKb ; -- Begin function _ZN12_GLOBAL__N_121softmax_warp_backwardIN3c108BFloat16ES2_fLi6ELb1ELb0ELi64EEEvPT0_PKT_S7_iiiPKb
	.p2align	8
	.type	_ZN12_GLOBAL__N_121softmax_warp_backwardIN3c108BFloat16ES2_fLi6ELb1ELb0ELi64EEEvPT0_PKT_S7_iiiPKb,@function
_ZN12_GLOBAL__N_121softmax_warp_backwardIN3c108BFloat16ES2_fLi6ELb1ELb0ELi64EEEvPT0_PKT_S7_iiiPKb: ; @_ZN12_GLOBAL__N_121softmax_warp_backwardIN3c108BFloat16ES2_fLi6ELb1ELb0ELi64EEEvPT0_PKT_S7_iiiPKb
; %bb.0:
	s_load_dword s2, s[4:5], 0x3c
	s_load_dwordx4 s[8:11], s[4:5], 0x18
	s_load_dwordx4 s[12:15], s[4:5], 0x0
	s_load_dwordx2 s[0:1], s[4:5], 0x10
	v_bfe_u32 v1, v0, 10, 10
	s_waitcnt lgkmcnt(0)
	s_lshr_b32 s2, s2, 16
	s_mul_i32 s6, s6, s2
	v_add_lshl_u32 v1, s6, v1, 1
	v_and_b32_e32 v0, 63, v0
	v_mad_u64_u32 v[2:3], s[2:3], v1, s9, v[0:1]
	v_ashrrev_i32_e32 v3, 31, v2
	v_lshlrev_b64 v[2:3], 1, v[2:3]
	v_sub_u32_e32 v8, s8, v1
	v_mov_b32_e32 v1, s15
	v_add_co_u32_e32 v4, vcc, s14, v2
	v_addc_co_u32_e32 v5, vcc, v1, v3, vcc
	v_mov_b32_e32 v1, s1
	v_add_co_u32_e32 v6, vcc, s0, v2
	v_addc_co_u32_e32 v7, vcc, v1, v3, vcc
	v_cmp_gt_i32_e32 vcc, s10, v0
	v_cmp_lt_i32_e64 s[0:1], 0, v8
	s_and_b64 s[4:5], vcc, s[0:1]
	v_mov_b32_e32 v9, 0
	v_mov_b32_e32 v10, 0
	;; [unrolled: 1-line block ×3, first 2 shown]
	s_and_saveexec_b64 s[2:3], s[4:5]
	s_cbranch_execz .LBB312_2
; %bb.1:
	global_load_ushort v0, v[6:7], off
	global_load_ushort v1, v[4:5], off
	s_waitcnt vmcnt(1)
	v_lshlrev_b32_e32 v10, 16, v0
	s_waitcnt vmcnt(0)
	v_lshlrev_b32_e32 v0, 16, v1
.LBB312_2:
	s_or_b64 exec, exec, s[2:3]
	v_cmp_lt_i32_e64 s[2:3], 1, v8
	s_and_b64 s[2:3], vcc, s[2:3]
	s_mov_b32 s11, 0
	v_mov_b32_e32 v1, 0
	s_and_saveexec_b64 s[4:5], s[2:3]
	s_cbranch_execz .LBB312_4
; %bb.3:
	s_lshl_b64 s[6:7], s[10:11], 1
	v_mov_b32_e32 v1, s7
	v_add_co_u32_e64 v4, s[2:3], s6, v4
	v_addc_co_u32_e64 v5, s[2:3], v5, v1, s[2:3]
	v_add_co_u32_e64 v6, s[2:3], s6, v6
	v_addc_co_u32_e64 v7, s[2:3], v7, v1, s[2:3]
	global_load_ushort v1, v[6:7], off
	global_load_ushort v11, v[4:5], off
	s_waitcnt vmcnt(1)
	v_lshlrev_b32_e32 v9, 16, v1
	s_waitcnt vmcnt(0)
	v_lshlrev_b32_e32 v1, 16, v11
.LBB312_4:
	s_or_b64 exec, exec, s[4:5]
	v_mbcnt_lo_u32_b32 v4, -1, 0
	v_mbcnt_hi_u32_b32 v11, -1, v4
	v_and_b32_e32 v4, 64, v11
	v_add_u32_e32 v12, 64, v4
	v_xor_b32_e32 v4, 32, v11
	v_cmp_lt_i32_e64 s[2:3], v4, v12
	v_cndmask_b32_e64 v4, v11, v4, s[2:3]
	v_lshlrev_b32_e32 v7, 2, v4
	v_pk_add_f32 v[4:5], v[0:1], 0 op_sel_hi:[1,0]
	ds_bpermute_b32 v6, v7, v4
	ds_bpermute_b32 v7, v7, v5
	v_xor_b32_e32 v13, 16, v11
	v_cmp_lt_i32_e64 s[2:3], v13, v12
	v_cndmask_b32_e64 v13, v11, v13, s[2:3]
	v_lshlrev_b32_e32 v13, 2, v13
	s_waitcnt lgkmcnt(0)
	v_pk_add_f32 v[4:5], v[4:5], v[6:7]
	ds_bpermute_b32 v6, v13, v4
	ds_bpermute_b32 v7, v13, v5
	v_xor_b32_e32 v13, 8, v11
	v_cmp_lt_i32_e64 s[2:3], v13, v12
	v_cndmask_b32_e64 v13, v11, v13, s[2:3]
	v_lshlrev_b32_e32 v13, 2, v13
	s_waitcnt lgkmcnt(0)
	v_pk_add_f32 v[4:5], v[4:5], v[6:7]
	;; [unrolled: 8-line block ×5, first 2 shown]
	ds_bpermute_b32 v6, v11, v4
	ds_bpermute_b32 v7, v11, v5
	s_and_saveexec_b64 s[2:3], s[0:1]
	s_cbranch_execz .LBB312_10
; %bb.5:
	v_mov_b32_e32 v11, s13
	v_add_co_u32_e64 v2, s[0:1], s12, v2
	v_addc_co_u32_e64 v3, s[0:1], v11, v3, s[0:1]
	s_waitcnt lgkmcnt(0)
	v_pk_add_f32 v[4:5], v[4:5], v[6:7]
	s_and_saveexec_b64 s[2:3], vcc
	s_cbranch_execz .LBB312_7
; %bb.6:
	v_mul_f32_e32 v6, 0x3fb8aa3b, v10
	s_mov_b32 s0, 0x3fb8aa3b
	v_rndne_f32_e32 v7, v6
	v_sub_f32_e32 v11, v6, v7
	v_fma_f32 v6, v10, s0, -v6
	v_fmac_f32_e32 v6, 0x32a5705f, v10
	v_add_f32_e32 v6, v11, v6
	v_exp_f32_e32 v6, v6
	v_cvt_i32_f32_e32 v7, v7
	s_mov_b32 s0, 0xc2ce8ed0
	v_cmp_ngt_f32_e64 s[0:1], s0, v10
	v_ldexp_f32 v6, v6, v7
	v_cndmask_b32_e64 v6, 0, v6, s[0:1]
	s_mov_b32 s0, 0x42b17218
	v_mov_b32_e32 v7, 0x7f800000
	v_cmp_nlt_f32_e64 s[0:1], s0, v10
	v_cndmask_b32_e64 v6, v7, v6, s[0:1]
	v_fma_f32 v0, -v4, v6, v0
	v_bfe_u32 v4, v0, 16, 1
	s_movk_i32 s0, 0x7fff
	v_add3_u32 v4, v0, v4, s0
	v_lshrrev_b32_e32 v4, 16, v4
	v_mov_b32_e32 v6, 0x7fc0
	v_cmp_o_f32_e64 s[0:1], v0, v0
	v_cndmask_b32_e64 v0, v6, v4, s[0:1]
	global_store_short v[2:3], v0, off
.LBB312_7:
	s_or_b64 exec, exec, s[2:3]
	v_cmp_ne_u32_e64 s[0:1], 1, v8
	s_and_b64 exec, exec, s[0:1]
	s_cbranch_execz .LBB312_10
; %bb.8:
	s_and_b64 exec, exec, vcc
	s_cbranch_execz .LBB312_10
; %bb.9:
	v_mul_f32_e32 v0, 0x3fb8aa3b, v9
	s_mov_b32 s0, 0x3fb8aa3b
	v_rndne_f32_e32 v4, v0
	v_sub_f32_e32 v6, v0, v4
	v_fma_f32 v0, v9, s0, -v0
	v_fmac_f32_e32 v0, 0x32a5705f, v9
	v_add_f32_e32 v0, v6, v0
	v_exp_f32_e32 v0, v0
	v_cvt_i32_f32_e32 v4, v4
	s_mov_b32 s0, 0xc2ce8ed0
	v_cmp_ngt_f32_e32 vcc, s0, v9
	s_mov_b32 s0, 0x42b17218
	v_ldexp_f32 v0, v0, v4
	v_cndmask_b32_e32 v0, 0, v0, vcc
	v_mov_b32_e32 v4, 0x7f800000
	v_cmp_nlt_f32_e32 vcc, s0, v9
	v_cndmask_b32_e32 v0, v4, v0, vcc
	v_fma_f32 v0, -v5, v0, v1
	v_bfe_u32 v1, v0, 16, 1
	s_movk_i32 s0, 0x7fff
	v_add3_u32 v1, v0, v1, s0
	v_lshrrev_b32_e32 v1, 16, v1
	v_mov_b32_e32 v4, 0x7fc0
	v_cmp_o_f32_e32 vcc, v0, v0
	s_lshl_b64 s[0:1], s[10:11], 1
	v_cndmask_b32_e32 v4, v4, v1, vcc
	v_mov_b32_e32 v1, s1
	v_add_co_u32_e32 v0, vcc, s0, v2
	v_addc_co_u32_e32 v1, vcc, v3, v1, vcc
	global_store_short v[0:1], v4, off
.LBB312_10:
	s_endpgm
	.section	.rodata,"a",@progbits
	.p2align	6, 0x0
	.amdhsa_kernel _ZN12_GLOBAL__N_121softmax_warp_backwardIN3c108BFloat16ES2_fLi6ELb1ELb0ELi64EEEvPT0_PKT_S7_iiiPKb
		.amdhsa_group_segment_fixed_size 0
		.amdhsa_private_segment_fixed_size 0
		.amdhsa_kernarg_size 304
		.amdhsa_user_sgpr_count 6
		.amdhsa_user_sgpr_private_segment_buffer 1
		.amdhsa_user_sgpr_dispatch_ptr 0
		.amdhsa_user_sgpr_queue_ptr 0
		.amdhsa_user_sgpr_kernarg_segment_ptr 1
		.amdhsa_user_sgpr_dispatch_id 0
		.amdhsa_user_sgpr_flat_scratch_init 0
		.amdhsa_user_sgpr_kernarg_preload_length 0
		.amdhsa_user_sgpr_kernarg_preload_offset 0
		.amdhsa_user_sgpr_private_segment_size 0
		.amdhsa_uses_dynamic_stack 0
		.amdhsa_system_sgpr_private_segment_wavefront_offset 0
		.amdhsa_system_sgpr_workgroup_id_x 1
		.amdhsa_system_sgpr_workgroup_id_y 0
		.amdhsa_system_sgpr_workgroup_id_z 0
		.amdhsa_system_sgpr_workgroup_info 0
		.amdhsa_system_vgpr_workitem_id 1
		.amdhsa_next_free_vgpr 14
		.amdhsa_next_free_sgpr 16
		.amdhsa_accum_offset 16
		.amdhsa_reserve_vcc 1
		.amdhsa_reserve_flat_scratch 0
		.amdhsa_float_round_mode_32 0
		.amdhsa_float_round_mode_16_64 0
		.amdhsa_float_denorm_mode_32 3
		.amdhsa_float_denorm_mode_16_64 3
		.amdhsa_dx10_clamp 1
		.amdhsa_ieee_mode 1
		.amdhsa_fp16_overflow 0
		.amdhsa_tg_split 0
		.amdhsa_exception_fp_ieee_invalid_op 0
		.amdhsa_exception_fp_denorm_src 0
		.amdhsa_exception_fp_ieee_div_zero 0
		.amdhsa_exception_fp_ieee_overflow 0
		.amdhsa_exception_fp_ieee_underflow 0
		.amdhsa_exception_fp_ieee_inexact 0
		.amdhsa_exception_int_div_zero 0
	.end_amdhsa_kernel
	.section	.text._ZN12_GLOBAL__N_121softmax_warp_backwardIN3c108BFloat16ES2_fLi6ELb1ELb0ELi64EEEvPT0_PKT_S7_iiiPKb,"axG",@progbits,_ZN12_GLOBAL__N_121softmax_warp_backwardIN3c108BFloat16ES2_fLi6ELb1ELb0ELi64EEEvPT0_PKT_S7_iiiPKb,comdat
.Lfunc_end312:
	.size	_ZN12_GLOBAL__N_121softmax_warp_backwardIN3c108BFloat16ES2_fLi6ELb1ELb0ELi64EEEvPT0_PKT_S7_iiiPKb, .Lfunc_end312-_ZN12_GLOBAL__N_121softmax_warp_backwardIN3c108BFloat16ES2_fLi6ELb1ELb0ELi64EEEvPT0_PKT_S7_iiiPKb
                                        ; -- End function
	.section	.AMDGPU.csdata,"",@progbits
; Kernel info:
; codeLenInByte = 1052
; NumSgprs: 20
; NumVgprs: 14
; NumAgprs: 0
; TotalNumVgprs: 14
; ScratchSize: 0
; MemoryBound: 0
; FloatMode: 240
; IeeeMode: 1
; LDSByteSize: 0 bytes/workgroup (compile time only)
; SGPRBlocks: 2
; VGPRBlocks: 1
; NumSGPRsForWavesPerEU: 20
; NumVGPRsForWavesPerEU: 14
; AccumOffset: 16
; Occupancy: 8
; WaveLimiterHint : 0
; COMPUTE_PGM_RSRC2:SCRATCH_EN: 0
; COMPUTE_PGM_RSRC2:USER_SGPR: 6
; COMPUTE_PGM_RSRC2:TRAP_HANDLER: 0
; COMPUTE_PGM_RSRC2:TGID_X_EN: 1
; COMPUTE_PGM_RSRC2:TGID_Y_EN: 0
; COMPUTE_PGM_RSRC2:TGID_Z_EN: 0
; COMPUTE_PGM_RSRC2:TIDIG_COMP_CNT: 1
; COMPUTE_PGM_RSRC3_GFX90A:ACCUM_OFFSET: 3
; COMPUTE_PGM_RSRC3_GFX90A:TG_SPLIT: 0
	.section	.text._ZN12_GLOBAL__N_121softmax_warp_backwardIN3c108BFloat16ES2_fLi6ELb1ELb0ELi32EEEvPT0_PKT_S7_iiiPKb,"axG",@progbits,_ZN12_GLOBAL__N_121softmax_warp_backwardIN3c108BFloat16ES2_fLi6ELb1ELb0ELi32EEEvPT0_PKT_S7_iiiPKb,comdat
	.globl	_ZN12_GLOBAL__N_121softmax_warp_backwardIN3c108BFloat16ES2_fLi6ELb1ELb0ELi32EEEvPT0_PKT_S7_iiiPKb ; -- Begin function _ZN12_GLOBAL__N_121softmax_warp_backwardIN3c108BFloat16ES2_fLi6ELb1ELb0ELi32EEEvPT0_PKT_S7_iiiPKb
	.p2align	8
	.type	_ZN12_GLOBAL__N_121softmax_warp_backwardIN3c108BFloat16ES2_fLi6ELb1ELb0ELi32EEEvPT0_PKT_S7_iiiPKb,@function
_ZN12_GLOBAL__N_121softmax_warp_backwardIN3c108BFloat16ES2_fLi6ELb1ELb0ELi32EEEvPT0_PKT_S7_iiiPKb: ; @_ZN12_GLOBAL__N_121softmax_warp_backwardIN3c108BFloat16ES2_fLi6ELb1ELb0ELi32EEEvPT0_PKT_S7_iiiPKb
; %bb.0:
	s_load_dword s2, s[4:5], 0x3c
	s_load_dwordx4 s[8:11], s[4:5], 0x18
	s_load_dwordx4 s[12:15], s[4:5], 0x0
	s_load_dwordx2 s[0:1], s[4:5], 0x10
	v_bfe_u32 v1, v0, 10, 10
	s_waitcnt lgkmcnt(0)
	s_lshr_b32 s2, s2, 16
	s_mul_i32 s6, s6, s2
	v_add_lshl_u32 v1, s6, v1, 1
	v_and_b32_e32 v0, 31, v0
	v_mad_u64_u32 v[2:3], s[2:3], v1, s9, v[0:1]
	v_ashrrev_i32_e32 v3, 31, v2
	v_lshlrev_b64 v[4:5], 1, v[2:3]
	v_sub_u32_e32 v10, s8, v1
	v_mov_b32_e32 v1, s15
	v_add_co_u32_e32 v6, vcc, s14, v4
	v_addc_co_u32_e32 v7, vcc, v1, v5, vcc
	v_mov_b32_e32 v1, s1
	v_add_co_u32_e32 v8, vcc, s0, v4
	v_cmp_lt_i32_e64 s[2:3], 0, v10
	v_cmp_gt_i32_e64 s[0:1], s10, v0
	v_addc_co_u32_e32 v9, vcc, v1, v5, vcc
	s_and_b64 s[6:7], s[2:3], s[0:1]
	v_mov_b32_e32 v12, 0
	v_mov_b32_e32 v14, 0
	;; [unrolled: 1-line block ×3, first 2 shown]
	s_and_saveexec_b64 s[4:5], s[6:7]
	s_cbranch_execz .LBB313_2
; %bb.1:
	global_load_ushort v1, v[8:9], off
	global_load_ushort v2, v[6:7], off
	s_waitcnt vmcnt(1)
	v_lshlrev_b32_e32 v14, 16, v1
	s_waitcnt vmcnt(0)
	v_lshlrev_b32_e32 v2, 16, v2
.LBB313_2:
	s_or_b64 exec, exec, s[4:5]
	v_or_b32_e32 v0, 32, v0
	v_cmp_gt_i32_e32 vcc, s10, v0
	s_and_b64 s[6:7], s[2:3], vcc
	v_mov_b32_e32 v0, 0
	s_and_saveexec_b64 s[4:5], s[6:7]
	s_cbranch_execz .LBB313_4
; %bb.3:
	global_load_ushort v0, v[8:9], off offset:64
	global_load_ushort v1, v[6:7], off offset:64
	s_waitcnt vmcnt(1)
	v_lshlrev_b32_e32 v12, 16, v0
	s_waitcnt vmcnt(0)
	v_lshlrev_b32_e32 v0, 16, v1
.LBB313_4:
	s_or_b64 exec, exec, s[4:5]
	v_cmp_lt_i32_e64 s[4:5], 1, v10
	s_and_b64 s[6:7], s[4:5], s[0:1]
	s_mov_b32 s11, 0
	v_mov_b32_e32 v11, 0
	v_mov_b32_e32 v13, 0
	;; [unrolled: 1-line block ×3, first 2 shown]
	s_and_saveexec_b64 s[8:9], s[6:7]
	s_cbranch_execz .LBB313_6
; %bb.5:
	s_lshl_b64 s[14:15], s[10:11], 1
	v_mov_b32_e32 v1, s15
	v_add_co_u32_e64 v16, s[6:7], s14, v6
	v_addc_co_u32_e64 v17, s[6:7], v7, v1, s[6:7]
	v_add_co_u32_e64 v18, s[6:7], s14, v8
	v_addc_co_u32_e64 v19, s[6:7], v9, v1, s[6:7]
	global_load_ushort v1, v[18:19], off
	global_load_ushort v3, v[16:17], off
	s_waitcnt vmcnt(1)
	v_lshlrev_b32_e32 v13, 16, v1
	s_waitcnt vmcnt(0)
	v_lshlrev_b32_e32 v3, 16, v3
.LBB313_6:
	s_or_b64 exec, exec, s[8:9]
	s_and_b64 s[4:5], s[4:5], vcc
	v_mov_b32_e32 v1, 0
	s_and_saveexec_b64 s[6:7], s[4:5]
	s_cbranch_execz .LBB313_8
; %bb.7:
	s_lshl_b64 s[8:9], s[10:11], 1
	v_mov_b32_e32 v1, s9
	v_add_co_u32_e64 v6, s[4:5], s8, v6
	v_addc_co_u32_e64 v7, s[4:5], v7, v1, s[4:5]
	v_add_co_u32_e64 v8, s[4:5], s8, v8
	v_addc_co_u32_e64 v9, s[4:5], v9, v1, s[4:5]
	global_load_ushort v1, v[8:9], off offset:64
	global_load_ushort v15, v[6:7], off offset:64
	s_waitcnt vmcnt(1)
	v_lshlrev_b32_e32 v11, 16, v1
	s_waitcnt vmcnt(0)
	v_lshlrev_b32_e32 v1, 16, v15
.LBB313_8:
	s_or_b64 exec, exec, s[6:7]
	v_mbcnt_lo_u32_b32 v8, -1, 0
	v_mbcnt_hi_u32_b32 v15, -1, v8
	v_and_b32_e32 v8, 0x60, v15
	v_add_u32_e32 v16, 32, v8
	v_xor_b32_e32 v8, 16, v15
	v_cmp_lt_i32_e64 s[4:5], v8, v16
	v_pk_add_f32 v[6:7], v[2:3], 0 op_sel_hi:[1,0]
	v_cndmask_b32_e64 v8, v15, v8, s[4:5]
	v_lshlrev_b32_e32 v9, 2, v8
	v_pk_add_f32 v[6:7], v[6:7], v[0:1]
	ds_bpermute_b32 v8, v9, v6
	ds_bpermute_b32 v9, v9, v7
	v_xor_b32_e32 v17, 8, v15
	v_cmp_lt_i32_e64 s[4:5], v17, v16
	v_cndmask_b32_e64 v17, v15, v17, s[4:5]
	v_lshlrev_b32_e32 v17, 2, v17
	s_waitcnt lgkmcnt(0)
	v_pk_add_f32 v[6:7], v[6:7], v[8:9]
	ds_bpermute_b32 v8, v17, v6
	ds_bpermute_b32 v9, v17, v7
	v_xor_b32_e32 v17, 4, v15
	v_cmp_lt_i32_e64 s[4:5], v17, v16
	v_cndmask_b32_e64 v17, v15, v17, s[4:5]
	v_lshlrev_b32_e32 v17, 2, v17
	s_waitcnt lgkmcnt(0)
	;; [unrolled: 8-line block ×4, first 2 shown]
	v_pk_add_f32 v[6:7], v[6:7], v[8:9]
	ds_bpermute_b32 v8, v15, v6
	ds_bpermute_b32 v9, v15, v7
	s_and_saveexec_b64 s[4:5], s[2:3]
	s_cbranch_execz .LBB313_12
; %bb.9:
	v_mov_b32_e32 v15, s13
	v_add_co_u32_e64 v4, s[2:3], s12, v4
	v_addc_co_u32_e64 v5, s[2:3], v15, v5, s[2:3]
	s_waitcnt lgkmcnt(0)
	v_pk_add_f32 v[6:7], v[6:7], v[8:9]
	s_and_saveexec_b64 s[4:5], s[0:1]
	s_cbranch_execnz .LBB313_13
; %bb.10:
	s_or_b64 exec, exec, s[4:5]
	s_and_saveexec_b64 s[4:5], vcc
	s_cbranch_execnz .LBB313_14
.LBB313_11:
	s_or_b64 exec, exec, s[4:5]
	v_cmp_ne_u32_e64 s[2:3], 1, v10
	s_and_b64 exec, exec, s[2:3]
	s_cbranch_execnz .LBB313_15
.LBB313_12:
	s_endpgm
.LBB313_13:
	v_mul_f32_e32 v8, 0x3fb8aa3b, v14
	s_mov_b32 s2, 0x3fb8aa3b
	v_rndne_f32_e32 v9, v8
	v_sub_f32_e32 v15, v8, v9
	v_fma_f32 v8, v14, s2, -v8
	v_fmac_f32_e32 v8, 0x32a5705f, v14
	v_add_f32_e32 v8, v15, v8
	v_exp_f32_e32 v8, v8
	v_cvt_i32_f32_e32 v9, v9
	s_mov_b32 s2, 0xc2ce8ed0
	v_cmp_ngt_f32_e64 s[2:3], s2, v14
	v_ldexp_f32 v8, v8, v9
	v_cndmask_b32_e64 v8, 0, v8, s[2:3]
	s_mov_b32 s2, 0x42b17218
	v_mov_b32_e32 v9, 0x7f800000
	v_cmp_nlt_f32_e64 s[2:3], s2, v14
	v_cndmask_b32_e64 v8, v9, v8, s[2:3]
	v_fma_f32 v2, -v6, v8, v2
	v_bfe_u32 v8, v2, 16, 1
	s_movk_i32 s2, 0x7fff
	v_add3_u32 v8, v2, v8, s2
	v_lshrrev_b32_e32 v8, 16, v8
	v_mov_b32_e32 v9, 0x7fc0
	v_cmp_o_f32_e64 s[2:3], v2, v2
	v_cndmask_b32_e64 v2, v9, v8, s[2:3]
	global_store_short v[4:5], v2, off
	s_or_b64 exec, exec, s[4:5]
	s_and_saveexec_b64 s[4:5], vcc
	s_cbranch_execz .LBB313_11
.LBB313_14:
	v_mul_f32_e32 v2, 0x3fb8aa3b, v12
	s_mov_b32 s2, 0x3fb8aa3b
	v_rndne_f32_e32 v8, v2
	v_sub_f32_e32 v9, v2, v8
	v_fma_f32 v2, v12, s2, -v2
	v_fmac_f32_e32 v2, 0x32a5705f, v12
	v_add_f32_e32 v2, v9, v2
	v_exp_f32_e32 v2, v2
	v_cvt_i32_f32_e32 v8, v8
	s_mov_b32 s2, 0xc2ce8ed0
	v_cmp_ngt_f32_e64 s[2:3], s2, v12
	v_ldexp_f32 v2, v2, v8
	v_cndmask_b32_e64 v2, 0, v2, s[2:3]
	s_mov_b32 s2, 0x42b17218
	v_mov_b32_e32 v8, 0x7f800000
	v_cmp_nlt_f32_e64 s[2:3], s2, v12
	v_cndmask_b32_e64 v2, v8, v2, s[2:3]
	v_fma_f32 v0, -v6, v2, v0
	v_bfe_u32 v2, v0, 16, 1
	s_movk_i32 s2, 0x7fff
	v_add3_u32 v2, v0, v2, s2
	v_lshrrev_b32_e32 v2, 16, v2
	v_mov_b32_e32 v6, 0x7fc0
	v_cmp_o_f32_e64 s[2:3], v0, v0
	v_cndmask_b32_e64 v0, v6, v2, s[2:3]
	global_store_short v[4:5], v0, off offset:64
	s_or_b64 exec, exec, s[4:5]
	v_cmp_ne_u32_e64 s[2:3], 1, v10
	s_and_b64 exec, exec, s[2:3]
	s_cbranch_execz .LBB313_12
.LBB313_15:
	s_and_saveexec_b64 s[2:3], s[0:1]
	s_cbranch_execz .LBB313_17
; %bb.16:
	v_mul_f32_e32 v0, 0x3fb8aa3b, v13
	s_mov_b32 s0, 0x3fb8aa3b
	v_rndne_f32_e32 v2, v0
	v_sub_f32_e32 v6, v0, v2
	v_fma_f32 v0, v13, s0, -v0
	v_fmac_f32_e32 v0, 0x32a5705f, v13
	v_add_f32_e32 v0, v6, v0
	v_exp_f32_e32 v0, v0
	v_cvt_i32_f32_e32 v2, v2
	s_mov_b32 s0, 0xc2ce8ed0
	v_cmp_ngt_f32_e64 s[0:1], s0, v13
	v_ldexp_f32 v0, v0, v2
	v_cndmask_b32_e64 v0, 0, v0, s[0:1]
	s_mov_b32 s0, 0x42b17218
	v_mov_b32_e32 v2, 0x7f800000
	v_cmp_nlt_f32_e64 s[0:1], s0, v13
	v_cndmask_b32_e64 v0, v2, v0, s[0:1]
	v_fma_f32 v0, -v7, v0, v3
	v_bfe_u32 v2, v0, 16, 1
	s_movk_i32 s0, 0x7fff
	v_add3_u32 v2, v0, v2, s0
	v_lshrrev_b32_e32 v2, 16, v2
	v_mov_b32_e32 v3, 0x7fc0
	v_cmp_o_f32_e64 s[0:1], v0, v0
	v_cndmask_b32_e64 v0, v3, v2, s[0:1]
	s_lshl_b64 s[0:1], s[10:11], 1
	v_mov_b32_e32 v3, s1
	v_add_co_u32_e64 v2, s[0:1], s0, v4
	v_addc_co_u32_e64 v3, s[0:1], v5, v3, s[0:1]
	global_store_short v[2:3], v0, off
.LBB313_17:
	s_or_b64 exec, exec, s[2:3]
	s_and_b64 exec, exec, vcc
	s_cbranch_execz .LBB313_12
; %bb.18:
	v_mul_f32_e32 v0, 0x3fb8aa3b, v11
	s_mov_b32 s0, 0x3fb8aa3b
	v_rndne_f32_e32 v2, v0
	v_sub_f32_e32 v3, v0, v2
	v_fma_f32 v0, v11, s0, -v0
	v_fmac_f32_e32 v0, 0x32a5705f, v11
	v_add_f32_e32 v0, v3, v0
	v_exp_f32_e32 v0, v0
	v_cvt_i32_f32_e32 v2, v2
	s_mov_b32 s0, 0xc2ce8ed0
	v_cmp_ngt_f32_e32 vcc, s0, v11
	s_mov_b32 s0, 0x42b17218
	v_ldexp_f32 v0, v0, v2
	v_cndmask_b32_e32 v0, 0, v0, vcc
	v_mov_b32_e32 v2, 0x7f800000
	v_cmp_nlt_f32_e32 vcc, s0, v11
	v_cndmask_b32_e32 v0, v2, v0, vcc
	v_fma_f32 v0, -v7, v0, v1
	v_bfe_u32 v1, v0, 16, 1
	s_movk_i32 s0, 0x7fff
	v_add3_u32 v1, v0, v1, s0
	s_ashr_i32 s11, s10, 31
	v_lshrrev_b32_e32 v1, 16, v1
	v_mov_b32_e32 v2, 0x7fc0
	v_cmp_o_f32_e32 vcc, v0, v0
	s_lshl_b64 s[0:1], s[10:11], 1
	v_cndmask_b32_e32 v2, v2, v1, vcc
	v_mov_b32_e32 v1, s1
	v_add_co_u32_e32 v0, vcc, s0, v4
	v_addc_co_u32_e32 v1, vcc, v5, v1, vcc
	global_store_short v[0:1], v2, off offset:64
	s_endpgm
	.section	.rodata,"a",@progbits
	.p2align	6, 0x0
	.amdhsa_kernel _ZN12_GLOBAL__N_121softmax_warp_backwardIN3c108BFloat16ES2_fLi6ELb1ELb0ELi32EEEvPT0_PKT_S7_iiiPKb
		.amdhsa_group_segment_fixed_size 0
		.amdhsa_private_segment_fixed_size 0
		.amdhsa_kernarg_size 304
		.amdhsa_user_sgpr_count 6
		.amdhsa_user_sgpr_private_segment_buffer 1
		.amdhsa_user_sgpr_dispatch_ptr 0
		.amdhsa_user_sgpr_queue_ptr 0
		.amdhsa_user_sgpr_kernarg_segment_ptr 1
		.amdhsa_user_sgpr_dispatch_id 0
		.amdhsa_user_sgpr_flat_scratch_init 0
		.amdhsa_user_sgpr_kernarg_preload_length 0
		.amdhsa_user_sgpr_kernarg_preload_offset 0
		.amdhsa_user_sgpr_private_segment_size 0
		.amdhsa_uses_dynamic_stack 0
		.amdhsa_system_sgpr_private_segment_wavefront_offset 0
		.amdhsa_system_sgpr_workgroup_id_x 1
		.amdhsa_system_sgpr_workgroup_id_y 0
		.amdhsa_system_sgpr_workgroup_id_z 0
		.amdhsa_system_sgpr_workgroup_info 0
		.amdhsa_system_vgpr_workitem_id 1
		.amdhsa_next_free_vgpr 20
		.amdhsa_next_free_sgpr 16
		.amdhsa_accum_offset 20
		.amdhsa_reserve_vcc 1
		.amdhsa_reserve_flat_scratch 0
		.amdhsa_float_round_mode_32 0
		.amdhsa_float_round_mode_16_64 0
		.amdhsa_float_denorm_mode_32 3
		.amdhsa_float_denorm_mode_16_64 3
		.amdhsa_dx10_clamp 1
		.amdhsa_ieee_mode 1
		.amdhsa_fp16_overflow 0
		.amdhsa_tg_split 0
		.amdhsa_exception_fp_ieee_invalid_op 0
		.amdhsa_exception_fp_denorm_src 0
		.amdhsa_exception_fp_ieee_div_zero 0
		.amdhsa_exception_fp_ieee_overflow 0
		.amdhsa_exception_fp_ieee_underflow 0
		.amdhsa_exception_fp_ieee_inexact 0
		.amdhsa_exception_int_div_zero 0
	.end_amdhsa_kernel
	.section	.text._ZN12_GLOBAL__N_121softmax_warp_backwardIN3c108BFloat16ES2_fLi6ELb1ELb0ELi32EEEvPT0_PKT_S7_iiiPKb,"axG",@progbits,_ZN12_GLOBAL__N_121softmax_warp_backwardIN3c108BFloat16ES2_fLi6ELb1ELb0ELi32EEEvPT0_PKT_S7_iiiPKb,comdat
.Lfunc_end313:
	.size	_ZN12_GLOBAL__N_121softmax_warp_backwardIN3c108BFloat16ES2_fLi6ELb1ELb0ELi32EEEvPT0_PKT_S7_iiiPKb, .Lfunc_end313-_ZN12_GLOBAL__N_121softmax_warp_backwardIN3c108BFloat16ES2_fLi6ELb1ELb0ELi32EEEvPT0_PKT_S7_iiiPKb
                                        ; -- End function
	.section	.AMDGPU.csdata,"",@progbits
; Kernel info:
; codeLenInByte = 1624
; NumSgprs: 20
; NumVgprs: 20
; NumAgprs: 0
; TotalNumVgprs: 20
; ScratchSize: 0
; MemoryBound: 0
; FloatMode: 240
; IeeeMode: 1
; LDSByteSize: 0 bytes/workgroup (compile time only)
; SGPRBlocks: 2
; VGPRBlocks: 2
; NumSGPRsForWavesPerEU: 20
; NumVGPRsForWavesPerEU: 20
; AccumOffset: 20
; Occupancy: 8
; WaveLimiterHint : 0
; COMPUTE_PGM_RSRC2:SCRATCH_EN: 0
; COMPUTE_PGM_RSRC2:USER_SGPR: 6
; COMPUTE_PGM_RSRC2:TRAP_HANDLER: 0
; COMPUTE_PGM_RSRC2:TGID_X_EN: 1
; COMPUTE_PGM_RSRC2:TGID_Y_EN: 0
; COMPUTE_PGM_RSRC2:TGID_Z_EN: 0
; COMPUTE_PGM_RSRC2:TIDIG_COMP_CNT: 1
; COMPUTE_PGM_RSRC3_GFX90A:ACCUM_OFFSET: 4
; COMPUTE_PGM_RSRC3_GFX90A:TG_SPLIT: 0
	.section	.text._ZN12_GLOBAL__N_121softmax_warp_backwardIN3c108BFloat16ES2_fLi7ELb1ELb0ELi64EEEvPT0_PKT_S7_iiiPKb,"axG",@progbits,_ZN12_GLOBAL__N_121softmax_warp_backwardIN3c108BFloat16ES2_fLi7ELb1ELb0ELi64EEEvPT0_PKT_S7_iiiPKb,comdat
	.globl	_ZN12_GLOBAL__N_121softmax_warp_backwardIN3c108BFloat16ES2_fLi7ELb1ELb0ELi64EEEvPT0_PKT_S7_iiiPKb ; -- Begin function _ZN12_GLOBAL__N_121softmax_warp_backwardIN3c108BFloat16ES2_fLi7ELb1ELb0ELi64EEEvPT0_PKT_S7_iiiPKb
	.p2align	8
	.type	_ZN12_GLOBAL__N_121softmax_warp_backwardIN3c108BFloat16ES2_fLi7ELb1ELb0ELi64EEEvPT0_PKT_S7_iiiPKb,@function
_ZN12_GLOBAL__N_121softmax_warp_backwardIN3c108BFloat16ES2_fLi7ELb1ELb0ELi64EEEvPT0_PKT_S7_iiiPKb: ; @_ZN12_GLOBAL__N_121softmax_warp_backwardIN3c108BFloat16ES2_fLi7ELb1ELb0ELi64EEEvPT0_PKT_S7_iiiPKb
; %bb.0:
	s_load_dword s2, s[4:5], 0x3c
	s_load_dwordx4 s[8:11], s[4:5], 0x18
	s_load_dwordx4 s[12:15], s[4:5], 0x0
	s_load_dwordx2 s[0:1], s[4:5], 0x10
	v_bfe_u32 v1, v0, 10, 10
	s_waitcnt lgkmcnt(0)
	s_lshr_b32 s2, s2, 16
	s_mul_i32 s6, s6, s2
	v_add_lshl_u32 v1, s6, v1, 1
	v_and_b32_e32 v0, 63, v0
	v_mad_u64_u32 v[2:3], s[2:3], v1, s9, v[0:1]
	v_ashrrev_i32_e32 v3, 31, v2
	v_lshlrev_b64 v[4:5], 1, v[2:3]
	v_sub_u32_e32 v10, s8, v1
	v_mov_b32_e32 v1, s15
	v_add_co_u32_e32 v6, vcc, s14, v4
	v_addc_co_u32_e32 v7, vcc, v1, v5, vcc
	v_mov_b32_e32 v1, s1
	v_add_co_u32_e32 v8, vcc, s0, v4
	v_cmp_lt_i32_e64 s[2:3], 0, v10
	v_cmp_gt_i32_e64 s[0:1], s10, v0
	v_addc_co_u32_e32 v9, vcc, v1, v5, vcc
	s_and_b64 s[6:7], s[2:3], s[0:1]
	v_mov_b32_e32 v12, 0
	v_mov_b32_e32 v14, 0
	v_mov_b32_e32 v2, 0
	s_and_saveexec_b64 s[4:5], s[6:7]
	s_cbranch_execz .LBB314_2
; %bb.1:
	global_load_ushort v1, v[8:9], off
	global_load_ushort v2, v[6:7], off
	s_waitcnt vmcnt(1)
	v_lshlrev_b32_e32 v14, 16, v1
	s_waitcnt vmcnt(0)
	v_lshlrev_b32_e32 v2, 16, v2
.LBB314_2:
	s_or_b64 exec, exec, s[4:5]
	v_or_b32_e32 v0, 64, v0
	v_cmp_gt_i32_e32 vcc, s10, v0
	s_and_b64 s[6:7], s[2:3], vcc
	v_mov_b32_e32 v0, 0
	s_and_saveexec_b64 s[4:5], s[6:7]
	s_cbranch_execz .LBB314_4
; %bb.3:
	global_load_ushort v0, v[8:9], off offset:128
	global_load_ushort v1, v[6:7], off offset:128
	s_waitcnt vmcnt(1)
	v_lshlrev_b32_e32 v12, 16, v0
	s_waitcnt vmcnt(0)
	v_lshlrev_b32_e32 v0, 16, v1
.LBB314_4:
	s_or_b64 exec, exec, s[4:5]
	v_cmp_lt_i32_e64 s[4:5], 1, v10
	s_and_b64 s[6:7], s[4:5], s[0:1]
	s_mov_b32 s11, 0
	v_mov_b32_e32 v11, 0
	v_mov_b32_e32 v13, 0
	;; [unrolled: 1-line block ×3, first 2 shown]
	s_and_saveexec_b64 s[8:9], s[6:7]
	s_cbranch_execz .LBB314_6
; %bb.5:
	s_lshl_b64 s[14:15], s[10:11], 1
	v_mov_b32_e32 v1, s15
	v_add_co_u32_e64 v16, s[6:7], s14, v6
	v_addc_co_u32_e64 v17, s[6:7], v7, v1, s[6:7]
	v_add_co_u32_e64 v18, s[6:7], s14, v8
	v_addc_co_u32_e64 v19, s[6:7], v9, v1, s[6:7]
	global_load_ushort v1, v[18:19], off
	global_load_ushort v3, v[16:17], off
	s_waitcnt vmcnt(1)
	v_lshlrev_b32_e32 v13, 16, v1
	s_waitcnt vmcnt(0)
	v_lshlrev_b32_e32 v3, 16, v3
.LBB314_6:
	s_or_b64 exec, exec, s[8:9]
	s_and_b64 s[4:5], s[4:5], vcc
	v_mov_b32_e32 v1, 0
	s_and_saveexec_b64 s[6:7], s[4:5]
	s_cbranch_execz .LBB314_8
; %bb.7:
	s_lshl_b64 s[8:9], s[10:11], 1
	v_mov_b32_e32 v1, s9
	v_add_co_u32_e64 v6, s[4:5], s8, v6
	v_addc_co_u32_e64 v7, s[4:5], v7, v1, s[4:5]
	v_add_co_u32_e64 v8, s[4:5], s8, v8
	v_addc_co_u32_e64 v9, s[4:5], v9, v1, s[4:5]
	global_load_ushort v1, v[8:9], off offset:128
	global_load_ushort v15, v[6:7], off offset:128
	s_waitcnt vmcnt(1)
	v_lshlrev_b32_e32 v11, 16, v1
	s_waitcnt vmcnt(0)
	v_lshlrev_b32_e32 v1, 16, v15
.LBB314_8:
	s_or_b64 exec, exec, s[6:7]
	v_mbcnt_lo_u32_b32 v8, -1, 0
	v_mbcnt_hi_u32_b32 v15, -1, v8
	v_and_b32_e32 v8, 64, v15
	v_add_u32_e32 v16, 64, v8
	v_xor_b32_e32 v8, 32, v15
	v_cmp_lt_i32_e64 s[4:5], v8, v16
	v_pk_add_f32 v[6:7], v[2:3], 0 op_sel_hi:[1,0]
	v_cndmask_b32_e64 v8, v15, v8, s[4:5]
	v_lshlrev_b32_e32 v9, 2, v8
	v_pk_add_f32 v[6:7], v[6:7], v[0:1]
	ds_bpermute_b32 v8, v9, v6
	ds_bpermute_b32 v9, v9, v7
	v_xor_b32_e32 v17, 16, v15
	v_cmp_lt_i32_e64 s[4:5], v17, v16
	v_cndmask_b32_e64 v17, v15, v17, s[4:5]
	v_lshlrev_b32_e32 v17, 2, v17
	s_waitcnt lgkmcnt(0)
	v_pk_add_f32 v[6:7], v[6:7], v[8:9]
	ds_bpermute_b32 v8, v17, v6
	ds_bpermute_b32 v9, v17, v7
	v_xor_b32_e32 v17, 8, v15
	v_cmp_lt_i32_e64 s[4:5], v17, v16
	v_cndmask_b32_e64 v17, v15, v17, s[4:5]
	v_lshlrev_b32_e32 v17, 2, v17
	s_waitcnt lgkmcnt(0)
	;; [unrolled: 8-line block ×5, first 2 shown]
	v_pk_add_f32 v[6:7], v[6:7], v[8:9]
	ds_bpermute_b32 v8, v15, v6
	ds_bpermute_b32 v9, v15, v7
	s_and_saveexec_b64 s[4:5], s[2:3]
	s_cbranch_execz .LBB314_12
; %bb.9:
	v_mov_b32_e32 v15, s13
	v_add_co_u32_e64 v4, s[2:3], s12, v4
	v_addc_co_u32_e64 v5, s[2:3], v15, v5, s[2:3]
	s_waitcnt lgkmcnt(0)
	v_pk_add_f32 v[6:7], v[6:7], v[8:9]
	s_and_saveexec_b64 s[4:5], s[0:1]
	s_cbranch_execnz .LBB314_13
; %bb.10:
	s_or_b64 exec, exec, s[4:5]
	s_and_saveexec_b64 s[4:5], vcc
	s_cbranch_execnz .LBB314_14
.LBB314_11:
	s_or_b64 exec, exec, s[4:5]
	v_cmp_ne_u32_e64 s[2:3], 1, v10
	s_and_b64 exec, exec, s[2:3]
	s_cbranch_execnz .LBB314_15
.LBB314_12:
	s_endpgm
.LBB314_13:
	v_mul_f32_e32 v8, 0x3fb8aa3b, v14
	s_mov_b32 s2, 0x3fb8aa3b
	v_rndne_f32_e32 v9, v8
	v_sub_f32_e32 v15, v8, v9
	v_fma_f32 v8, v14, s2, -v8
	v_fmac_f32_e32 v8, 0x32a5705f, v14
	v_add_f32_e32 v8, v15, v8
	v_exp_f32_e32 v8, v8
	v_cvt_i32_f32_e32 v9, v9
	s_mov_b32 s2, 0xc2ce8ed0
	v_cmp_ngt_f32_e64 s[2:3], s2, v14
	v_ldexp_f32 v8, v8, v9
	v_cndmask_b32_e64 v8, 0, v8, s[2:3]
	s_mov_b32 s2, 0x42b17218
	v_mov_b32_e32 v9, 0x7f800000
	v_cmp_nlt_f32_e64 s[2:3], s2, v14
	v_cndmask_b32_e64 v8, v9, v8, s[2:3]
	v_fma_f32 v2, -v6, v8, v2
	v_bfe_u32 v8, v2, 16, 1
	s_movk_i32 s2, 0x7fff
	v_add3_u32 v8, v2, v8, s2
	v_lshrrev_b32_e32 v8, 16, v8
	v_mov_b32_e32 v9, 0x7fc0
	v_cmp_o_f32_e64 s[2:3], v2, v2
	v_cndmask_b32_e64 v2, v9, v8, s[2:3]
	global_store_short v[4:5], v2, off
	s_or_b64 exec, exec, s[4:5]
	s_and_saveexec_b64 s[4:5], vcc
	s_cbranch_execz .LBB314_11
.LBB314_14:
	v_mul_f32_e32 v2, 0x3fb8aa3b, v12
	s_mov_b32 s2, 0x3fb8aa3b
	v_rndne_f32_e32 v8, v2
	v_sub_f32_e32 v9, v2, v8
	v_fma_f32 v2, v12, s2, -v2
	v_fmac_f32_e32 v2, 0x32a5705f, v12
	v_add_f32_e32 v2, v9, v2
	v_exp_f32_e32 v2, v2
	v_cvt_i32_f32_e32 v8, v8
	s_mov_b32 s2, 0xc2ce8ed0
	v_cmp_ngt_f32_e64 s[2:3], s2, v12
	v_ldexp_f32 v2, v2, v8
	v_cndmask_b32_e64 v2, 0, v2, s[2:3]
	s_mov_b32 s2, 0x42b17218
	v_mov_b32_e32 v8, 0x7f800000
	v_cmp_nlt_f32_e64 s[2:3], s2, v12
	v_cndmask_b32_e64 v2, v8, v2, s[2:3]
	v_fma_f32 v0, -v6, v2, v0
	v_bfe_u32 v2, v0, 16, 1
	s_movk_i32 s2, 0x7fff
	v_add3_u32 v2, v0, v2, s2
	v_lshrrev_b32_e32 v2, 16, v2
	v_mov_b32_e32 v6, 0x7fc0
	v_cmp_o_f32_e64 s[2:3], v0, v0
	v_cndmask_b32_e64 v0, v6, v2, s[2:3]
	global_store_short v[4:5], v0, off offset:128
	s_or_b64 exec, exec, s[4:5]
	v_cmp_ne_u32_e64 s[2:3], 1, v10
	s_and_b64 exec, exec, s[2:3]
	s_cbranch_execz .LBB314_12
.LBB314_15:
	s_and_saveexec_b64 s[2:3], s[0:1]
	s_cbranch_execz .LBB314_17
; %bb.16:
	v_mul_f32_e32 v0, 0x3fb8aa3b, v13
	s_mov_b32 s0, 0x3fb8aa3b
	v_rndne_f32_e32 v2, v0
	v_sub_f32_e32 v6, v0, v2
	v_fma_f32 v0, v13, s0, -v0
	v_fmac_f32_e32 v0, 0x32a5705f, v13
	v_add_f32_e32 v0, v6, v0
	v_exp_f32_e32 v0, v0
	v_cvt_i32_f32_e32 v2, v2
	s_mov_b32 s0, 0xc2ce8ed0
	v_cmp_ngt_f32_e64 s[0:1], s0, v13
	v_ldexp_f32 v0, v0, v2
	v_cndmask_b32_e64 v0, 0, v0, s[0:1]
	s_mov_b32 s0, 0x42b17218
	v_mov_b32_e32 v2, 0x7f800000
	v_cmp_nlt_f32_e64 s[0:1], s0, v13
	v_cndmask_b32_e64 v0, v2, v0, s[0:1]
	v_fma_f32 v0, -v7, v0, v3
	v_bfe_u32 v2, v0, 16, 1
	s_movk_i32 s0, 0x7fff
	v_add3_u32 v2, v0, v2, s0
	v_lshrrev_b32_e32 v2, 16, v2
	v_mov_b32_e32 v3, 0x7fc0
	v_cmp_o_f32_e64 s[0:1], v0, v0
	v_cndmask_b32_e64 v0, v3, v2, s[0:1]
	s_lshl_b64 s[0:1], s[10:11], 1
	v_mov_b32_e32 v3, s1
	v_add_co_u32_e64 v2, s[0:1], s0, v4
	v_addc_co_u32_e64 v3, s[0:1], v5, v3, s[0:1]
	global_store_short v[2:3], v0, off
.LBB314_17:
	s_or_b64 exec, exec, s[2:3]
	s_and_b64 exec, exec, vcc
	s_cbranch_execz .LBB314_12
; %bb.18:
	v_mul_f32_e32 v0, 0x3fb8aa3b, v11
	s_mov_b32 s0, 0x3fb8aa3b
	v_rndne_f32_e32 v2, v0
	v_sub_f32_e32 v3, v0, v2
	v_fma_f32 v0, v11, s0, -v0
	v_fmac_f32_e32 v0, 0x32a5705f, v11
	v_add_f32_e32 v0, v3, v0
	v_exp_f32_e32 v0, v0
	v_cvt_i32_f32_e32 v2, v2
	s_mov_b32 s0, 0xc2ce8ed0
	v_cmp_ngt_f32_e32 vcc, s0, v11
	s_mov_b32 s0, 0x42b17218
	v_ldexp_f32 v0, v0, v2
	v_cndmask_b32_e32 v0, 0, v0, vcc
	v_mov_b32_e32 v2, 0x7f800000
	v_cmp_nlt_f32_e32 vcc, s0, v11
	v_cndmask_b32_e32 v0, v2, v0, vcc
	v_fma_f32 v0, -v7, v0, v1
	v_bfe_u32 v1, v0, 16, 1
	s_movk_i32 s0, 0x7fff
	v_add3_u32 v1, v0, v1, s0
	s_ashr_i32 s11, s10, 31
	v_lshrrev_b32_e32 v1, 16, v1
	v_mov_b32_e32 v2, 0x7fc0
	v_cmp_o_f32_e32 vcc, v0, v0
	s_lshl_b64 s[0:1], s[10:11], 1
	v_cndmask_b32_e32 v2, v2, v1, vcc
	v_mov_b32_e32 v1, s1
	v_add_co_u32_e32 v0, vcc, s0, v4
	v_addc_co_u32_e32 v1, vcc, v5, v1, vcc
	global_store_short v[0:1], v2, off offset:128
	s_endpgm
	.section	.rodata,"a",@progbits
	.p2align	6, 0x0
	.amdhsa_kernel _ZN12_GLOBAL__N_121softmax_warp_backwardIN3c108BFloat16ES2_fLi7ELb1ELb0ELi64EEEvPT0_PKT_S7_iiiPKb
		.amdhsa_group_segment_fixed_size 0
		.amdhsa_private_segment_fixed_size 0
		.amdhsa_kernarg_size 304
		.amdhsa_user_sgpr_count 6
		.amdhsa_user_sgpr_private_segment_buffer 1
		.amdhsa_user_sgpr_dispatch_ptr 0
		.amdhsa_user_sgpr_queue_ptr 0
		.amdhsa_user_sgpr_kernarg_segment_ptr 1
		.amdhsa_user_sgpr_dispatch_id 0
		.amdhsa_user_sgpr_flat_scratch_init 0
		.amdhsa_user_sgpr_kernarg_preload_length 0
		.amdhsa_user_sgpr_kernarg_preload_offset 0
		.amdhsa_user_sgpr_private_segment_size 0
		.amdhsa_uses_dynamic_stack 0
		.amdhsa_system_sgpr_private_segment_wavefront_offset 0
		.amdhsa_system_sgpr_workgroup_id_x 1
		.amdhsa_system_sgpr_workgroup_id_y 0
		.amdhsa_system_sgpr_workgroup_id_z 0
		.amdhsa_system_sgpr_workgroup_info 0
		.amdhsa_system_vgpr_workitem_id 1
		.amdhsa_next_free_vgpr 20
		.amdhsa_next_free_sgpr 16
		.amdhsa_accum_offset 20
		.amdhsa_reserve_vcc 1
		.amdhsa_reserve_flat_scratch 0
		.amdhsa_float_round_mode_32 0
		.amdhsa_float_round_mode_16_64 0
		.amdhsa_float_denorm_mode_32 3
		.amdhsa_float_denorm_mode_16_64 3
		.amdhsa_dx10_clamp 1
		.amdhsa_ieee_mode 1
		.amdhsa_fp16_overflow 0
		.amdhsa_tg_split 0
		.amdhsa_exception_fp_ieee_invalid_op 0
		.amdhsa_exception_fp_denorm_src 0
		.amdhsa_exception_fp_ieee_div_zero 0
		.amdhsa_exception_fp_ieee_overflow 0
		.amdhsa_exception_fp_ieee_underflow 0
		.amdhsa_exception_fp_ieee_inexact 0
		.amdhsa_exception_int_div_zero 0
	.end_amdhsa_kernel
	.section	.text._ZN12_GLOBAL__N_121softmax_warp_backwardIN3c108BFloat16ES2_fLi7ELb1ELb0ELi64EEEvPT0_PKT_S7_iiiPKb,"axG",@progbits,_ZN12_GLOBAL__N_121softmax_warp_backwardIN3c108BFloat16ES2_fLi7ELb1ELb0ELi64EEEvPT0_PKT_S7_iiiPKb,comdat
.Lfunc_end314:
	.size	_ZN12_GLOBAL__N_121softmax_warp_backwardIN3c108BFloat16ES2_fLi7ELb1ELb0ELi64EEEvPT0_PKT_S7_iiiPKb, .Lfunc_end314-_ZN12_GLOBAL__N_121softmax_warp_backwardIN3c108BFloat16ES2_fLi7ELb1ELb0ELi64EEEvPT0_PKT_S7_iiiPKb
                                        ; -- End function
	.section	.AMDGPU.csdata,"",@progbits
; Kernel info:
; codeLenInByte = 1672
; NumSgprs: 20
; NumVgprs: 20
; NumAgprs: 0
; TotalNumVgprs: 20
; ScratchSize: 0
; MemoryBound: 0
; FloatMode: 240
; IeeeMode: 1
; LDSByteSize: 0 bytes/workgroup (compile time only)
; SGPRBlocks: 2
; VGPRBlocks: 2
; NumSGPRsForWavesPerEU: 20
; NumVGPRsForWavesPerEU: 20
; AccumOffset: 20
; Occupancy: 8
; WaveLimiterHint : 0
; COMPUTE_PGM_RSRC2:SCRATCH_EN: 0
; COMPUTE_PGM_RSRC2:USER_SGPR: 6
; COMPUTE_PGM_RSRC2:TRAP_HANDLER: 0
; COMPUTE_PGM_RSRC2:TGID_X_EN: 1
; COMPUTE_PGM_RSRC2:TGID_Y_EN: 0
; COMPUTE_PGM_RSRC2:TGID_Z_EN: 0
; COMPUTE_PGM_RSRC2:TIDIG_COMP_CNT: 1
; COMPUTE_PGM_RSRC3_GFX90A:ACCUM_OFFSET: 4
; COMPUTE_PGM_RSRC3_GFX90A:TG_SPLIT: 0
	.section	.text._ZN12_GLOBAL__N_121softmax_warp_backwardIN3c108BFloat16ES2_fLi7ELb1ELb0ELi32EEEvPT0_PKT_S7_iiiPKb,"axG",@progbits,_ZN12_GLOBAL__N_121softmax_warp_backwardIN3c108BFloat16ES2_fLi7ELb1ELb0ELi32EEEvPT0_PKT_S7_iiiPKb,comdat
	.globl	_ZN12_GLOBAL__N_121softmax_warp_backwardIN3c108BFloat16ES2_fLi7ELb1ELb0ELi32EEEvPT0_PKT_S7_iiiPKb ; -- Begin function _ZN12_GLOBAL__N_121softmax_warp_backwardIN3c108BFloat16ES2_fLi7ELb1ELb0ELi32EEEvPT0_PKT_S7_iiiPKb
	.p2align	8
	.type	_ZN12_GLOBAL__N_121softmax_warp_backwardIN3c108BFloat16ES2_fLi7ELb1ELb0ELi32EEEvPT0_PKT_S7_iiiPKb,@function
_ZN12_GLOBAL__N_121softmax_warp_backwardIN3c108BFloat16ES2_fLi7ELb1ELb0ELi32EEEvPT0_PKT_S7_iiiPKb: ; @_ZN12_GLOBAL__N_121softmax_warp_backwardIN3c108BFloat16ES2_fLi7ELb1ELb0ELi32EEEvPT0_PKT_S7_iiiPKb
; %bb.0:
	s_load_dword s2, s[4:5], 0x3c
	s_load_dwordx4 s[12:15], s[4:5], 0x18
	s_load_dwordx4 s[16:19], s[4:5], 0x0
	s_load_dwordx2 s[0:1], s[4:5], 0x10
	v_bfe_u32 v1, v0, 10, 10
	s_waitcnt lgkmcnt(0)
	s_lshr_b32 s2, s2, 16
	s_mul_i32 s6, s6, s2
	v_add_lshl_u32 v1, s6, v1, 1
	v_and_b32_e32 v0, 31, v0
	v_mad_u64_u32 v[2:3], s[2:3], v1, s13, v[0:1]
	v_ashrrev_i32_e32 v3, 31, v2
	v_lshlrev_b64 v[8:9], 1, v[2:3]
	v_sub_u32_e32 v16, s12, v1
	v_mov_b32_e32 v1, s19
	v_add_co_u32_e32 v10, vcc, s18, v8
	v_addc_co_u32_e32 v11, vcc, v1, v9, vcc
	v_mov_b32_e32 v1, s1
	v_add_co_u32_e32 v12, vcc, s0, v8
	v_cmp_lt_i32_e64 s[6:7], 0, v16
	v_cmp_gt_i32_e64 s[4:5], s14, v0
	v_addc_co_u32_e32 v13, vcc, v1, v9, vcc
	s_and_b64 s[2:3], s[6:7], s[4:5]
	v_mov_b32_e32 v22, 0
	v_mov_b32_e32 v24, 0
	;; [unrolled: 1-line block ×3, first 2 shown]
	s_and_saveexec_b64 s[0:1], s[2:3]
	s_cbranch_execz .LBB315_2
; %bb.1:
	global_load_ushort v1, v[12:13], off
	global_load_ushort v2, v[10:11], off
	s_waitcnt vmcnt(1)
	v_lshlrev_b32_e32 v24, 16, v1
	s_waitcnt vmcnt(0)
	v_lshlrev_b32_e32 v6, 16, v2
.LBB315_2:
	s_or_b64 exec, exec, s[0:1]
	v_or_b32_e32 v1, 32, v0
	v_cmp_gt_i32_e64 s[2:3], s14, v1
	s_and_b64 s[8:9], s[6:7], s[2:3]
	v_mov_b32_e32 v4, 0
	s_and_saveexec_b64 s[0:1], s[8:9]
	s_cbranch_execz .LBB315_4
; %bb.3:
	global_load_ushort v1, v[12:13], off offset:64
	global_load_ushort v2, v[10:11], off offset:64
	s_waitcnt vmcnt(1)
	v_lshlrev_b32_e32 v22, 16, v1
	s_waitcnt vmcnt(0)
	v_lshlrev_b32_e32 v4, 16, v2
.LBB315_4:
	s_or_b64 exec, exec, s[0:1]
	v_or_b32_e32 v1, 64, v0
	v_cmp_gt_i32_e64 s[0:1], s14, v1
	s_and_b64 s[10:11], s[6:7], s[0:1]
	v_mov_b32_e32 v19, 0
	v_mov_b32_e32 v23, 0
	;; [unrolled: 1-line block ×3, first 2 shown]
	s_and_saveexec_b64 s[8:9], s[10:11]
	s_cbranch_execz .LBB315_6
; %bb.5:
	global_load_ushort v1, v[12:13], off offset:128
	global_load_ushort v2, v[10:11], off offset:128
	s_waitcnt vmcnt(1)
	v_lshlrev_b32_e32 v23, 16, v1
	s_waitcnt vmcnt(0)
	v_lshlrev_b32_e32 v2, 16, v2
.LBB315_6:
	s_or_b64 exec, exec, s[8:9]
	v_or_b32_e32 v0, 0x60, v0
	v_cmp_gt_i32_e32 vcc, s14, v0
	s_and_b64 s[10:11], s[6:7], vcc
	v_mov_b32_e32 v0, 0
	s_and_saveexec_b64 s[8:9], s[10:11]
	s_cbranch_execz .LBB315_8
; %bb.7:
	global_load_ushort v0, v[12:13], off offset:192
	global_load_ushort v1, v[10:11], off offset:192
	s_waitcnt vmcnt(1)
	v_lshlrev_b32_e32 v19, 16, v0
	s_waitcnt vmcnt(0)
	v_lshlrev_b32_e32 v0, 16, v1
.LBB315_8:
	s_or_b64 exec, exec, s[8:9]
	v_cmp_lt_i32_e64 s[8:9], 1, v16
	s_and_b64 s[10:11], s[8:9], s[4:5]
	s_mov_b32 s15, 0
	v_mov_b32_e32 v18, 0
	v_mov_b32_e32 v21, 0
	;; [unrolled: 1-line block ×3, first 2 shown]
	s_and_saveexec_b64 s[12:13], s[10:11]
	s_cbranch_execz .LBB315_10
; %bb.9:
	s_lshl_b64 s[18:19], s[14:15], 1
	v_mov_b32_e32 v1, s19
	v_add_co_u32_e64 v14, s[10:11], s18, v10
	v_addc_co_u32_e64 v15, s[10:11], v11, v1, s[10:11]
	v_add_co_u32_e64 v20, s[10:11], s18, v12
	v_addc_co_u32_e64 v21, s[10:11], v13, v1, s[10:11]
	global_load_ushort v1, v[20:21], off
	global_load_ushort v3, v[14:15], off
	s_waitcnt vmcnt(1)
	v_lshlrev_b32_e32 v21, 16, v1
	s_waitcnt vmcnt(0)
	v_lshlrev_b32_e32 v7, 16, v3
.LBB315_10:
	s_or_b64 exec, exec, s[12:13]
	s_and_b64 s[10:11], s[8:9], s[2:3]
	v_mov_b32_e32 v5, 0
	s_and_saveexec_b64 s[12:13], s[10:11]
	s_cbranch_execz .LBB315_12
; %bb.11:
	s_lshl_b64 s[18:19], s[14:15], 1
	v_mov_b32_e32 v1, s19
	v_add_co_u32_e64 v14, s[10:11], s18, v10
	v_addc_co_u32_e64 v15, s[10:11], v11, v1, s[10:11]
	v_add_co_u32_e64 v26, s[10:11], s18, v12
	v_addc_co_u32_e64 v27, s[10:11], v13, v1, s[10:11]
	global_load_ushort v1, v[26:27], off offset:64
	global_load_ushort v3, v[14:15], off offset:64
	s_waitcnt vmcnt(1)
	v_lshlrev_b32_e32 v18, 16, v1
	s_waitcnt vmcnt(0)
	v_lshlrev_b32_e32 v5, 16, v3
.LBB315_12:
	s_or_b64 exec, exec, s[12:13]
	s_and_b64 s[10:11], s[8:9], s[0:1]
	v_mov_b32_e32 v17, 0
	v_mov_b32_e32 v20, 0
	;; [unrolled: 1-line block ×3, first 2 shown]
	s_and_saveexec_b64 s[12:13], s[10:11]
	s_cbranch_execz .LBB315_14
; %bb.13:
	s_lshl_b64 s[18:19], s[14:15], 1
	v_mov_b32_e32 v1, s19
	v_add_co_u32_e64 v14, s[10:11], s18, v10
	v_addc_co_u32_e64 v15, s[10:11], v11, v1, s[10:11]
	v_add_co_u32_e64 v26, s[10:11], s18, v12
	v_addc_co_u32_e64 v27, s[10:11], v13, v1, s[10:11]
	global_load_ushort v1, v[26:27], off offset:128
	global_load_ushort v3, v[14:15], off offset:128
	s_waitcnt vmcnt(1)
	v_lshlrev_b32_e32 v20, 16, v1
	s_waitcnt vmcnt(0)
	v_lshlrev_b32_e32 v3, 16, v3
.LBB315_14:
	s_or_b64 exec, exec, s[12:13]
	s_and_b64 s[8:9], s[8:9], vcc
	v_mov_b32_e32 v1, 0
	s_and_saveexec_b64 s[10:11], s[8:9]
	s_cbranch_execz .LBB315_16
; %bb.15:
	s_lshl_b64 s[12:13], s[14:15], 1
	v_mov_b32_e32 v1, s13
	v_add_co_u32_e64 v10, s[8:9], s12, v10
	v_addc_co_u32_e64 v11, s[8:9], v11, v1, s[8:9]
	v_add_co_u32_e64 v12, s[8:9], s12, v12
	v_addc_co_u32_e64 v13, s[8:9], v13, v1, s[8:9]
	global_load_ushort v1, v[12:13], off offset:192
	global_load_ushort v14, v[10:11], off offset:192
	s_waitcnt vmcnt(1)
	v_lshlrev_b32_e32 v17, 16, v1
	s_waitcnt vmcnt(0)
	v_lshlrev_b32_e32 v1, 16, v14
.LBB315_16:
	s_or_b64 exec, exec, s[10:11]
	v_mbcnt_lo_u32_b32 v12, -1, 0
	v_mbcnt_hi_u32_b32 v14, -1, v12
	v_and_b32_e32 v12, 0x60, v14
	v_pk_add_f32 v[10:11], v[6:7], 0 op_sel_hi:[1,0]
	v_add_u32_e32 v15, 32, v12
	v_xor_b32_e32 v12, 16, v14
	v_cmp_lt_i32_e64 s[8:9], v12, v15
	v_pk_add_f32 v[10:11], v[10:11], v[4:5]
	v_cndmask_b32_e64 v12, v14, v12, s[8:9]
	v_pk_add_f32 v[10:11], v[10:11], v[2:3]
	v_lshlrev_b32_e32 v13, 2, v12
	v_pk_add_f32 v[10:11], v[10:11], v[0:1]
	ds_bpermute_b32 v12, v13, v10
	ds_bpermute_b32 v13, v13, v11
	v_xor_b32_e32 v25, 8, v14
	v_cmp_lt_i32_e64 s[8:9], v25, v15
	v_cndmask_b32_e64 v25, v14, v25, s[8:9]
	v_lshlrev_b32_e32 v25, 2, v25
	s_waitcnt lgkmcnt(0)
	v_pk_add_f32 v[10:11], v[10:11], v[12:13]
	ds_bpermute_b32 v12, v25, v10
	ds_bpermute_b32 v13, v25, v11
	v_xor_b32_e32 v25, 4, v14
	v_cmp_lt_i32_e64 s[8:9], v25, v15
	v_cndmask_b32_e64 v25, v14, v25, s[8:9]
	v_lshlrev_b32_e32 v25, 2, v25
	s_waitcnt lgkmcnt(0)
	;; [unrolled: 8-line block ×4, first 2 shown]
	v_pk_add_f32 v[12:13], v[10:11], v[12:13]
	ds_bpermute_b32 v14, v15, v12
	ds_bpermute_b32 v15, v15, v13
	s_and_saveexec_b64 s[8:9], s[6:7]
	s_cbranch_execz .LBB315_22
; %bb.17:
	v_mov_b32_e32 v11, s17
	v_add_co_u32_e64 v10, s[6:7], s16, v8
	v_addc_co_u32_e64 v11, s[6:7], v11, v9, s[6:7]
	s_waitcnt lgkmcnt(0)
	v_pk_add_f32 v[8:9], v[12:13], v[14:15]
	s_and_saveexec_b64 s[8:9], s[4:5]
	s_cbranch_execnz .LBB315_23
; %bb.18:
	s_or_b64 exec, exec, s[8:9]
	s_and_saveexec_b64 s[8:9], s[2:3]
	s_cbranch_execnz .LBB315_24
.LBB315_19:
	s_or_b64 exec, exec, s[8:9]
	s_and_saveexec_b64 s[8:9], s[0:1]
	s_cbranch_execnz .LBB315_25
.LBB315_20:
	s_or_b64 exec, exec, s[8:9]
	s_and_saveexec_b64 s[8:9], vcc
	s_cbranch_execnz .LBB315_26
.LBB315_21:
	s_or_b64 exec, exec, s[8:9]
	v_cmp_ne_u32_e64 s[6:7], 1, v16
	s_and_b64 exec, exec, s[6:7]
	s_cbranch_execnz .LBB315_27
.LBB315_22:
	s_endpgm
.LBB315_23:
	v_mul_f32_e32 v12, 0x3fb8aa3b, v24
	s_mov_b32 s6, 0x3fb8aa3b
	v_rndne_f32_e32 v13, v12
	v_sub_f32_e32 v14, v12, v13
	v_fma_f32 v12, v24, s6, -v12
	v_fmac_f32_e32 v12, 0x32a5705f, v24
	v_add_f32_e32 v12, v14, v12
	v_exp_f32_e32 v12, v12
	v_cvt_i32_f32_e32 v13, v13
	s_mov_b32 s6, 0xc2ce8ed0
	v_cmp_ngt_f32_e64 s[6:7], s6, v24
	v_ldexp_f32 v12, v12, v13
	v_cndmask_b32_e64 v12, 0, v12, s[6:7]
	s_mov_b32 s6, 0x42b17218
	v_mov_b32_e32 v13, 0x7f800000
	v_cmp_nlt_f32_e64 s[6:7], s6, v24
	v_cndmask_b32_e64 v12, v13, v12, s[6:7]
	v_fma_f32 v6, -v8, v12, v6
	v_bfe_u32 v12, v6, 16, 1
	s_movk_i32 s6, 0x7fff
	v_add3_u32 v12, v6, v12, s6
	v_lshrrev_b32_e32 v12, 16, v12
	v_mov_b32_e32 v13, 0x7fc0
	v_cmp_o_f32_e64 s[6:7], v6, v6
	v_cndmask_b32_e64 v6, v13, v12, s[6:7]
	global_store_short v[10:11], v6, off
	s_or_b64 exec, exec, s[8:9]
	s_and_saveexec_b64 s[8:9], s[2:3]
	s_cbranch_execz .LBB315_19
.LBB315_24:
	v_mul_f32_e32 v6, 0x3fb8aa3b, v22
	s_mov_b32 s6, 0x3fb8aa3b
	v_rndne_f32_e32 v12, v6
	v_sub_f32_e32 v13, v6, v12
	v_fma_f32 v6, v22, s6, -v6
	v_fmac_f32_e32 v6, 0x32a5705f, v22
	v_add_f32_e32 v6, v13, v6
	v_exp_f32_e32 v6, v6
	v_cvt_i32_f32_e32 v12, v12
	s_mov_b32 s6, 0xc2ce8ed0
	v_cmp_ngt_f32_e64 s[6:7], s6, v22
	v_ldexp_f32 v6, v6, v12
	v_cndmask_b32_e64 v6, 0, v6, s[6:7]
	s_mov_b32 s6, 0x42b17218
	v_mov_b32_e32 v12, 0x7f800000
	v_cmp_nlt_f32_e64 s[6:7], s6, v22
	v_cndmask_b32_e64 v6, v12, v6, s[6:7]
	v_fma_f32 v4, -v8, v6, v4
	v_bfe_u32 v6, v4, 16, 1
	s_movk_i32 s6, 0x7fff
	v_add3_u32 v6, v4, v6, s6
	v_lshrrev_b32_e32 v6, 16, v6
	v_mov_b32_e32 v12, 0x7fc0
	v_cmp_o_f32_e64 s[6:7], v4, v4
	v_cndmask_b32_e64 v4, v12, v6, s[6:7]
	global_store_short v[10:11], v4, off offset:64
	s_or_b64 exec, exec, s[8:9]
	s_and_saveexec_b64 s[8:9], s[0:1]
	s_cbranch_execz .LBB315_20
.LBB315_25:
	v_mul_f32_e32 v4, 0x3fb8aa3b, v23
	s_mov_b32 s6, 0x3fb8aa3b
	v_rndne_f32_e32 v6, v4
	v_sub_f32_e32 v12, v4, v6
	v_fma_f32 v4, v23, s6, -v4
	v_fmac_f32_e32 v4, 0x32a5705f, v23
	v_add_f32_e32 v4, v12, v4
	v_exp_f32_e32 v4, v4
	v_cvt_i32_f32_e32 v6, v6
	s_mov_b32 s6, 0xc2ce8ed0
	v_cmp_ngt_f32_e64 s[6:7], s6, v23
	v_ldexp_f32 v4, v4, v6
	v_cndmask_b32_e64 v4, 0, v4, s[6:7]
	s_mov_b32 s6, 0x42b17218
	v_mov_b32_e32 v6, 0x7f800000
	v_cmp_nlt_f32_e64 s[6:7], s6, v23
	v_cndmask_b32_e64 v4, v6, v4, s[6:7]
	v_fma_f32 v2, -v8, v4, v2
	v_bfe_u32 v4, v2, 16, 1
	s_movk_i32 s6, 0x7fff
	v_add3_u32 v4, v2, v4, s6
	v_lshrrev_b32_e32 v4, 16, v4
	v_mov_b32_e32 v6, 0x7fc0
	v_cmp_o_f32_e64 s[6:7], v2, v2
	v_cndmask_b32_e64 v2, v6, v4, s[6:7]
	global_store_short v[10:11], v2, off offset:128
	s_or_b64 exec, exec, s[8:9]
	s_and_saveexec_b64 s[8:9], vcc
	s_cbranch_execz .LBB315_21
.LBB315_26:
	v_mul_f32_e32 v2, 0x3fb8aa3b, v19
	s_mov_b32 s6, 0x3fb8aa3b
	v_rndne_f32_e32 v4, v2
	v_sub_f32_e32 v6, v2, v4
	v_fma_f32 v2, v19, s6, -v2
	v_fmac_f32_e32 v2, 0x32a5705f, v19
	v_add_f32_e32 v2, v6, v2
	v_exp_f32_e32 v2, v2
	v_cvt_i32_f32_e32 v4, v4
	s_mov_b32 s6, 0xc2ce8ed0
	v_cmp_ngt_f32_e64 s[6:7], s6, v19
	v_ldexp_f32 v2, v2, v4
	v_cndmask_b32_e64 v2, 0, v2, s[6:7]
	s_mov_b32 s6, 0x42b17218
	v_mov_b32_e32 v4, 0x7f800000
	v_cmp_nlt_f32_e64 s[6:7], s6, v19
	v_cndmask_b32_e64 v2, v4, v2, s[6:7]
	v_fma_f32 v0, -v8, v2, v0
	v_bfe_u32 v2, v0, 16, 1
	s_movk_i32 s6, 0x7fff
	v_add3_u32 v2, v0, v2, s6
	v_lshrrev_b32_e32 v2, 16, v2
	v_mov_b32_e32 v4, 0x7fc0
	v_cmp_o_f32_e64 s[6:7], v0, v0
	v_cndmask_b32_e64 v0, v4, v2, s[6:7]
	global_store_short v[10:11], v0, off offset:192
	s_or_b64 exec, exec, s[8:9]
	v_cmp_ne_u32_e64 s[6:7], 1, v16
	s_and_b64 exec, exec, s[6:7]
	s_cbranch_execz .LBB315_22
.LBB315_27:
	s_ashr_i32 s15, s14, 31
	s_lshl_b64 s[6:7], s[14:15], 1
	v_mov_b32_e32 v0, s7
	v_add_co_u32_e64 v10, s[6:7], s6, v10
	v_addc_co_u32_e64 v11, s[6:7], v11, v0, s[6:7]
	s_and_saveexec_b64 s[6:7], s[4:5]
	s_cbranch_execnz .LBB315_31
; %bb.28:
	s_or_b64 exec, exec, s[6:7]
	s_and_saveexec_b64 s[4:5], s[2:3]
	s_cbranch_execnz .LBB315_32
.LBB315_29:
	s_or_b64 exec, exec, s[4:5]
	s_and_saveexec_b64 s[2:3], s[0:1]
	s_cbranch_execnz .LBB315_33
.LBB315_30:
	s_or_b64 exec, exec, s[2:3]
	s_and_b64 exec, exec, vcc
	s_cbranch_execz .LBB315_22
	s_branch .LBB315_34
.LBB315_31:
	v_mul_f32_e32 v0, 0x3fb8aa3b, v21
	s_mov_b32 s4, 0x3fb8aa3b
	v_rndne_f32_e32 v2, v0
	v_sub_f32_e32 v4, v0, v2
	v_fma_f32 v0, v21, s4, -v0
	v_fmac_f32_e32 v0, 0x32a5705f, v21
	v_add_f32_e32 v0, v4, v0
	v_exp_f32_e32 v0, v0
	v_cvt_i32_f32_e32 v2, v2
	s_mov_b32 s4, 0xc2ce8ed0
	v_cmp_ngt_f32_e64 s[4:5], s4, v21
	v_mov_b32_e32 v4, 0x7fc0
	v_ldexp_f32 v0, v0, v2
	v_cndmask_b32_e64 v0, 0, v0, s[4:5]
	s_mov_b32 s4, 0x42b17218
	v_mov_b32_e32 v2, 0x7f800000
	v_cmp_nlt_f32_e64 s[4:5], s4, v21
	v_cndmask_b32_e64 v0, v2, v0, s[4:5]
	v_fma_f32 v0, -v9, v0, v7
	v_bfe_u32 v2, v0, 16, 1
	s_movk_i32 s4, 0x7fff
	v_add3_u32 v2, v0, v2, s4
	v_lshrrev_b32_e32 v2, 16, v2
	v_cmp_o_f32_e64 s[4:5], v0, v0
	v_cndmask_b32_e64 v0, v4, v2, s[4:5]
	global_store_short v[10:11], v0, off
	s_or_b64 exec, exec, s[6:7]
	s_and_saveexec_b64 s[4:5], s[2:3]
	s_cbranch_execz .LBB315_29
.LBB315_32:
	v_mul_f32_e32 v0, 0x3fb8aa3b, v18
	s_mov_b32 s2, 0x3fb8aa3b
	v_rndne_f32_e32 v2, v0
	v_sub_f32_e32 v4, v0, v2
	v_fma_f32 v0, v18, s2, -v0
	v_fmac_f32_e32 v0, 0x32a5705f, v18
	v_add_f32_e32 v0, v4, v0
	v_exp_f32_e32 v0, v0
	v_cvt_i32_f32_e32 v2, v2
	s_mov_b32 s2, 0xc2ce8ed0
	v_cmp_ngt_f32_e64 s[2:3], s2, v18
	v_mov_b32_e32 v4, 0x7fc0
	v_ldexp_f32 v0, v0, v2
	v_cndmask_b32_e64 v0, 0, v0, s[2:3]
	s_mov_b32 s2, 0x42b17218
	v_mov_b32_e32 v2, 0x7f800000
	v_cmp_nlt_f32_e64 s[2:3], s2, v18
	v_cndmask_b32_e64 v0, v2, v0, s[2:3]
	v_fma_f32 v0, -v9, v0, v5
	v_bfe_u32 v2, v0, 16, 1
	s_movk_i32 s2, 0x7fff
	v_add3_u32 v2, v0, v2, s2
	v_lshrrev_b32_e32 v2, 16, v2
	v_cmp_o_f32_e64 s[2:3], v0, v0
	v_cndmask_b32_e64 v0, v4, v2, s[2:3]
	global_store_short v[10:11], v0, off offset:64
	s_or_b64 exec, exec, s[4:5]
	s_and_saveexec_b64 s[2:3], s[0:1]
	s_cbranch_execz .LBB315_30
.LBB315_33:
	v_mul_f32_e32 v0, 0x3fb8aa3b, v20
	s_mov_b32 s0, 0x3fb8aa3b
	v_rndne_f32_e32 v2, v0
	v_sub_f32_e32 v4, v0, v2
	v_fma_f32 v0, v20, s0, -v0
	v_fmac_f32_e32 v0, 0x32a5705f, v20
	v_add_f32_e32 v0, v4, v0
	v_exp_f32_e32 v0, v0
	v_cvt_i32_f32_e32 v2, v2
	s_mov_b32 s0, 0xc2ce8ed0
	v_cmp_ngt_f32_e64 s[0:1], s0, v20
	v_ldexp_f32 v0, v0, v2
	v_cndmask_b32_e64 v0, 0, v0, s[0:1]
	s_mov_b32 s0, 0x42b17218
	v_mov_b32_e32 v2, 0x7f800000
	v_cmp_nlt_f32_e64 s[0:1], s0, v20
	v_cndmask_b32_e64 v0, v2, v0, s[0:1]
	v_fma_f32 v0, -v9, v0, v3
	v_bfe_u32 v2, v0, 16, 1
	s_movk_i32 s0, 0x7fff
	v_add3_u32 v2, v0, v2, s0
	v_lshrrev_b32_e32 v2, 16, v2
	v_mov_b32_e32 v3, 0x7fc0
	v_cmp_o_f32_e64 s[0:1], v0, v0
	v_cndmask_b32_e64 v0, v3, v2, s[0:1]
	global_store_short v[10:11], v0, off offset:128
	s_or_b64 exec, exec, s[2:3]
	s_and_b64 exec, exec, vcc
	s_cbranch_execz .LBB315_22
.LBB315_34:
	v_mul_f32_e32 v0, 0x3fb8aa3b, v17
	s_mov_b32 s0, 0x3fb8aa3b
	v_rndne_f32_e32 v2, v0
	v_sub_f32_e32 v3, v0, v2
	v_fma_f32 v0, v17, s0, -v0
	v_fmac_f32_e32 v0, 0x32a5705f, v17
	v_add_f32_e32 v0, v3, v0
	v_exp_f32_e32 v0, v0
	v_cvt_i32_f32_e32 v2, v2
	s_mov_b32 s0, 0xc2ce8ed0
	v_cmp_ngt_f32_e32 vcc, s0, v17
	s_mov_b32 s0, 0x42b17218
	v_ldexp_f32 v0, v0, v2
	v_cndmask_b32_e32 v0, 0, v0, vcc
	v_mov_b32_e32 v2, 0x7f800000
	v_cmp_nlt_f32_e32 vcc, s0, v17
	v_cndmask_b32_e32 v0, v2, v0, vcc
	v_fma_f32 v0, -v9, v0, v1
	v_bfe_u32 v1, v0, 16, 1
	s_movk_i32 s0, 0x7fff
	v_add3_u32 v1, v0, v1, s0
	v_lshrrev_b32_e32 v1, 16, v1
	v_mov_b32_e32 v2, 0x7fc0
	v_cmp_o_f32_e32 vcc, v0, v0
	v_cndmask_b32_e32 v0, v2, v1, vcc
	global_store_short v[10:11], v0, off offset:192
	s_endpgm
	.section	.rodata,"a",@progbits
	.p2align	6, 0x0
	.amdhsa_kernel _ZN12_GLOBAL__N_121softmax_warp_backwardIN3c108BFloat16ES2_fLi7ELb1ELb0ELi32EEEvPT0_PKT_S7_iiiPKb
		.amdhsa_group_segment_fixed_size 0
		.amdhsa_private_segment_fixed_size 0
		.amdhsa_kernarg_size 304
		.amdhsa_user_sgpr_count 6
		.amdhsa_user_sgpr_private_segment_buffer 1
		.amdhsa_user_sgpr_dispatch_ptr 0
		.amdhsa_user_sgpr_queue_ptr 0
		.amdhsa_user_sgpr_kernarg_segment_ptr 1
		.amdhsa_user_sgpr_dispatch_id 0
		.amdhsa_user_sgpr_flat_scratch_init 0
		.amdhsa_user_sgpr_kernarg_preload_length 0
		.amdhsa_user_sgpr_kernarg_preload_offset 0
		.amdhsa_user_sgpr_private_segment_size 0
		.amdhsa_uses_dynamic_stack 0
		.amdhsa_system_sgpr_private_segment_wavefront_offset 0
		.amdhsa_system_sgpr_workgroup_id_x 1
		.amdhsa_system_sgpr_workgroup_id_y 0
		.amdhsa_system_sgpr_workgroup_id_z 0
		.amdhsa_system_sgpr_workgroup_info 0
		.amdhsa_system_vgpr_workitem_id 1
		.amdhsa_next_free_vgpr 28
		.amdhsa_next_free_sgpr 20
		.amdhsa_accum_offset 28
		.amdhsa_reserve_vcc 1
		.amdhsa_reserve_flat_scratch 0
		.amdhsa_float_round_mode_32 0
		.amdhsa_float_round_mode_16_64 0
		.amdhsa_float_denorm_mode_32 3
		.amdhsa_float_denorm_mode_16_64 3
		.amdhsa_dx10_clamp 1
		.amdhsa_ieee_mode 1
		.amdhsa_fp16_overflow 0
		.amdhsa_tg_split 0
		.amdhsa_exception_fp_ieee_invalid_op 0
		.amdhsa_exception_fp_denorm_src 0
		.amdhsa_exception_fp_ieee_div_zero 0
		.amdhsa_exception_fp_ieee_overflow 0
		.amdhsa_exception_fp_ieee_underflow 0
		.amdhsa_exception_fp_ieee_inexact 0
		.amdhsa_exception_int_div_zero 0
	.end_amdhsa_kernel
	.section	.text._ZN12_GLOBAL__N_121softmax_warp_backwardIN3c108BFloat16ES2_fLi7ELb1ELb0ELi32EEEvPT0_PKT_S7_iiiPKb,"axG",@progbits,_ZN12_GLOBAL__N_121softmax_warp_backwardIN3c108BFloat16ES2_fLi7ELb1ELb0ELi32EEEvPT0_PKT_S7_iiiPKb,comdat
.Lfunc_end315:
	.size	_ZN12_GLOBAL__N_121softmax_warp_backwardIN3c108BFloat16ES2_fLi7ELb1ELb0ELi32EEEvPT0_PKT_S7_iiiPKb, .Lfunc_end315-_ZN12_GLOBAL__N_121softmax_warp_backwardIN3c108BFloat16ES2_fLi7ELb1ELb0ELi32EEEvPT0_PKT_S7_iiiPKb
                                        ; -- End function
	.section	.AMDGPU.csdata,"",@progbits
; Kernel info:
; codeLenInByte = 2788
; NumSgprs: 24
; NumVgprs: 28
; NumAgprs: 0
; TotalNumVgprs: 28
; ScratchSize: 0
; MemoryBound: 0
; FloatMode: 240
; IeeeMode: 1
; LDSByteSize: 0 bytes/workgroup (compile time only)
; SGPRBlocks: 2
; VGPRBlocks: 3
; NumSGPRsForWavesPerEU: 24
; NumVGPRsForWavesPerEU: 28
; AccumOffset: 28
; Occupancy: 8
; WaveLimiterHint : 0
; COMPUTE_PGM_RSRC2:SCRATCH_EN: 0
; COMPUTE_PGM_RSRC2:USER_SGPR: 6
; COMPUTE_PGM_RSRC2:TRAP_HANDLER: 0
; COMPUTE_PGM_RSRC2:TGID_X_EN: 1
; COMPUTE_PGM_RSRC2:TGID_Y_EN: 0
; COMPUTE_PGM_RSRC2:TGID_Z_EN: 0
; COMPUTE_PGM_RSRC2:TIDIG_COMP_CNT: 1
; COMPUTE_PGM_RSRC3_GFX90A:ACCUM_OFFSET: 6
; COMPUTE_PGM_RSRC3_GFX90A:TG_SPLIT: 0
	.section	.text._ZN12_GLOBAL__N_121softmax_warp_backwardIN3c108BFloat16ES2_fLi8ELb1ELb0ELi64EEEvPT0_PKT_S7_iiiPKb,"axG",@progbits,_ZN12_GLOBAL__N_121softmax_warp_backwardIN3c108BFloat16ES2_fLi8ELb1ELb0ELi64EEEvPT0_PKT_S7_iiiPKb,comdat
	.globl	_ZN12_GLOBAL__N_121softmax_warp_backwardIN3c108BFloat16ES2_fLi8ELb1ELb0ELi64EEEvPT0_PKT_S7_iiiPKb ; -- Begin function _ZN12_GLOBAL__N_121softmax_warp_backwardIN3c108BFloat16ES2_fLi8ELb1ELb0ELi64EEEvPT0_PKT_S7_iiiPKb
	.p2align	8
	.type	_ZN12_GLOBAL__N_121softmax_warp_backwardIN3c108BFloat16ES2_fLi8ELb1ELb0ELi64EEEvPT0_PKT_S7_iiiPKb,@function
_ZN12_GLOBAL__N_121softmax_warp_backwardIN3c108BFloat16ES2_fLi8ELb1ELb0ELi64EEEvPT0_PKT_S7_iiiPKb: ; @_ZN12_GLOBAL__N_121softmax_warp_backwardIN3c108BFloat16ES2_fLi8ELb1ELb0ELi64EEEvPT0_PKT_S7_iiiPKb
; %bb.0:
	s_load_dword s2, s[4:5], 0x3c
	s_load_dwordx4 s[12:15], s[4:5], 0x18
	s_load_dwordx4 s[8:11], s[4:5], 0x0
	s_load_dwordx2 s[0:1], s[4:5], 0x10
	v_bfe_u32 v1, v0, 10, 10
	s_waitcnt lgkmcnt(0)
	s_lshr_b32 s2, s2, 16
	s_mul_i32 s6, s6, s2
	v_add_u32_e32 v1, s6, v1
	v_and_b32_e32 v6, 63, v0
	v_sub_u32_e32 v14, s12, v1
	v_mad_u64_u32 v[0:1], s[2:3], v1, s13, v[6:7]
	v_ashrrev_i32_e32 v1, 31, v0
	v_lshlrev_b64 v[0:1], 1, v[0:1]
	v_mov_b32_e32 v3, s11
	v_add_co_u32_e32 v2, vcc, s10, v0
	v_addc_co_u32_e32 v3, vcc, v3, v1, vcc
	v_mov_b32_e32 v5, s1
	v_add_co_u32_e32 v4, vcc, s0, v0
	v_cmp_lt_i32_e64 s[6:7], 0, v14
	v_cmp_gt_i32_e64 s[4:5], s14, v6
	v_addc_co_u32_e32 v5, vcc, v5, v1, vcc
	s_and_b64 s[2:3], s[6:7], s[4:5]
	v_mov_b32_e32 v8, 0
	v_mov_b32_e32 v12, 0
	;; [unrolled: 1-line block ×3, first 2 shown]
	s_and_saveexec_b64 s[0:1], s[2:3]
	s_cbranch_execz .LBB316_2
; %bb.1:
	global_load_ushort v7, v[4:5], off
	global_load_ushort v9, v[2:3], off
	s_waitcnt vmcnt(1)
	v_lshlrev_b32_e32 v12, 16, v7
	s_waitcnt vmcnt(0)
	v_lshlrev_b32_e32 v13, 16, v9
.LBB316_2:
	s_or_b64 exec, exec, s[0:1]
	v_or_b32_e32 v7, 64, v6
	v_cmp_gt_i32_e64 s[2:3], s14, v7
	s_and_b64 s[10:11], s[6:7], s[2:3]
	v_mov_b32_e32 v11, 0
	s_and_saveexec_b64 s[0:1], s[10:11]
	s_cbranch_execz .LBB316_4
; %bb.3:
	global_load_ushort v7, v[4:5], off offset:128
	global_load_ushort v9, v[2:3], off offset:128
	s_waitcnt vmcnt(1)
	v_lshlrev_b32_e32 v8, 16, v7
	s_waitcnt vmcnt(0)
	v_lshlrev_b32_e32 v11, 16, v9
.LBB316_4:
	s_or_b64 exec, exec, s[0:1]
	v_or_b32_e32 v7, 0x80, v6
	v_cmp_gt_i32_e64 s[0:1], s14, v7
	s_and_b64 s[12:13], s[6:7], s[0:1]
	v_mov_b32_e32 v7, 0
	v_mov_b32_e32 v9, 0
	;; [unrolled: 1-line block ×3, first 2 shown]
	s_and_saveexec_b64 s[10:11], s[12:13]
	s_cbranch_execz .LBB316_6
; %bb.5:
	global_load_ushort v9, v[4:5], off offset:256
	global_load_ushort v10, v[2:3], off offset:256
	s_waitcnt vmcnt(1)
	v_lshlrev_b32_e32 v9, 16, v9
	s_waitcnt vmcnt(0)
	v_lshlrev_b32_e32 v10, 16, v10
.LBB316_6:
	s_or_b64 exec, exec, s[10:11]
	v_or_b32_e32 v6, 0xc0, v6
	v_cmp_gt_i32_e32 vcc, s14, v6
	s_and_b64 s[10:11], s[6:7], vcc
	v_mov_b32_e32 v6, 0
	s_and_saveexec_b64 s[6:7], s[10:11]
	s_cbranch_execz .LBB316_8
; %bb.7:
	global_load_ushort v6, v[4:5], off offset:384
	global_load_ushort v15, v[2:3], off offset:384
	s_waitcnt vmcnt(1)
	v_lshlrev_b32_e32 v7, 16, v6
	s_waitcnt vmcnt(0)
	v_lshlrev_b32_e32 v6, 16, v15
.LBB316_8:
	s_or_b64 exec, exec, s[6:7]
	v_mbcnt_lo_u32_b32 v3, -1, 0
	v_mbcnt_hi_u32_b32 v3, -1, v3
	v_and_b32_e32 v4, 64, v3
	v_add_f32_e32 v2, 0, v13
	v_add_u32_e32 v4, 64, v4
	v_xor_b32_e32 v5, 32, v3
	v_add_f32_e32 v2, v2, v11
	v_cmp_lt_i32_e64 s[6:7], v5, v4
	v_add_f32_e32 v2, v2, v10
	v_cndmask_b32_e64 v5, v3, v5, s[6:7]
	v_add_f32_e32 v2, v2, v6
	v_lshlrev_b32_e32 v5, 2, v5
	ds_bpermute_b32 v5, v5, v2
	s_waitcnt lgkmcnt(0)
	v_add_f32_e32 v2, v2, v5
	v_xor_b32_e32 v5, 16, v3
	v_cmp_lt_i32_e64 s[6:7], v5, v4
	v_cndmask_b32_e64 v5, v3, v5, s[6:7]
	v_lshlrev_b32_e32 v5, 2, v5
	ds_bpermute_b32 v5, v5, v2
	s_waitcnt lgkmcnt(0)
	v_add_f32_e32 v2, v2, v5
	v_xor_b32_e32 v5, 8, v3
	v_cmp_lt_i32_e64 s[6:7], v5, v4
	v_cndmask_b32_e64 v5, v3, v5, s[6:7]
	;; [unrolled: 7-line block ×5, first 2 shown]
	v_lshlrev_b32_e32 v3, 2, v3
	ds_bpermute_b32 v3, v3, v2
	v_cmp_lt_i32_e64 s[6:7], 0, v14
	s_and_saveexec_b64 s[10:11], s[6:7]
	s_cbranch_execz .LBB316_14
; %bb.9:
	v_mov_b32_e32 v4, s9
	v_add_co_u32_e64 v0, s[6:7], s8, v0
	v_addc_co_u32_e64 v1, s[6:7], v4, v1, s[6:7]
	s_waitcnt lgkmcnt(0)
	v_add_f32_e32 v2, v2, v3
	s_and_saveexec_b64 s[6:7], s[4:5]
	s_cbranch_execnz .LBB316_15
; %bb.10:
	s_or_b64 exec, exec, s[6:7]
	s_and_saveexec_b64 s[4:5], s[2:3]
	s_cbranch_execnz .LBB316_16
.LBB316_11:
	s_or_b64 exec, exec, s[4:5]
	s_and_saveexec_b64 s[2:3], s[0:1]
	s_cbranch_execnz .LBB316_17
.LBB316_12:
	s_or_b64 exec, exec, s[2:3]
	s_and_b64 exec, exec, vcc
	s_cbranch_execz .LBB316_14
.LBB316_13:
	v_mul_f32_e32 v3, 0x3fb8aa3b, v7
	s_mov_b32 s0, 0x3fb8aa3b
	v_rndne_f32_e32 v4, v3
	v_sub_f32_e32 v5, v3, v4
	v_fma_f32 v3, v7, s0, -v3
	v_fmac_f32_e32 v3, 0x32a5705f, v7
	v_add_f32_e32 v3, v5, v3
	v_exp_f32_e32 v3, v3
	v_cvt_i32_f32_e32 v4, v4
	s_mov_b32 s0, 0xc2ce8ed0
	v_cmp_ngt_f32_e32 vcc, s0, v7
	s_mov_b32 s0, 0x42b17218
	v_ldexp_f32 v3, v3, v4
	v_cndmask_b32_e32 v3, 0, v3, vcc
	v_mov_b32_e32 v4, 0x7f800000
	v_cmp_nlt_f32_e32 vcc, s0, v7
	v_cndmask_b32_e32 v3, v4, v3, vcc
	v_fma_f32 v2, -v2, v3, v6
	v_bfe_u32 v3, v2, 16, 1
	s_movk_i32 s0, 0x7fff
	v_add3_u32 v3, v2, v3, s0
	v_lshrrev_b32_e32 v3, 16, v3
	v_mov_b32_e32 v4, 0x7fc0
	v_cmp_o_f32_e32 vcc, v2, v2
	v_cndmask_b32_e32 v2, v4, v3, vcc
	global_store_short v[0:1], v2, off offset:384
.LBB316_14:
	s_endpgm
.LBB316_15:
	v_mul_f32_e32 v3, 0x3fb8aa3b, v12
	s_mov_b32 s4, 0x3fb8aa3b
	v_rndne_f32_e32 v4, v3
	v_sub_f32_e32 v5, v3, v4
	v_fma_f32 v3, v12, s4, -v3
	v_fmac_f32_e32 v3, 0x32a5705f, v12
	v_add_f32_e32 v3, v5, v3
	v_exp_f32_e32 v3, v3
	v_cvt_i32_f32_e32 v4, v4
	s_mov_b32 s4, 0xc2ce8ed0
	v_cmp_ngt_f32_e64 s[4:5], s4, v12
	v_mov_b32_e32 v5, 0x7fc0
	v_ldexp_f32 v3, v3, v4
	v_cndmask_b32_e64 v3, 0, v3, s[4:5]
	s_mov_b32 s4, 0x42b17218
	v_mov_b32_e32 v4, 0x7f800000
	v_cmp_nlt_f32_e64 s[4:5], s4, v12
	v_cndmask_b32_e64 v3, v4, v3, s[4:5]
	v_fma_f32 v3, -v2, v3, v13
	v_bfe_u32 v4, v3, 16, 1
	s_movk_i32 s4, 0x7fff
	v_add3_u32 v4, v3, v4, s4
	v_lshrrev_b32_e32 v4, 16, v4
	v_cmp_o_f32_e64 s[4:5], v3, v3
	v_cndmask_b32_e64 v3, v5, v4, s[4:5]
	global_store_short v[0:1], v3, off
	s_or_b64 exec, exec, s[6:7]
	s_and_saveexec_b64 s[4:5], s[2:3]
	s_cbranch_execz .LBB316_11
.LBB316_16:
	v_mul_f32_e32 v3, 0x3fb8aa3b, v8
	s_mov_b32 s2, 0x3fb8aa3b
	v_rndne_f32_e32 v4, v3
	v_sub_f32_e32 v5, v3, v4
	v_fma_f32 v3, v8, s2, -v3
	v_fmac_f32_e32 v3, 0x32a5705f, v8
	v_add_f32_e32 v3, v5, v3
	v_exp_f32_e32 v3, v3
	v_cvt_i32_f32_e32 v4, v4
	s_mov_b32 s2, 0xc2ce8ed0
	v_cmp_ngt_f32_e64 s[2:3], s2, v8
	v_mov_b32_e32 v5, 0x7fc0
	v_ldexp_f32 v3, v3, v4
	v_cndmask_b32_e64 v3, 0, v3, s[2:3]
	s_mov_b32 s2, 0x42b17218
	v_mov_b32_e32 v4, 0x7f800000
	v_cmp_nlt_f32_e64 s[2:3], s2, v8
	v_cndmask_b32_e64 v3, v4, v3, s[2:3]
	v_fma_f32 v3, -v2, v3, v11
	v_bfe_u32 v4, v3, 16, 1
	s_movk_i32 s2, 0x7fff
	v_add3_u32 v4, v3, v4, s2
	v_lshrrev_b32_e32 v4, 16, v4
	v_cmp_o_f32_e64 s[2:3], v3, v3
	v_cndmask_b32_e64 v3, v5, v4, s[2:3]
	global_store_short v[0:1], v3, off offset:128
	s_or_b64 exec, exec, s[4:5]
	s_and_saveexec_b64 s[2:3], s[0:1]
	s_cbranch_execz .LBB316_12
.LBB316_17:
	v_mul_f32_e32 v3, 0x3fb8aa3b, v9
	s_mov_b32 s0, 0x3fb8aa3b
	v_rndne_f32_e32 v4, v3
	v_sub_f32_e32 v5, v3, v4
	v_fma_f32 v3, v9, s0, -v3
	v_fmac_f32_e32 v3, 0x32a5705f, v9
	v_add_f32_e32 v3, v5, v3
	v_exp_f32_e32 v3, v3
	v_cvt_i32_f32_e32 v4, v4
	s_mov_b32 s0, 0xc2ce8ed0
	v_cmp_ngt_f32_e64 s[0:1], s0, v9
	v_mov_b32_e32 v5, 0x7fc0
	v_ldexp_f32 v3, v3, v4
	v_cndmask_b32_e64 v3, 0, v3, s[0:1]
	s_mov_b32 s0, 0x42b17218
	v_mov_b32_e32 v4, 0x7f800000
	v_cmp_nlt_f32_e64 s[0:1], s0, v9
	v_cndmask_b32_e64 v3, v4, v3, s[0:1]
	v_fma_f32 v3, -v2, v3, v10
	v_bfe_u32 v4, v3, 16, 1
	s_movk_i32 s0, 0x7fff
	v_add3_u32 v4, v3, v4, s0
	v_lshrrev_b32_e32 v4, 16, v4
	v_cmp_o_f32_e64 s[0:1], v3, v3
	v_cndmask_b32_e64 v3, v5, v4, s[0:1]
	global_store_short v[0:1], v3, off offset:256
	s_or_b64 exec, exec, s[2:3]
	s_and_b64 exec, exec, vcc
	s_cbranch_execnz .LBB316_13
	s_branch .LBB316_14
	.section	.rodata,"a",@progbits
	.p2align	6, 0x0
	.amdhsa_kernel _ZN12_GLOBAL__N_121softmax_warp_backwardIN3c108BFloat16ES2_fLi8ELb1ELb0ELi64EEEvPT0_PKT_S7_iiiPKb
		.amdhsa_group_segment_fixed_size 0
		.amdhsa_private_segment_fixed_size 0
		.amdhsa_kernarg_size 304
		.amdhsa_user_sgpr_count 6
		.amdhsa_user_sgpr_private_segment_buffer 1
		.amdhsa_user_sgpr_dispatch_ptr 0
		.amdhsa_user_sgpr_queue_ptr 0
		.amdhsa_user_sgpr_kernarg_segment_ptr 1
		.amdhsa_user_sgpr_dispatch_id 0
		.amdhsa_user_sgpr_flat_scratch_init 0
		.amdhsa_user_sgpr_kernarg_preload_length 0
		.amdhsa_user_sgpr_kernarg_preload_offset 0
		.amdhsa_user_sgpr_private_segment_size 0
		.amdhsa_uses_dynamic_stack 0
		.amdhsa_system_sgpr_private_segment_wavefront_offset 0
		.amdhsa_system_sgpr_workgroup_id_x 1
		.amdhsa_system_sgpr_workgroup_id_y 0
		.amdhsa_system_sgpr_workgroup_id_z 0
		.amdhsa_system_sgpr_workgroup_info 0
		.amdhsa_system_vgpr_workitem_id 1
		.amdhsa_next_free_vgpr 16
		.amdhsa_next_free_sgpr 16
		.amdhsa_accum_offset 16
		.amdhsa_reserve_vcc 1
		.amdhsa_reserve_flat_scratch 0
		.amdhsa_float_round_mode_32 0
		.amdhsa_float_round_mode_16_64 0
		.amdhsa_float_denorm_mode_32 3
		.amdhsa_float_denorm_mode_16_64 3
		.amdhsa_dx10_clamp 1
		.amdhsa_ieee_mode 1
		.amdhsa_fp16_overflow 0
		.amdhsa_tg_split 0
		.amdhsa_exception_fp_ieee_invalid_op 0
		.amdhsa_exception_fp_denorm_src 0
		.amdhsa_exception_fp_ieee_div_zero 0
		.amdhsa_exception_fp_ieee_overflow 0
		.amdhsa_exception_fp_ieee_underflow 0
		.amdhsa_exception_fp_ieee_inexact 0
		.amdhsa_exception_int_div_zero 0
	.end_amdhsa_kernel
	.section	.text._ZN12_GLOBAL__N_121softmax_warp_backwardIN3c108BFloat16ES2_fLi8ELb1ELb0ELi64EEEvPT0_PKT_S7_iiiPKb,"axG",@progbits,_ZN12_GLOBAL__N_121softmax_warp_backwardIN3c108BFloat16ES2_fLi8ELb1ELb0ELi64EEEvPT0_PKT_S7_iiiPKb,comdat
.Lfunc_end316:
	.size	_ZN12_GLOBAL__N_121softmax_warp_backwardIN3c108BFloat16ES2_fLi8ELb1ELb0ELi64EEEvPT0_PKT_S7_iiiPKb, .Lfunc_end316-_ZN12_GLOBAL__N_121softmax_warp_backwardIN3c108BFloat16ES2_fLi8ELb1ELb0ELi64EEEvPT0_PKT_S7_iiiPKb
                                        ; -- End function
	.section	.AMDGPU.csdata,"",@progbits
; Kernel info:
; codeLenInByte = 1488
; NumSgprs: 20
; NumVgprs: 16
; NumAgprs: 0
; TotalNumVgprs: 16
; ScratchSize: 0
; MemoryBound: 0
; FloatMode: 240
; IeeeMode: 1
; LDSByteSize: 0 bytes/workgroup (compile time only)
; SGPRBlocks: 2
; VGPRBlocks: 1
; NumSGPRsForWavesPerEU: 20
; NumVGPRsForWavesPerEU: 16
; AccumOffset: 16
; Occupancy: 8
; WaveLimiterHint : 0
; COMPUTE_PGM_RSRC2:SCRATCH_EN: 0
; COMPUTE_PGM_RSRC2:USER_SGPR: 6
; COMPUTE_PGM_RSRC2:TRAP_HANDLER: 0
; COMPUTE_PGM_RSRC2:TGID_X_EN: 1
; COMPUTE_PGM_RSRC2:TGID_Y_EN: 0
; COMPUTE_PGM_RSRC2:TGID_Z_EN: 0
; COMPUTE_PGM_RSRC2:TIDIG_COMP_CNT: 1
; COMPUTE_PGM_RSRC3_GFX90A:ACCUM_OFFSET: 3
; COMPUTE_PGM_RSRC3_GFX90A:TG_SPLIT: 0
	.section	.text._ZN12_GLOBAL__N_121softmax_warp_backwardIN3c108BFloat16ES2_fLi8ELb1ELb0ELi32EEEvPT0_PKT_S7_iiiPKb,"axG",@progbits,_ZN12_GLOBAL__N_121softmax_warp_backwardIN3c108BFloat16ES2_fLi8ELb1ELb0ELi32EEEvPT0_PKT_S7_iiiPKb,comdat
	.globl	_ZN12_GLOBAL__N_121softmax_warp_backwardIN3c108BFloat16ES2_fLi8ELb1ELb0ELi32EEEvPT0_PKT_S7_iiiPKb ; -- Begin function _ZN12_GLOBAL__N_121softmax_warp_backwardIN3c108BFloat16ES2_fLi8ELb1ELb0ELi32EEEvPT0_PKT_S7_iiiPKb
	.p2align	8
	.type	_ZN12_GLOBAL__N_121softmax_warp_backwardIN3c108BFloat16ES2_fLi8ELb1ELb0ELi32EEEvPT0_PKT_S7_iiiPKb,@function
_ZN12_GLOBAL__N_121softmax_warp_backwardIN3c108BFloat16ES2_fLi8ELb1ELb0ELi32EEEvPT0_PKT_S7_iiiPKb: ; @_ZN12_GLOBAL__N_121softmax_warp_backwardIN3c108BFloat16ES2_fLi8ELb1ELb0ELi32EEEvPT0_PKT_S7_iiiPKb
; %bb.0:
	s_load_dword s2, s[4:5], 0x3c
	s_load_dwordx4 s[20:23], s[4:5], 0x18
	s_load_dwordx4 s[16:19], s[4:5], 0x0
	s_load_dwordx2 s[0:1], s[4:5], 0x10
	v_bfe_u32 v1, v0, 10, 10
	s_waitcnt lgkmcnt(0)
	s_lshr_b32 s2, s2, 16
	s_mul_i32 s6, s6, s2
	v_add_u32_e32 v1, s6, v1
	v_and_b32_e32 v6, 31, v0
	v_sub_u32_e32 v22, s20, v1
	v_mad_u64_u32 v[0:1], s[2:3], v1, s21, v[6:7]
	v_ashrrev_i32_e32 v1, 31, v0
	v_lshlrev_b64 v[0:1], 1, v[0:1]
	v_mov_b32_e32 v3, s19
	v_add_co_u32_e32 v2, vcc, s18, v0
	v_addc_co_u32_e32 v3, vcc, v3, v1, vcc
	v_mov_b32_e32 v5, s1
	v_add_co_u32_e32 v4, vcc, s0, v0
	v_cmp_lt_i32_e64 s[14:15], 0, v22
	v_cmp_gt_i32_e64 s[12:13], s22, v6
	v_addc_co_u32_e32 v5, vcc, v5, v1, vcc
	s_and_b64 s[2:3], s[14:15], s[12:13]
	v_mov_b32_e32 v16, 0
	v_mov_b32_e32 v20, 0
	v_mov_b32_e32 v21, 0
	s_and_saveexec_b64 s[0:1], s[2:3]
	s_cbranch_execz .LBB317_2
; %bb.1:
	global_load_ushort v7, v[4:5], off
	global_load_ushort v8, v[2:3], off
	s_waitcnt vmcnt(1)
	v_lshlrev_b32_e32 v20, 16, v7
	s_waitcnt vmcnt(0)
	v_lshlrev_b32_e32 v21, 16, v8
.LBB317_2:
	s_or_b64 exec, exec, s[0:1]
	v_or_b32_e32 v7, 32, v6
	v_cmp_gt_i32_e64 s[10:11], s22, v7
	s_and_b64 s[2:3], s[14:15], s[10:11]
	v_mov_b32_e32 v19, 0
	s_and_saveexec_b64 s[0:1], s[2:3]
	s_cbranch_execz .LBB317_4
; %bb.3:
	global_load_ushort v7, v[4:5], off offset:64
	global_load_ushort v8, v[2:3], off offset:64
	s_waitcnt vmcnt(1)
	v_lshlrev_b32_e32 v16, 16, v7
	s_waitcnt vmcnt(0)
	v_lshlrev_b32_e32 v19, 16, v8
.LBB317_4:
	s_or_b64 exec, exec, s[0:1]
	v_or_b32_e32 v7, 64, v6
	v_cmp_gt_i32_e64 s[8:9], s22, v7
	s_and_b64 s[2:3], s[14:15], s[8:9]
	v_mov_b32_e32 v12, 0
	v_mov_b32_e32 v17, 0
	v_mov_b32_e32 v18, 0
	s_and_saveexec_b64 s[0:1], s[2:3]
	s_cbranch_execz .LBB317_6
; %bb.5:
	global_load_ushort v7, v[4:5], off offset:128
	global_load_ushort v8, v[2:3], off offset:128
	s_waitcnt vmcnt(1)
	v_lshlrev_b32_e32 v17, 16, v7
	s_waitcnt vmcnt(0)
	v_lshlrev_b32_e32 v18, 16, v8
.LBB317_6:
	s_or_b64 exec, exec, s[0:1]
	v_or_b32_e32 v7, 0x60, v6
	v_cmp_gt_i32_e64 s[6:7], s22, v7
	s_and_b64 s[2:3], s[14:15], s[6:7]
	v_mov_b32_e32 v15, 0
	s_and_saveexec_b64 s[0:1], s[2:3]
	s_cbranch_execz .LBB317_8
; %bb.7:
	global_load_ushort v7, v[4:5], off offset:192
	global_load_ushort v8, v[2:3], off offset:192
	s_waitcnt vmcnt(1)
	v_lshlrev_b32_e32 v12, 16, v7
	s_waitcnt vmcnt(0)
	v_lshlrev_b32_e32 v15, 16, v8
.LBB317_8:
	s_or_b64 exec, exec, s[0:1]
	v_or_b32_e32 v7, 0x80, v6
	v_cmp_gt_i32_e64 s[4:5], s22, v7
	s_and_b64 s[2:3], s[14:15], s[4:5]
	v_mov_b32_e32 v8, 0
	v_mov_b32_e32 v13, 0
	v_mov_b32_e32 v14, 0
	s_and_saveexec_b64 s[0:1], s[2:3]
	s_cbranch_execz .LBB317_10
; %bb.9:
	global_load_ushort v7, v[4:5], off offset:256
	global_load_ushort v9, v[2:3], off offset:256
	s_waitcnt vmcnt(1)
	v_lshlrev_b32_e32 v13, 16, v7
	s_waitcnt vmcnt(0)
	v_lshlrev_b32_e32 v14, 16, v9
.LBB317_10:
	;; [unrolled: 32-line block ×3, first 2 shown]
	s_or_b64 exec, exec, s[18:19]
	v_or_b32_e32 v6, 0xe0, v6
	v_cmp_gt_i32_e32 vcc, s22, v6
	s_and_b64 s[18:19], s[14:15], vcc
	v_mov_b32_e32 v6, 0
	s_and_saveexec_b64 s[14:15], s[18:19]
	s_cbranch_execz .LBB317_16
; %bb.15:
	global_load_ushort v6, v[4:5], off offset:448
	global_load_ushort v23, v[2:3], off offset:448
	s_waitcnt vmcnt(1)
	v_lshlrev_b32_e32 v7, 16, v6
	s_waitcnt vmcnt(0)
	v_lshlrev_b32_e32 v6, 16, v23
.LBB317_16:
	s_or_b64 exec, exec, s[14:15]
	v_add_f32_e32 v2, 0, v21
	v_add_f32_e32 v2, v2, v19
	v_mbcnt_lo_u32_b32 v3, -1, 0
	v_add_f32_e32 v2, v2, v18
	v_mbcnt_hi_u32_b32 v3, -1, v3
	v_add_f32_e32 v2, v2, v15
	v_and_b32_e32 v4, 0x60, v3
	v_add_f32_e32 v2, v2, v14
	v_add_u32_e32 v4, 32, v4
	v_xor_b32_e32 v5, 16, v3
	v_add_f32_e32 v2, v2, v11
	v_cmp_lt_i32_e64 s[14:15], v5, v4
	v_add_f32_e32 v2, v2, v10
	v_cndmask_b32_e64 v5, v3, v5, s[14:15]
	v_add_f32_e32 v2, v2, v6
	v_lshlrev_b32_e32 v5, 2, v5
	ds_bpermute_b32 v5, v5, v2
	s_waitcnt lgkmcnt(0)
	v_add_f32_e32 v2, v2, v5
	v_xor_b32_e32 v5, 8, v3
	v_cmp_lt_i32_e64 s[14:15], v5, v4
	v_cndmask_b32_e64 v5, v3, v5, s[14:15]
	v_lshlrev_b32_e32 v5, 2, v5
	ds_bpermute_b32 v5, v5, v2
	s_waitcnt lgkmcnt(0)
	v_add_f32_e32 v2, v2, v5
	v_xor_b32_e32 v5, 4, v3
	v_cmp_lt_i32_e64 s[14:15], v5, v4
	v_cndmask_b32_e64 v5, v3, v5, s[14:15]
	;; [unrolled: 7-line block ×4, first 2 shown]
	v_lshlrev_b32_e32 v3, 2, v3
	ds_bpermute_b32 v3, v3, v2
	v_cmp_lt_i32_e64 s[14:15], 0, v22
	s_and_saveexec_b64 s[18:19], s[14:15]
	s_cbranch_execz .LBB317_26
; %bb.17:
	v_mov_b32_e32 v4, s17
	v_add_co_u32_e64 v0, s[14:15], s16, v0
	v_addc_co_u32_e64 v1, s[14:15], v4, v1, s[14:15]
	s_waitcnt lgkmcnt(0)
	v_add_f32_e32 v2, v2, v3
	s_and_saveexec_b64 s[14:15], s[12:13]
	s_cbranch_execnz .LBB317_27
; %bb.18:
	s_or_b64 exec, exec, s[14:15]
	s_and_saveexec_b64 s[12:13], s[10:11]
	s_cbranch_execnz .LBB317_28
.LBB317_19:
	s_or_b64 exec, exec, s[12:13]
	s_and_saveexec_b64 s[10:11], s[8:9]
	s_cbranch_execnz .LBB317_29
.LBB317_20:
	s_or_b64 exec, exec, s[10:11]
	s_and_saveexec_b64 s[8:9], s[6:7]
	s_cbranch_execnz .LBB317_30
.LBB317_21:
	s_or_b64 exec, exec, s[8:9]
	s_and_saveexec_b64 s[6:7], s[4:5]
	s_cbranch_execnz .LBB317_31
.LBB317_22:
	s_or_b64 exec, exec, s[6:7]
	s_and_saveexec_b64 s[4:5], s[2:3]
	s_cbranch_execnz .LBB317_32
.LBB317_23:
	s_or_b64 exec, exec, s[4:5]
	s_and_saveexec_b64 s[2:3], s[0:1]
	s_cbranch_execnz .LBB317_33
.LBB317_24:
	s_or_b64 exec, exec, s[2:3]
	s_and_b64 exec, exec, vcc
	s_cbranch_execz .LBB317_26
.LBB317_25:
	v_mul_f32_e32 v3, 0x3fb8aa3b, v7
	s_mov_b32 s0, 0x3fb8aa3b
	v_rndne_f32_e32 v4, v3
	v_sub_f32_e32 v5, v3, v4
	v_fma_f32 v3, v7, s0, -v3
	v_fmac_f32_e32 v3, 0x32a5705f, v7
	v_add_f32_e32 v3, v5, v3
	v_exp_f32_e32 v3, v3
	v_cvt_i32_f32_e32 v4, v4
	s_mov_b32 s0, 0xc2ce8ed0
	v_cmp_ngt_f32_e32 vcc, s0, v7
	s_mov_b32 s0, 0x42b17218
	v_ldexp_f32 v3, v3, v4
	v_cndmask_b32_e32 v3, 0, v3, vcc
	v_mov_b32_e32 v4, 0x7f800000
	v_cmp_nlt_f32_e32 vcc, s0, v7
	v_cndmask_b32_e32 v3, v4, v3, vcc
	v_fma_f32 v2, -v2, v3, v6
	v_bfe_u32 v3, v2, 16, 1
	s_movk_i32 s0, 0x7fff
	v_add3_u32 v3, v2, v3, s0
	v_lshrrev_b32_e32 v3, 16, v3
	v_mov_b32_e32 v4, 0x7fc0
	v_cmp_o_f32_e32 vcc, v2, v2
	v_cndmask_b32_e32 v2, v4, v3, vcc
	global_store_short v[0:1], v2, off offset:448
.LBB317_26:
	s_endpgm
.LBB317_27:
	v_mul_f32_e32 v3, 0x3fb8aa3b, v20
	s_mov_b32 s12, 0x3fb8aa3b
	v_rndne_f32_e32 v4, v3
	v_sub_f32_e32 v5, v3, v4
	v_fma_f32 v3, v20, s12, -v3
	v_fmac_f32_e32 v3, 0x32a5705f, v20
	v_add_f32_e32 v3, v5, v3
	v_exp_f32_e32 v3, v3
	v_cvt_i32_f32_e32 v4, v4
	s_mov_b32 s12, 0xc2ce8ed0
	v_cmp_ngt_f32_e64 s[12:13], s12, v20
	v_mov_b32_e32 v5, 0x7fc0
	v_ldexp_f32 v3, v3, v4
	v_cndmask_b32_e64 v3, 0, v3, s[12:13]
	s_mov_b32 s12, 0x42b17218
	v_mov_b32_e32 v4, 0x7f800000
	v_cmp_nlt_f32_e64 s[12:13], s12, v20
	v_cndmask_b32_e64 v3, v4, v3, s[12:13]
	v_fma_f32 v3, -v2, v3, v21
	v_bfe_u32 v4, v3, 16, 1
	s_movk_i32 s12, 0x7fff
	v_add3_u32 v4, v3, v4, s12
	v_lshrrev_b32_e32 v4, 16, v4
	v_cmp_o_f32_e64 s[12:13], v3, v3
	v_cndmask_b32_e64 v3, v5, v4, s[12:13]
	global_store_short v[0:1], v3, off
	s_or_b64 exec, exec, s[14:15]
	s_and_saveexec_b64 s[12:13], s[10:11]
	s_cbranch_execz .LBB317_19
.LBB317_28:
	v_mul_f32_e32 v3, 0x3fb8aa3b, v16
	s_mov_b32 s10, 0x3fb8aa3b
	v_rndne_f32_e32 v4, v3
	v_sub_f32_e32 v5, v3, v4
	v_fma_f32 v3, v16, s10, -v3
	v_fmac_f32_e32 v3, 0x32a5705f, v16
	v_add_f32_e32 v3, v5, v3
	v_exp_f32_e32 v3, v3
	v_cvt_i32_f32_e32 v4, v4
	s_mov_b32 s10, 0xc2ce8ed0
	v_cmp_ngt_f32_e64 s[10:11], s10, v16
	v_mov_b32_e32 v5, 0x7fc0
	v_ldexp_f32 v3, v3, v4
	v_cndmask_b32_e64 v3, 0, v3, s[10:11]
	s_mov_b32 s10, 0x42b17218
	v_mov_b32_e32 v4, 0x7f800000
	v_cmp_nlt_f32_e64 s[10:11], s10, v16
	v_cndmask_b32_e64 v3, v4, v3, s[10:11]
	v_fma_f32 v3, -v2, v3, v19
	v_bfe_u32 v4, v3, 16, 1
	s_movk_i32 s10, 0x7fff
	v_add3_u32 v4, v3, v4, s10
	v_lshrrev_b32_e32 v4, 16, v4
	v_cmp_o_f32_e64 s[10:11], v3, v3
	v_cndmask_b32_e64 v3, v5, v4, s[10:11]
	global_store_short v[0:1], v3, off offset:64
	s_or_b64 exec, exec, s[12:13]
	s_and_saveexec_b64 s[10:11], s[8:9]
	s_cbranch_execz .LBB317_20
.LBB317_29:
	v_mul_f32_e32 v3, 0x3fb8aa3b, v17
	s_mov_b32 s8, 0x3fb8aa3b
	v_rndne_f32_e32 v4, v3
	v_sub_f32_e32 v5, v3, v4
	v_fma_f32 v3, v17, s8, -v3
	v_fmac_f32_e32 v3, 0x32a5705f, v17
	v_add_f32_e32 v3, v5, v3
	v_exp_f32_e32 v3, v3
	v_cvt_i32_f32_e32 v4, v4
	s_mov_b32 s8, 0xc2ce8ed0
	v_cmp_ngt_f32_e64 s[8:9], s8, v17
	v_mov_b32_e32 v5, 0x7fc0
	v_ldexp_f32 v3, v3, v4
	v_cndmask_b32_e64 v3, 0, v3, s[8:9]
	s_mov_b32 s8, 0x42b17218
	v_mov_b32_e32 v4, 0x7f800000
	v_cmp_nlt_f32_e64 s[8:9], s8, v17
	v_cndmask_b32_e64 v3, v4, v3, s[8:9]
	v_fma_f32 v3, -v2, v3, v18
	v_bfe_u32 v4, v3, 16, 1
	s_movk_i32 s8, 0x7fff
	v_add3_u32 v4, v3, v4, s8
	v_lshrrev_b32_e32 v4, 16, v4
	v_cmp_o_f32_e64 s[8:9], v3, v3
	v_cndmask_b32_e64 v3, v5, v4, s[8:9]
	global_store_short v[0:1], v3, off offset:128
	s_or_b64 exec, exec, s[10:11]
	s_and_saveexec_b64 s[8:9], s[6:7]
	s_cbranch_execz .LBB317_21
.LBB317_30:
	v_mul_f32_e32 v3, 0x3fb8aa3b, v12
	s_mov_b32 s6, 0x3fb8aa3b
	v_rndne_f32_e32 v4, v3
	v_sub_f32_e32 v5, v3, v4
	v_fma_f32 v3, v12, s6, -v3
	v_fmac_f32_e32 v3, 0x32a5705f, v12
	v_add_f32_e32 v3, v5, v3
	v_exp_f32_e32 v3, v3
	v_cvt_i32_f32_e32 v4, v4
	s_mov_b32 s6, 0xc2ce8ed0
	v_cmp_ngt_f32_e64 s[6:7], s6, v12
	v_mov_b32_e32 v5, 0x7fc0
	v_ldexp_f32 v3, v3, v4
	v_cndmask_b32_e64 v3, 0, v3, s[6:7]
	s_mov_b32 s6, 0x42b17218
	v_mov_b32_e32 v4, 0x7f800000
	v_cmp_nlt_f32_e64 s[6:7], s6, v12
	v_cndmask_b32_e64 v3, v4, v3, s[6:7]
	v_fma_f32 v3, -v2, v3, v15
	v_bfe_u32 v4, v3, 16, 1
	s_movk_i32 s6, 0x7fff
	v_add3_u32 v4, v3, v4, s6
	v_lshrrev_b32_e32 v4, 16, v4
	v_cmp_o_f32_e64 s[6:7], v3, v3
	v_cndmask_b32_e64 v3, v5, v4, s[6:7]
	global_store_short v[0:1], v3, off offset:192
	s_or_b64 exec, exec, s[8:9]
	s_and_saveexec_b64 s[6:7], s[4:5]
	s_cbranch_execz .LBB317_22
.LBB317_31:
	v_mul_f32_e32 v3, 0x3fb8aa3b, v13
	s_mov_b32 s4, 0x3fb8aa3b
	v_rndne_f32_e32 v4, v3
	v_sub_f32_e32 v5, v3, v4
	v_fma_f32 v3, v13, s4, -v3
	v_fmac_f32_e32 v3, 0x32a5705f, v13
	v_add_f32_e32 v3, v5, v3
	v_exp_f32_e32 v3, v3
	v_cvt_i32_f32_e32 v4, v4
	s_mov_b32 s4, 0xc2ce8ed0
	v_cmp_ngt_f32_e64 s[4:5], s4, v13
	v_mov_b32_e32 v5, 0x7fc0
	v_ldexp_f32 v3, v3, v4
	v_cndmask_b32_e64 v3, 0, v3, s[4:5]
	s_mov_b32 s4, 0x42b17218
	v_mov_b32_e32 v4, 0x7f800000
	v_cmp_nlt_f32_e64 s[4:5], s4, v13
	v_cndmask_b32_e64 v3, v4, v3, s[4:5]
	v_fma_f32 v3, -v2, v3, v14
	v_bfe_u32 v4, v3, 16, 1
	s_movk_i32 s4, 0x7fff
	v_add3_u32 v4, v3, v4, s4
	v_lshrrev_b32_e32 v4, 16, v4
	v_cmp_o_f32_e64 s[4:5], v3, v3
	v_cndmask_b32_e64 v3, v5, v4, s[4:5]
	global_store_short v[0:1], v3, off offset:256
	s_or_b64 exec, exec, s[6:7]
	s_and_saveexec_b64 s[4:5], s[2:3]
	s_cbranch_execz .LBB317_23
.LBB317_32:
	v_mul_f32_e32 v3, 0x3fb8aa3b, v8
	s_mov_b32 s2, 0x3fb8aa3b
	v_rndne_f32_e32 v4, v3
	v_sub_f32_e32 v5, v3, v4
	v_fma_f32 v3, v8, s2, -v3
	v_fmac_f32_e32 v3, 0x32a5705f, v8
	v_add_f32_e32 v3, v5, v3
	v_exp_f32_e32 v3, v3
	v_cvt_i32_f32_e32 v4, v4
	s_mov_b32 s2, 0xc2ce8ed0
	v_cmp_ngt_f32_e64 s[2:3], s2, v8
	v_mov_b32_e32 v5, 0x7fc0
	v_ldexp_f32 v3, v3, v4
	v_cndmask_b32_e64 v3, 0, v3, s[2:3]
	s_mov_b32 s2, 0x42b17218
	v_mov_b32_e32 v4, 0x7f800000
	v_cmp_nlt_f32_e64 s[2:3], s2, v8
	v_cndmask_b32_e64 v3, v4, v3, s[2:3]
	v_fma_f32 v3, -v2, v3, v11
	v_bfe_u32 v4, v3, 16, 1
	s_movk_i32 s2, 0x7fff
	v_add3_u32 v4, v3, v4, s2
	v_lshrrev_b32_e32 v4, 16, v4
	v_cmp_o_f32_e64 s[2:3], v3, v3
	v_cndmask_b32_e64 v3, v5, v4, s[2:3]
	global_store_short v[0:1], v3, off offset:320
	s_or_b64 exec, exec, s[4:5]
	s_and_saveexec_b64 s[2:3], s[0:1]
	s_cbranch_execz .LBB317_24
.LBB317_33:
	v_mul_f32_e32 v3, 0x3fb8aa3b, v9
	s_mov_b32 s0, 0x3fb8aa3b
	v_rndne_f32_e32 v4, v3
	v_sub_f32_e32 v5, v3, v4
	v_fma_f32 v3, v9, s0, -v3
	v_fmac_f32_e32 v3, 0x32a5705f, v9
	v_add_f32_e32 v3, v5, v3
	v_exp_f32_e32 v3, v3
	v_cvt_i32_f32_e32 v4, v4
	s_mov_b32 s0, 0xc2ce8ed0
	v_cmp_ngt_f32_e64 s[0:1], s0, v9
	v_mov_b32_e32 v5, 0x7fc0
	v_ldexp_f32 v3, v3, v4
	v_cndmask_b32_e64 v3, 0, v3, s[0:1]
	s_mov_b32 s0, 0x42b17218
	v_mov_b32_e32 v4, 0x7f800000
	v_cmp_nlt_f32_e64 s[0:1], s0, v9
	v_cndmask_b32_e64 v3, v4, v3, s[0:1]
	v_fma_f32 v3, -v2, v3, v10
	v_bfe_u32 v4, v3, 16, 1
	s_movk_i32 s0, 0x7fff
	v_add3_u32 v4, v3, v4, s0
	v_lshrrev_b32_e32 v4, 16, v4
	v_cmp_o_f32_e64 s[0:1], v3, v3
	v_cndmask_b32_e64 v3, v5, v4, s[0:1]
	global_store_short v[0:1], v3, off offset:384
	s_or_b64 exec, exec, s[2:3]
	s_and_b64 exec, exec, vcc
	s_cbranch_execnz .LBB317_25
	s_branch .LBB317_26
	.section	.rodata,"a",@progbits
	.p2align	6, 0x0
	.amdhsa_kernel _ZN12_GLOBAL__N_121softmax_warp_backwardIN3c108BFloat16ES2_fLi8ELb1ELb0ELi32EEEvPT0_PKT_S7_iiiPKb
		.amdhsa_group_segment_fixed_size 0
		.amdhsa_private_segment_fixed_size 0
		.amdhsa_kernarg_size 304
		.amdhsa_user_sgpr_count 6
		.amdhsa_user_sgpr_private_segment_buffer 1
		.amdhsa_user_sgpr_dispatch_ptr 0
		.amdhsa_user_sgpr_queue_ptr 0
		.amdhsa_user_sgpr_kernarg_segment_ptr 1
		.amdhsa_user_sgpr_dispatch_id 0
		.amdhsa_user_sgpr_flat_scratch_init 0
		.amdhsa_user_sgpr_kernarg_preload_length 0
		.amdhsa_user_sgpr_kernarg_preload_offset 0
		.amdhsa_user_sgpr_private_segment_size 0
		.amdhsa_uses_dynamic_stack 0
		.amdhsa_system_sgpr_private_segment_wavefront_offset 0
		.amdhsa_system_sgpr_workgroup_id_x 1
		.amdhsa_system_sgpr_workgroup_id_y 0
		.amdhsa_system_sgpr_workgroup_id_z 0
		.amdhsa_system_sgpr_workgroup_info 0
		.amdhsa_system_vgpr_workitem_id 1
		.amdhsa_next_free_vgpr 24
		.amdhsa_next_free_sgpr 24
		.amdhsa_accum_offset 24
		.amdhsa_reserve_vcc 1
		.amdhsa_reserve_flat_scratch 0
		.amdhsa_float_round_mode_32 0
		.amdhsa_float_round_mode_16_64 0
		.amdhsa_float_denorm_mode_32 3
		.amdhsa_float_denorm_mode_16_64 3
		.amdhsa_dx10_clamp 1
		.amdhsa_ieee_mode 1
		.amdhsa_fp16_overflow 0
		.amdhsa_tg_split 0
		.amdhsa_exception_fp_ieee_invalid_op 0
		.amdhsa_exception_fp_denorm_src 0
		.amdhsa_exception_fp_ieee_div_zero 0
		.amdhsa_exception_fp_ieee_overflow 0
		.amdhsa_exception_fp_ieee_underflow 0
		.amdhsa_exception_fp_ieee_inexact 0
		.amdhsa_exception_int_div_zero 0
	.end_amdhsa_kernel
	.section	.text._ZN12_GLOBAL__N_121softmax_warp_backwardIN3c108BFloat16ES2_fLi8ELb1ELb0ELi32EEEvPT0_PKT_S7_iiiPKb,"axG",@progbits,_ZN12_GLOBAL__N_121softmax_warp_backwardIN3c108BFloat16ES2_fLi8ELb1ELb0ELi32EEEvPT0_PKT_S7_iiiPKb,comdat
.Lfunc_end317:
	.size	_ZN12_GLOBAL__N_121softmax_warp_backwardIN3c108BFloat16ES2_fLi8ELb1ELb0ELi32EEEvPT0_PKT_S7_iiiPKb, .Lfunc_end317-_ZN12_GLOBAL__N_121softmax_warp_backwardIN3c108BFloat16ES2_fLi8ELb1ELb0ELi32EEEvPT0_PKT_S7_iiiPKb
                                        ; -- End function
	.section	.AMDGPU.csdata,"",@progbits
; Kernel info:
; codeLenInByte = 2568
; NumSgprs: 28
; NumVgprs: 24
; NumAgprs: 0
; TotalNumVgprs: 24
; ScratchSize: 0
; MemoryBound: 0
; FloatMode: 240
; IeeeMode: 1
; LDSByteSize: 0 bytes/workgroup (compile time only)
; SGPRBlocks: 3
; VGPRBlocks: 2
; NumSGPRsForWavesPerEU: 28
; NumVGPRsForWavesPerEU: 24
; AccumOffset: 24
; Occupancy: 8
; WaveLimiterHint : 0
; COMPUTE_PGM_RSRC2:SCRATCH_EN: 0
; COMPUTE_PGM_RSRC2:USER_SGPR: 6
; COMPUTE_PGM_RSRC2:TRAP_HANDLER: 0
; COMPUTE_PGM_RSRC2:TGID_X_EN: 1
; COMPUTE_PGM_RSRC2:TGID_Y_EN: 0
; COMPUTE_PGM_RSRC2:TGID_Z_EN: 0
; COMPUTE_PGM_RSRC2:TIDIG_COMP_CNT: 1
; COMPUTE_PGM_RSRC3_GFX90A:ACCUM_OFFSET: 5
; COMPUTE_PGM_RSRC3_GFX90A:TG_SPLIT: 0
	.section	.text._ZN12_GLOBAL__N_121softmax_warp_backwardIN3c108BFloat16ES2_fLi9ELb1ELb0ELi64EEEvPT0_PKT_S7_iiiPKb,"axG",@progbits,_ZN12_GLOBAL__N_121softmax_warp_backwardIN3c108BFloat16ES2_fLi9ELb1ELb0ELi64EEEvPT0_PKT_S7_iiiPKb,comdat
	.globl	_ZN12_GLOBAL__N_121softmax_warp_backwardIN3c108BFloat16ES2_fLi9ELb1ELb0ELi64EEEvPT0_PKT_S7_iiiPKb ; -- Begin function _ZN12_GLOBAL__N_121softmax_warp_backwardIN3c108BFloat16ES2_fLi9ELb1ELb0ELi64EEEvPT0_PKT_S7_iiiPKb
	.p2align	8
	.type	_ZN12_GLOBAL__N_121softmax_warp_backwardIN3c108BFloat16ES2_fLi9ELb1ELb0ELi64EEEvPT0_PKT_S7_iiiPKb,@function
_ZN12_GLOBAL__N_121softmax_warp_backwardIN3c108BFloat16ES2_fLi9ELb1ELb0ELi64EEEvPT0_PKT_S7_iiiPKb: ; @_ZN12_GLOBAL__N_121softmax_warp_backwardIN3c108BFloat16ES2_fLi9ELb1ELb0ELi64EEEvPT0_PKT_S7_iiiPKb
; %bb.0:
	s_load_dword s2, s[4:5], 0x3c
	s_load_dwordx4 s[20:23], s[4:5], 0x18
	s_load_dwordx4 s[16:19], s[4:5], 0x0
	s_load_dwordx2 s[0:1], s[4:5], 0x10
	v_bfe_u32 v1, v0, 10, 10
	s_waitcnt lgkmcnt(0)
	s_lshr_b32 s2, s2, 16
	s_mul_i32 s6, s6, s2
	v_add_u32_e32 v1, s6, v1
	v_and_b32_e32 v6, 63, v0
	v_sub_u32_e32 v22, s20, v1
	v_mad_u64_u32 v[0:1], s[2:3], v1, s21, v[6:7]
	v_ashrrev_i32_e32 v1, 31, v0
	v_lshlrev_b64 v[0:1], 1, v[0:1]
	v_mov_b32_e32 v3, s19
	v_add_co_u32_e32 v2, vcc, s18, v0
	v_addc_co_u32_e32 v3, vcc, v3, v1, vcc
	v_mov_b32_e32 v5, s1
	v_add_co_u32_e32 v4, vcc, s0, v0
	v_cmp_lt_i32_e64 s[14:15], 0, v22
	v_cmp_gt_i32_e64 s[12:13], s22, v6
	v_addc_co_u32_e32 v5, vcc, v5, v1, vcc
	s_and_b64 s[2:3], s[14:15], s[12:13]
	v_mov_b32_e32 v16, 0
	v_mov_b32_e32 v20, 0
	;; [unrolled: 1-line block ×3, first 2 shown]
	s_and_saveexec_b64 s[0:1], s[2:3]
	s_cbranch_execz .LBB318_2
; %bb.1:
	global_load_ushort v7, v[4:5], off
	global_load_ushort v8, v[2:3], off
	s_waitcnt vmcnt(1)
	v_lshlrev_b32_e32 v20, 16, v7
	s_waitcnt vmcnt(0)
	v_lshlrev_b32_e32 v21, 16, v8
.LBB318_2:
	s_or_b64 exec, exec, s[0:1]
	v_or_b32_e32 v7, 64, v6
	v_cmp_gt_i32_e64 s[10:11], s22, v7
	s_and_b64 s[2:3], s[14:15], s[10:11]
	v_mov_b32_e32 v19, 0
	s_and_saveexec_b64 s[0:1], s[2:3]
	s_cbranch_execz .LBB318_4
; %bb.3:
	global_load_ushort v7, v[4:5], off offset:128
	global_load_ushort v8, v[2:3], off offset:128
	s_waitcnt vmcnt(1)
	v_lshlrev_b32_e32 v16, 16, v7
	s_waitcnt vmcnt(0)
	v_lshlrev_b32_e32 v19, 16, v8
.LBB318_4:
	s_or_b64 exec, exec, s[0:1]
	v_or_b32_e32 v7, 0x80, v6
	v_cmp_gt_i32_e64 s[8:9], s22, v7
	s_and_b64 s[2:3], s[14:15], s[8:9]
	v_mov_b32_e32 v12, 0
	v_mov_b32_e32 v17, 0
	v_mov_b32_e32 v18, 0
	s_and_saveexec_b64 s[0:1], s[2:3]
	s_cbranch_execz .LBB318_6
; %bb.5:
	global_load_ushort v7, v[4:5], off offset:256
	global_load_ushort v8, v[2:3], off offset:256
	s_waitcnt vmcnt(1)
	v_lshlrev_b32_e32 v17, 16, v7
	s_waitcnt vmcnt(0)
	v_lshlrev_b32_e32 v18, 16, v8
.LBB318_6:
	s_or_b64 exec, exec, s[0:1]
	v_or_b32_e32 v7, 0xc0, v6
	v_cmp_gt_i32_e64 s[6:7], s22, v7
	s_and_b64 s[2:3], s[14:15], s[6:7]
	v_mov_b32_e32 v15, 0
	s_and_saveexec_b64 s[0:1], s[2:3]
	s_cbranch_execz .LBB318_8
; %bb.7:
	global_load_ushort v7, v[4:5], off offset:384
	global_load_ushort v8, v[2:3], off offset:384
	s_waitcnt vmcnt(1)
	v_lshlrev_b32_e32 v12, 16, v7
	s_waitcnt vmcnt(0)
	v_lshlrev_b32_e32 v15, 16, v8
.LBB318_8:
	s_or_b64 exec, exec, s[0:1]
	v_or_b32_e32 v7, 0x100, v6
	v_cmp_gt_i32_e64 s[4:5], s22, v7
	s_and_b64 s[2:3], s[14:15], s[4:5]
	v_mov_b32_e32 v8, 0
	v_mov_b32_e32 v13, 0
	v_mov_b32_e32 v14, 0
	s_and_saveexec_b64 s[0:1], s[2:3]
	s_cbranch_execz .LBB318_10
; %bb.9:
	global_load_ushort v7, v[4:5], off offset:512
	global_load_ushort v9, v[2:3], off offset:512
	s_waitcnt vmcnt(1)
	v_lshlrev_b32_e32 v13, 16, v7
	s_waitcnt vmcnt(0)
	v_lshlrev_b32_e32 v14, 16, v9
.LBB318_10:
	;; [unrolled: 32-line block ×3, first 2 shown]
	s_or_b64 exec, exec, s[18:19]
	v_or_b32_e32 v6, 0x1c0, v6
	v_cmp_gt_i32_e32 vcc, s22, v6
	s_and_b64 s[18:19], s[14:15], vcc
	v_mov_b32_e32 v6, 0
	s_and_saveexec_b64 s[14:15], s[18:19]
	s_cbranch_execz .LBB318_16
; %bb.15:
	global_load_ushort v6, v[4:5], off offset:896
	global_load_ushort v23, v[2:3], off offset:896
	s_waitcnt vmcnt(1)
	v_lshlrev_b32_e32 v7, 16, v6
	s_waitcnt vmcnt(0)
	v_lshlrev_b32_e32 v6, 16, v23
.LBB318_16:
	s_or_b64 exec, exec, s[14:15]
	v_add_f32_e32 v2, 0, v21
	v_add_f32_e32 v2, v2, v19
	v_mbcnt_lo_u32_b32 v3, -1, 0
	v_add_f32_e32 v2, v2, v18
	v_mbcnt_hi_u32_b32 v3, -1, v3
	v_add_f32_e32 v2, v2, v15
	v_and_b32_e32 v4, 64, v3
	v_add_f32_e32 v2, v2, v14
	v_add_u32_e32 v4, 64, v4
	v_xor_b32_e32 v5, 32, v3
	v_add_f32_e32 v2, v2, v11
	v_cmp_lt_i32_e64 s[14:15], v5, v4
	v_add_f32_e32 v2, v2, v10
	v_cndmask_b32_e64 v5, v3, v5, s[14:15]
	v_add_f32_e32 v2, v2, v6
	v_lshlrev_b32_e32 v5, 2, v5
	ds_bpermute_b32 v5, v5, v2
	s_waitcnt lgkmcnt(0)
	v_add_f32_e32 v2, v2, v5
	v_xor_b32_e32 v5, 16, v3
	v_cmp_lt_i32_e64 s[14:15], v5, v4
	v_cndmask_b32_e64 v5, v3, v5, s[14:15]
	v_lshlrev_b32_e32 v5, 2, v5
	ds_bpermute_b32 v5, v5, v2
	s_waitcnt lgkmcnt(0)
	v_add_f32_e32 v2, v2, v5
	v_xor_b32_e32 v5, 8, v3
	v_cmp_lt_i32_e64 s[14:15], v5, v4
	v_cndmask_b32_e64 v5, v3, v5, s[14:15]
	;; [unrolled: 7-line block ×5, first 2 shown]
	v_lshlrev_b32_e32 v3, 2, v3
	ds_bpermute_b32 v3, v3, v2
	v_cmp_lt_i32_e64 s[14:15], 0, v22
	s_and_saveexec_b64 s[18:19], s[14:15]
	s_cbranch_execz .LBB318_26
; %bb.17:
	v_mov_b32_e32 v4, s17
	v_add_co_u32_e64 v0, s[14:15], s16, v0
	v_addc_co_u32_e64 v1, s[14:15], v4, v1, s[14:15]
	s_waitcnt lgkmcnt(0)
	v_add_f32_e32 v2, v2, v3
	s_and_saveexec_b64 s[14:15], s[12:13]
	s_cbranch_execnz .LBB318_27
; %bb.18:
	s_or_b64 exec, exec, s[14:15]
	s_and_saveexec_b64 s[12:13], s[10:11]
	s_cbranch_execnz .LBB318_28
.LBB318_19:
	s_or_b64 exec, exec, s[12:13]
	s_and_saveexec_b64 s[10:11], s[8:9]
	s_cbranch_execnz .LBB318_29
.LBB318_20:
	s_or_b64 exec, exec, s[10:11]
	s_and_saveexec_b64 s[8:9], s[6:7]
	s_cbranch_execnz .LBB318_30
.LBB318_21:
	s_or_b64 exec, exec, s[8:9]
	s_and_saveexec_b64 s[6:7], s[4:5]
	s_cbranch_execnz .LBB318_31
.LBB318_22:
	s_or_b64 exec, exec, s[6:7]
	s_and_saveexec_b64 s[4:5], s[2:3]
	s_cbranch_execnz .LBB318_32
.LBB318_23:
	s_or_b64 exec, exec, s[4:5]
	s_and_saveexec_b64 s[2:3], s[0:1]
	s_cbranch_execnz .LBB318_33
.LBB318_24:
	s_or_b64 exec, exec, s[2:3]
	s_and_b64 exec, exec, vcc
	s_cbranch_execz .LBB318_26
.LBB318_25:
	v_mul_f32_e32 v3, 0x3fb8aa3b, v7
	s_mov_b32 s0, 0x3fb8aa3b
	v_rndne_f32_e32 v4, v3
	v_sub_f32_e32 v5, v3, v4
	v_fma_f32 v3, v7, s0, -v3
	v_fmac_f32_e32 v3, 0x32a5705f, v7
	v_add_f32_e32 v3, v5, v3
	v_exp_f32_e32 v3, v3
	v_cvt_i32_f32_e32 v4, v4
	s_mov_b32 s0, 0xc2ce8ed0
	v_cmp_ngt_f32_e32 vcc, s0, v7
	s_mov_b32 s0, 0x42b17218
	v_ldexp_f32 v3, v3, v4
	v_cndmask_b32_e32 v3, 0, v3, vcc
	v_mov_b32_e32 v4, 0x7f800000
	v_cmp_nlt_f32_e32 vcc, s0, v7
	v_cndmask_b32_e32 v3, v4, v3, vcc
	v_fma_f32 v2, -v2, v3, v6
	v_bfe_u32 v3, v2, 16, 1
	s_movk_i32 s0, 0x7fff
	v_add3_u32 v3, v2, v3, s0
	v_lshrrev_b32_e32 v3, 16, v3
	v_mov_b32_e32 v4, 0x7fc0
	v_cmp_o_f32_e32 vcc, v2, v2
	v_cndmask_b32_e32 v2, v4, v3, vcc
	global_store_short v[0:1], v2, off offset:896
.LBB318_26:
	s_endpgm
.LBB318_27:
	v_mul_f32_e32 v3, 0x3fb8aa3b, v20
	s_mov_b32 s12, 0x3fb8aa3b
	v_rndne_f32_e32 v4, v3
	v_sub_f32_e32 v5, v3, v4
	v_fma_f32 v3, v20, s12, -v3
	v_fmac_f32_e32 v3, 0x32a5705f, v20
	v_add_f32_e32 v3, v5, v3
	v_exp_f32_e32 v3, v3
	v_cvt_i32_f32_e32 v4, v4
	s_mov_b32 s12, 0xc2ce8ed0
	v_cmp_ngt_f32_e64 s[12:13], s12, v20
	v_mov_b32_e32 v5, 0x7fc0
	v_ldexp_f32 v3, v3, v4
	v_cndmask_b32_e64 v3, 0, v3, s[12:13]
	s_mov_b32 s12, 0x42b17218
	v_mov_b32_e32 v4, 0x7f800000
	v_cmp_nlt_f32_e64 s[12:13], s12, v20
	v_cndmask_b32_e64 v3, v4, v3, s[12:13]
	v_fma_f32 v3, -v2, v3, v21
	v_bfe_u32 v4, v3, 16, 1
	s_movk_i32 s12, 0x7fff
	v_add3_u32 v4, v3, v4, s12
	v_lshrrev_b32_e32 v4, 16, v4
	v_cmp_o_f32_e64 s[12:13], v3, v3
	v_cndmask_b32_e64 v3, v5, v4, s[12:13]
	global_store_short v[0:1], v3, off
	s_or_b64 exec, exec, s[14:15]
	s_and_saveexec_b64 s[12:13], s[10:11]
	s_cbranch_execz .LBB318_19
.LBB318_28:
	v_mul_f32_e32 v3, 0x3fb8aa3b, v16
	s_mov_b32 s10, 0x3fb8aa3b
	v_rndne_f32_e32 v4, v3
	v_sub_f32_e32 v5, v3, v4
	v_fma_f32 v3, v16, s10, -v3
	v_fmac_f32_e32 v3, 0x32a5705f, v16
	v_add_f32_e32 v3, v5, v3
	v_exp_f32_e32 v3, v3
	v_cvt_i32_f32_e32 v4, v4
	s_mov_b32 s10, 0xc2ce8ed0
	v_cmp_ngt_f32_e64 s[10:11], s10, v16
	v_mov_b32_e32 v5, 0x7fc0
	v_ldexp_f32 v3, v3, v4
	v_cndmask_b32_e64 v3, 0, v3, s[10:11]
	s_mov_b32 s10, 0x42b17218
	v_mov_b32_e32 v4, 0x7f800000
	v_cmp_nlt_f32_e64 s[10:11], s10, v16
	v_cndmask_b32_e64 v3, v4, v3, s[10:11]
	v_fma_f32 v3, -v2, v3, v19
	v_bfe_u32 v4, v3, 16, 1
	s_movk_i32 s10, 0x7fff
	v_add3_u32 v4, v3, v4, s10
	v_lshrrev_b32_e32 v4, 16, v4
	v_cmp_o_f32_e64 s[10:11], v3, v3
	v_cndmask_b32_e64 v3, v5, v4, s[10:11]
	global_store_short v[0:1], v3, off offset:128
	s_or_b64 exec, exec, s[12:13]
	s_and_saveexec_b64 s[10:11], s[8:9]
	s_cbranch_execz .LBB318_20
.LBB318_29:
	v_mul_f32_e32 v3, 0x3fb8aa3b, v17
	s_mov_b32 s8, 0x3fb8aa3b
	v_rndne_f32_e32 v4, v3
	v_sub_f32_e32 v5, v3, v4
	v_fma_f32 v3, v17, s8, -v3
	v_fmac_f32_e32 v3, 0x32a5705f, v17
	v_add_f32_e32 v3, v5, v3
	v_exp_f32_e32 v3, v3
	v_cvt_i32_f32_e32 v4, v4
	s_mov_b32 s8, 0xc2ce8ed0
	v_cmp_ngt_f32_e64 s[8:9], s8, v17
	v_mov_b32_e32 v5, 0x7fc0
	v_ldexp_f32 v3, v3, v4
	v_cndmask_b32_e64 v3, 0, v3, s[8:9]
	s_mov_b32 s8, 0x42b17218
	v_mov_b32_e32 v4, 0x7f800000
	v_cmp_nlt_f32_e64 s[8:9], s8, v17
	v_cndmask_b32_e64 v3, v4, v3, s[8:9]
	v_fma_f32 v3, -v2, v3, v18
	v_bfe_u32 v4, v3, 16, 1
	s_movk_i32 s8, 0x7fff
	v_add3_u32 v4, v3, v4, s8
	v_lshrrev_b32_e32 v4, 16, v4
	v_cmp_o_f32_e64 s[8:9], v3, v3
	v_cndmask_b32_e64 v3, v5, v4, s[8:9]
	global_store_short v[0:1], v3, off offset:256
	s_or_b64 exec, exec, s[10:11]
	s_and_saveexec_b64 s[8:9], s[6:7]
	s_cbranch_execz .LBB318_21
.LBB318_30:
	v_mul_f32_e32 v3, 0x3fb8aa3b, v12
	s_mov_b32 s6, 0x3fb8aa3b
	v_rndne_f32_e32 v4, v3
	v_sub_f32_e32 v5, v3, v4
	v_fma_f32 v3, v12, s6, -v3
	v_fmac_f32_e32 v3, 0x32a5705f, v12
	v_add_f32_e32 v3, v5, v3
	v_exp_f32_e32 v3, v3
	v_cvt_i32_f32_e32 v4, v4
	s_mov_b32 s6, 0xc2ce8ed0
	v_cmp_ngt_f32_e64 s[6:7], s6, v12
	v_mov_b32_e32 v5, 0x7fc0
	v_ldexp_f32 v3, v3, v4
	v_cndmask_b32_e64 v3, 0, v3, s[6:7]
	s_mov_b32 s6, 0x42b17218
	v_mov_b32_e32 v4, 0x7f800000
	v_cmp_nlt_f32_e64 s[6:7], s6, v12
	v_cndmask_b32_e64 v3, v4, v3, s[6:7]
	v_fma_f32 v3, -v2, v3, v15
	v_bfe_u32 v4, v3, 16, 1
	s_movk_i32 s6, 0x7fff
	v_add3_u32 v4, v3, v4, s6
	v_lshrrev_b32_e32 v4, 16, v4
	v_cmp_o_f32_e64 s[6:7], v3, v3
	v_cndmask_b32_e64 v3, v5, v4, s[6:7]
	global_store_short v[0:1], v3, off offset:384
	s_or_b64 exec, exec, s[8:9]
	s_and_saveexec_b64 s[6:7], s[4:5]
	s_cbranch_execz .LBB318_22
.LBB318_31:
	v_mul_f32_e32 v3, 0x3fb8aa3b, v13
	s_mov_b32 s4, 0x3fb8aa3b
	v_rndne_f32_e32 v4, v3
	v_sub_f32_e32 v5, v3, v4
	v_fma_f32 v3, v13, s4, -v3
	v_fmac_f32_e32 v3, 0x32a5705f, v13
	v_add_f32_e32 v3, v5, v3
	v_exp_f32_e32 v3, v3
	v_cvt_i32_f32_e32 v4, v4
	s_mov_b32 s4, 0xc2ce8ed0
	v_cmp_ngt_f32_e64 s[4:5], s4, v13
	v_mov_b32_e32 v5, 0x7fc0
	v_ldexp_f32 v3, v3, v4
	v_cndmask_b32_e64 v3, 0, v3, s[4:5]
	s_mov_b32 s4, 0x42b17218
	v_mov_b32_e32 v4, 0x7f800000
	v_cmp_nlt_f32_e64 s[4:5], s4, v13
	v_cndmask_b32_e64 v3, v4, v3, s[4:5]
	v_fma_f32 v3, -v2, v3, v14
	v_bfe_u32 v4, v3, 16, 1
	s_movk_i32 s4, 0x7fff
	v_add3_u32 v4, v3, v4, s4
	v_lshrrev_b32_e32 v4, 16, v4
	v_cmp_o_f32_e64 s[4:5], v3, v3
	v_cndmask_b32_e64 v3, v5, v4, s[4:5]
	global_store_short v[0:1], v3, off offset:512
	s_or_b64 exec, exec, s[6:7]
	s_and_saveexec_b64 s[4:5], s[2:3]
	s_cbranch_execz .LBB318_23
.LBB318_32:
	v_mul_f32_e32 v3, 0x3fb8aa3b, v8
	s_mov_b32 s2, 0x3fb8aa3b
	v_rndne_f32_e32 v4, v3
	v_sub_f32_e32 v5, v3, v4
	v_fma_f32 v3, v8, s2, -v3
	v_fmac_f32_e32 v3, 0x32a5705f, v8
	v_add_f32_e32 v3, v5, v3
	v_exp_f32_e32 v3, v3
	v_cvt_i32_f32_e32 v4, v4
	s_mov_b32 s2, 0xc2ce8ed0
	v_cmp_ngt_f32_e64 s[2:3], s2, v8
	v_mov_b32_e32 v5, 0x7fc0
	v_ldexp_f32 v3, v3, v4
	v_cndmask_b32_e64 v3, 0, v3, s[2:3]
	s_mov_b32 s2, 0x42b17218
	v_mov_b32_e32 v4, 0x7f800000
	v_cmp_nlt_f32_e64 s[2:3], s2, v8
	v_cndmask_b32_e64 v3, v4, v3, s[2:3]
	v_fma_f32 v3, -v2, v3, v11
	v_bfe_u32 v4, v3, 16, 1
	s_movk_i32 s2, 0x7fff
	v_add3_u32 v4, v3, v4, s2
	v_lshrrev_b32_e32 v4, 16, v4
	v_cmp_o_f32_e64 s[2:3], v3, v3
	v_cndmask_b32_e64 v3, v5, v4, s[2:3]
	global_store_short v[0:1], v3, off offset:640
	s_or_b64 exec, exec, s[4:5]
	s_and_saveexec_b64 s[2:3], s[0:1]
	s_cbranch_execz .LBB318_24
.LBB318_33:
	v_mul_f32_e32 v3, 0x3fb8aa3b, v9
	s_mov_b32 s0, 0x3fb8aa3b
	v_rndne_f32_e32 v4, v3
	v_sub_f32_e32 v5, v3, v4
	v_fma_f32 v3, v9, s0, -v3
	v_fmac_f32_e32 v3, 0x32a5705f, v9
	v_add_f32_e32 v3, v5, v3
	v_exp_f32_e32 v3, v3
	v_cvt_i32_f32_e32 v4, v4
	s_mov_b32 s0, 0xc2ce8ed0
	v_cmp_ngt_f32_e64 s[0:1], s0, v9
	v_mov_b32_e32 v5, 0x7fc0
	v_ldexp_f32 v3, v3, v4
	v_cndmask_b32_e64 v3, 0, v3, s[0:1]
	s_mov_b32 s0, 0x42b17218
	v_mov_b32_e32 v4, 0x7f800000
	v_cmp_nlt_f32_e64 s[0:1], s0, v9
	v_cndmask_b32_e64 v3, v4, v3, s[0:1]
	v_fma_f32 v3, -v2, v3, v10
	v_bfe_u32 v4, v3, 16, 1
	s_movk_i32 s0, 0x7fff
	v_add3_u32 v4, v3, v4, s0
	v_lshrrev_b32_e32 v4, 16, v4
	v_cmp_o_f32_e64 s[0:1], v3, v3
	v_cndmask_b32_e64 v3, v5, v4, s[0:1]
	global_store_short v[0:1], v3, off offset:768
	s_or_b64 exec, exec, s[2:3]
	s_and_b64 exec, exec, vcc
	s_cbranch_execnz .LBB318_25
	s_branch .LBB318_26
	.section	.rodata,"a",@progbits
	.p2align	6, 0x0
	.amdhsa_kernel _ZN12_GLOBAL__N_121softmax_warp_backwardIN3c108BFloat16ES2_fLi9ELb1ELb0ELi64EEEvPT0_PKT_S7_iiiPKb
		.amdhsa_group_segment_fixed_size 0
		.amdhsa_private_segment_fixed_size 0
		.amdhsa_kernarg_size 304
		.amdhsa_user_sgpr_count 6
		.amdhsa_user_sgpr_private_segment_buffer 1
		.amdhsa_user_sgpr_dispatch_ptr 0
		.amdhsa_user_sgpr_queue_ptr 0
		.amdhsa_user_sgpr_kernarg_segment_ptr 1
		.amdhsa_user_sgpr_dispatch_id 0
		.amdhsa_user_sgpr_flat_scratch_init 0
		.amdhsa_user_sgpr_kernarg_preload_length 0
		.amdhsa_user_sgpr_kernarg_preload_offset 0
		.amdhsa_user_sgpr_private_segment_size 0
		.amdhsa_uses_dynamic_stack 0
		.amdhsa_system_sgpr_private_segment_wavefront_offset 0
		.amdhsa_system_sgpr_workgroup_id_x 1
		.amdhsa_system_sgpr_workgroup_id_y 0
		.amdhsa_system_sgpr_workgroup_id_z 0
		.amdhsa_system_sgpr_workgroup_info 0
		.amdhsa_system_vgpr_workitem_id 1
		.amdhsa_next_free_vgpr 24
		.amdhsa_next_free_sgpr 24
		.amdhsa_accum_offset 24
		.amdhsa_reserve_vcc 1
		.amdhsa_reserve_flat_scratch 0
		.amdhsa_float_round_mode_32 0
		.amdhsa_float_round_mode_16_64 0
		.amdhsa_float_denorm_mode_32 3
		.amdhsa_float_denorm_mode_16_64 3
		.amdhsa_dx10_clamp 1
		.amdhsa_ieee_mode 1
		.amdhsa_fp16_overflow 0
		.amdhsa_tg_split 0
		.amdhsa_exception_fp_ieee_invalid_op 0
		.amdhsa_exception_fp_denorm_src 0
		.amdhsa_exception_fp_ieee_div_zero 0
		.amdhsa_exception_fp_ieee_overflow 0
		.amdhsa_exception_fp_ieee_underflow 0
		.amdhsa_exception_fp_ieee_inexact 0
		.amdhsa_exception_int_div_zero 0
	.end_amdhsa_kernel
	.section	.text._ZN12_GLOBAL__N_121softmax_warp_backwardIN3c108BFloat16ES2_fLi9ELb1ELb0ELi64EEEvPT0_PKT_S7_iiiPKb,"axG",@progbits,_ZN12_GLOBAL__N_121softmax_warp_backwardIN3c108BFloat16ES2_fLi9ELb1ELb0ELi64EEEvPT0_PKT_S7_iiiPKb,comdat
.Lfunc_end318:
	.size	_ZN12_GLOBAL__N_121softmax_warp_backwardIN3c108BFloat16ES2_fLi9ELb1ELb0ELi64EEEvPT0_PKT_S7_iiiPKb, .Lfunc_end318-_ZN12_GLOBAL__N_121softmax_warp_backwardIN3c108BFloat16ES2_fLi9ELb1ELb0ELi64EEEvPT0_PKT_S7_iiiPKb
                                        ; -- End function
	.section	.AMDGPU.csdata,"",@progbits
; Kernel info:
; codeLenInByte = 2608
; NumSgprs: 28
; NumVgprs: 24
; NumAgprs: 0
; TotalNumVgprs: 24
; ScratchSize: 0
; MemoryBound: 0
; FloatMode: 240
; IeeeMode: 1
; LDSByteSize: 0 bytes/workgroup (compile time only)
; SGPRBlocks: 3
; VGPRBlocks: 2
; NumSGPRsForWavesPerEU: 28
; NumVGPRsForWavesPerEU: 24
; AccumOffset: 24
; Occupancy: 8
; WaveLimiterHint : 0
; COMPUTE_PGM_RSRC2:SCRATCH_EN: 0
; COMPUTE_PGM_RSRC2:USER_SGPR: 6
; COMPUTE_PGM_RSRC2:TRAP_HANDLER: 0
; COMPUTE_PGM_RSRC2:TGID_X_EN: 1
; COMPUTE_PGM_RSRC2:TGID_Y_EN: 0
; COMPUTE_PGM_RSRC2:TGID_Z_EN: 0
; COMPUTE_PGM_RSRC2:TIDIG_COMP_CNT: 1
; COMPUTE_PGM_RSRC3_GFX90A:ACCUM_OFFSET: 5
; COMPUTE_PGM_RSRC3_GFX90A:TG_SPLIT: 0
	.section	.text._ZN12_GLOBAL__N_121softmax_warp_backwardIN3c108BFloat16ES2_fLi9ELb1ELb0ELi32EEEvPT0_PKT_S7_iiiPKb,"axG",@progbits,_ZN12_GLOBAL__N_121softmax_warp_backwardIN3c108BFloat16ES2_fLi9ELb1ELb0ELi32EEEvPT0_PKT_S7_iiiPKb,comdat
	.globl	_ZN12_GLOBAL__N_121softmax_warp_backwardIN3c108BFloat16ES2_fLi9ELb1ELb0ELi32EEEvPT0_PKT_S7_iiiPKb ; -- Begin function _ZN12_GLOBAL__N_121softmax_warp_backwardIN3c108BFloat16ES2_fLi9ELb1ELb0ELi32EEEvPT0_PKT_S7_iiiPKb
	.p2align	8
	.type	_ZN12_GLOBAL__N_121softmax_warp_backwardIN3c108BFloat16ES2_fLi9ELb1ELb0ELi32EEEvPT0_PKT_S7_iiiPKb,@function
_ZN12_GLOBAL__N_121softmax_warp_backwardIN3c108BFloat16ES2_fLi9ELb1ELb0ELi32EEEvPT0_PKT_S7_iiiPKb: ; @_ZN12_GLOBAL__N_121softmax_warp_backwardIN3c108BFloat16ES2_fLi9ELb1ELb0ELi32EEEvPT0_PKT_S7_iiiPKb
; %bb.0:
	s_load_dword s2, s[4:5], 0x3c
	s_load_dwordx4 s[40:43], s[4:5], 0x18
	s_load_dwordx4 s[36:39], s[4:5], 0x0
	s_load_dwordx2 s[0:1], s[4:5], 0x10
	v_bfe_u32 v1, v0, 10, 10
	s_waitcnt lgkmcnt(0)
	s_lshr_b32 s2, s2, 16
	s_mul_i32 s6, s6, s2
	v_add_u32_e32 v1, s6, v1
	v_and_b32_e32 v6, 31, v0
	v_sub_u32_e32 v38, s40, v1
	v_mad_u64_u32 v[0:1], s[2:3], v1, s41, v[6:7]
	v_ashrrev_i32_e32 v1, 31, v0
	v_lshlrev_b64 v[0:1], 1, v[0:1]
	v_mov_b32_e32 v3, s39
	v_add_co_u32_e32 v2, vcc, s38, v0
	v_addc_co_u32_e32 v3, vcc, v3, v1, vcc
	v_mov_b32_e32 v5, s1
	v_add_co_u32_e32 v4, vcc, s0, v0
	v_cmp_lt_i32_e64 s[30:31], 0, v38
	v_cmp_gt_i32_e64 s[28:29], s42, v6
	v_addc_co_u32_e32 v5, vcc, v5, v1, vcc
	s_and_b64 s[2:3], s[30:31], s[28:29]
	v_mov_b32_e32 v32, 0
	v_mov_b32_e32 v36, 0
	;; [unrolled: 1-line block ×3, first 2 shown]
	s_and_saveexec_b64 s[0:1], s[2:3]
	s_cbranch_execz .LBB319_2
; %bb.1:
	global_load_ushort v7, v[4:5], off
	global_load_ushort v8, v[2:3], off
	s_waitcnt vmcnt(1)
	v_lshlrev_b32_e32 v36, 16, v7
	s_waitcnt vmcnt(0)
	v_lshlrev_b32_e32 v37, 16, v8
.LBB319_2:
	s_or_b64 exec, exec, s[0:1]
	v_or_b32_e32 v7, 32, v6
	v_cmp_gt_i32_e64 s[26:27], s42, v7
	s_and_b64 s[2:3], s[30:31], s[26:27]
	v_mov_b32_e32 v35, 0
	s_and_saveexec_b64 s[0:1], s[2:3]
	s_cbranch_execz .LBB319_4
; %bb.3:
	global_load_ushort v7, v[4:5], off offset:64
	global_load_ushort v8, v[2:3], off offset:64
	s_waitcnt vmcnt(1)
	v_lshlrev_b32_e32 v32, 16, v7
	s_waitcnt vmcnt(0)
	v_lshlrev_b32_e32 v35, 16, v8
.LBB319_4:
	s_or_b64 exec, exec, s[0:1]
	v_or_b32_e32 v7, 64, v6
	v_cmp_gt_i32_e64 s[24:25], s42, v7
	s_and_b64 s[2:3], s[30:31], s[24:25]
	v_mov_b32_e32 v28, 0
	v_mov_b32_e32 v33, 0
	v_mov_b32_e32 v34, 0
	s_and_saveexec_b64 s[0:1], s[2:3]
	s_cbranch_execz .LBB319_6
; %bb.5:
	global_load_ushort v7, v[4:5], off offset:128
	global_load_ushort v8, v[2:3], off offset:128
	s_waitcnt vmcnt(1)
	v_lshlrev_b32_e32 v33, 16, v7
	s_waitcnt vmcnt(0)
	v_lshlrev_b32_e32 v34, 16, v8
.LBB319_6:
	s_or_b64 exec, exec, s[0:1]
	v_or_b32_e32 v7, 0x60, v6
	v_cmp_gt_i32_e64 s[22:23], s42, v7
	s_and_b64 s[2:3], s[30:31], s[22:23]
	v_mov_b32_e32 v31, 0
	s_and_saveexec_b64 s[0:1], s[2:3]
	s_cbranch_execz .LBB319_8
; %bb.7:
	global_load_ushort v7, v[4:5], off offset:192
	global_load_ushort v8, v[2:3], off offset:192
	s_waitcnt vmcnt(1)
	v_lshlrev_b32_e32 v28, 16, v7
	s_waitcnt vmcnt(0)
	v_lshlrev_b32_e32 v31, 16, v8
.LBB319_8:
	s_or_b64 exec, exec, s[0:1]
	v_or_b32_e32 v7, 0x80, v6
	v_cmp_gt_i32_e64 s[20:21], s42, v7
	s_and_b64 s[2:3], s[30:31], s[20:21]
	v_mov_b32_e32 v24, 0
	v_mov_b32_e32 v29, 0
	v_mov_b32_e32 v30, 0
	s_and_saveexec_b64 s[0:1], s[2:3]
	s_cbranch_execz .LBB319_10
; %bb.9:
	global_load_ushort v7, v[4:5], off offset:256
	global_load_ushort v8, v[2:3], off offset:256
	s_waitcnt vmcnt(1)
	v_lshlrev_b32_e32 v29, 16, v7
	s_waitcnt vmcnt(0)
	v_lshlrev_b32_e32 v30, 16, v8
.LBB319_10:
	s_or_b64 exec, exec, s[0:1]
	v_or_b32_e32 v7, 0xa0, v6
	v_cmp_gt_i32_e64 s[18:19], s42, v7
	s_and_b64 s[2:3], s[30:31], s[18:19]
	v_mov_b32_e32 v27, 0
	s_and_saveexec_b64 s[0:1], s[2:3]
	s_cbranch_execz .LBB319_12
; %bb.11:
	global_load_ushort v7, v[4:5], off offset:320
	global_load_ushort v8, v[2:3], off offset:320
	s_waitcnt vmcnt(1)
	v_lshlrev_b32_e32 v24, 16, v7
	s_waitcnt vmcnt(0)
	v_lshlrev_b32_e32 v27, 16, v8
.LBB319_12:
	s_or_b64 exec, exec, s[0:1]
	v_or_b32_e32 v7, 0xc0, v6
	v_cmp_gt_i32_e64 s[16:17], s42, v7
	s_and_b64 s[2:3], s[30:31], s[16:17]
	v_mov_b32_e32 v20, 0
	v_mov_b32_e32 v25, 0
	v_mov_b32_e32 v26, 0
	s_and_saveexec_b64 s[0:1], s[2:3]
	s_cbranch_execz .LBB319_14
; %bb.13:
	global_load_ushort v7, v[4:5], off offset:384
	global_load_ushort v8, v[2:3], off offset:384
	s_waitcnt vmcnt(1)
	v_lshlrev_b32_e32 v25, 16, v7
	s_waitcnt vmcnt(0)
	v_lshlrev_b32_e32 v26, 16, v8
.LBB319_14:
	s_or_b64 exec, exec, s[0:1]
	v_or_b32_e32 v7, 0xe0, v6
	v_cmp_gt_i32_e64 s[14:15], s42, v7
	s_and_b64 s[2:3], s[30:31], s[14:15]
	v_mov_b32_e32 v23, 0
	s_and_saveexec_b64 s[0:1], s[2:3]
	s_cbranch_execz .LBB319_16
; %bb.15:
	global_load_ushort v7, v[4:5], off offset:448
	global_load_ushort v8, v[2:3], off offset:448
	s_waitcnt vmcnt(1)
	v_lshlrev_b32_e32 v20, 16, v7
	s_waitcnt vmcnt(0)
	v_lshlrev_b32_e32 v23, 16, v8
.LBB319_16:
	s_or_b64 exec, exec, s[0:1]
	v_or_b32_e32 v7, 0x100, v6
	v_cmp_gt_i32_e64 s[12:13], s42, v7
	s_and_b64 s[2:3], s[30:31], s[12:13]
	v_mov_b32_e32 v16, 0
	v_mov_b32_e32 v21, 0
	v_mov_b32_e32 v22, 0
	s_and_saveexec_b64 s[0:1], s[2:3]
	s_cbranch_execz .LBB319_18
; %bb.17:
	global_load_ushort v7, v[4:5], off offset:512
	global_load_ushort v8, v[2:3], off offset:512
	s_waitcnt vmcnt(1)
	v_lshlrev_b32_e32 v21, 16, v7
	s_waitcnt vmcnt(0)
	v_lshlrev_b32_e32 v22, 16, v8
.LBB319_18:
	s_or_b64 exec, exec, s[0:1]
	v_or_b32_e32 v7, 0x120, v6
	v_cmp_gt_i32_e64 s[10:11], s42, v7
	s_and_b64 s[2:3], s[30:31], s[10:11]
	v_mov_b32_e32 v19, 0
	s_and_saveexec_b64 s[0:1], s[2:3]
	s_cbranch_execz .LBB319_20
; %bb.19:
	global_load_ushort v7, v[4:5], off offset:576
	global_load_ushort v8, v[2:3], off offset:576
	s_waitcnt vmcnt(1)
	v_lshlrev_b32_e32 v16, 16, v7
	s_waitcnt vmcnt(0)
	v_lshlrev_b32_e32 v19, 16, v8
.LBB319_20:
	s_or_b64 exec, exec, s[0:1]
	v_or_b32_e32 v7, 0x140, v6
	v_cmp_gt_i32_e64 s[8:9], s42, v7
	s_and_b64 s[2:3], s[30:31], s[8:9]
	v_mov_b32_e32 v12, 0
	v_mov_b32_e32 v17, 0
	v_mov_b32_e32 v18, 0
	s_and_saveexec_b64 s[0:1], s[2:3]
	s_cbranch_execz .LBB319_22
; %bb.21:
	global_load_ushort v7, v[4:5], off offset:640
	global_load_ushort v8, v[2:3], off offset:640
	s_waitcnt vmcnt(1)
	v_lshlrev_b32_e32 v17, 16, v7
	s_waitcnt vmcnt(0)
	v_lshlrev_b32_e32 v18, 16, v8
.LBB319_22:
	s_or_b64 exec, exec, s[0:1]
	v_or_b32_e32 v7, 0x160, v6
	v_cmp_gt_i32_e64 s[6:7], s42, v7
	s_and_b64 s[2:3], s[30:31], s[6:7]
	v_mov_b32_e32 v15, 0
	s_and_saveexec_b64 s[0:1], s[2:3]
	s_cbranch_execz .LBB319_24
; %bb.23:
	global_load_ushort v7, v[4:5], off offset:704
	global_load_ushort v8, v[2:3], off offset:704
	s_waitcnt vmcnt(1)
	v_lshlrev_b32_e32 v12, 16, v7
	s_waitcnt vmcnt(0)
	v_lshlrev_b32_e32 v15, 16, v8
.LBB319_24:
	s_or_b64 exec, exec, s[0:1]
	v_or_b32_e32 v7, 0x180, v6
	v_cmp_gt_i32_e64 s[4:5], s42, v7
	s_and_b64 s[2:3], s[30:31], s[4:5]
	v_mov_b32_e32 v8, 0
	v_mov_b32_e32 v13, 0
	v_mov_b32_e32 v14, 0
	s_and_saveexec_b64 s[0:1], s[2:3]
	s_cbranch_execz .LBB319_26
; %bb.25:
	global_load_ushort v7, v[4:5], off offset:768
	global_load_ushort v9, v[2:3], off offset:768
	s_waitcnt vmcnt(1)
	v_lshlrev_b32_e32 v13, 16, v7
	s_waitcnt vmcnt(0)
	v_lshlrev_b32_e32 v14, 16, v9
.LBB319_26:
	s_or_b64 exec, exec, s[0:1]
	v_or_b32_e32 v7, 0x1a0, v6
	v_cmp_gt_i32_e64 s[2:3], s42, v7
	s_and_b64 s[34:35], s[30:31], s[2:3]
	v_mov_b32_e32 v11, 0
	s_and_saveexec_b64 s[0:1], s[34:35]
	s_cbranch_execz .LBB319_28
; %bb.27:
	global_load_ushort v7, v[4:5], off offset:832
	global_load_ushort v9, v[2:3], off offset:832
	s_waitcnt vmcnt(1)
	v_lshlrev_b32_e32 v8, 16, v7
	s_waitcnt vmcnt(0)
	v_lshlrev_b32_e32 v11, 16, v9
.LBB319_28:
	s_or_b64 exec, exec, s[0:1]
	v_or_b32_e32 v7, 0x1c0, v6
	v_cmp_gt_i32_e64 s[0:1], s42, v7
	s_and_b64 s[38:39], s[30:31], s[0:1]
	v_mov_b32_e32 v7, 0
	v_mov_b32_e32 v9, 0
	v_mov_b32_e32 v10, 0
	s_and_saveexec_b64 s[34:35], s[38:39]
	s_cbranch_execz .LBB319_30
; %bb.29:
	global_load_ushort v9, v[4:5], off offset:896
	global_load_ushort v10, v[2:3], off offset:896
	s_waitcnt vmcnt(1)
	v_lshlrev_b32_e32 v9, 16, v9
	s_waitcnt vmcnt(0)
	v_lshlrev_b32_e32 v10, 16, v10
.LBB319_30:
	s_or_b64 exec, exec, s[34:35]
	v_or_b32_e32 v6, 0x1e0, v6
	v_cmp_gt_i32_e32 vcc, s42, v6
	s_and_b64 s[34:35], s[30:31], vcc
	v_mov_b32_e32 v6, 0
	s_and_saveexec_b64 s[30:31], s[34:35]
	s_cbranch_execz .LBB319_32
; %bb.31:
	global_load_ushort v6, v[4:5], off offset:960
	global_load_ushort v39, v[2:3], off offset:960
	s_waitcnt vmcnt(1)
	v_lshlrev_b32_e32 v7, 16, v6
	s_waitcnt vmcnt(0)
	v_lshlrev_b32_e32 v6, 16, v39
.LBB319_32:
	s_or_b64 exec, exec, s[30:31]
	v_add_f32_e32 v2, 0, v37
	v_add_f32_e32 v2, v2, v35
	;; [unrolled: 1-line block ×10, first 2 shown]
	v_mbcnt_lo_u32_b32 v3, -1, 0
	v_add_f32_e32 v2, v2, v18
	v_mbcnt_hi_u32_b32 v3, -1, v3
	v_add_f32_e32 v2, v2, v15
	v_and_b32_e32 v4, 0x60, v3
	v_add_f32_e32 v2, v2, v14
	v_add_u32_e32 v4, 32, v4
	v_xor_b32_e32 v5, 16, v3
	v_add_f32_e32 v2, v2, v11
	v_cmp_lt_i32_e64 s[30:31], v5, v4
	v_add_f32_e32 v2, v2, v10
	v_cndmask_b32_e64 v5, v3, v5, s[30:31]
	v_add_f32_e32 v2, v2, v6
	v_lshlrev_b32_e32 v5, 2, v5
	ds_bpermute_b32 v5, v5, v2
	s_waitcnt lgkmcnt(0)
	v_add_f32_e32 v2, v2, v5
	v_xor_b32_e32 v5, 8, v3
	v_cmp_lt_i32_e64 s[30:31], v5, v4
	v_cndmask_b32_e64 v5, v3, v5, s[30:31]
	v_lshlrev_b32_e32 v5, 2, v5
	ds_bpermute_b32 v5, v5, v2
	s_waitcnt lgkmcnt(0)
	v_add_f32_e32 v2, v2, v5
	v_xor_b32_e32 v5, 4, v3
	v_cmp_lt_i32_e64 s[30:31], v5, v4
	v_cndmask_b32_e64 v5, v3, v5, s[30:31]
	;; [unrolled: 7-line block ×4, first 2 shown]
	v_lshlrev_b32_e32 v3, 2, v3
	ds_bpermute_b32 v3, v3, v2
	v_cmp_lt_i32_e64 s[30:31], 0, v38
	s_and_saveexec_b64 s[34:35], s[30:31]
	s_cbranch_execz .LBB319_50
; %bb.33:
	v_mov_b32_e32 v4, s37
	v_add_co_u32_e64 v0, s[30:31], s36, v0
	v_addc_co_u32_e64 v1, s[30:31], v4, v1, s[30:31]
	s_waitcnt lgkmcnt(0)
	v_add_f32_e32 v2, v2, v3
	s_and_saveexec_b64 s[30:31], s[28:29]
	s_cbranch_execnz .LBB319_51
; %bb.34:
	s_or_b64 exec, exec, s[30:31]
	s_and_saveexec_b64 s[28:29], s[26:27]
	s_cbranch_execnz .LBB319_52
.LBB319_35:
	s_or_b64 exec, exec, s[28:29]
	s_and_saveexec_b64 s[26:27], s[24:25]
	s_cbranch_execnz .LBB319_53
.LBB319_36:
	s_or_b64 exec, exec, s[26:27]
	s_and_saveexec_b64 s[24:25], s[22:23]
	s_cbranch_execnz .LBB319_54
.LBB319_37:
	s_or_b64 exec, exec, s[24:25]
	s_and_saveexec_b64 s[22:23], s[20:21]
	s_cbranch_execnz .LBB319_55
.LBB319_38:
	s_or_b64 exec, exec, s[22:23]
	s_and_saveexec_b64 s[20:21], s[18:19]
	s_cbranch_execnz .LBB319_56
.LBB319_39:
	s_or_b64 exec, exec, s[20:21]
	s_and_saveexec_b64 s[18:19], s[16:17]
	s_cbranch_execnz .LBB319_57
.LBB319_40:
	s_or_b64 exec, exec, s[18:19]
	s_and_saveexec_b64 s[16:17], s[14:15]
	s_cbranch_execnz .LBB319_58
.LBB319_41:
	s_or_b64 exec, exec, s[16:17]
	s_and_saveexec_b64 s[14:15], s[12:13]
	s_cbranch_execnz .LBB319_59
.LBB319_42:
	s_or_b64 exec, exec, s[14:15]
	s_and_saveexec_b64 s[12:13], s[10:11]
	s_cbranch_execnz .LBB319_60
.LBB319_43:
	s_or_b64 exec, exec, s[12:13]
	s_and_saveexec_b64 s[10:11], s[8:9]
	s_cbranch_execnz .LBB319_61
.LBB319_44:
	s_or_b64 exec, exec, s[10:11]
	s_and_saveexec_b64 s[8:9], s[6:7]
	s_cbranch_execnz .LBB319_62
.LBB319_45:
	s_or_b64 exec, exec, s[8:9]
	s_and_saveexec_b64 s[6:7], s[4:5]
	s_cbranch_execnz .LBB319_63
.LBB319_46:
	s_or_b64 exec, exec, s[6:7]
	s_and_saveexec_b64 s[4:5], s[2:3]
	s_cbranch_execnz .LBB319_64
.LBB319_47:
	s_or_b64 exec, exec, s[4:5]
	s_and_saveexec_b64 s[2:3], s[0:1]
	s_cbranch_execnz .LBB319_65
.LBB319_48:
	s_or_b64 exec, exec, s[2:3]
	s_and_b64 exec, exec, vcc
	s_cbranch_execz .LBB319_50
.LBB319_49:
	v_mul_f32_e32 v3, 0x3fb8aa3b, v7
	s_mov_b32 s0, 0x3fb8aa3b
	v_rndne_f32_e32 v4, v3
	v_sub_f32_e32 v5, v3, v4
	v_fma_f32 v3, v7, s0, -v3
	v_fmac_f32_e32 v3, 0x32a5705f, v7
	v_add_f32_e32 v3, v5, v3
	v_exp_f32_e32 v3, v3
	v_cvt_i32_f32_e32 v4, v4
	s_mov_b32 s0, 0xc2ce8ed0
	v_cmp_ngt_f32_e32 vcc, s0, v7
	s_mov_b32 s0, 0x42b17218
	v_ldexp_f32 v3, v3, v4
	v_cndmask_b32_e32 v3, 0, v3, vcc
	v_mov_b32_e32 v4, 0x7f800000
	v_cmp_nlt_f32_e32 vcc, s0, v7
	v_cndmask_b32_e32 v3, v4, v3, vcc
	v_fma_f32 v2, -v2, v3, v6
	v_bfe_u32 v3, v2, 16, 1
	s_movk_i32 s0, 0x7fff
	v_add3_u32 v3, v2, v3, s0
	v_lshrrev_b32_e32 v3, 16, v3
	v_mov_b32_e32 v4, 0x7fc0
	v_cmp_o_f32_e32 vcc, v2, v2
	v_cndmask_b32_e32 v2, v4, v3, vcc
	global_store_short v[0:1], v2, off offset:960
.LBB319_50:
	s_endpgm
.LBB319_51:
	v_mul_f32_e32 v3, 0x3fb8aa3b, v36
	s_mov_b32 s28, 0x3fb8aa3b
	v_rndne_f32_e32 v4, v3
	v_sub_f32_e32 v5, v3, v4
	v_fma_f32 v3, v36, s28, -v3
	v_fmac_f32_e32 v3, 0x32a5705f, v36
	v_add_f32_e32 v3, v5, v3
	v_exp_f32_e32 v3, v3
	v_cvt_i32_f32_e32 v4, v4
	s_mov_b32 s28, 0xc2ce8ed0
	v_cmp_ngt_f32_e64 s[28:29], s28, v36
	v_mov_b32_e32 v5, 0x7fc0
	v_ldexp_f32 v3, v3, v4
	v_cndmask_b32_e64 v3, 0, v3, s[28:29]
	s_mov_b32 s28, 0x42b17218
	v_mov_b32_e32 v4, 0x7f800000
	v_cmp_nlt_f32_e64 s[28:29], s28, v36
	v_cndmask_b32_e64 v3, v4, v3, s[28:29]
	v_fma_f32 v3, -v2, v3, v37
	v_bfe_u32 v4, v3, 16, 1
	s_movk_i32 s28, 0x7fff
	v_add3_u32 v4, v3, v4, s28
	v_lshrrev_b32_e32 v4, 16, v4
	v_cmp_o_f32_e64 s[28:29], v3, v3
	v_cndmask_b32_e64 v3, v5, v4, s[28:29]
	global_store_short v[0:1], v3, off
	s_or_b64 exec, exec, s[30:31]
	s_and_saveexec_b64 s[28:29], s[26:27]
	s_cbranch_execz .LBB319_35
.LBB319_52:
	v_mul_f32_e32 v3, 0x3fb8aa3b, v32
	s_mov_b32 s26, 0x3fb8aa3b
	v_rndne_f32_e32 v4, v3
	v_sub_f32_e32 v5, v3, v4
	v_fma_f32 v3, v32, s26, -v3
	v_fmac_f32_e32 v3, 0x32a5705f, v32
	v_add_f32_e32 v3, v5, v3
	v_exp_f32_e32 v3, v3
	v_cvt_i32_f32_e32 v4, v4
	s_mov_b32 s26, 0xc2ce8ed0
	v_cmp_ngt_f32_e64 s[26:27], s26, v32
	v_mov_b32_e32 v5, 0x7fc0
	v_ldexp_f32 v3, v3, v4
	v_cndmask_b32_e64 v3, 0, v3, s[26:27]
	s_mov_b32 s26, 0x42b17218
	v_mov_b32_e32 v4, 0x7f800000
	v_cmp_nlt_f32_e64 s[26:27], s26, v32
	v_cndmask_b32_e64 v3, v4, v3, s[26:27]
	v_fma_f32 v3, -v2, v3, v35
	v_bfe_u32 v4, v3, 16, 1
	s_movk_i32 s26, 0x7fff
	v_add3_u32 v4, v3, v4, s26
	v_lshrrev_b32_e32 v4, 16, v4
	v_cmp_o_f32_e64 s[26:27], v3, v3
	v_cndmask_b32_e64 v3, v5, v4, s[26:27]
	global_store_short v[0:1], v3, off offset:64
	s_or_b64 exec, exec, s[28:29]
	s_and_saveexec_b64 s[26:27], s[24:25]
	s_cbranch_execz .LBB319_36
.LBB319_53:
	v_mul_f32_e32 v3, 0x3fb8aa3b, v33
	s_mov_b32 s24, 0x3fb8aa3b
	v_rndne_f32_e32 v4, v3
	v_sub_f32_e32 v5, v3, v4
	v_fma_f32 v3, v33, s24, -v3
	v_fmac_f32_e32 v3, 0x32a5705f, v33
	v_add_f32_e32 v3, v5, v3
	v_exp_f32_e32 v3, v3
	v_cvt_i32_f32_e32 v4, v4
	s_mov_b32 s24, 0xc2ce8ed0
	v_cmp_ngt_f32_e64 s[24:25], s24, v33
	v_mov_b32_e32 v5, 0x7fc0
	v_ldexp_f32 v3, v3, v4
	v_cndmask_b32_e64 v3, 0, v3, s[24:25]
	s_mov_b32 s24, 0x42b17218
	v_mov_b32_e32 v4, 0x7f800000
	v_cmp_nlt_f32_e64 s[24:25], s24, v33
	v_cndmask_b32_e64 v3, v4, v3, s[24:25]
	v_fma_f32 v3, -v2, v3, v34
	v_bfe_u32 v4, v3, 16, 1
	s_movk_i32 s24, 0x7fff
	v_add3_u32 v4, v3, v4, s24
	v_lshrrev_b32_e32 v4, 16, v4
	v_cmp_o_f32_e64 s[24:25], v3, v3
	v_cndmask_b32_e64 v3, v5, v4, s[24:25]
	global_store_short v[0:1], v3, off offset:128
	s_or_b64 exec, exec, s[26:27]
	s_and_saveexec_b64 s[24:25], s[22:23]
	s_cbranch_execz .LBB319_37
.LBB319_54:
	v_mul_f32_e32 v3, 0x3fb8aa3b, v28
	s_mov_b32 s22, 0x3fb8aa3b
	v_rndne_f32_e32 v4, v3
	v_sub_f32_e32 v5, v3, v4
	v_fma_f32 v3, v28, s22, -v3
	v_fmac_f32_e32 v3, 0x32a5705f, v28
	v_add_f32_e32 v3, v5, v3
	v_exp_f32_e32 v3, v3
	v_cvt_i32_f32_e32 v4, v4
	s_mov_b32 s22, 0xc2ce8ed0
	v_cmp_ngt_f32_e64 s[22:23], s22, v28
	v_mov_b32_e32 v5, 0x7fc0
	v_ldexp_f32 v3, v3, v4
	v_cndmask_b32_e64 v3, 0, v3, s[22:23]
	s_mov_b32 s22, 0x42b17218
	v_mov_b32_e32 v4, 0x7f800000
	v_cmp_nlt_f32_e64 s[22:23], s22, v28
	v_cndmask_b32_e64 v3, v4, v3, s[22:23]
	v_fma_f32 v3, -v2, v3, v31
	v_bfe_u32 v4, v3, 16, 1
	s_movk_i32 s22, 0x7fff
	v_add3_u32 v4, v3, v4, s22
	v_lshrrev_b32_e32 v4, 16, v4
	v_cmp_o_f32_e64 s[22:23], v3, v3
	v_cndmask_b32_e64 v3, v5, v4, s[22:23]
	global_store_short v[0:1], v3, off offset:192
	s_or_b64 exec, exec, s[24:25]
	s_and_saveexec_b64 s[22:23], s[20:21]
	s_cbranch_execz .LBB319_38
.LBB319_55:
	v_mul_f32_e32 v3, 0x3fb8aa3b, v29
	s_mov_b32 s20, 0x3fb8aa3b
	v_rndne_f32_e32 v4, v3
	v_sub_f32_e32 v5, v3, v4
	v_fma_f32 v3, v29, s20, -v3
	v_fmac_f32_e32 v3, 0x32a5705f, v29
	v_add_f32_e32 v3, v5, v3
	v_exp_f32_e32 v3, v3
	v_cvt_i32_f32_e32 v4, v4
	s_mov_b32 s20, 0xc2ce8ed0
	v_cmp_ngt_f32_e64 s[20:21], s20, v29
	v_mov_b32_e32 v5, 0x7fc0
	v_ldexp_f32 v3, v3, v4
	v_cndmask_b32_e64 v3, 0, v3, s[20:21]
	s_mov_b32 s20, 0x42b17218
	v_mov_b32_e32 v4, 0x7f800000
	v_cmp_nlt_f32_e64 s[20:21], s20, v29
	v_cndmask_b32_e64 v3, v4, v3, s[20:21]
	v_fma_f32 v3, -v2, v3, v30
	v_bfe_u32 v4, v3, 16, 1
	s_movk_i32 s20, 0x7fff
	v_add3_u32 v4, v3, v4, s20
	v_lshrrev_b32_e32 v4, 16, v4
	v_cmp_o_f32_e64 s[20:21], v3, v3
	v_cndmask_b32_e64 v3, v5, v4, s[20:21]
	global_store_short v[0:1], v3, off offset:256
	s_or_b64 exec, exec, s[22:23]
	s_and_saveexec_b64 s[20:21], s[18:19]
	s_cbranch_execz .LBB319_39
.LBB319_56:
	v_mul_f32_e32 v3, 0x3fb8aa3b, v24
	s_mov_b32 s18, 0x3fb8aa3b
	v_rndne_f32_e32 v4, v3
	v_sub_f32_e32 v5, v3, v4
	v_fma_f32 v3, v24, s18, -v3
	v_fmac_f32_e32 v3, 0x32a5705f, v24
	v_add_f32_e32 v3, v5, v3
	v_exp_f32_e32 v3, v3
	v_cvt_i32_f32_e32 v4, v4
	s_mov_b32 s18, 0xc2ce8ed0
	v_cmp_ngt_f32_e64 s[18:19], s18, v24
	v_mov_b32_e32 v5, 0x7fc0
	v_ldexp_f32 v3, v3, v4
	v_cndmask_b32_e64 v3, 0, v3, s[18:19]
	s_mov_b32 s18, 0x42b17218
	v_mov_b32_e32 v4, 0x7f800000
	v_cmp_nlt_f32_e64 s[18:19], s18, v24
	v_cndmask_b32_e64 v3, v4, v3, s[18:19]
	v_fma_f32 v3, -v2, v3, v27
	v_bfe_u32 v4, v3, 16, 1
	s_movk_i32 s18, 0x7fff
	v_add3_u32 v4, v3, v4, s18
	v_lshrrev_b32_e32 v4, 16, v4
	v_cmp_o_f32_e64 s[18:19], v3, v3
	v_cndmask_b32_e64 v3, v5, v4, s[18:19]
	global_store_short v[0:1], v3, off offset:320
	s_or_b64 exec, exec, s[20:21]
	s_and_saveexec_b64 s[18:19], s[16:17]
	s_cbranch_execz .LBB319_40
.LBB319_57:
	v_mul_f32_e32 v3, 0x3fb8aa3b, v25
	s_mov_b32 s16, 0x3fb8aa3b
	v_rndne_f32_e32 v4, v3
	v_sub_f32_e32 v5, v3, v4
	v_fma_f32 v3, v25, s16, -v3
	v_fmac_f32_e32 v3, 0x32a5705f, v25
	v_add_f32_e32 v3, v5, v3
	v_exp_f32_e32 v3, v3
	v_cvt_i32_f32_e32 v4, v4
	s_mov_b32 s16, 0xc2ce8ed0
	v_cmp_ngt_f32_e64 s[16:17], s16, v25
	v_mov_b32_e32 v5, 0x7fc0
	v_ldexp_f32 v3, v3, v4
	v_cndmask_b32_e64 v3, 0, v3, s[16:17]
	s_mov_b32 s16, 0x42b17218
	v_mov_b32_e32 v4, 0x7f800000
	v_cmp_nlt_f32_e64 s[16:17], s16, v25
	v_cndmask_b32_e64 v3, v4, v3, s[16:17]
	v_fma_f32 v3, -v2, v3, v26
	v_bfe_u32 v4, v3, 16, 1
	s_movk_i32 s16, 0x7fff
	v_add3_u32 v4, v3, v4, s16
	v_lshrrev_b32_e32 v4, 16, v4
	v_cmp_o_f32_e64 s[16:17], v3, v3
	v_cndmask_b32_e64 v3, v5, v4, s[16:17]
	global_store_short v[0:1], v3, off offset:384
	s_or_b64 exec, exec, s[18:19]
	s_and_saveexec_b64 s[16:17], s[14:15]
	s_cbranch_execz .LBB319_41
.LBB319_58:
	v_mul_f32_e32 v3, 0x3fb8aa3b, v20
	s_mov_b32 s14, 0x3fb8aa3b
	v_rndne_f32_e32 v4, v3
	v_sub_f32_e32 v5, v3, v4
	v_fma_f32 v3, v20, s14, -v3
	v_fmac_f32_e32 v3, 0x32a5705f, v20
	v_add_f32_e32 v3, v5, v3
	v_exp_f32_e32 v3, v3
	v_cvt_i32_f32_e32 v4, v4
	s_mov_b32 s14, 0xc2ce8ed0
	v_cmp_ngt_f32_e64 s[14:15], s14, v20
	v_mov_b32_e32 v5, 0x7fc0
	v_ldexp_f32 v3, v3, v4
	v_cndmask_b32_e64 v3, 0, v3, s[14:15]
	s_mov_b32 s14, 0x42b17218
	v_mov_b32_e32 v4, 0x7f800000
	v_cmp_nlt_f32_e64 s[14:15], s14, v20
	v_cndmask_b32_e64 v3, v4, v3, s[14:15]
	v_fma_f32 v3, -v2, v3, v23
	v_bfe_u32 v4, v3, 16, 1
	s_movk_i32 s14, 0x7fff
	v_add3_u32 v4, v3, v4, s14
	v_lshrrev_b32_e32 v4, 16, v4
	v_cmp_o_f32_e64 s[14:15], v3, v3
	v_cndmask_b32_e64 v3, v5, v4, s[14:15]
	global_store_short v[0:1], v3, off offset:448
	s_or_b64 exec, exec, s[16:17]
	s_and_saveexec_b64 s[14:15], s[12:13]
	s_cbranch_execz .LBB319_42
.LBB319_59:
	v_mul_f32_e32 v3, 0x3fb8aa3b, v21
	s_mov_b32 s12, 0x3fb8aa3b
	v_rndne_f32_e32 v4, v3
	v_sub_f32_e32 v5, v3, v4
	v_fma_f32 v3, v21, s12, -v3
	v_fmac_f32_e32 v3, 0x32a5705f, v21
	v_add_f32_e32 v3, v5, v3
	v_exp_f32_e32 v3, v3
	v_cvt_i32_f32_e32 v4, v4
	s_mov_b32 s12, 0xc2ce8ed0
	v_cmp_ngt_f32_e64 s[12:13], s12, v21
	v_mov_b32_e32 v5, 0x7fc0
	v_ldexp_f32 v3, v3, v4
	v_cndmask_b32_e64 v3, 0, v3, s[12:13]
	s_mov_b32 s12, 0x42b17218
	v_mov_b32_e32 v4, 0x7f800000
	v_cmp_nlt_f32_e64 s[12:13], s12, v21
	v_cndmask_b32_e64 v3, v4, v3, s[12:13]
	v_fma_f32 v3, -v2, v3, v22
	v_bfe_u32 v4, v3, 16, 1
	s_movk_i32 s12, 0x7fff
	v_add3_u32 v4, v3, v4, s12
	v_lshrrev_b32_e32 v4, 16, v4
	v_cmp_o_f32_e64 s[12:13], v3, v3
	v_cndmask_b32_e64 v3, v5, v4, s[12:13]
	global_store_short v[0:1], v3, off offset:512
	s_or_b64 exec, exec, s[14:15]
	s_and_saveexec_b64 s[12:13], s[10:11]
	s_cbranch_execz .LBB319_43
.LBB319_60:
	v_mul_f32_e32 v3, 0x3fb8aa3b, v16
	s_mov_b32 s10, 0x3fb8aa3b
	v_rndne_f32_e32 v4, v3
	v_sub_f32_e32 v5, v3, v4
	v_fma_f32 v3, v16, s10, -v3
	v_fmac_f32_e32 v3, 0x32a5705f, v16
	v_add_f32_e32 v3, v5, v3
	v_exp_f32_e32 v3, v3
	v_cvt_i32_f32_e32 v4, v4
	s_mov_b32 s10, 0xc2ce8ed0
	v_cmp_ngt_f32_e64 s[10:11], s10, v16
	v_mov_b32_e32 v5, 0x7fc0
	v_ldexp_f32 v3, v3, v4
	v_cndmask_b32_e64 v3, 0, v3, s[10:11]
	s_mov_b32 s10, 0x42b17218
	v_mov_b32_e32 v4, 0x7f800000
	v_cmp_nlt_f32_e64 s[10:11], s10, v16
	v_cndmask_b32_e64 v3, v4, v3, s[10:11]
	v_fma_f32 v3, -v2, v3, v19
	v_bfe_u32 v4, v3, 16, 1
	s_movk_i32 s10, 0x7fff
	v_add3_u32 v4, v3, v4, s10
	v_lshrrev_b32_e32 v4, 16, v4
	v_cmp_o_f32_e64 s[10:11], v3, v3
	v_cndmask_b32_e64 v3, v5, v4, s[10:11]
	global_store_short v[0:1], v3, off offset:576
	s_or_b64 exec, exec, s[12:13]
	s_and_saveexec_b64 s[10:11], s[8:9]
	s_cbranch_execz .LBB319_44
.LBB319_61:
	v_mul_f32_e32 v3, 0x3fb8aa3b, v17
	s_mov_b32 s8, 0x3fb8aa3b
	v_rndne_f32_e32 v4, v3
	v_sub_f32_e32 v5, v3, v4
	v_fma_f32 v3, v17, s8, -v3
	v_fmac_f32_e32 v3, 0x32a5705f, v17
	v_add_f32_e32 v3, v5, v3
	v_exp_f32_e32 v3, v3
	v_cvt_i32_f32_e32 v4, v4
	s_mov_b32 s8, 0xc2ce8ed0
	v_cmp_ngt_f32_e64 s[8:9], s8, v17
	v_mov_b32_e32 v5, 0x7fc0
	v_ldexp_f32 v3, v3, v4
	v_cndmask_b32_e64 v3, 0, v3, s[8:9]
	s_mov_b32 s8, 0x42b17218
	v_mov_b32_e32 v4, 0x7f800000
	v_cmp_nlt_f32_e64 s[8:9], s8, v17
	v_cndmask_b32_e64 v3, v4, v3, s[8:9]
	v_fma_f32 v3, -v2, v3, v18
	v_bfe_u32 v4, v3, 16, 1
	s_movk_i32 s8, 0x7fff
	v_add3_u32 v4, v3, v4, s8
	v_lshrrev_b32_e32 v4, 16, v4
	v_cmp_o_f32_e64 s[8:9], v3, v3
	v_cndmask_b32_e64 v3, v5, v4, s[8:9]
	global_store_short v[0:1], v3, off offset:640
	s_or_b64 exec, exec, s[10:11]
	s_and_saveexec_b64 s[8:9], s[6:7]
	s_cbranch_execz .LBB319_45
.LBB319_62:
	v_mul_f32_e32 v3, 0x3fb8aa3b, v12
	s_mov_b32 s6, 0x3fb8aa3b
	v_rndne_f32_e32 v4, v3
	v_sub_f32_e32 v5, v3, v4
	v_fma_f32 v3, v12, s6, -v3
	v_fmac_f32_e32 v3, 0x32a5705f, v12
	v_add_f32_e32 v3, v5, v3
	v_exp_f32_e32 v3, v3
	v_cvt_i32_f32_e32 v4, v4
	s_mov_b32 s6, 0xc2ce8ed0
	v_cmp_ngt_f32_e64 s[6:7], s6, v12
	v_mov_b32_e32 v5, 0x7fc0
	v_ldexp_f32 v3, v3, v4
	v_cndmask_b32_e64 v3, 0, v3, s[6:7]
	s_mov_b32 s6, 0x42b17218
	v_mov_b32_e32 v4, 0x7f800000
	v_cmp_nlt_f32_e64 s[6:7], s6, v12
	v_cndmask_b32_e64 v3, v4, v3, s[6:7]
	v_fma_f32 v3, -v2, v3, v15
	v_bfe_u32 v4, v3, 16, 1
	s_movk_i32 s6, 0x7fff
	v_add3_u32 v4, v3, v4, s6
	v_lshrrev_b32_e32 v4, 16, v4
	v_cmp_o_f32_e64 s[6:7], v3, v3
	v_cndmask_b32_e64 v3, v5, v4, s[6:7]
	global_store_short v[0:1], v3, off offset:704
	s_or_b64 exec, exec, s[8:9]
	s_and_saveexec_b64 s[6:7], s[4:5]
	s_cbranch_execz .LBB319_46
.LBB319_63:
	v_mul_f32_e32 v3, 0x3fb8aa3b, v13
	s_mov_b32 s4, 0x3fb8aa3b
	v_rndne_f32_e32 v4, v3
	v_sub_f32_e32 v5, v3, v4
	v_fma_f32 v3, v13, s4, -v3
	v_fmac_f32_e32 v3, 0x32a5705f, v13
	v_add_f32_e32 v3, v5, v3
	v_exp_f32_e32 v3, v3
	v_cvt_i32_f32_e32 v4, v4
	s_mov_b32 s4, 0xc2ce8ed0
	v_cmp_ngt_f32_e64 s[4:5], s4, v13
	v_mov_b32_e32 v5, 0x7fc0
	v_ldexp_f32 v3, v3, v4
	v_cndmask_b32_e64 v3, 0, v3, s[4:5]
	s_mov_b32 s4, 0x42b17218
	v_mov_b32_e32 v4, 0x7f800000
	v_cmp_nlt_f32_e64 s[4:5], s4, v13
	v_cndmask_b32_e64 v3, v4, v3, s[4:5]
	v_fma_f32 v3, -v2, v3, v14
	v_bfe_u32 v4, v3, 16, 1
	s_movk_i32 s4, 0x7fff
	v_add3_u32 v4, v3, v4, s4
	v_lshrrev_b32_e32 v4, 16, v4
	v_cmp_o_f32_e64 s[4:5], v3, v3
	v_cndmask_b32_e64 v3, v5, v4, s[4:5]
	global_store_short v[0:1], v3, off offset:768
	s_or_b64 exec, exec, s[6:7]
	s_and_saveexec_b64 s[4:5], s[2:3]
	s_cbranch_execz .LBB319_47
.LBB319_64:
	v_mul_f32_e32 v3, 0x3fb8aa3b, v8
	s_mov_b32 s2, 0x3fb8aa3b
	v_rndne_f32_e32 v4, v3
	v_sub_f32_e32 v5, v3, v4
	v_fma_f32 v3, v8, s2, -v3
	v_fmac_f32_e32 v3, 0x32a5705f, v8
	v_add_f32_e32 v3, v5, v3
	v_exp_f32_e32 v3, v3
	v_cvt_i32_f32_e32 v4, v4
	s_mov_b32 s2, 0xc2ce8ed0
	v_cmp_ngt_f32_e64 s[2:3], s2, v8
	v_mov_b32_e32 v5, 0x7fc0
	v_ldexp_f32 v3, v3, v4
	v_cndmask_b32_e64 v3, 0, v3, s[2:3]
	s_mov_b32 s2, 0x42b17218
	v_mov_b32_e32 v4, 0x7f800000
	v_cmp_nlt_f32_e64 s[2:3], s2, v8
	v_cndmask_b32_e64 v3, v4, v3, s[2:3]
	v_fma_f32 v3, -v2, v3, v11
	v_bfe_u32 v4, v3, 16, 1
	s_movk_i32 s2, 0x7fff
	v_add3_u32 v4, v3, v4, s2
	v_lshrrev_b32_e32 v4, 16, v4
	v_cmp_o_f32_e64 s[2:3], v3, v3
	v_cndmask_b32_e64 v3, v5, v4, s[2:3]
	global_store_short v[0:1], v3, off offset:832
	s_or_b64 exec, exec, s[4:5]
	s_and_saveexec_b64 s[2:3], s[0:1]
	s_cbranch_execz .LBB319_48
.LBB319_65:
	v_mul_f32_e32 v3, 0x3fb8aa3b, v9
	s_mov_b32 s0, 0x3fb8aa3b
	v_rndne_f32_e32 v4, v3
	v_sub_f32_e32 v5, v3, v4
	v_fma_f32 v3, v9, s0, -v3
	v_fmac_f32_e32 v3, 0x32a5705f, v9
	v_add_f32_e32 v3, v5, v3
	v_exp_f32_e32 v3, v3
	v_cvt_i32_f32_e32 v4, v4
	s_mov_b32 s0, 0xc2ce8ed0
	v_cmp_ngt_f32_e64 s[0:1], s0, v9
	v_mov_b32_e32 v5, 0x7fc0
	v_ldexp_f32 v3, v3, v4
	v_cndmask_b32_e64 v3, 0, v3, s[0:1]
	s_mov_b32 s0, 0x42b17218
	v_mov_b32_e32 v4, 0x7f800000
	v_cmp_nlt_f32_e64 s[0:1], s0, v9
	v_cndmask_b32_e64 v3, v4, v3, s[0:1]
	v_fma_f32 v3, -v2, v3, v10
	v_bfe_u32 v4, v3, 16, 1
	s_movk_i32 s0, 0x7fff
	v_add3_u32 v4, v3, v4, s0
	v_lshrrev_b32_e32 v4, 16, v4
	v_cmp_o_f32_e64 s[0:1], v3, v3
	v_cndmask_b32_e64 v3, v5, v4, s[0:1]
	global_store_short v[0:1], v3, off offset:896
	s_or_b64 exec, exec, s[2:3]
	s_and_b64 exec, exec, vcc
	s_cbranch_execnz .LBB319_49
	s_branch .LBB319_50
	.section	.rodata,"a",@progbits
	.p2align	6, 0x0
	.amdhsa_kernel _ZN12_GLOBAL__N_121softmax_warp_backwardIN3c108BFloat16ES2_fLi9ELb1ELb0ELi32EEEvPT0_PKT_S7_iiiPKb
		.amdhsa_group_segment_fixed_size 0
		.amdhsa_private_segment_fixed_size 0
		.amdhsa_kernarg_size 304
		.amdhsa_user_sgpr_count 6
		.amdhsa_user_sgpr_private_segment_buffer 1
		.amdhsa_user_sgpr_dispatch_ptr 0
		.amdhsa_user_sgpr_queue_ptr 0
		.amdhsa_user_sgpr_kernarg_segment_ptr 1
		.amdhsa_user_sgpr_dispatch_id 0
		.amdhsa_user_sgpr_flat_scratch_init 0
		.amdhsa_user_sgpr_kernarg_preload_length 0
		.amdhsa_user_sgpr_kernarg_preload_offset 0
		.amdhsa_user_sgpr_private_segment_size 0
		.amdhsa_uses_dynamic_stack 0
		.amdhsa_system_sgpr_private_segment_wavefront_offset 0
		.amdhsa_system_sgpr_workgroup_id_x 1
		.amdhsa_system_sgpr_workgroup_id_y 0
		.amdhsa_system_sgpr_workgroup_id_z 0
		.amdhsa_system_sgpr_workgroup_info 0
		.amdhsa_system_vgpr_workitem_id 1
		.amdhsa_next_free_vgpr 40
		.amdhsa_next_free_sgpr 44
		.amdhsa_accum_offset 40
		.amdhsa_reserve_vcc 1
		.amdhsa_reserve_flat_scratch 0
		.amdhsa_float_round_mode_32 0
		.amdhsa_float_round_mode_16_64 0
		.amdhsa_float_denorm_mode_32 3
		.amdhsa_float_denorm_mode_16_64 3
		.amdhsa_dx10_clamp 1
		.amdhsa_ieee_mode 1
		.amdhsa_fp16_overflow 0
		.amdhsa_tg_split 0
		.amdhsa_exception_fp_ieee_invalid_op 0
		.amdhsa_exception_fp_denorm_src 0
		.amdhsa_exception_fp_ieee_div_zero 0
		.amdhsa_exception_fp_ieee_overflow 0
		.amdhsa_exception_fp_ieee_underflow 0
		.amdhsa_exception_fp_ieee_inexact 0
		.amdhsa_exception_int_div_zero 0
	.end_amdhsa_kernel
	.section	.text._ZN12_GLOBAL__N_121softmax_warp_backwardIN3c108BFloat16ES2_fLi9ELb1ELb0ELi32EEEvPT0_PKT_S7_iiiPKb,"axG",@progbits,_ZN12_GLOBAL__N_121softmax_warp_backwardIN3c108BFloat16ES2_fLi9ELb1ELb0ELi32EEEvPT0_PKT_S7_iiiPKb,comdat
.Lfunc_end319:
	.size	_ZN12_GLOBAL__N_121softmax_warp_backwardIN3c108BFloat16ES2_fLi9ELb1ELb0ELi32EEEvPT0_PKT_S7_iiiPKb, .Lfunc_end319-_ZN12_GLOBAL__N_121softmax_warp_backwardIN3c108BFloat16ES2_fLi9ELb1ELb0ELi32EEEvPT0_PKT_S7_iiiPKb
                                        ; -- End function
	.section	.AMDGPU.csdata,"",@progbits
; Kernel info:
; codeLenInByte = 4808
; NumSgprs: 48
; NumVgprs: 40
; NumAgprs: 0
; TotalNumVgprs: 40
; ScratchSize: 0
; MemoryBound: 0
; FloatMode: 240
; IeeeMode: 1
; LDSByteSize: 0 bytes/workgroup (compile time only)
; SGPRBlocks: 5
; VGPRBlocks: 4
; NumSGPRsForWavesPerEU: 48
; NumVGPRsForWavesPerEU: 40
; AccumOffset: 40
; Occupancy: 8
; WaveLimiterHint : 0
; COMPUTE_PGM_RSRC2:SCRATCH_EN: 0
; COMPUTE_PGM_RSRC2:USER_SGPR: 6
; COMPUTE_PGM_RSRC2:TRAP_HANDLER: 0
; COMPUTE_PGM_RSRC2:TGID_X_EN: 1
; COMPUTE_PGM_RSRC2:TGID_Y_EN: 0
; COMPUTE_PGM_RSRC2:TGID_Z_EN: 0
; COMPUTE_PGM_RSRC2:TIDIG_COMP_CNT: 1
; COMPUTE_PGM_RSRC3_GFX90A:ACCUM_OFFSET: 9
; COMPUTE_PGM_RSRC3_GFX90A:TG_SPLIT: 0
	.section	.text._ZN12_GLOBAL__N_121softmax_warp_backwardIN3c108BFloat16ES2_fLi10ELb1ELb0ELi64EEEvPT0_PKT_S7_iiiPKb,"axG",@progbits,_ZN12_GLOBAL__N_121softmax_warp_backwardIN3c108BFloat16ES2_fLi10ELb1ELb0ELi64EEEvPT0_PKT_S7_iiiPKb,comdat
	.globl	_ZN12_GLOBAL__N_121softmax_warp_backwardIN3c108BFloat16ES2_fLi10ELb1ELb0ELi64EEEvPT0_PKT_S7_iiiPKb ; -- Begin function _ZN12_GLOBAL__N_121softmax_warp_backwardIN3c108BFloat16ES2_fLi10ELb1ELb0ELi64EEEvPT0_PKT_S7_iiiPKb
	.p2align	8
	.type	_ZN12_GLOBAL__N_121softmax_warp_backwardIN3c108BFloat16ES2_fLi10ELb1ELb0ELi64EEEvPT0_PKT_S7_iiiPKb,@function
_ZN12_GLOBAL__N_121softmax_warp_backwardIN3c108BFloat16ES2_fLi10ELb1ELb0ELi64EEEvPT0_PKT_S7_iiiPKb: ; @_ZN12_GLOBAL__N_121softmax_warp_backwardIN3c108BFloat16ES2_fLi10ELb1ELb0ELi64EEEvPT0_PKT_S7_iiiPKb
; %bb.0:
	s_load_dword s2, s[4:5], 0x3c
	s_load_dwordx4 s[40:43], s[4:5], 0x18
	s_load_dwordx4 s[36:39], s[4:5], 0x0
	s_load_dwordx2 s[0:1], s[4:5], 0x10
	v_bfe_u32 v1, v0, 10, 10
	s_waitcnt lgkmcnt(0)
	s_lshr_b32 s2, s2, 16
	s_mul_i32 s6, s6, s2
	v_and_b32_e32 v7, 0x3ff, v0
	v_add_u32_e32 v1, s6, v1
	v_and_b32_e32 v6, 63, v7
	v_sub_u32_e32 v38, s40, v1
	v_mad_u64_u32 v[0:1], s[2:3], v1, s41, v[6:7]
	v_ashrrev_i32_e32 v1, 31, v0
	v_lshlrev_b64 v[0:1], 1, v[0:1]
	v_mov_b32_e32 v3, s39
	v_add_co_u32_e32 v2, vcc, s38, v0
	v_addc_co_u32_e32 v3, vcc, v3, v1, vcc
	v_mov_b32_e32 v5, s1
	v_add_co_u32_e32 v4, vcc, s0, v0
	v_cmp_lt_i32_e64 s[30:31], 0, v38
	v_cmp_gt_i32_e64 s[28:29], s42, v6
	v_addc_co_u32_e32 v5, vcc, v5, v1, vcc
	s_and_b64 s[2:3], s[30:31], s[28:29]
	v_mov_b32_e32 v32, 0
	v_mov_b32_e32 v36, 0
	;; [unrolled: 1-line block ×3, first 2 shown]
	s_and_saveexec_b64 s[0:1], s[2:3]
	s_cbranch_execz .LBB320_2
; %bb.1:
	global_load_ushort v8, v[4:5], off
	global_load_ushort v9, v[2:3], off
	s_waitcnt vmcnt(1)
	v_lshlrev_b32_e32 v36, 16, v8
	s_waitcnt vmcnt(0)
	v_lshlrev_b32_e32 v37, 16, v9
.LBB320_2:
	s_or_b64 exec, exec, s[0:1]
	v_or_b32_e32 v8, 64, v6
	v_cmp_gt_i32_e64 s[26:27], s42, v8
	s_and_b64 s[2:3], s[30:31], s[26:27]
	v_mov_b32_e32 v35, 0
	s_and_saveexec_b64 s[0:1], s[2:3]
	s_cbranch_execz .LBB320_4
; %bb.3:
	global_load_ushort v8, v[4:5], off offset:128
	global_load_ushort v9, v[2:3], off offset:128
	s_waitcnt vmcnt(1)
	v_lshlrev_b32_e32 v32, 16, v8
	s_waitcnt vmcnt(0)
	v_lshlrev_b32_e32 v35, 16, v9
.LBB320_4:
	s_or_b64 exec, exec, s[0:1]
	v_or_b32_e32 v8, 0x80, v6
	v_cmp_gt_i32_e64 s[24:25], s42, v8
	s_and_b64 s[2:3], s[30:31], s[24:25]
	v_mov_b32_e32 v28, 0
	v_mov_b32_e32 v33, 0
	v_mov_b32_e32 v34, 0
	s_and_saveexec_b64 s[0:1], s[2:3]
	s_cbranch_execz .LBB320_6
; %bb.5:
	global_load_ushort v8, v[4:5], off offset:256
	global_load_ushort v9, v[2:3], off offset:256
	s_waitcnt vmcnt(1)
	v_lshlrev_b32_e32 v33, 16, v8
	s_waitcnt vmcnt(0)
	v_lshlrev_b32_e32 v34, 16, v9
.LBB320_6:
	s_or_b64 exec, exec, s[0:1]
	v_or_b32_e32 v8, 0xc0, v6
	v_cmp_gt_i32_e64 s[22:23], s42, v8
	s_and_b64 s[2:3], s[30:31], s[22:23]
	v_mov_b32_e32 v31, 0
	s_and_saveexec_b64 s[0:1], s[2:3]
	s_cbranch_execz .LBB320_8
; %bb.7:
	global_load_ushort v8, v[4:5], off offset:384
	global_load_ushort v9, v[2:3], off offset:384
	s_waitcnt vmcnt(1)
	v_lshlrev_b32_e32 v28, 16, v8
	s_waitcnt vmcnt(0)
	v_lshlrev_b32_e32 v31, 16, v9
.LBB320_8:
	s_or_b64 exec, exec, s[0:1]
	v_or_b32_e32 v8, 0x100, v6
	v_cmp_gt_i32_e64 s[20:21], s42, v8
	s_and_b64 s[2:3], s[30:31], s[20:21]
	v_mov_b32_e32 v24, 0
	v_mov_b32_e32 v29, 0
	v_mov_b32_e32 v30, 0
	s_and_saveexec_b64 s[0:1], s[2:3]
	s_cbranch_execz .LBB320_10
; %bb.9:
	global_load_ushort v8, v[4:5], off offset:512
	global_load_ushort v9, v[2:3], off offset:512
	s_waitcnt vmcnt(1)
	v_lshlrev_b32_e32 v29, 16, v8
	s_waitcnt vmcnt(0)
	v_lshlrev_b32_e32 v30, 16, v9
.LBB320_10:
	;; [unrolled: 32-line block ×7, first 2 shown]
	s_or_b64 exec, exec, s[34:35]
	v_or_b32_e32 v7, 0x3c0, v7
	v_cmp_gt_i32_e32 vcc, s42, v7
	s_and_b64 s[34:35], s[30:31], vcc
	v_mov_b32_e32 v7, 0
	s_and_saveexec_b64 s[30:31], s[34:35]
	s_cbranch_execz .LBB320_32
; %bb.31:
	global_load_ushort v6, v[4:5], off offset:1920
	global_load_ushort v7, v[2:3], off offset:1920
	s_waitcnt vmcnt(1)
	v_lshlrev_b32_e32 v6, 16, v6
	s_waitcnt vmcnt(0)
	v_lshlrev_b32_e32 v7, 16, v7
.LBB320_32:
	s_or_b64 exec, exec, s[30:31]
	v_add_f32_e32 v2, 0, v37
	v_add_f32_e32 v2, v2, v35
	;; [unrolled: 1-line block ×10, first 2 shown]
	v_mbcnt_lo_u32_b32 v3, -1, 0
	v_add_f32_e32 v2, v2, v18
	v_mbcnt_hi_u32_b32 v3, -1, v3
	v_add_f32_e32 v2, v2, v15
	v_and_b32_e32 v4, 64, v3
	v_add_f32_e32 v2, v2, v14
	v_add_u32_e32 v4, 64, v4
	v_xor_b32_e32 v5, 32, v3
	v_add_f32_e32 v2, v2, v11
	v_cmp_lt_i32_e64 s[30:31], v5, v4
	v_add_f32_e32 v2, v2, v10
	v_cndmask_b32_e64 v5, v3, v5, s[30:31]
	v_add_f32_e32 v2, v2, v7
	v_lshlrev_b32_e32 v5, 2, v5
	ds_bpermute_b32 v5, v5, v2
	s_waitcnt lgkmcnt(0)
	v_add_f32_e32 v2, v2, v5
	v_xor_b32_e32 v5, 16, v3
	v_cmp_lt_i32_e64 s[30:31], v5, v4
	v_cndmask_b32_e64 v5, v3, v5, s[30:31]
	v_lshlrev_b32_e32 v5, 2, v5
	ds_bpermute_b32 v5, v5, v2
	s_waitcnt lgkmcnt(0)
	v_add_f32_e32 v2, v2, v5
	v_xor_b32_e32 v5, 8, v3
	v_cmp_lt_i32_e64 s[30:31], v5, v4
	v_cndmask_b32_e64 v5, v3, v5, s[30:31]
	;; [unrolled: 7-line block ×5, first 2 shown]
	v_lshlrev_b32_e32 v3, 2, v3
	ds_bpermute_b32 v3, v3, v2
	v_cmp_lt_i32_e64 s[30:31], 0, v38
	s_and_saveexec_b64 s[34:35], s[30:31]
	s_cbranch_execz .LBB320_50
; %bb.33:
	v_mov_b32_e32 v4, s37
	v_add_co_u32_e64 v0, s[30:31], s36, v0
	v_addc_co_u32_e64 v1, s[30:31], v4, v1, s[30:31]
	s_waitcnt lgkmcnt(0)
	v_add_f32_e32 v2, v2, v3
	s_and_saveexec_b64 s[30:31], s[28:29]
	s_cbranch_execnz .LBB320_51
; %bb.34:
	s_or_b64 exec, exec, s[30:31]
	s_and_saveexec_b64 s[28:29], s[26:27]
	s_cbranch_execnz .LBB320_52
.LBB320_35:
	s_or_b64 exec, exec, s[28:29]
	s_and_saveexec_b64 s[26:27], s[24:25]
	s_cbranch_execnz .LBB320_53
.LBB320_36:
	s_or_b64 exec, exec, s[26:27]
	s_and_saveexec_b64 s[24:25], s[22:23]
	s_cbranch_execnz .LBB320_54
.LBB320_37:
	s_or_b64 exec, exec, s[24:25]
	s_and_saveexec_b64 s[22:23], s[20:21]
	s_cbranch_execnz .LBB320_55
.LBB320_38:
	s_or_b64 exec, exec, s[22:23]
	s_and_saveexec_b64 s[20:21], s[18:19]
	s_cbranch_execnz .LBB320_56
.LBB320_39:
	s_or_b64 exec, exec, s[20:21]
	s_and_saveexec_b64 s[18:19], s[16:17]
	s_cbranch_execnz .LBB320_57
.LBB320_40:
	s_or_b64 exec, exec, s[18:19]
	s_and_saveexec_b64 s[16:17], s[14:15]
	s_cbranch_execnz .LBB320_58
.LBB320_41:
	s_or_b64 exec, exec, s[16:17]
	s_and_saveexec_b64 s[14:15], s[12:13]
	s_cbranch_execnz .LBB320_59
.LBB320_42:
	s_or_b64 exec, exec, s[14:15]
	s_and_saveexec_b64 s[12:13], s[10:11]
	s_cbranch_execnz .LBB320_60
.LBB320_43:
	s_or_b64 exec, exec, s[12:13]
	s_and_saveexec_b64 s[10:11], s[8:9]
	s_cbranch_execnz .LBB320_61
.LBB320_44:
	s_or_b64 exec, exec, s[10:11]
	s_and_saveexec_b64 s[8:9], s[6:7]
	s_cbranch_execnz .LBB320_62
.LBB320_45:
	s_or_b64 exec, exec, s[8:9]
	s_and_saveexec_b64 s[6:7], s[4:5]
	s_cbranch_execnz .LBB320_63
.LBB320_46:
	s_or_b64 exec, exec, s[6:7]
	s_and_saveexec_b64 s[4:5], s[2:3]
	s_cbranch_execnz .LBB320_64
.LBB320_47:
	s_or_b64 exec, exec, s[4:5]
	s_and_saveexec_b64 s[2:3], s[0:1]
	s_cbranch_execnz .LBB320_65
.LBB320_48:
	s_or_b64 exec, exec, s[2:3]
	s_and_b64 exec, exec, vcc
	s_cbranch_execz .LBB320_50
.LBB320_49:
	v_mul_f32_e32 v3, 0x3fb8aa3b, v6
	s_mov_b32 s0, 0x3fb8aa3b
	v_rndne_f32_e32 v4, v3
	v_sub_f32_e32 v5, v3, v4
	v_fma_f32 v3, v6, s0, -v3
	v_fmac_f32_e32 v3, 0x32a5705f, v6
	v_add_f32_e32 v3, v5, v3
	v_exp_f32_e32 v3, v3
	v_cvt_i32_f32_e32 v4, v4
	s_mov_b32 s0, 0xc2ce8ed0
	v_cmp_ngt_f32_e32 vcc, s0, v6
	s_mov_b32 s0, 0x42b17218
	v_ldexp_f32 v3, v3, v4
	v_cndmask_b32_e32 v3, 0, v3, vcc
	v_mov_b32_e32 v4, 0x7f800000
	v_cmp_nlt_f32_e32 vcc, s0, v6
	v_cndmask_b32_e32 v3, v4, v3, vcc
	v_fma_f32 v2, -v2, v3, v7
	v_bfe_u32 v3, v2, 16, 1
	s_movk_i32 s0, 0x7fff
	v_add3_u32 v3, v2, v3, s0
	v_lshrrev_b32_e32 v3, 16, v3
	v_mov_b32_e32 v4, 0x7fc0
	v_cmp_o_f32_e32 vcc, v2, v2
	v_cndmask_b32_e32 v2, v4, v3, vcc
	global_store_short v[0:1], v2, off offset:1920
.LBB320_50:
	s_endpgm
.LBB320_51:
	v_mul_f32_e32 v3, 0x3fb8aa3b, v36
	s_mov_b32 s28, 0x3fb8aa3b
	v_rndne_f32_e32 v4, v3
	v_sub_f32_e32 v5, v3, v4
	v_fma_f32 v3, v36, s28, -v3
	v_fmac_f32_e32 v3, 0x32a5705f, v36
	v_add_f32_e32 v3, v5, v3
	v_exp_f32_e32 v3, v3
	v_cvt_i32_f32_e32 v4, v4
	s_mov_b32 s28, 0xc2ce8ed0
	v_cmp_ngt_f32_e64 s[28:29], s28, v36
	v_mov_b32_e32 v5, 0x7fc0
	v_ldexp_f32 v3, v3, v4
	v_cndmask_b32_e64 v3, 0, v3, s[28:29]
	s_mov_b32 s28, 0x42b17218
	v_mov_b32_e32 v4, 0x7f800000
	v_cmp_nlt_f32_e64 s[28:29], s28, v36
	v_cndmask_b32_e64 v3, v4, v3, s[28:29]
	v_fma_f32 v3, -v2, v3, v37
	v_bfe_u32 v4, v3, 16, 1
	s_movk_i32 s28, 0x7fff
	v_add3_u32 v4, v3, v4, s28
	v_lshrrev_b32_e32 v4, 16, v4
	v_cmp_o_f32_e64 s[28:29], v3, v3
	v_cndmask_b32_e64 v3, v5, v4, s[28:29]
	global_store_short v[0:1], v3, off
	s_or_b64 exec, exec, s[30:31]
	s_and_saveexec_b64 s[28:29], s[26:27]
	s_cbranch_execz .LBB320_35
.LBB320_52:
	v_mul_f32_e32 v3, 0x3fb8aa3b, v32
	s_mov_b32 s26, 0x3fb8aa3b
	v_rndne_f32_e32 v4, v3
	v_sub_f32_e32 v5, v3, v4
	v_fma_f32 v3, v32, s26, -v3
	v_fmac_f32_e32 v3, 0x32a5705f, v32
	v_add_f32_e32 v3, v5, v3
	v_exp_f32_e32 v3, v3
	v_cvt_i32_f32_e32 v4, v4
	s_mov_b32 s26, 0xc2ce8ed0
	v_cmp_ngt_f32_e64 s[26:27], s26, v32
	v_mov_b32_e32 v5, 0x7fc0
	v_ldexp_f32 v3, v3, v4
	v_cndmask_b32_e64 v3, 0, v3, s[26:27]
	s_mov_b32 s26, 0x42b17218
	v_mov_b32_e32 v4, 0x7f800000
	v_cmp_nlt_f32_e64 s[26:27], s26, v32
	v_cndmask_b32_e64 v3, v4, v3, s[26:27]
	v_fma_f32 v3, -v2, v3, v35
	v_bfe_u32 v4, v3, 16, 1
	s_movk_i32 s26, 0x7fff
	v_add3_u32 v4, v3, v4, s26
	v_lshrrev_b32_e32 v4, 16, v4
	v_cmp_o_f32_e64 s[26:27], v3, v3
	v_cndmask_b32_e64 v3, v5, v4, s[26:27]
	global_store_short v[0:1], v3, off offset:128
	s_or_b64 exec, exec, s[28:29]
	s_and_saveexec_b64 s[26:27], s[24:25]
	s_cbranch_execz .LBB320_36
.LBB320_53:
	v_mul_f32_e32 v3, 0x3fb8aa3b, v33
	s_mov_b32 s24, 0x3fb8aa3b
	v_rndne_f32_e32 v4, v3
	v_sub_f32_e32 v5, v3, v4
	v_fma_f32 v3, v33, s24, -v3
	v_fmac_f32_e32 v3, 0x32a5705f, v33
	v_add_f32_e32 v3, v5, v3
	v_exp_f32_e32 v3, v3
	v_cvt_i32_f32_e32 v4, v4
	s_mov_b32 s24, 0xc2ce8ed0
	v_cmp_ngt_f32_e64 s[24:25], s24, v33
	v_mov_b32_e32 v5, 0x7fc0
	v_ldexp_f32 v3, v3, v4
	v_cndmask_b32_e64 v3, 0, v3, s[24:25]
	s_mov_b32 s24, 0x42b17218
	v_mov_b32_e32 v4, 0x7f800000
	v_cmp_nlt_f32_e64 s[24:25], s24, v33
	v_cndmask_b32_e64 v3, v4, v3, s[24:25]
	v_fma_f32 v3, -v2, v3, v34
	v_bfe_u32 v4, v3, 16, 1
	s_movk_i32 s24, 0x7fff
	v_add3_u32 v4, v3, v4, s24
	v_lshrrev_b32_e32 v4, 16, v4
	v_cmp_o_f32_e64 s[24:25], v3, v3
	v_cndmask_b32_e64 v3, v5, v4, s[24:25]
	global_store_short v[0:1], v3, off offset:256
	s_or_b64 exec, exec, s[26:27]
	s_and_saveexec_b64 s[24:25], s[22:23]
	s_cbranch_execz .LBB320_37
.LBB320_54:
	v_mul_f32_e32 v3, 0x3fb8aa3b, v28
	s_mov_b32 s22, 0x3fb8aa3b
	v_rndne_f32_e32 v4, v3
	v_sub_f32_e32 v5, v3, v4
	v_fma_f32 v3, v28, s22, -v3
	v_fmac_f32_e32 v3, 0x32a5705f, v28
	v_add_f32_e32 v3, v5, v3
	v_exp_f32_e32 v3, v3
	v_cvt_i32_f32_e32 v4, v4
	s_mov_b32 s22, 0xc2ce8ed0
	v_cmp_ngt_f32_e64 s[22:23], s22, v28
	v_mov_b32_e32 v5, 0x7fc0
	v_ldexp_f32 v3, v3, v4
	v_cndmask_b32_e64 v3, 0, v3, s[22:23]
	s_mov_b32 s22, 0x42b17218
	v_mov_b32_e32 v4, 0x7f800000
	v_cmp_nlt_f32_e64 s[22:23], s22, v28
	v_cndmask_b32_e64 v3, v4, v3, s[22:23]
	v_fma_f32 v3, -v2, v3, v31
	v_bfe_u32 v4, v3, 16, 1
	s_movk_i32 s22, 0x7fff
	v_add3_u32 v4, v3, v4, s22
	v_lshrrev_b32_e32 v4, 16, v4
	v_cmp_o_f32_e64 s[22:23], v3, v3
	v_cndmask_b32_e64 v3, v5, v4, s[22:23]
	global_store_short v[0:1], v3, off offset:384
	s_or_b64 exec, exec, s[24:25]
	s_and_saveexec_b64 s[22:23], s[20:21]
	s_cbranch_execz .LBB320_38
.LBB320_55:
	v_mul_f32_e32 v3, 0x3fb8aa3b, v29
	s_mov_b32 s20, 0x3fb8aa3b
	v_rndne_f32_e32 v4, v3
	v_sub_f32_e32 v5, v3, v4
	v_fma_f32 v3, v29, s20, -v3
	v_fmac_f32_e32 v3, 0x32a5705f, v29
	v_add_f32_e32 v3, v5, v3
	v_exp_f32_e32 v3, v3
	v_cvt_i32_f32_e32 v4, v4
	s_mov_b32 s20, 0xc2ce8ed0
	v_cmp_ngt_f32_e64 s[20:21], s20, v29
	v_mov_b32_e32 v5, 0x7fc0
	v_ldexp_f32 v3, v3, v4
	v_cndmask_b32_e64 v3, 0, v3, s[20:21]
	s_mov_b32 s20, 0x42b17218
	v_mov_b32_e32 v4, 0x7f800000
	v_cmp_nlt_f32_e64 s[20:21], s20, v29
	v_cndmask_b32_e64 v3, v4, v3, s[20:21]
	v_fma_f32 v3, -v2, v3, v30
	v_bfe_u32 v4, v3, 16, 1
	s_movk_i32 s20, 0x7fff
	v_add3_u32 v4, v3, v4, s20
	v_lshrrev_b32_e32 v4, 16, v4
	v_cmp_o_f32_e64 s[20:21], v3, v3
	v_cndmask_b32_e64 v3, v5, v4, s[20:21]
	global_store_short v[0:1], v3, off offset:512
	s_or_b64 exec, exec, s[22:23]
	s_and_saveexec_b64 s[20:21], s[18:19]
	s_cbranch_execz .LBB320_39
.LBB320_56:
	v_mul_f32_e32 v3, 0x3fb8aa3b, v24
	s_mov_b32 s18, 0x3fb8aa3b
	v_rndne_f32_e32 v4, v3
	v_sub_f32_e32 v5, v3, v4
	v_fma_f32 v3, v24, s18, -v3
	v_fmac_f32_e32 v3, 0x32a5705f, v24
	v_add_f32_e32 v3, v5, v3
	v_exp_f32_e32 v3, v3
	v_cvt_i32_f32_e32 v4, v4
	s_mov_b32 s18, 0xc2ce8ed0
	v_cmp_ngt_f32_e64 s[18:19], s18, v24
	v_mov_b32_e32 v5, 0x7fc0
	v_ldexp_f32 v3, v3, v4
	v_cndmask_b32_e64 v3, 0, v3, s[18:19]
	s_mov_b32 s18, 0x42b17218
	v_mov_b32_e32 v4, 0x7f800000
	v_cmp_nlt_f32_e64 s[18:19], s18, v24
	v_cndmask_b32_e64 v3, v4, v3, s[18:19]
	v_fma_f32 v3, -v2, v3, v27
	v_bfe_u32 v4, v3, 16, 1
	s_movk_i32 s18, 0x7fff
	v_add3_u32 v4, v3, v4, s18
	v_lshrrev_b32_e32 v4, 16, v4
	v_cmp_o_f32_e64 s[18:19], v3, v3
	v_cndmask_b32_e64 v3, v5, v4, s[18:19]
	global_store_short v[0:1], v3, off offset:640
	s_or_b64 exec, exec, s[20:21]
	s_and_saveexec_b64 s[18:19], s[16:17]
	s_cbranch_execz .LBB320_40
.LBB320_57:
	v_mul_f32_e32 v3, 0x3fb8aa3b, v25
	s_mov_b32 s16, 0x3fb8aa3b
	v_rndne_f32_e32 v4, v3
	v_sub_f32_e32 v5, v3, v4
	v_fma_f32 v3, v25, s16, -v3
	v_fmac_f32_e32 v3, 0x32a5705f, v25
	v_add_f32_e32 v3, v5, v3
	v_exp_f32_e32 v3, v3
	v_cvt_i32_f32_e32 v4, v4
	s_mov_b32 s16, 0xc2ce8ed0
	v_cmp_ngt_f32_e64 s[16:17], s16, v25
	v_mov_b32_e32 v5, 0x7fc0
	v_ldexp_f32 v3, v3, v4
	v_cndmask_b32_e64 v3, 0, v3, s[16:17]
	s_mov_b32 s16, 0x42b17218
	v_mov_b32_e32 v4, 0x7f800000
	v_cmp_nlt_f32_e64 s[16:17], s16, v25
	v_cndmask_b32_e64 v3, v4, v3, s[16:17]
	v_fma_f32 v3, -v2, v3, v26
	v_bfe_u32 v4, v3, 16, 1
	s_movk_i32 s16, 0x7fff
	v_add3_u32 v4, v3, v4, s16
	v_lshrrev_b32_e32 v4, 16, v4
	v_cmp_o_f32_e64 s[16:17], v3, v3
	v_cndmask_b32_e64 v3, v5, v4, s[16:17]
	global_store_short v[0:1], v3, off offset:768
	s_or_b64 exec, exec, s[18:19]
	s_and_saveexec_b64 s[16:17], s[14:15]
	s_cbranch_execz .LBB320_41
.LBB320_58:
	v_mul_f32_e32 v3, 0x3fb8aa3b, v20
	s_mov_b32 s14, 0x3fb8aa3b
	v_rndne_f32_e32 v4, v3
	v_sub_f32_e32 v5, v3, v4
	v_fma_f32 v3, v20, s14, -v3
	v_fmac_f32_e32 v3, 0x32a5705f, v20
	v_add_f32_e32 v3, v5, v3
	v_exp_f32_e32 v3, v3
	v_cvt_i32_f32_e32 v4, v4
	s_mov_b32 s14, 0xc2ce8ed0
	v_cmp_ngt_f32_e64 s[14:15], s14, v20
	v_mov_b32_e32 v5, 0x7fc0
	v_ldexp_f32 v3, v3, v4
	v_cndmask_b32_e64 v3, 0, v3, s[14:15]
	s_mov_b32 s14, 0x42b17218
	v_mov_b32_e32 v4, 0x7f800000
	v_cmp_nlt_f32_e64 s[14:15], s14, v20
	v_cndmask_b32_e64 v3, v4, v3, s[14:15]
	v_fma_f32 v3, -v2, v3, v23
	v_bfe_u32 v4, v3, 16, 1
	s_movk_i32 s14, 0x7fff
	v_add3_u32 v4, v3, v4, s14
	v_lshrrev_b32_e32 v4, 16, v4
	v_cmp_o_f32_e64 s[14:15], v3, v3
	v_cndmask_b32_e64 v3, v5, v4, s[14:15]
	global_store_short v[0:1], v3, off offset:896
	s_or_b64 exec, exec, s[16:17]
	s_and_saveexec_b64 s[14:15], s[12:13]
	s_cbranch_execz .LBB320_42
.LBB320_59:
	v_mul_f32_e32 v3, 0x3fb8aa3b, v21
	s_mov_b32 s12, 0x3fb8aa3b
	v_rndne_f32_e32 v4, v3
	v_sub_f32_e32 v5, v3, v4
	v_fma_f32 v3, v21, s12, -v3
	v_fmac_f32_e32 v3, 0x32a5705f, v21
	v_add_f32_e32 v3, v5, v3
	v_exp_f32_e32 v3, v3
	v_cvt_i32_f32_e32 v4, v4
	s_mov_b32 s12, 0xc2ce8ed0
	v_cmp_ngt_f32_e64 s[12:13], s12, v21
	v_mov_b32_e32 v5, 0x7fc0
	v_ldexp_f32 v3, v3, v4
	v_cndmask_b32_e64 v3, 0, v3, s[12:13]
	s_mov_b32 s12, 0x42b17218
	v_mov_b32_e32 v4, 0x7f800000
	v_cmp_nlt_f32_e64 s[12:13], s12, v21
	v_cndmask_b32_e64 v3, v4, v3, s[12:13]
	v_fma_f32 v3, -v2, v3, v22
	v_bfe_u32 v4, v3, 16, 1
	s_movk_i32 s12, 0x7fff
	v_add3_u32 v4, v3, v4, s12
	v_lshrrev_b32_e32 v4, 16, v4
	v_cmp_o_f32_e64 s[12:13], v3, v3
	v_cndmask_b32_e64 v3, v5, v4, s[12:13]
	global_store_short v[0:1], v3, off offset:1024
	s_or_b64 exec, exec, s[14:15]
	s_and_saveexec_b64 s[12:13], s[10:11]
	s_cbranch_execz .LBB320_43
.LBB320_60:
	v_mul_f32_e32 v3, 0x3fb8aa3b, v16
	s_mov_b32 s10, 0x3fb8aa3b
	v_rndne_f32_e32 v4, v3
	v_sub_f32_e32 v5, v3, v4
	v_fma_f32 v3, v16, s10, -v3
	v_fmac_f32_e32 v3, 0x32a5705f, v16
	v_add_f32_e32 v3, v5, v3
	v_exp_f32_e32 v3, v3
	v_cvt_i32_f32_e32 v4, v4
	s_mov_b32 s10, 0xc2ce8ed0
	v_cmp_ngt_f32_e64 s[10:11], s10, v16
	v_mov_b32_e32 v5, 0x7fc0
	v_ldexp_f32 v3, v3, v4
	v_cndmask_b32_e64 v3, 0, v3, s[10:11]
	s_mov_b32 s10, 0x42b17218
	v_mov_b32_e32 v4, 0x7f800000
	v_cmp_nlt_f32_e64 s[10:11], s10, v16
	v_cndmask_b32_e64 v3, v4, v3, s[10:11]
	v_fma_f32 v3, -v2, v3, v19
	v_bfe_u32 v4, v3, 16, 1
	s_movk_i32 s10, 0x7fff
	v_add3_u32 v4, v3, v4, s10
	v_lshrrev_b32_e32 v4, 16, v4
	v_cmp_o_f32_e64 s[10:11], v3, v3
	v_cndmask_b32_e64 v3, v5, v4, s[10:11]
	global_store_short v[0:1], v3, off offset:1152
	s_or_b64 exec, exec, s[12:13]
	s_and_saveexec_b64 s[10:11], s[8:9]
	s_cbranch_execz .LBB320_44
.LBB320_61:
	v_mul_f32_e32 v3, 0x3fb8aa3b, v17
	s_mov_b32 s8, 0x3fb8aa3b
	v_rndne_f32_e32 v4, v3
	v_sub_f32_e32 v5, v3, v4
	v_fma_f32 v3, v17, s8, -v3
	v_fmac_f32_e32 v3, 0x32a5705f, v17
	v_add_f32_e32 v3, v5, v3
	v_exp_f32_e32 v3, v3
	v_cvt_i32_f32_e32 v4, v4
	s_mov_b32 s8, 0xc2ce8ed0
	v_cmp_ngt_f32_e64 s[8:9], s8, v17
	v_mov_b32_e32 v5, 0x7fc0
	v_ldexp_f32 v3, v3, v4
	v_cndmask_b32_e64 v3, 0, v3, s[8:9]
	s_mov_b32 s8, 0x42b17218
	v_mov_b32_e32 v4, 0x7f800000
	v_cmp_nlt_f32_e64 s[8:9], s8, v17
	v_cndmask_b32_e64 v3, v4, v3, s[8:9]
	v_fma_f32 v3, -v2, v3, v18
	v_bfe_u32 v4, v3, 16, 1
	s_movk_i32 s8, 0x7fff
	v_add3_u32 v4, v3, v4, s8
	v_lshrrev_b32_e32 v4, 16, v4
	v_cmp_o_f32_e64 s[8:9], v3, v3
	v_cndmask_b32_e64 v3, v5, v4, s[8:9]
	global_store_short v[0:1], v3, off offset:1280
	s_or_b64 exec, exec, s[10:11]
	s_and_saveexec_b64 s[8:9], s[6:7]
	s_cbranch_execz .LBB320_45
.LBB320_62:
	v_mul_f32_e32 v3, 0x3fb8aa3b, v12
	s_mov_b32 s6, 0x3fb8aa3b
	v_rndne_f32_e32 v4, v3
	v_sub_f32_e32 v5, v3, v4
	v_fma_f32 v3, v12, s6, -v3
	v_fmac_f32_e32 v3, 0x32a5705f, v12
	v_add_f32_e32 v3, v5, v3
	v_exp_f32_e32 v3, v3
	v_cvt_i32_f32_e32 v4, v4
	s_mov_b32 s6, 0xc2ce8ed0
	v_cmp_ngt_f32_e64 s[6:7], s6, v12
	v_mov_b32_e32 v5, 0x7fc0
	v_ldexp_f32 v3, v3, v4
	v_cndmask_b32_e64 v3, 0, v3, s[6:7]
	s_mov_b32 s6, 0x42b17218
	v_mov_b32_e32 v4, 0x7f800000
	v_cmp_nlt_f32_e64 s[6:7], s6, v12
	v_cndmask_b32_e64 v3, v4, v3, s[6:7]
	v_fma_f32 v3, -v2, v3, v15
	v_bfe_u32 v4, v3, 16, 1
	s_movk_i32 s6, 0x7fff
	v_add3_u32 v4, v3, v4, s6
	v_lshrrev_b32_e32 v4, 16, v4
	v_cmp_o_f32_e64 s[6:7], v3, v3
	v_cndmask_b32_e64 v3, v5, v4, s[6:7]
	global_store_short v[0:1], v3, off offset:1408
	s_or_b64 exec, exec, s[8:9]
	s_and_saveexec_b64 s[6:7], s[4:5]
	s_cbranch_execz .LBB320_46
.LBB320_63:
	v_mul_f32_e32 v3, 0x3fb8aa3b, v13
	s_mov_b32 s4, 0x3fb8aa3b
	v_rndne_f32_e32 v4, v3
	v_sub_f32_e32 v5, v3, v4
	v_fma_f32 v3, v13, s4, -v3
	v_fmac_f32_e32 v3, 0x32a5705f, v13
	v_add_f32_e32 v3, v5, v3
	v_exp_f32_e32 v3, v3
	v_cvt_i32_f32_e32 v4, v4
	s_mov_b32 s4, 0xc2ce8ed0
	v_cmp_ngt_f32_e64 s[4:5], s4, v13
	v_mov_b32_e32 v5, 0x7fc0
	v_ldexp_f32 v3, v3, v4
	v_cndmask_b32_e64 v3, 0, v3, s[4:5]
	s_mov_b32 s4, 0x42b17218
	v_mov_b32_e32 v4, 0x7f800000
	v_cmp_nlt_f32_e64 s[4:5], s4, v13
	v_cndmask_b32_e64 v3, v4, v3, s[4:5]
	v_fma_f32 v3, -v2, v3, v14
	v_bfe_u32 v4, v3, 16, 1
	s_movk_i32 s4, 0x7fff
	v_add3_u32 v4, v3, v4, s4
	v_lshrrev_b32_e32 v4, 16, v4
	v_cmp_o_f32_e64 s[4:5], v3, v3
	v_cndmask_b32_e64 v3, v5, v4, s[4:5]
	global_store_short v[0:1], v3, off offset:1536
	s_or_b64 exec, exec, s[6:7]
	s_and_saveexec_b64 s[4:5], s[2:3]
	s_cbranch_execz .LBB320_47
.LBB320_64:
	v_mul_f32_e32 v3, 0x3fb8aa3b, v8
	s_mov_b32 s2, 0x3fb8aa3b
	v_rndne_f32_e32 v4, v3
	v_sub_f32_e32 v5, v3, v4
	v_fma_f32 v3, v8, s2, -v3
	v_fmac_f32_e32 v3, 0x32a5705f, v8
	v_add_f32_e32 v3, v5, v3
	v_exp_f32_e32 v3, v3
	v_cvt_i32_f32_e32 v4, v4
	s_mov_b32 s2, 0xc2ce8ed0
	v_cmp_ngt_f32_e64 s[2:3], s2, v8
	v_mov_b32_e32 v5, 0x7fc0
	v_ldexp_f32 v3, v3, v4
	v_cndmask_b32_e64 v3, 0, v3, s[2:3]
	s_mov_b32 s2, 0x42b17218
	v_mov_b32_e32 v4, 0x7f800000
	v_cmp_nlt_f32_e64 s[2:3], s2, v8
	v_cndmask_b32_e64 v3, v4, v3, s[2:3]
	v_fma_f32 v3, -v2, v3, v11
	v_bfe_u32 v4, v3, 16, 1
	s_movk_i32 s2, 0x7fff
	v_add3_u32 v4, v3, v4, s2
	v_lshrrev_b32_e32 v4, 16, v4
	v_cmp_o_f32_e64 s[2:3], v3, v3
	v_cndmask_b32_e64 v3, v5, v4, s[2:3]
	global_store_short v[0:1], v3, off offset:1664
	s_or_b64 exec, exec, s[4:5]
	s_and_saveexec_b64 s[2:3], s[0:1]
	s_cbranch_execz .LBB320_48
.LBB320_65:
	v_mul_f32_e32 v3, 0x3fb8aa3b, v9
	s_mov_b32 s0, 0x3fb8aa3b
	v_rndne_f32_e32 v4, v3
	v_sub_f32_e32 v5, v3, v4
	v_fma_f32 v3, v9, s0, -v3
	v_fmac_f32_e32 v3, 0x32a5705f, v9
	v_add_f32_e32 v3, v5, v3
	v_exp_f32_e32 v3, v3
	v_cvt_i32_f32_e32 v4, v4
	s_mov_b32 s0, 0xc2ce8ed0
	v_cmp_ngt_f32_e64 s[0:1], s0, v9
	v_mov_b32_e32 v5, 0x7fc0
	v_ldexp_f32 v3, v3, v4
	v_cndmask_b32_e64 v3, 0, v3, s[0:1]
	s_mov_b32 s0, 0x42b17218
	v_mov_b32_e32 v4, 0x7f800000
	v_cmp_nlt_f32_e64 s[0:1], s0, v9
	v_cndmask_b32_e64 v3, v4, v3, s[0:1]
	v_fma_f32 v3, -v2, v3, v10
	v_bfe_u32 v4, v3, 16, 1
	s_movk_i32 s0, 0x7fff
	v_add3_u32 v4, v3, v4, s0
	v_lshrrev_b32_e32 v4, 16, v4
	v_cmp_o_f32_e64 s[0:1], v3, v3
	v_cndmask_b32_e64 v3, v5, v4, s[0:1]
	global_store_short v[0:1], v3, off offset:1792
	s_or_b64 exec, exec, s[2:3]
	s_and_b64 exec, exec, vcc
	s_cbranch_execnz .LBB320_49
	s_branch .LBB320_50
	.section	.rodata,"a",@progbits
	.p2align	6, 0x0
	.amdhsa_kernel _ZN12_GLOBAL__N_121softmax_warp_backwardIN3c108BFloat16ES2_fLi10ELb1ELb0ELi64EEEvPT0_PKT_S7_iiiPKb
		.amdhsa_group_segment_fixed_size 0
		.amdhsa_private_segment_fixed_size 0
		.amdhsa_kernarg_size 304
		.amdhsa_user_sgpr_count 6
		.amdhsa_user_sgpr_private_segment_buffer 1
		.amdhsa_user_sgpr_dispatch_ptr 0
		.amdhsa_user_sgpr_queue_ptr 0
		.amdhsa_user_sgpr_kernarg_segment_ptr 1
		.amdhsa_user_sgpr_dispatch_id 0
		.amdhsa_user_sgpr_flat_scratch_init 0
		.amdhsa_user_sgpr_kernarg_preload_length 0
		.amdhsa_user_sgpr_kernarg_preload_offset 0
		.amdhsa_user_sgpr_private_segment_size 0
		.amdhsa_uses_dynamic_stack 0
		.amdhsa_system_sgpr_private_segment_wavefront_offset 0
		.amdhsa_system_sgpr_workgroup_id_x 1
		.amdhsa_system_sgpr_workgroup_id_y 0
		.amdhsa_system_sgpr_workgroup_id_z 0
		.amdhsa_system_sgpr_workgroup_info 0
		.amdhsa_system_vgpr_workitem_id 1
		.amdhsa_next_free_vgpr 39
		.amdhsa_next_free_sgpr 44
		.amdhsa_accum_offset 40
		.amdhsa_reserve_vcc 1
		.amdhsa_reserve_flat_scratch 0
		.amdhsa_float_round_mode_32 0
		.amdhsa_float_round_mode_16_64 0
		.amdhsa_float_denorm_mode_32 3
		.amdhsa_float_denorm_mode_16_64 3
		.amdhsa_dx10_clamp 1
		.amdhsa_ieee_mode 1
		.amdhsa_fp16_overflow 0
		.amdhsa_tg_split 0
		.amdhsa_exception_fp_ieee_invalid_op 0
		.amdhsa_exception_fp_denorm_src 0
		.amdhsa_exception_fp_ieee_div_zero 0
		.amdhsa_exception_fp_ieee_overflow 0
		.amdhsa_exception_fp_ieee_underflow 0
		.amdhsa_exception_fp_ieee_inexact 0
		.amdhsa_exception_int_div_zero 0
	.end_amdhsa_kernel
	.section	.text._ZN12_GLOBAL__N_121softmax_warp_backwardIN3c108BFloat16ES2_fLi10ELb1ELb0ELi64EEEvPT0_PKT_S7_iiiPKb,"axG",@progbits,_ZN12_GLOBAL__N_121softmax_warp_backwardIN3c108BFloat16ES2_fLi10ELb1ELb0ELi64EEEvPT0_PKT_S7_iiiPKb,comdat
.Lfunc_end320:
	.size	_ZN12_GLOBAL__N_121softmax_warp_backwardIN3c108BFloat16ES2_fLi10ELb1ELb0ELi64EEEvPT0_PKT_S7_iiiPKb, .Lfunc_end320-_ZN12_GLOBAL__N_121softmax_warp_backwardIN3c108BFloat16ES2_fLi10ELb1ELb0ELi64EEEvPT0_PKT_S7_iiiPKb
                                        ; -- End function
	.section	.AMDGPU.csdata,"",@progbits
; Kernel info:
; codeLenInByte = 4856
; NumSgprs: 48
; NumVgprs: 39
; NumAgprs: 0
; TotalNumVgprs: 39
; ScratchSize: 0
; MemoryBound: 0
; FloatMode: 240
; IeeeMode: 1
; LDSByteSize: 0 bytes/workgroup (compile time only)
; SGPRBlocks: 5
; VGPRBlocks: 4
; NumSGPRsForWavesPerEU: 48
; NumVGPRsForWavesPerEU: 39
; AccumOffset: 40
; Occupancy: 8
; WaveLimiterHint : 0
; COMPUTE_PGM_RSRC2:SCRATCH_EN: 0
; COMPUTE_PGM_RSRC2:USER_SGPR: 6
; COMPUTE_PGM_RSRC2:TRAP_HANDLER: 0
; COMPUTE_PGM_RSRC2:TGID_X_EN: 1
; COMPUTE_PGM_RSRC2:TGID_Y_EN: 0
; COMPUTE_PGM_RSRC2:TGID_Z_EN: 0
; COMPUTE_PGM_RSRC2:TIDIG_COMP_CNT: 1
; COMPUTE_PGM_RSRC3_GFX90A:ACCUM_OFFSET: 9
; COMPUTE_PGM_RSRC3_GFX90A:TG_SPLIT: 0
	.section	.text._ZN12_GLOBAL__N_121softmax_warp_backwardIN3c108BFloat16ES2_fLi10ELb1ELb0ELi32EEEvPT0_PKT_S7_iiiPKb,"axG",@progbits,_ZN12_GLOBAL__N_121softmax_warp_backwardIN3c108BFloat16ES2_fLi10ELb1ELb0ELi32EEEvPT0_PKT_S7_iiiPKb,comdat
	.globl	_ZN12_GLOBAL__N_121softmax_warp_backwardIN3c108BFloat16ES2_fLi10ELb1ELb0ELi32EEEvPT0_PKT_S7_iiiPKb ; -- Begin function _ZN12_GLOBAL__N_121softmax_warp_backwardIN3c108BFloat16ES2_fLi10ELb1ELb0ELi32EEEvPT0_PKT_S7_iiiPKb
	.p2align	8
	.type	_ZN12_GLOBAL__N_121softmax_warp_backwardIN3c108BFloat16ES2_fLi10ELb1ELb0ELi32EEEvPT0_PKT_S7_iiiPKb,@function
_ZN12_GLOBAL__N_121softmax_warp_backwardIN3c108BFloat16ES2_fLi10ELb1ELb0ELi32EEEvPT0_PKT_S7_iiiPKb: ; @_ZN12_GLOBAL__N_121softmax_warp_backwardIN3c108BFloat16ES2_fLi10ELb1ELb0ELi32EEEvPT0_PKT_S7_iiiPKb
; %bb.0:
	s_load_dword s2, s[4:5], 0x3c
	s_load_dwordx4 s[64:67], s[4:5], 0x18
	s_load_dwordx4 s[68:71], s[4:5], 0x0
	s_load_dwordx2 s[0:1], s[4:5], 0x10
	v_bfe_u32 v1, v0, 10, 10
	s_waitcnt lgkmcnt(0)
	s_lshr_b32 s2, s2, 16
	s_mul_i32 s6, s6, s2
	v_and_b32_e32 v7, 0x3ff, v0
	v_add_u32_e32 v1, s6, v1
	v_and_b32_e32 v6, 31, v7
	v_sub_u32_e32 v70, s64, v1
	v_mad_u64_u32 v[0:1], s[2:3], v1, s65, v[6:7]
	v_ashrrev_i32_e32 v1, 31, v0
	v_lshlrev_b64 v[0:1], 1, v[0:1]
	v_mov_b32_e32 v3, s71
	v_add_co_u32_e32 v2, vcc, s70, v0
	v_addc_co_u32_e32 v3, vcc, v3, v1, vcc
	v_mov_b32_e32 v5, s1
	v_add_co_u32_e32 v4, vcc, s0, v0
	v_cmp_lt_i32_e64 s[64:65], 0, v70
	v_cmp_gt_i32_e64 s[62:63], s66, v6
	v_addc_co_u32_e32 v5, vcc, v5, v1, vcc
	s_and_b64 s[2:3], s[64:65], s[62:63]
	v_mov_b32_e32 v64, 0
	v_mov_b32_e32 v68, 0
	;; [unrolled: 1-line block ×3, first 2 shown]
	s_and_saveexec_b64 s[0:1], s[2:3]
	s_cbranch_execz .LBB321_2
; %bb.1:
	global_load_ushort v8, v[4:5], off
	global_load_ushort v9, v[2:3], off
	s_waitcnt vmcnt(1)
	v_lshlrev_b32_e32 v68, 16, v8
	s_waitcnt vmcnt(0)
	v_lshlrev_b32_e32 v69, 16, v9
.LBB321_2:
	s_or_b64 exec, exec, s[0:1]
	v_or_b32_e32 v8, 32, v6
	v_cmp_gt_i32_e64 s[60:61], s66, v8
	s_and_b64 s[2:3], s[64:65], s[60:61]
	v_mov_b32_e32 v67, 0
	s_and_saveexec_b64 s[0:1], s[2:3]
	s_cbranch_execz .LBB321_4
; %bb.3:
	global_load_ushort v8, v[4:5], off offset:64
	global_load_ushort v9, v[2:3], off offset:64
	s_waitcnt vmcnt(1)
	v_lshlrev_b32_e32 v64, 16, v8
	s_waitcnt vmcnt(0)
	v_lshlrev_b32_e32 v67, 16, v9
.LBB321_4:
	s_or_b64 exec, exec, s[0:1]
	v_or_b32_e32 v8, 64, v6
	v_cmp_gt_i32_e64 s[58:59], s66, v8
	s_and_b64 s[2:3], s[64:65], s[58:59]
	v_mov_b32_e32 v60, 0
	v_mov_b32_e32 v65, 0
	v_mov_b32_e32 v66, 0
	s_and_saveexec_b64 s[0:1], s[2:3]
	s_cbranch_execz .LBB321_6
; %bb.5:
	global_load_ushort v8, v[4:5], off offset:128
	global_load_ushort v9, v[2:3], off offset:128
	s_waitcnt vmcnt(1)
	v_lshlrev_b32_e32 v65, 16, v8
	s_waitcnt vmcnt(0)
	v_lshlrev_b32_e32 v66, 16, v9
.LBB321_6:
	s_or_b64 exec, exec, s[0:1]
	v_or_b32_e32 v8, 0x60, v6
	v_cmp_gt_i32_e64 s[56:57], s66, v8
	s_and_b64 s[2:3], s[64:65], s[56:57]
	v_mov_b32_e32 v63, 0
	s_and_saveexec_b64 s[0:1], s[2:3]
	s_cbranch_execz .LBB321_8
; %bb.7:
	global_load_ushort v8, v[4:5], off offset:192
	global_load_ushort v9, v[2:3], off offset:192
	s_waitcnt vmcnt(1)
	v_lshlrev_b32_e32 v60, 16, v8
	s_waitcnt vmcnt(0)
	v_lshlrev_b32_e32 v63, 16, v9
.LBB321_8:
	s_or_b64 exec, exec, s[0:1]
	v_or_b32_e32 v8, 0x80, v6
	v_cmp_gt_i32_e64 s[54:55], s66, v8
	s_and_b64 s[2:3], s[64:65], s[54:55]
	v_mov_b32_e32 v56, 0
	v_mov_b32_e32 v61, 0
	v_mov_b32_e32 v62, 0
	s_and_saveexec_b64 s[0:1], s[2:3]
	s_cbranch_execz .LBB321_10
; %bb.9:
	global_load_ushort v8, v[4:5], off offset:256
	global_load_ushort v9, v[2:3], off offset:256
	s_waitcnt vmcnt(1)
	v_lshlrev_b32_e32 v61, 16, v8
	s_waitcnt vmcnt(0)
	v_lshlrev_b32_e32 v62, 16, v9
.LBB321_10:
	;; [unrolled: 32-line block ×15, first 2 shown]
	s_or_b64 exec, exec, s[70:71]
	v_or_b32_e32 v7, 0x3e0, v7
	v_cmp_gt_i32_e32 vcc, s66, v7
	s_and_b64 s[66:67], s[64:65], vcc
	v_mov_b32_e32 v7, 0
	s_and_saveexec_b64 s[64:65], s[66:67]
	s_cbranch_execz .LBB321_64
; %bb.63:
	global_load_ushort v4, v[4:5], off offset:1984
	s_nop 0
	global_load_ushort v2, v[2:3], off offset:1984
	s_waitcnt vmcnt(1)
	v_lshlrev_b32_e32 v6, 16, v4
	s_waitcnt vmcnt(0)
	v_lshlrev_b32_e32 v7, 16, v2
.LBB321_64:
	s_or_b64 exec, exec, s[64:65]
	v_add_f32_e32 v2, 0, v69
	v_add_f32_e32 v2, v2, v67
	v_add_f32_e32 v2, v2, v66
	v_add_f32_e32 v2, v2, v63
	v_add_f32_e32 v2, v2, v62
	v_add_f32_e32 v2, v2, v59
	v_add_f32_e32 v2, v2, v58
	v_add_f32_e32 v2, v2, v55
	v_add_f32_e32 v2, v2, v54
	v_add_f32_e32 v2, v2, v51
	v_add_f32_e32 v2, v2, v50
	v_add_f32_e32 v2, v2, v47
	v_add_f32_e32 v2, v2, v46
	v_add_f32_e32 v2, v2, v43
	v_add_f32_e32 v2, v2, v42
	v_add_f32_e32 v2, v2, v39
	v_add_f32_e32 v2, v2, v38
	v_add_f32_e32 v2, v2, v35
	v_add_f32_e32 v2, v2, v34
	v_add_f32_e32 v2, v2, v31
	v_add_f32_e32 v2, v2, v30
	v_add_f32_e32 v2, v2, v27
	v_add_f32_e32 v2, v2, v26
	v_add_f32_e32 v2, v2, v23
	v_add_f32_e32 v2, v2, v22
	v_add_f32_e32 v2, v2, v19
	v_mbcnt_lo_u32_b32 v3, -1, 0
	v_add_f32_e32 v2, v2, v18
	v_mbcnt_hi_u32_b32 v3, -1, v3
	v_add_f32_e32 v2, v2, v15
	v_and_b32_e32 v4, 0x60, v3
	v_add_f32_e32 v2, v2, v14
	v_add_u32_e32 v4, 32, v4
	v_xor_b32_e32 v5, 16, v3
	v_add_f32_e32 v2, v2, v11
	v_cmp_lt_i32_e64 s[64:65], v5, v4
	v_add_f32_e32 v2, v2, v10
	v_cndmask_b32_e64 v5, v3, v5, s[64:65]
	v_add_f32_e32 v2, v2, v7
	v_lshlrev_b32_e32 v5, 2, v5
	ds_bpermute_b32 v5, v5, v2
	s_waitcnt lgkmcnt(0)
	v_add_f32_e32 v2, v2, v5
	v_xor_b32_e32 v5, 8, v3
	v_cmp_lt_i32_e64 s[64:65], v5, v4
	v_cndmask_b32_e64 v5, v3, v5, s[64:65]
	v_lshlrev_b32_e32 v5, 2, v5
	ds_bpermute_b32 v5, v5, v2
	s_waitcnt lgkmcnt(0)
	v_add_f32_e32 v2, v2, v5
	v_xor_b32_e32 v5, 4, v3
	v_cmp_lt_i32_e64 s[64:65], v5, v4
	v_cndmask_b32_e64 v5, v3, v5, s[64:65]
	;; [unrolled: 7-line block ×4, first 2 shown]
	v_lshlrev_b32_e32 v3, 2, v3
	ds_bpermute_b32 v3, v3, v2
	v_cmp_lt_i32_e64 s[64:65], 0, v70
	s_and_saveexec_b64 s[66:67], s[64:65]
	s_cbranch_execz .LBB321_98
; %bb.65:
	v_mov_b32_e32 v4, s69
	v_add_co_u32_e64 v0, s[64:65], s68, v0
	v_addc_co_u32_e64 v1, s[64:65], v4, v1, s[64:65]
	s_waitcnt lgkmcnt(0)
	v_add_f32_e32 v2, v2, v3
	s_and_saveexec_b64 s[64:65], s[62:63]
	s_cbranch_execnz .LBB321_99
; %bb.66:
	s_or_b64 exec, exec, s[64:65]
	s_and_saveexec_b64 s[62:63], s[60:61]
	s_cbranch_execnz .LBB321_100
.LBB321_67:
	s_or_b64 exec, exec, s[62:63]
	s_and_saveexec_b64 s[60:61], s[58:59]
	s_cbranch_execnz .LBB321_101
.LBB321_68:
	s_or_b64 exec, exec, s[60:61]
	s_and_saveexec_b64 s[58:59], s[56:57]
	s_cbranch_execnz .LBB321_102
.LBB321_69:
	s_or_b64 exec, exec, s[58:59]
	s_and_saveexec_b64 s[56:57], s[54:55]
	s_cbranch_execnz .LBB321_103
.LBB321_70:
	s_or_b64 exec, exec, s[56:57]
	s_and_saveexec_b64 s[54:55], s[52:53]
	s_cbranch_execnz .LBB321_104
.LBB321_71:
	s_or_b64 exec, exec, s[54:55]
	s_and_saveexec_b64 s[52:53], s[50:51]
	s_cbranch_execnz .LBB321_105
.LBB321_72:
	s_or_b64 exec, exec, s[52:53]
	s_and_saveexec_b64 s[50:51], s[48:49]
	s_cbranch_execnz .LBB321_106
.LBB321_73:
	s_or_b64 exec, exec, s[50:51]
	s_and_saveexec_b64 s[48:49], s[46:47]
	s_cbranch_execnz .LBB321_107
.LBB321_74:
	s_or_b64 exec, exec, s[48:49]
	s_and_saveexec_b64 s[46:47], s[44:45]
	s_cbranch_execnz .LBB321_108
.LBB321_75:
	s_or_b64 exec, exec, s[46:47]
	s_and_saveexec_b64 s[44:45], s[42:43]
	s_cbranch_execnz .LBB321_109
.LBB321_76:
	s_or_b64 exec, exec, s[44:45]
	s_and_saveexec_b64 s[42:43], s[40:41]
	s_cbranch_execnz .LBB321_110
.LBB321_77:
	s_or_b64 exec, exec, s[42:43]
	s_and_saveexec_b64 s[40:41], s[38:39]
	s_cbranch_execnz .LBB321_111
.LBB321_78:
	s_or_b64 exec, exec, s[40:41]
	s_and_saveexec_b64 s[38:39], s[36:37]
	s_cbranch_execnz .LBB321_112
.LBB321_79:
	s_or_b64 exec, exec, s[38:39]
	s_and_saveexec_b64 s[36:37], s[34:35]
	s_cbranch_execnz .LBB321_113
.LBB321_80:
	s_or_b64 exec, exec, s[36:37]
	s_and_saveexec_b64 s[34:35], s[30:31]
	s_cbranch_execnz .LBB321_114
.LBB321_81:
	s_or_b64 exec, exec, s[34:35]
	s_and_saveexec_b64 s[30:31], s[28:29]
	s_cbranch_execnz .LBB321_115
.LBB321_82:
	s_or_b64 exec, exec, s[30:31]
	s_and_saveexec_b64 s[28:29], s[26:27]
	s_cbranch_execnz .LBB321_116
.LBB321_83:
	s_or_b64 exec, exec, s[28:29]
	s_and_saveexec_b64 s[26:27], s[24:25]
	s_cbranch_execnz .LBB321_117
.LBB321_84:
	s_or_b64 exec, exec, s[26:27]
	s_and_saveexec_b64 s[24:25], s[22:23]
	s_cbranch_execnz .LBB321_118
.LBB321_85:
	s_or_b64 exec, exec, s[24:25]
	s_and_saveexec_b64 s[22:23], s[20:21]
	s_cbranch_execnz .LBB321_119
.LBB321_86:
	s_or_b64 exec, exec, s[22:23]
	s_and_saveexec_b64 s[20:21], s[18:19]
	s_cbranch_execnz .LBB321_120
.LBB321_87:
	s_or_b64 exec, exec, s[20:21]
	s_and_saveexec_b64 s[18:19], s[16:17]
	s_cbranch_execnz .LBB321_121
.LBB321_88:
	s_or_b64 exec, exec, s[18:19]
	s_and_saveexec_b64 s[16:17], s[14:15]
	s_cbranch_execnz .LBB321_122
.LBB321_89:
	s_or_b64 exec, exec, s[16:17]
	s_and_saveexec_b64 s[14:15], s[12:13]
	s_cbranch_execnz .LBB321_123
.LBB321_90:
	s_or_b64 exec, exec, s[14:15]
	s_and_saveexec_b64 s[12:13], s[10:11]
	s_cbranch_execnz .LBB321_124
.LBB321_91:
	s_or_b64 exec, exec, s[12:13]
	s_and_saveexec_b64 s[10:11], s[8:9]
	s_cbranch_execnz .LBB321_125
.LBB321_92:
	s_or_b64 exec, exec, s[10:11]
	s_and_saveexec_b64 s[8:9], s[6:7]
	s_cbranch_execnz .LBB321_126
.LBB321_93:
	s_or_b64 exec, exec, s[8:9]
	s_and_saveexec_b64 s[6:7], s[4:5]
	s_cbranch_execnz .LBB321_127
.LBB321_94:
	s_or_b64 exec, exec, s[6:7]
	s_and_saveexec_b64 s[4:5], s[2:3]
	s_cbranch_execnz .LBB321_128
.LBB321_95:
	s_or_b64 exec, exec, s[4:5]
	s_and_saveexec_b64 s[2:3], s[0:1]
	s_cbranch_execnz .LBB321_129
.LBB321_96:
	s_or_b64 exec, exec, s[2:3]
	s_and_b64 exec, exec, vcc
	s_cbranch_execz .LBB321_98
.LBB321_97:
	v_mul_f32_e32 v3, 0x3fb8aa3b, v6
	s_mov_b32 s0, 0x3fb8aa3b
	v_rndne_f32_e32 v4, v3
	v_sub_f32_e32 v5, v3, v4
	v_fma_f32 v3, v6, s0, -v3
	v_fmac_f32_e32 v3, 0x32a5705f, v6
	v_add_f32_e32 v3, v5, v3
	v_exp_f32_e32 v3, v3
	v_cvt_i32_f32_e32 v4, v4
	s_mov_b32 s0, 0xc2ce8ed0
	v_cmp_ngt_f32_e32 vcc, s0, v6
	s_mov_b32 s0, 0x42b17218
	v_ldexp_f32 v3, v3, v4
	v_cndmask_b32_e32 v3, 0, v3, vcc
	v_mov_b32_e32 v4, 0x7f800000
	v_cmp_nlt_f32_e32 vcc, s0, v6
	v_cndmask_b32_e32 v3, v4, v3, vcc
	v_fma_f32 v2, -v2, v3, v7
	v_bfe_u32 v3, v2, 16, 1
	s_movk_i32 s0, 0x7fff
	v_add3_u32 v3, v2, v3, s0
	v_lshrrev_b32_e32 v3, 16, v3
	v_mov_b32_e32 v4, 0x7fc0
	v_cmp_o_f32_e32 vcc, v2, v2
	v_cndmask_b32_e32 v2, v4, v3, vcc
	global_store_short v[0:1], v2, off offset:1984
.LBB321_98:
	s_endpgm
.LBB321_99:
	v_mul_f32_e32 v3, 0x3fb8aa3b, v68
	s_mov_b32 s33, 0x3fb8aa3b
	v_rndne_f32_e32 v4, v3
	v_sub_f32_e32 v5, v3, v4
	v_fma_f32 v3, v68, s33, -v3
	v_fmac_f32_e32 v3, 0x32a5705f, v68
	v_add_f32_e32 v3, v5, v3
	v_exp_f32_e32 v3, v3
	v_cvt_i32_f32_e32 v4, v4
	s_mov_b32 s33, 0xc2ce8ed0
	v_cmp_ngt_f32_e64 s[62:63], s33, v68
	s_mov_b32 s33, 0x42b17218
	v_ldexp_f32 v3, v3, v4
	v_cndmask_b32_e64 v3, 0, v3, s[62:63]
	v_mov_b32_e32 v4, 0x7f800000
	v_cmp_nlt_f32_e64 s[62:63], s33, v68
	v_cndmask_b32_e64 v3, v4, v3, s[62:63]
	v_fma_f32 v3, -v2, v3, v69
	v_bfe_u32 v4, v3, 16, 1
	s_movk_i32 s33, 0x7fff
	v_add3_u32 v4, v3, v4, s33
	v_lshrrev_b32_e32 v4, 16, v4
	v_mov_b32_e32 v5, 0x7fc0
	v_cmp_o_f32_e64 s[62:63], v3, v3
	v_cndmask_b32_e64 v3, v5, v4, s[62:63]
	global_store_short v[0:1], v3, off
	s_or_b64 exec, exec, s[64:65]
	s_and_saveexec_b64 s[62:63], s[60:61]
	s_cbranch_execz .LBB321_67
.LBB321_100:
	v_mul_f32_e32 v3, 0x3fb8aa3b, v64
	s_mov_b32 s33, 0x3fb8aa3b
	v_rndne_f32_e32 v4, v3
	v_sub_f32_e32 v5, v3, v4
	v_fma_f32 v3, v64, s33, -v3
	v_fmac_f32_e32 v3, 0x32a5705f, v64
	v_add_f32_e32 v3, v5, v3
	v_exp_f32_e32 v3, v3
	v_cvt_i32_f32_e32 v4, v4
	s_mov_b32 s33, 0xc2ce8ed0
	v_cmp_ngt_f32_e64 s[60:61], s33, v64
	s_mov_b32 s33, 0x42b17218
	v_ldexp_f32 v3, v3, v4
	v_cndmask_b32_e64 v3, 0, v3, s[60:61]
	v_mov_b32_e32 v4, 0x7f800000
	v_cmp_nlt_f32_e64 s[60:61], s33, v64
	v_cndmask_b32_e64 v3, v4, v3, s[60:61]
	v_fma_f32 v3, -v2, v3, v67
	v_bfe_u32 v4, v3, 16, 1
	s_movk_i32 s33, 0x7fff
	v_add3_u32 v4, v3, v4, s33
	v_lshrrev_b32_e32 v4, 16, v4
	v_mov_b32_e32 v5, 0x7fc0
	v_cmp_o_f32_e64 s[60:61], v3, v3
	v_cndmask_b32_e64 v3, v5, v4, s[60:61]
	global_store_short v[0:1], v3, off offset:64
	s_or_b64 exec, exec, s[62:63]
	s_and_saveexec_b64 s[60:61], s[58:59]
	s_cbranch_execz .LBB321_68
.LBB321_101:
	v_mul_f32_e32 v3, 0x3fb8aa3b, v65
	s_mov_b32 s33, 0x3fb8aa3b
	v_rndne_f32_e32 v4, v3
	v_sub_f32_e32 v5, v3, v4
	v_fma_f32 v3, v65, s33, -v3
	v_fmac_f32_e32 v3, 0x32a5705f, v65
	v_add_f32_e32 v3, v5, v3
	v_exp_f32_e32 v3, v3
	v_cvt_i32_f32_e32 v4, v4
	s_mov_b32 s33, 0xc2ce8ed0
	v_cmp_ngt_f32_e64 s[58:59], s33, v65
	s_mov_b32 s33, 0x42b17218
	v_ldexp_f32 v3, v3, v4
	v_cndmask_b32_e64 v3, 0, v3, s[58:59]
	v_mov_b32_e32 v4, 0x7f800000
	v_cmp_nlt_f32_e64 s[58:59], s33, v65
	v_cndmask_b32_e64 v3, v4, v3, s[58:59]
	v_fma_f32 v3, -v2, v3, v66
	v_bfe_u32 v4, v3, 16, 1
	s_movk_i32 s33, 0x7fff
	v_add3_u32 v4, v3, v4, s33
	v_lshrrev_b32_e32 v4, 16, v4
	v_mov_b32_e32 v5, 0x7fc0
	v_cmp_o_f32_e64 s[58:59], v3, v3
	v_cndmask_b32_e64 v3, v5, v4, s[58:59]
	global_store_short v[0:1], v3, off offset:128
	s_or_b64 exec, exec, s[60:61]
	s_and_saveexec_b64 s[58:59], s[56:57]
	s_cbranch_execz .LBB321_69
.LBB321_102:
	v_mul_f32_e32 v3, 0x3fb8aa3b, v60
	s_mov_b32 s33, 0x3fb8aa3b
	v_rndne_f32_e32 v4, v3
	v_sub_f32_e32 v5, v3, v4
	v_fma_f32 v3, v60, s33, -v3
	v_fmac_f32_e32 v3, 0x32a5705f, v60
	v_add_f32_e32 v3, v5, v3
	v_exp_f32_e32 v3, v3
	v_cvt_i32_f32_e32 v4, v4
	s_mov_b32 s33, 0xc2ce8ed0
	v_cmp_ngt_f32_e64 s[56:57], s33, v60
	s_mov_b32 s33, 0x42b17218
	v_ldexp_f32 v3, v3, v4
	v_cndmask_b32_e64 v3, 0, v3, s[56:57]
	v_mov_b32_e32 v4, 0x7f800000
	v_cmp_nlt_f32_e64 s[56:57], s33, v60
	v_cndmask_b32_e64 v3, v4, v3, s[56:57]
	v_fma_f32 v3, -v2, v3, v63
	v_bfe_u32 v4, v3, 16, 1
	s_movk_i32 s33, 0x7fff
	v_add3_u32 v4, v3, v4, s33
	v_lshrrev_b32_e32 v4, 16, v4
	v_mov_b32_e32 v5, 0x7fc0
	v_cmp_o_f32_e64 s[56:57], v3, v3
	v_cndmask_b32_e64 v3, v5, v4, s[56:57]
	global_store_short v[0:1], v3, off offset:192
	s_or_b64 exec, exec, s[58:59]
	s_and_saveexec_b64 s[56:57], s[54:55]
	s_cbranch_execz .LBB321_70
.LBB321_103:
	v_mul_f32_e32 v3, 0x3fb8aa3b, v61
	s_mov_b32 s33, 0x3fb8aa3b
	v_rndne_f32_e32 v4, v3
	v_sub_f32_e32 v5, v3, v4
	v_fma_f32 v3, v61, s33, -v3
	v_fmac_f32_e32 v3, 0x32a5705f, v61
	v_add_f32_e32 v3, v5, v3
	v_exp_f32_e32 v3, v3
	v_cvt_i32_f32_e32 v4, v4
	s_mov_b32 s33, 0xc2ce8ed0
	v_cmp_ngt_f32_e64 s[54:55], s33, v61
	s_mov_b32 s33, 0x42b17218
	v_ldexp_f32 v3, v3, v4
	v_cndmask_b32_e64 v3, 0, v3, s[54:55]
	v_mov_b32_e32 v4, 0x7f800000
	v_cmp_nlt_f32_e64 s[54:55], s33, v61
	v_cndmask_b32_e64 v3, v4, v3, s[54:55]
	v_fma_f32 v3, -v2, v3, v62
	v_bfe_u32 v4, v3, 16, 1
	s_movk_i32 s33, 0x7fff
	v_add3_u32 v4, v3, v4, s33
	v_lshrrev_b32_e32 v4, 16, v4
	v_mov_b32_e32 v5, 0x7fc0
	v_cmp_o_f32_e64 s[54:55], v3, v3
	v_cndmask_b32_e64 v3, v5, v4, s[54:55]
	global_store_short v[0:1], v3, off offset:256
	s_or_b64 exec, exec, s[56:57]
	s_and_saveexec_b64 s[54:55], s[52:53]
	s_cbranch_execz .LBB321_71
.LBB321_104:
	v_mul_f32_e32 v3, 0x3fb8aa3b, v56
	s_mov_b32 s33, 0x3fb8aa3b
	v_rndne_f32_e32 v4, v3
	v_sub_f32_e32 v5, v3, v4
	v_fma_f32 v3, v56, s33, -v3
	v_fmac_f32_e32 v3, 0x32a5705f, v56
	v_add_f32_e32 v3, v5, v3
	v_exp_f32_e32 v3, v3
	v_cvt_i32_f32_e32 v4, v4
	s_mov_b32 s33, 0xc2ce8ed0
	v_cmp_ngt_f32_e64 s[52:53], s33, v56
	s_mov_b32 s33, 0x42b17218
	v_ldexp_f32 v3, v3, v4
	v_cndmask_b32_e64 v3, 0, v3, s[52:53]
	v_mov_b32_e32 v4, 0x7f800000
	v_cmp_nlt_f32_e64 s[52:53], s33, v56
	v_cndmask_b32_e64 v3, v4, v3, s[52:53]
	v_fma_f32 v3, -v2, v3, v59
	v_bfe_u32 v4, v3, 16, 1
	s_movk_i32 s33, 0x7fff
	v_add3_u32 v4, v3, v4, s33
	v_lshrrev_b32_e32 v4, 16, v4
	v_mov_b32_e32 v5, 0x7fc0
	v_cmp_o_f32_e64 s[52:53], v3, v3
	v_cndmask_b32_e64 v3, v5, v4, s[52:53]
	global_store_short v[0:1], v3, off offset:320
	s_or_b64 exec, exec, s[54:55]
	s_and_saveexec_b64 s[52:53], s[50:51]
	s_cbranch_execz .LBB321_72
.LBB321_105:
	v_mul_f32_e32 v3, 0x3fb8aa3b, v57
	s_mov_b32 s33, 0x3fb8aa3b
	v_rndne_f32_e32 v4, v3
	v_sub_f32_e32 v5, v3, v4
	v_fma_f32 v3, v57, s33, -v3
	v_fmac_f32_e32 v3, 0x32a5705f, v57
	v_add_f32_e32 v3, v5, v3
	v_exp_f32_e32 v3, v3
	v_cvt_i32_f32_e32 v4, v4
	s_mov_b32 s33, 0xc2ce8ed0
	v_cmp_ngt_f32_e64 s[50:51], s33, v57
	s_mov_b32 s33, 0x42b17218
	v_ldexp_f32 v3, v3, v4
	v_cndmask_b32_e64 v3, 0, v3, s[50:51]
	v_mov_b32_e32 v4, 0x7f800000
	v_cmp_nlt_f32_e64 s[50:51], s33, v57
	v_cndmask_b32_e64 v3, v4, v3, s[50:51]
	v_fma_f32 v3, -v2, v3, v58
	v_bfe_u32 v4, v3, 16, 1
	s_movk_i32 s33, 0x7fff
	v_add3_u32 v4, v3, v4, s33
	v_lshrrev_b32_e32 v4, 16, v4
	v_mov_b32_e32 v5, 0x7fc0
	v_cmp_o_f32_e64 s[50:51], v3, v3
	v_cndmask_b32_e64 v3, v5, v4, s[50:51]
	global_store_short v[0:1], v3, off offset:384
	s_or_b64 exec, exec, s[52:53]
	s_and_saveexec_b64 s[50:51], s[48:49]
	s_cbranch_execz .LBB321_73
.LBB321_106:
	v_mul_f32_e32 v3, 0x3fb8aa3b, v52
	s_mov_b32 s33, 0x3fb8aa3b
	v_rndne_f32_e32 v4, v3
	v_sub_f32_e32 v5, v3, v4
	v_fma_f32 v3, v52, s33, -v3
	v_fmac_f32_e32 v3, 0x32a5705f, v52
	v_add_f32_e32 v3, v5, v3
	v_exp_f32_e32 v3, v3
	v_cvt_i32_f32_e32 v4, v4
	s_mov_b32 s33, 0xc2ce8ed0
	v_cmp_ngt_f32_e64 s[48:49], s33, v52
	s_mov_b32 s33, 0x42b17218
	v_ldexp_f32 v3, v3, v4
	v_cndmask_b32_e64 v3, 0, v3, s[48:49]
	v_mov_b32_e32 v4, 0x7f800000
	v_cmp_nlt_f32_e64 s[48:49], s33, v52
	v_cndmask_b32_e64 v3, v4, v3, s[48:49]
	v_fma_f32 v3, -v2, v3, v55
	v_bfe_u32 v4, v3, 16, 1
	s_movk_i32 s33, 0x7fff
	v_add3_u32 v4, v3, v4, s33
	v_lshrrev_b32_e32 v4, 16, v4
	v_mov_b32_e32 v5, 0x7fc0
	v_cmp_o_f32_e64 s[48:49], v3, v3
	v_cndmask_b32_e64 v3, v5, v4, s[48:49]
	global_store_short v[0:1], v3, off offset:448
	s_or_b64 exec, exec, s[50:51]
	s_and_saveexec_b64 s[48:49], s[46:47]
	s_cbranch_execz .LBB321_74
.LBB321_107:
	v_mul_f32_e32 v3, 0x3fb8aa3b, v53
	s_mov_b32 s33, 0x3fb8aa3b
	v_rndne_f32_e32 v4, v3
	v_sub_f32_e32 v5, v3, v4
	v_fma_f32 v3, v53, s33, -v3
	v_fmac_f32_e32 v3, 0x32a5705f, v53
	v_add_f32_e32 v3, v5, v3
	v_exp_f32_e32 v3, v3
	v_cvt_i32_f32_e32 v4, v4
	s_mov_b32 s33, 0xc2ce8ed0
	v_cmp_ngt_f32_e64 s[46:47], s33, v53
	s_mov_b32 s33, 0x42b17218
	v_ldexp_f32 v3, v3, v4
	v_cndmask_b32_e64 v3, 0, v3, s[46:47]
	v_mov_b32_e32 v4, 0x7f800000
	v_cmp_nlt_f32_e64 s[46:47], s33, v53
	v_cndmask_b32_e64 v3, v4, v3, s[46:47]
	v_fma_f32 v3, -v2, v3, v54
	v_bfe_u32 v4, v3, 16, 1
	s_movk_i32 s33, 0x7fff
	v_add3_u32 v4, v3, v4, s33
	v_lshrrev_b32_e32 v4, 16, v4
	v_mov_b32_e32 v5, 0x7fc0
	v_cmp_o_f32_e64 s[46:47], v3, v3
	v_cndmask_b32_e64 v3, v5, v4, s[46:47]
	global_store_short v[0:1], v3, off offset:512
	s_or_b64 exec, exec, s[48:49]
	s_and_saveexec_b64 s[46:47], s[44:45]
	s_cbranch_execz .LBB321_75
.LBB321_108:
	v_mul_f32_e32 v3, 0x3fb8aa3b, v48
	s_mov_b32 s33, 0x3fb8aa3b
	v_rndne_f32_e32 v4, v3
	v_sub_f32_e32 v5, v3, v4
	v_fma_f32 v3, v48, s33, -v3
	v_fmac_f32_e32 v3, 0x32a5705f, v48
	v_add_f32_e32 v3, v5, v3
	v_exp_f32_e32 v3, v3
	v_cvt_i32_f32_e32 v4, v4
	s_mov_b32 s33, 0xc2ce8ed0
	v_cmp_ngt_f32_e64 s[44:45], s33, v48
	s_mov_b32 s33, 0x42b17218
	v_ldexp_f32 v3, v3, v4
	v_cndmask_b32_e64 v3, 0, v3, s[44:45]
	v_mov_b32_e32 v4, 0x7f800000
	v_cmp_nlt_f32_e64 s[44:45], s33, v48
	v_cndmask_b32_e64 v3, v4, v3, s[44:45]
	v_fma_f32 v3, -v2, v3, v51
	v_bfe_u32 v4, v3, 16, 1
	s_movk_i32 s33, 0x7fff
	v_add3_u32 v4, v3, v4, s33
	v_lshrrev_b32_e32 v4, 16, v4
	v_mov_b32_e32 v5, 0x7fc0
	v_cmp_o_f32_e64 s[44:45], v3, v3
	v_cndmask_b32_e64 v3, v5, v4, s[44:45]
	global_store_short v[0:1], v3, off offset:576
	s_or_b64 exec, exec, s[46:47]
	s_and_saveexec_b64 s[44:45], s[42:43]
	s_cbranch_execz .LBB321_76
.LBB321_109:
	v_mul_f32_e32 v3, 0x3fb8aa3b, v49
	s_mov_b32 s33, 0x3fb8aa3b
	v_rndne_f32_e32 v4, v3
	v_sub_f32_e32 v5, v3, v4
	v_fma_f32 v3, v49, s33, -v3
	v_fmac_f32_e32 v3, 0x32a5705f, v49
	v_add_f32_e32 v3, v5, v3
	v_exp_f32_e32 v3, v3
	v_cvt_i32_f32_e32 v4, v4
	s_mov_b32 s33, 0xc2ce8ed0
	v_cmp_ngt_f32_e64 s[42:43], s33, v49
	s_mov_b32 s33, 0x42b17218
	v_ldexp_f32 v3, v3, v4
	v_cndmask_b32_e64 v3, 0, v3, s[42:43]
	v_mov_b32_e32 v4, 0x7f800000
	v_cmp_nlt_f32_e64 s[42:43], s33, v49
	v_cndmask_b32_e64 v3, v4, v3, s[42:43]
	v_fma_f32 v3, -v2, v3, v50
	v_bfe_u32 v4, v3, 16, 1
	s_movk_i32 s33, 0x7fff
	v_add3_u32 v4, v3, v4, s33
	v_lshrrev_b32_e32 v4, 16, v4
	v_mov_b32_e32 v5, 0x7fc0
	v_cmp_o_f32_e64 s[42:43], v3, v3
	v_cndmask_b32_e64 v3, v5, v4, s[42:43]
	global_store_short v[0:1], v3, off offset:640
	s_or_b64 exec, exec, s[44:45]
	s_and_saveexec_b64 s[42:43], s[40:41]
	s_cbranch_execz .LBB321_77
.LBB321_110:
	v_mul_f32_e32 v3, 0x3fb8aa3b, v44
	s_mov_b32 s33, 0x3fb8aa3b
	v_rndne_f32_e32 v4, v3
	v_sub_f32_e32 v5, v3, v4
	v_fma_f32 v3, v44, s33, -v3
	v_fmac_f32_e32 v3, 0x32a5705f, v44
	v_add_f32_e32 v3, v5, v3
	v_exp_f32_e32 v3, v3
	v_cvt_i32_f32_e32 v4, v4
	s_mov_b32 s33, 0xc2ce8ed0
	v_cmp_ngt_f32_e64 s[40:41], s33, v44
	s_mov_b32 s33, 0x42b17218
	v_ldexp_f32 v3, v3, v4
	v_cndmask_b32_e64 v3, 0, v3, s[40:41]
	v_mov_b32_e32 v4, 0x7f800000
	v_cmp_nlt_f32_e64 s[40:41], s33, v44
	v_cndmask_b32_e64 v3, v4, v3, s[40:41]
	v_fma_f32 v3, -v2, v3, v47
	v_bfe_u32 v4, v3, 16, 1
	s_movk_i32 s33, 0x7fff
	v_add3_u32 v4, v3, v4, s33
	v_lshrrev_b32_e32 v4, 16, v4
	v_mov_b32_e32 v5, 0x7fc0
	v_cmp_o_f32_e64 s[40:41], v3, v3
	v_cndmask_b32_e64 v3, v5, v4, s[40:41]
	global_store_short v[0:1], v3, off offset:704
	s_or_b64 exec, exec, s[42:43]
	s_and_saveexec_b64 s[40:41], s[38:39]
	s_cbranch_execz .LBB321_78
.LBB321_111:
	v_mul_f32_e32 v3, 0x3fb8aa3b, v45
	s_mov_b32 s33, 0x3fb8aa3b
	v_rndne_f32_e32 v4, v3
	v_sub_f32_e32 v5, v3, v4
	v_fma_f32 v3, v45, s33, -v3
	v_fmac_f32_e32 v3, 0x32a5705f, v45
	v_add_f32_e32 v3, v5, v3
	v_exp_f32_e32 v3, v3
	v_cvt_i32_f32_e32 v4, v4
	s_mov_b32 s33, 0xc2ce8ed0
	v_cmp_ngt_f32_e64 s[38:39], s33, v45
	s_mov_b32 s33, 0x42b17218
	v_ldexp_f32 v3, v3, v4
	v_cndmask_b32_e64 v3, 0, v3, s[38:39]
	v_mov_b32_e32 v4, 0x7f800000
	v_cmp_nlt_f32_e64 s[38:39], s33, v45
	v_cndmask_b32_e64 v3, v4, v3, s[38:39]
	v_fma_f32 v3, -v2, v3, v46
	v_bfe_u32 v4, v3, 16, 1
	s_movk_i32 s33, 0x7fff
	v_add3_u32 v4, v3, v4, s33
	v_lshrrev_b32_e32 v4, 16, v4
	v_mov_b32_e32 v5, 0x7fc0
	v_cmp_o_f32_e64 s[38:39], v3, v3
	v_cndmask_b32_e64 v3, v5, v4, s[38:39]
	global_store_short v[0:1], v3, off offset:768
	s_or_b64 exec, exec, s[40:41]
	s_and_saveexec_b64 s[38:39], s[36:37]
	s_cbranch_execz .LBB321_79
.LBB321_112:
	v_mul_f32_e32 v3, 0x3fb8aa3b, v40
	s_mov_b32 s33, 0x3fb8aa3b
	v_rndne_f32_e32 v4, v3
	v_sub_f32_e32 v5, v3, v4
	v_fma_f32 v3, v40, s33, -v3
	v_fmac_f32_e32 v3, 0x32a5705f, v40
	v_add_f32_e32 v3, v5, v3
	v_exp_f32_e32 v3, v3
	v_cvt_i32_f32_e32 v4, v4
	s_mov_b32 s33, 0xc2ce8ed0
	v_cmp_ngt_f32_e64 s[36:37], s33, v40
	s_mov_b32 s33, 0x42b17218
	v_ldexp_f32 v3, v3, v4
	v_cndmask_b32_e64 v3, 0, v3, s[36:37]
	v_mov_b32_e32 v4, 0x7f800000
	v_cmp_nlt_f32_e64 s[36:37], s33, v40
	v_cndmask_b32_e64 v3, v4, v3, s[36:37]
	v_fma_f32 v3, -v2, v3, v43
	v_bfe_u32 v4, v3, 16, 1
	s_movk_i32 s33, 0x7fff
	v_add3_u32 v4, v3, v4, s33
	v_lshrrev_b32_e32 v4, 16, v4
	v_mov_b32_e32 v5, 0x7fc0
	v_cmp_o_f32_e64 s[36:37], v3, v3
	v_cndmask_b32_e64 v3, v5, v4, s[36:37]
	global_store_short v[0:1], v3, off offset:832
	s_or_b64 exec, exec, s[38:39]
	s_and_saveexec_b64 s[36:37], s[34:35]
	s_cbranch_execz .LBB321_80
.LBB321_113:
	v_mul_f32_e32 v3, 0x3fb8aa3b, v41
	s_mov_b32 s33, 0x3fb8aa3b
	v_rndne_f32_e32 v4, v3
	v_sub_f32_e32 v5, v3, v4
	v_fma_f32 v3, v41, s33, -v3
	v_fmac_f32_e32 v3, 0x32a5705f, v41
	v_add_f32_e32 v3, v5, v3
	v_exp_f32_e32 v3, v3
	v_cvt_i32_f32_e32 v4, v4
	s_mov_b32 s33, 0xc2ce8ed0
	v_cmp_ngt_f32_e64 s[34:35], s33, v41
	s_mov_b32 s33, 0x42b17218
	v_ldexp_f32 v3, v3, v4
	v_cndmask_b32_e64 v3, 0, v3, s[34:35]
	v_mov_b32_e32 v4, 0x7f800000
	v_cmp_nlt_f32_e64 s[34:35], s33, v41
	v_cndmask_b32_e64 v3, v4, v3, s[34:35]
	v_fma_f32 v3, -v2, v3, v42
	v_bfe_u32 v4, v3, 16, 1
	s_movk_i32 s33, 0x7fff
	v_add3_u32 v4, v3, v4, s33
	v_lshrrev_b32_e32 v4, 16, v4
	v_mov_b32_e32 v5, 0x7fc0
	v_cmp_o_f32_e64 s[34:35], v3, v3
	v_cndmask_b32_e64 v3, v5, v4, s[34:35]
	global_store_short v[0:1], v3, off offset:896
	s_or_b64 exec, exec, s[36:37]
	s_and_saveexec_b64 s[34:35], s[30:31]
	s_cbranch_execz .LBB321_81
.LBB321_114:
	v_mul_f32_e32 v3, 0x3fb8aa3b, v36
	s_mov_b32 s30, 0x3fb8aa3b
	v_rndne_f32_e32 v4, v3
	v_sub_f32_e32 v5, v3, v4
	v_fma_f32 v3, v36, s30, -v3
	v_fmac_f32_e32 v3, 0x32a5705f, v36
	v_add_f32_e32 v3, v5, v3
	v_exp_f32_e32 v3, v3
	v_cvt_i32_f32_e32 v4, v4
	s_mov_b32 s30, 0xc2ce8ed0
	v_cmp_ngt_f32_e64 s[30:31], s30, v36
	v_mov_b32_e32 v5, 0x7fc0
	v_ldexp_f32 v3, v3, v4
	v_cndmask_b32_e64 v3, 0, v3, s[30:31]
	s_mov_b32 s30, 0x42b17218
	v_mov_b32_e32 v4, 0x7f800000
	v_cmp_nlt_f32_e64 s[30:31], s30, v36
	v_cndmask_b32_e64 v3, v4, v3, s[30:31]
	v_fma_f32 v3, -v2, v3, v39
	v_bfe_u32 v4, v3, 16, 1
	s_movk_i32 s30, 0x7fff
	v_add3_u32 v4, v3, v4, s30
	v_lshrrev_b32_e32 v4, 16, v4
	v_cmp_o_f32_e64 s[30:31], v3, v3
	v_cndmask_b32_e64 v3, v5, v4, s[30:31]
	global_store_short v[0:1], v3, off offset:960
	s_or_b64 exec, exec, s[34:35]
	s_and_saveexec_b64 s[30:31], s[28:29]
	s_cbranch_execz .LBB321_82
.LBB321_115:
	v_mul_f32_e32 v3, 0x3fb8aa3b, v37
	s_mov_b32 s28, 0x3fb8aa3b
	v_rndne_f32_e32 v4, v3
	v_sub_f32_e32 v5, v3, v4
	v_fma_f32 v3, v37, s28, -v3
	v_fmac_f32_e32 v3, 0x32a5705f, v37
	v_add_f32_e32 v3, v5, v3
	v_exp_f32_e32 v3, v3
	v_cvt_i32_f32_e32 v4, v4
	s_mov_b32 s28, 0xc2ce8ed0
	v_cmp_ngt_f32_e64 s[28:29], s28, v37
	v_mov_b32_e32 v5, 0x7fc0
	v_ldexp_f32 v3, v3, v4
	v_cndmask_b32_e64 v3, 0, v3, s[28:29]
	s_mov_b32 s28, 0x42b17218
	v_mov_b32_e32 v4, 0x7f800000
	v_cmp_nlt_f32_e64 s[28:29], s28, v37
	v_cndmask_b32_e64 v3, v4, v3, s[28:29]
	v_fma_f32 v3, -v2, v3, v38
	v_bfe_u32 v4, v3, 16, 1
	s_movk_i32 s28, 0x7fff
	v_add3_u32 v4, v3, v4, s28
	v_lshrrev_b32_e32 v4, 16, v4
	v_cmp_o_f32_e64 s[28:29], v3, v3
	v_cndmask_b32_e64 v3, v5, v4, s[28:29]
	global_store_short v[0:1], v3, off offset:1024
	s_or_b64 exec, exec, s[30:31]
	s_and_saveexec_b64 s[28:29], s[26:27]
	s_cbranch_execz .LBB321_83
.LBB321_116:
	v_mul_f32_e32 v3, 0x3fb8aa3b, v32
	s_mov_b32 s26, 0x3fb8aa3b
	v_rndne_f32_e32 v4, v3
	v_sub_f32_e32 v5, v3, v4
	v_fma_f32 v3, v32, s26, -v3
	v_fmac_f32_e32 v3, 0x32a5705f, v32
	v_add_f32_e32 v3, v5, v3
	v_exp_f32_e32 v3, v3
	v_cvt_i32_f32_e32 v4, v4
	s_mov_b32 s26, 0xc2ce8ed0
	v_cmp_ngt_f32_e64 s[26:27], s26, v32
	v_mov_b32_e32 v5, 0x7fc0
	v_ldexp_f32 v3, v3, v4
	v_cndmask_b32_e64 v3, 0, v3, s[26:27]
	s_mov_b32 s26, 0x42b17218
	v_mov_b32_e32 v4, 0x7f800000
	v_cmp_nlt_f32_e64 s[26:27], s26, v32
	v_cndmask_b32_e64 v3, v4, v3, s[26:27]
	v_fma_f32 v3, -v2, v3, v35
	v_bfe_u32 v4, v3, 16, 1
	s_movk_i32 s26, 0x7fff
	v_add3_u32 v4, v3, v4, s26
	v_lshrrev_b32_e32 v4, 16, v4
	v_cmp_o_f32_e64 s[26:27], v3, v3
	v_cndmask_b32_e64 v3, v5, v4, s[26:27]
	global_store_short v[0:1], v3, off offset:1088
	s_or_b64 exec, exec, s[28:29]
	s_and_saveexec_b64 s[26:27], s[24:25]
	s_cbranch_execz .LBB321_84
.LBB321_117:
	v_mul_f32_e32 v3, 0x3fb8aa3b, v33
	s_mov_b32 s24, 0x3fb8aa3b
	v_rndne_f32_e32 v4, v3
	v_sub_f32_e32 v5, v3, v4
	v_fma_f32 v3, v33, s24, -v3
	v_fmac_f32_e32 v3, 0x32a5705f, v33
	v_add_f32_e32 v3, v5, v3
	v_exp_f32_e32 v3, v3
	v_cvt_i32_f32_e32 v4, v4
	s_mov_b32 s24, 0xc2ce8ed0
	v_cmp_ngt_f32_e64 s[24:25], s24, v33
	v_mov_b32_e32 v5, 0x7fc0
	v_ldexp_f32 v3, v3, v4
	v_cndmask_b32_e64 v3, 0, v3, s[24:25]
	s_mov_b32 s24, 0x42b17218
	v_mov_b32_e32 v4, 0x7f800000
	v_cmp_nlt_f32_e64 s[24:25], s24, v33
	v_cndmask_b32_e64 v3, v4, v3, s[24:25]
	v_fma_f32 v3, -v2, v3, v34
	v_bfe_u32 v4, v3, 16, 1
	s_movk_i32 s24, 0x7fff
	v_add3_u32 v4, v3, v4, s24
	v_lshrrev_b32_e32 v4, 16, v4
	v_cmp_o_f32_e64 s[24:25], v3, v3
	v_cndmask_b32_e64 v3, v5, v4, s[24:25]
	global_store_short v[0:1], v3, off offset:1152
	s_or_b64 exec, exec, s[26:27]
	s_and_saveexec_b64 s[24:25], s[22:23]
	s_cbranch_execz .LBB321_85
.LBB321_118:
	v_mul_f32_e32 v3, 0x3fb8aa3b, v28
	s_mov_b32 s22, 0x3fb8aa3b
	v_rndne_f32_e32 v4, v3
	v_sub_f32_e32 v5, v3, v4
	v_fma_f32 v3, v28, s22, -v3
	v_fmac_f32_e32 v3, 0x32a5705f, v28
	v_add_f32_e32 v3, v5, v3
	v_exp_f32_e32 v3, v3
	v_cvt_i32_f32_e32 v4, v4
	s_mov_b32 s22, 0xc2ce8ed0
	v_cmp_ngt_f32_e64 s[22:23], s22, v28
	v_mov_b32_e32 v5, 0x7fc0
	v_ldexp_f32 v3, v3, v4
	v_cndmask_b32_e64 v3, 0, v3, s[22:23]
	s_mov_b32 s22, 0x42b17218
	v_mov_b32_e32 v4, 0x7f800000
	v_cmp_nlt_f32_e64 s[22:23], s22, v28
	v_cndmask_b32_e64 v3, v4, v3, s[22:23]
	v_fma_f32 v3, -v2, v3, v31
	v_bfe_u32 v4, v3, 16, 1
	s_movk_i32 s22, 0x7fff
	v_add3_u32 v4, v3, v4, s22
	v_lshrrev_b32_e32 v4, 16, v4
	v_cmp_o_f32_e64 s[22:23], v3, v3
	v_cndmask_b32_e64 v3, v5, v4, s[22:23]
	global_store_short v[0:1], v3, off offset:1216
	s_or_b64 exec, exec, s[24:25]
	s_and_saveexec_b64 s[22:23], s[20:21]
	s_cbranch_execz .LBB321_86
.LBB321_119:
	v_mul_f32_e32 v3, 0x3fb8aa3b, v29
	s_mov_b32 s20, 0x3fb8aa3b
	v_rndne_f32_e32 v4, v3
	v_sub_f32_e32 v5, v3, v4
	v_fma_f32 v3, v29, s20, -v3
	v_fmac_f32_e32 v3, 0x32a5705f, v29
	v_add_f32_e32 v3, v5, v3
	v_exp_f32_e32 v3, v3
	v_cvt_i32_f32_e32 v4, v4
	s_mov_b32 s20, 0xc2ce8ed0
	v_cmp_ngt_f32_e64 s[20:21], s20, v29
	v_mov_b32_e32 v5, 0x7fc0
	v_ldexp_f32 v3, v3, v4
	v_cndmask_b32_e64 v3, 0, v3, s[20:21]
	s_mov_b32 s20, 0x42b17218
	v_mov_b32_e32 v4, 0x7f800000
	v_cmp_nlt_f32_e64 s[20:21], s20, v29
	v_cndmask_b32_e64 v3, v4, v3, s[20:21]
	v_fma_f32 v3, -v2, v3, v30
	v_bfe_u32 v4, v3, 16, 1
	s_movk_i32 s20, 0x7fff
	v_add3_u32 v4, v3, v4, s20
	v_lshrrev_b32_e32 v4, 16, v4
	v_cmp_o_f32_e64 s[20:21], v3, v3
	v_cndmask_b32_e64 v3, v5, v4, s[20:21]
	global_store_short v[0:1], v3, off offset:1280
	s_or_b64 exec, exec, s[22:23]
	s_and_saveexec_b64 s[20:21], s[18:19]
	s_cbranch_execz .LBB321_87
.LBB321_120:
	v_mul_f32_e32 v3, 0x3fb8aa3b, v24
	s_mov_b32 s18, 0x3fb8aa3b
	v_rndne_f32_e32 v4, v3
	v_sub_f32_e32 v5, v3, v4
	v_fma_f32 v3, v24, s18, -v3
	v_fmac_f32_e32 v3, 0x32a5705f, v24
	v_add_f32_e32 v3, v5, v3
	v_exp_f32_e32 v3, v3
	v_cvt_i32_f32_e32 v4, v4
	s_mov_b32 s18, 0xc2ce8ed0
	v_cmp_ngt_f32_e64 s[18:19], s18, v24
	v_mov_b32_e32 v5, 0x7fc0
	v_ldexp_f32 v3, v3, v4
	v_cndmask_b32_e64 v3, 0, v3, s[18:19]
	s_mov_b32 s18, 0x42b17218
	v_mov_b32_e32 v4, 0x7f800000
	v_cmp_nlt_f32_e64 s[18:19], s18, v24
	v_cndmask_b32_e64 v3, v4, v3, s[18:19]
	v_fma_f32 v3, -v2, v3, v27
	v_bfe_u32 v4, v3, 16, 1
	s_movk_i32 s18, 0x7fff
	v_add3_u32 v4, v3, v4, s18
	v_lshrrev_b32_e32 v4, 16, v4
	v_cmp_o_f32_e64 s[18:19], v3, v3
	v_cndmask_b32_e64 v3, v5, v4, s[18:19]
	global_store_short v[0:1], v3, off offset:1344
	s_or_b64 exec, exec, s[20:21]
	s_and_saveexec_b64 s[18:19], s[16:17]
	s_cbranch_execz .LBB321_88
.LBB321_121:
	v_mul_f32_e32 v3, 0x3fb8aa3b, v25
	s_mov_b32 s16, 0x3fb8aa3b
	v_rndne_f32_e32 v4, v3
	v_sub_f32_e32 v5, v3, v4
	v_fma_f32 v3, v25, s16, -v3
	v_fmac_f32_e32 v3, 0x32a5705f, v25
	v_add_f32_e32 v3, v5, v3
	v_exp_f32_e32 v3, v3
	v_cvt_i32_f32_e32 v4, v4
	s_mov_b32 s16, 0xc2ce8ed0
	v_cmp_ngt_f32_e64 s[16:17], s16, v25
	v_mov_b32_e32 v5, 0x7fc0
	v_ldexp_f32 v3, v3, v4
	v_cndmask_b32_e64 v3, 0, v3, s[16:17]
	s_mov_b32 s16, 0x42b17218
	v_mov_b32_e32 v4, 0x7f800000
	v_cmp_nlt_f32_e64 s[16:17], s16, v25
	v_cndmask_b32_e64 v3, v4, v3, s[16:17]
	v_fma_f32 v3, -v2, v3, v26
	v_bfe_u32 v4, v3, 16, 1
	s_movk_i32 s16, 0x7fff
	v_add3_u32 v4, v3, v4, s16
	v_lshrrev_b32_e32 v4, 16, v4
	v_cmp_o_f32_e64 s[16:17], v3, v3
	v_cndmask_b32_e64 v3, v5, v4, s[16:17]
	global_store_short v[0:1], v3, off offset:1408
	s_or_b64 exec, exec, s[18:19]
	s_and_saveexec_b64 s[16:17], s[14:15]
	s_cbranch_execz .LBB321_89
.LBB321_122:
	v_mul_f32_e32 v3, 0x3fb8aa3b, v20
	s_mov_b32 s14, 0x3fb8aa3b
	v_rndne_f32_e32 v4, v3
	v_sub_f32_e32 v5, v3, v4
	v_fma_f32 v3, v20, s14, -v3
	v_fmac_f32_e32 v3, 0x32a5705f, v20
	v_add_f32_e32 v3, v5, v3
	v_exp_f32_e32 v3, v3
	v_cvt_i32_f32_e32 v4, v4
	s_mov_b32 s14, 0xc2ce8ed0
	v_cmp_ngt_f32_e64 s[14:15], s14, v20
	v_mov_b32_e32 v5, 0x7fc0
	v_ldexp_f32 v3, v3, v4
	v_cndmask_b32_e64 v3, 0, v3, s[14:15]
	s_mov_b32 s14, 0x42b17218
	v_mov_b32_e32 v4, 0x7f800000
	v_cmp_nlt_f32_e64 s[14:15], s14, v20
	v_cndmask_b32_e64 v3, v4, v3, s[14:15]
	v_fma_f32 v3, -v2, v3, v23
	v_bfe_u32 v4, v3, 16, 1
	s_movk_i32 s14, 0x7fff
	v_add3_u32 v4, v3, v4, s14
	v_lshrrev_b32_e32 v4, 16, v4
	v_cmp_o_f32_e64 s[14:15], v3, v3
	v_cndmask_b32_e64 v3, v5, v4, s[14:15]
	global_store_short v[0:1], v3, off offset:1472
	s_or_b64 exec, exec, s[16:17]
	s_and_saveexec_b64 s[14:15], s[12:13]
	s_cbranch_execz .LBB321_90
.LBB321_123:
	v_mul_f32_e32 v3, 0x3fb8aa3b, v21
	s_mov_b32 s12, 0x3fb8aa3b
	v_rndne_f32_e32 v4, v3
	v_sub_f32_e32 v5, v3, v4
	v_fma_f32 v3, v21, s12, -v3
	v_fmac_f32_e32 v3, 0x32a5705f, v21
	v_add_f32_e32 v3, v5, v3
	v_exp_f32_e32 v3, v3
	v_cvt_i32_f32_e32 v4, v4
	s_mov_b32 s12, 0xc2ce8ed0
	v_cmp_ngt_f32_e64 s[12:13], s12, v21
	v_mov_b32_e32 v5, 0x7fc0
	v_ldexp_f32 v3, v3, v4
	v_cndmask_b32_e64 v3, 0, v3, s[12:13]
	s_mov_b32 s12, 0x42b17218
	v_mov_b32_e32 v4, 0x7f800000
	v_cmp_nlt_f32_e64 s[12:13], s12, v21
	v_cndmask_b32_e64 v3, v4, v3, s[12:13]
	v_fma_f32 v3, -v2, v3, v22
	v_bfe_u32 v4, v3, 16, 1
	s_movk_i32 s12, 0x7fff
	v_add3_u32 v4, v3, v4, s12
	v_lshrrev_b32_e32 v4, 16, v4
	v_cmp_o_f32_e64 s[12:13], v3, v3
	v_cndmask_b32_e64 v3, v5, v4, s[12:13]
	global_store_short v[0:1], v3, off offset:1536
	s_or_b64 exec, exec, s[14:15]
	s_and_saveexec_b64 s[12:13], s[10:11]
	s_cbranch_execz .LBB321_91
.LBB321_124:
	v_mul_f32_e32 v3, 0x3fb8aa3b, v16
	s_mov_b32 s10, 0x3fb8aa3b
	v_rndne_f32_e32 v4, v3
	v_sub_f32_e32 v5, v3, v4
	v_fma_f32 v3, v16, s10, -v3
	v_fmac_f32_e32 v3, 0x32a5705f, v16
	v_add_f32_e32 v3, v5, v3
	v_exp_f32_e32 v3, v3
	v_cvt_i32_f32_e32 v4, v4
	s_mov_b32 s10, 0xc2ce8ed0
	v_cmp_ngt_f32_e64 s[10:11], s10, v16
	v_mov_b32_e32 v5, 0x7fc0
	v_ldexp_f32 v3, v3, v4
	v_cndmask_b32_e64 v3, 0, v3, s[10:11]
	s_mov_b32 s10, 0x42b17218
	v_mov_b32_e32 v4, 0x7f800000
	v_cmp_nlt_f32_e64 s[10:11], s10, v16
	v_cndmask_b32_e64 v3, v4, v3, s[10:11]
	v_fma_f32 v3, -v2, v3, v19
	v_bfe_u32 v4, v3, 16, 1
	s_movk_i32 s10, 0x7fff
	v_add3_u32 v4, v3, v4, s10
	v_lshrrev_b32_e32 v4, 16, v4
	v_cmp_o_f32_e64 s[10:11], v3, v3
	v_cndmask_b32_e64 v3, v5, v4, s[10:11]
	global_store_short v[0:1], v3, off offset:1600
	s_or_b64 exec, exec, s[12:13]
	s_and_saveexec_b64 s[10:11], s[8:9]
	s_cbranch_execz .LBB321_92
.LBB321_125:
	v_mul_f32_e32 v3, 0x3fb8aa3b, v17
	s_mov_b32 s8, 0x3fb8aa3b
	v_rndne_f32_e32 v4, v3
	v_sub_f32_e32 v5, v3, v4
	v_fma_f32 v3, v17, s8, -v3
	v_fmac_f32_e32 v3, 0x32a5705f, v17
	v_add_f32_e32 v3, v5, v3
	v_exp_f32_e32 v3, v3
	v_cvt_i32_f32_e32 v4, v4
	s_mov_b32 s8, 0xc2ce8ed0
	v_cmp_ngt_f32_e64 s[8:9], s8, v17
	v_mov_b32_e32 v5, 0x7fc0
	v_ldexp_f32 v3, v3, v4
	v_cndmask_b32_e64 v3, 0, v3, s[8:9]
	s_mov_b32 s8, 0x42b17218
	v_mov_b32_e32 v4, 0x7f800000
	v_cmp_nlt_f32_e64 s[8:9], s8, v17
	v_cndmask_b32_e64 v3, v4, v3, s[8:9]
	v_fma_f32 v3, -v2, v3, v18
	v_bfe_u32 v4, v3, 16, 1
	s_movk_i32 s8, 0x7fff
	v_add3_u32 v4, v3, v4, s8
	v_lshrrev_b32_e32 v4, 16, v4
	v_cmp_o_f32_e64 s[8:9], v3, v3
	v_cndmask_b32_e64 v3, v5, v4, s[8:9]
	global_store_short v[0:1], v3, off offset:1664
	s_or_b64 exec, exec, s[10:11]
	s_and_saveexec_b64 s[8:9], s[6:7]
	s_cbranch_execz .LBB321_93
.LBB321_126:
	v_mul_f32_e32 v3, 0x3fb8aa3b, v12
	s_mov_b32 s6, 0x3fb8aa3b
	v_rndne_f32_e32 v4, v3
	v_sub_f32_e32 v5, v3, v4
	v_fma_f32 v3, v12, s6, -v3
	v_fmac_f32_e32 v3, 0x32a5705f, v12
	v_add_f32_e32 v3, v5, v3
	v_exp_f32_e32 v3, v3
	v_cvt_i32_f32_e32 v4, v4
	s_mov_b32 s6, 0xc2ce8ed0
	v_cmp_ngt_f32_e64 s[6:7], s6, v12
	v_mov_b32_e32 v5, 0x7fc0
	v_ldexp_f32 v3, v3, v4
	v_cndmask_b32_e64 v3, 0, v3, s[6:7]
	s_mov_b32 s6, 0x42b17218
	v_mov_b32_e32 v4, 0x7f800000
	v_cmp_nlt_f32_e64 s[6:7], s6, v12
	v_cndmask_b32_e64 v3, v4, v3, s[6:7]
	v_fma_f32 v3, -v2, v3, v15
	v_bfe_u32 v4, v3, 16, 1
	s_movk_i32 s6, 0x7fff
	v_add3_u32 v4, v3, v4, s6
	v_lshrrev_b32_e32 v4, 16, v4
	v_cmp_o_f32_e64 s[6:7], v3, v3
	v_cndmask_b32_e64 v3, v5, v4, s[6:7]
	global_store_short v[0:1], v3, off offset:1728
	s_or_b64 exec, exec, s[8:9]
	s_and_saveexec_b64 s[6:7], s[4:5]
	s_cbranch_execz .LBB321_94
.LBB321_127:
	v_mul_f32_e32 v3, 0x3fb8aa3b, v13
	s_mov_b32 s4, 0x3fb8aa3b
	v_rndne_f32_e32 v4, v3
	v_sub_f32_e32 v5, v3, v4
	v_fma_f32 v3, v13, s4, -v3
	v_fmac_f32_e32 v3, 0x32a5705f, v13
	v_add_f32_e32 v3, v5, v3
	v_exp_f32_e32 v3, v3
	v_cvt_i32_f32_e32 v4, v4
	s_mov_b32 s4, 0xc2ce8ed0
	v_cmp_ngt_f32_e64 s[4:5], s4, v13
	v_mov_b32_e32 v5, 0x7fc0
	v_ldexp_f32 v3, v3, v4
	v_cndmask_b32_e64 v3, 0, v3, s[4:5]
	s_mov_b32 s4, 0x42b17218
	v_mov_b32_e32 v4, 0x7f800000
	v_cmp_nlt_f32_e64 s[4:5], s4, v13
	v_cndmask_b32_e64 v3, v4, v3, s[4:5]
	v_fma_f32 v3, -v2, v3, v14
	v_bfe_u32 v4, v3, 16, 1
	s_movk_i32 s4, 0x7fff
	v_add3_u32 v4, v3, v4, s4
	v_lshrrev_b32_e32 v4, 16, v4
	v_cmp_o_f32_e64 s[4:5], v3, v3
	v_cndmask_b32_e64 v3, v5, v4, s[4:5]
	global_store_short v[0:1], v3, off offset:1792
	s_or_b64 exec, exec, s[6:7]
	s_and_saveexec_b64 s[4:5], s[2:3]
	s_cbranch_execz .LBB321_95
.LBB321_128:
	v_mul_f32_e32 v3, 0x3fb8aa3b, v8
	s_mov_b32 s2, 0x3fb8aa3b
	v_rndne_f32_e32 v4, v3
	v_sub_f32_e32 v5, v3, v4
	v_fma_f32 v3, v8, s2, -v3
	v_fmac_f32_e32 v3, 0x32a5705f, v8
	v_add_f32_e32 v3, v5, v3
	v_exp_f32_e32 v3, v3
	v_cvt_i32_f32_e32 v4, v4
	s_mov_b32 s2, 0xc2ce8ed0
	v_cmp_ngt_f32_e64 s[2:3], s2, v8
	v_mov_b32_e32 v5, 0x7fc0
	v_ldexp_f32 v3, v3, v4
	v_cndmask_b32_e64 v3, 0, v3, s[2:3]
	s_mov_b32 s2, 0x42b17218
	v_mov_b32_e32 v4, 0x7f800000
	v_cmp_nlt_f32_e64 s[2:3], s2, v8
	v_cndmask_b32_e64 v3, v4, v3, s[2:3]
	v_fma_f32 v3, -v2, v3, v11
	v_bfe_u32 v4, v3, 16, 1
	s_movk_i32 s2, 0x7fff
	v_add3_u32 v4, v3, v4, s2
	v_lshrrev_b32_e32 v4, 16, v4
	v_cmp_o_f32_e64 s[2:3], v3, v3
	v_cndmask_b32_e64 v3, v5, v4, s[2:3]
	global_store_short v[0:1], v3, off offset:1856
	s_or_b64 exec, exec, s[4:5]
	s_and_saveexec_b64 s[2:3], s[0:1]
	s_cbranch_execz .LBB321_96
.LBB321_129:
	v_mul_f32_e32 v3, 0x3fb8aa3b, v9
	s_mov_b32 s0, 0x3fb8aa3b
	v_rndne_f32_e32 v4, v3
	v_sub_f32_e32 v5, v3, v4
	v_fma_f32 v3, v9, s0, -v3
	v_fmac_f32_e32 v3, 0x32a5705f, v9
	v_add_f32_e32 v3, v5, v3
	v_exp_f32_e32 v3, v3
	v_cvt_i32_f32_e32 v4, v4
	s_mov_b32 s0, 0xc2ce8ed0
	v_cmp_ngt_f32_e64 s[0:1], s0, v9
	v_mov_b32_e32 v5, 0x7fc0
	v_ldexp_f32 v3, v3, v4
	v_cndmask_b32_e64 v3, 0, v3, s[0:1]
	s_mov_b32 s0, 0x42b17218
	v_mov_b32_e32 v4, 0x7f800000
	v_cmp_nlt_f32_e64 s[0:1], s0, v9
	v_cndmask_b32_e64 v3, v4, v3, s[0:1]
	v_fma_f32 v3, -v2, v3, v10
	v_bfe_u32 v4, v3, 16, 1
	s_movk_i32 s0, 0x7fff
	v_add3_u32 v4, v3, v4, s0
	v_lshrrev_b32_e32 v4, 16, v4
	v_cmp_o_f32_e64 s[0:1], v3, v3
	v_cndmask_b32_e64 v3, v5, v4, s[0:1]
	global_store_short v[0:1], v3, off offset:1920
	s_or_b64 exec, exec, s[2:3]
	s_and_b64 exec, exec, vcc
	s_cbranch_execnz .LBB321_97
	s_branch .LBB321_98
	.section	.rodata,"a",@progbits
	.p2align	6, 0x0
	.amdhsa_kernel _ZN12_GLOBAL__N_121softmax_warp_backwardIN3c108BFloat16ES2_fLi10ELb1ELb0ELi32EEEvPT0_PKT_S7_iiiPKb
		.amdhsa_group_segment_fixed_size 0
		.amdhsa_private_segment_fixed_size 0
		.amdhsa_kernarg_size 304
		.amdhsa_user_sgpr_count 6
		.amdhsa_user_sgpr_private_segment_buffer 1
		.amdhsa_user_sgpr_dispatch_ptr 0
		.amdhsa_user_sgpr_queue_ptr 0
		.amdhsa_user_sgpr_kernarg_segment_ptr 1
		.amdhsa_user_sgpr_dispatch_id 0
		.amdhsa_user_sgpr_flat_scratch_init 0
		.amdhsa_user_sgpr_kernarg_preload_length 0
		.amdhsa_user_sgpr_kernarg_preload_offset 0
		.amdhsa_user_sgpr_private_segment_size 0
		.amdhsa_uses_dynamic_stack 0
		.amdhsa_system_sgpr_private_segment_wavefront_offset 0
		.amdhsa_system_sgpr_workgroup_id_x 1
		.amdhsa_system_sgpr_workgroup_id_y 0
		.amdhsa_system_sgpr_workgroup_id_z 0
		.amdhsa_system_sgpr_workgroup_info 0
		.amdhsa_system_vgpr_workitem_id 1
		.amdhsa_next_free_vgpr 71
		.amdhsa_next_free_sgpr 74
		.amdhsa_accum_offset 72
		.amdhsa_reserve_vcc 1
		.amdhsa_reserve_flat_scratch 0
		.amdhsa_float_round_mode_32 0
		.amdhsa_float_round_mode_16_64 0
		.amdhsa_float_denorm_mode_32 3
		.amdhsa_float_denorm_mode_16_64 3
		.amdhsa_dx10_clamp 1
		.amdhsa_ieee_mode 1
		.amdhsa_fp16_overflow 0
		.amdhsa_tg_split 0
		.amdhsa_exception_fp_ieee_invalid_op 0
		.amdhsa_exception_fp_denorm_src 0
		.amdhsa_exception_fp_ieee_div_zero 0
		.amdhsa_exception_fp_ieee_overflow 0
		.amdhsa_exception_fp_ieee_underflow 0
		.amdhsa_exception_fp_ieee_inexact 0
		.amdhsa_exception_int_div_zero 0
	.end_amdhsa_kernel
	.section	.text._ZN12_GLOBAL__N_121softmax_warp_backwardIN3c108BFloat16ES2_fLi10ELb1ELb0ELi32EEEvPT0_PKT_S7_iiiPKb,"axG",@progbits,_ZN12_GLOBAL__N_121softmax_warp_backwardIN3c108BFloat16ES2_fLi10ELb1ELb0ELi32EEEvPT0_PKT_S7_iiiPKb,comdat
.Lfunc_end321:
	.size	_ZN12_GLOBAL__N_121softmax_warp_backwardIN3c108BFloat16ES2_fLi10ELb1ELb0ELi32EEEvPT0_PKT_S7_iiiPKb, .Lfunc_end321-_ZN12_GLOBAL__N_121softmax_warp_backwardIN3c108BFloat16ES2_fLi10ELb1ELb0ELi32EEEvPT0_PKT_S7_iiiPKb
                                        ; -- End function
	.section	.AMDGPU.csdata,"",@progbits
; Kernel info:
; codeLenInByte = 9300
; NumSgprs: 78
; NumVgprs: 71
; NumAgprs: 0
; TotalNumVgprs: 71
; ScratchSize: 0
; MemoryBound: 0
; FloatMode: 240
; IeeeMode: 1
; LDSByteSize: 0 bytes/workgroup (compile time only)
; SGPRBlocks: 9
; VGPRBlocks: 8
; NumSGPRsForWavesPerEU: 78
; NumVGPRsForWavesPerEU: 71
; AccumOffset: 72
; Occupancy: 7
; WaveLimiterHint : 0
; COMPUTE_PGM_RSRC2:SCRATCH_EN: 0
; COMPUTE_PGM_RSRC2:USER_SGPR: 6
; COMPUTE_PGM_RSRC2:TRAP_HANDLER: 0
; COMPUTE_PGM_RSRC2:TGID_X_EN: 1
; COMPUTE_PGM_RSRC2:TGID_Y_EN: 0
; COMPUTE_PGM_RSRC2:TGID_Z_EN: 0
; COMPUTE_PGM_RSRC2:TIDIG_COMP_CNT: 1
; COMPUTE_PGM_RSRC3_GFX90A:ACCUM_OFFSET: 17
; COMPUTE_PGM_RSRC3_GFX90A:TG_SPLIT: 0
	.section	.text._ZN2at6native12_GLOBAL__N_124cunn_SoftMaxBackwardSmemILi8EN3c108BFloat16EfS4_NS1_26LogSoftMaxBackwardEpilogueEEEvPT0_PKT2_SA_l,"axG",@progbits,_ZN2at6native12_GLOBAL__N_124cunn_SoftMaxBackwardSmemILi8EN3c108BFloat16EfS4_NS1_26LogSoftMaxBackwardEpilogueEEEvPT0_PKT2_SA_l,comdat
	.globl	_ZN2at6native12_GLOBAL__N_124cunn_SoftMaxBackwardSmemILi8EN3c108BFloat16EfS4_NS1_26LogSoftMaxBackwardEpilogueEEEvPT0_PKT2_SA_l ; -- Begin function _ZN2at6native12_GLOBAL__N_124cunn_SoftMaxBackwardSmemILi8EN3c108BFloat16EfS4_NS1_26LogSoftMaxBackwardEpilogueEEEvPT0_PKT2_SA_l
	.p2align	8
	.type	_ZN2at6native12_GLOBAL__N_124cunn_SoftMaxBackwardSmemILi8EN3c108BFloat16EfS4_NS1_26LogSoftMaxBackwardEpilogueEEEvPT0_PKT2_SA_l,@function
_ZN2at6native12_GLOBAL__N_124cunn_SoftMaxBackwardSmemILi8EN3c108BFloat16EfS4_NS1_26LogSoftMaxBackwardEpilogueEEEvPT0_PKT2_SA_l: ; @_ZN2at6native12_GLOBAL__N_124cunn_SoftMaxBackwardSmemILi8EN3c108BFloat16EfS4_NS1_26LogSoftMaxBackwardEpilogueEEEvPT0_PKT2_SA_l
; %bb.0:
	s_load_dwordx8 s[8:15], s[4:5], 0x0
	v_lshlrev_b32_e32 v2, 3, v0
	v_mov_b32_e32 v3, 0
	v_lshl_add_u32 v14, v0, 4, 0
	s_waitcnt lgkmcnt(0)
	s_mul_i32 s0, s6, s15
	s_mul_hi_u32 s1, s6, s14
	s_mul_i32 s2, s6, s14
	s_add_i32 s3, s1, s0
	v_cmp_gt_i64_e32 vcc, s[14:15], v[2:3]
	s_and_saveexec_b64 s[6:7], vcc
	s_cbranch_execz .LBB322_4
; %bb.1:
	s_load_dword s17, s[4:5], 0x2c
	s_lshl_b64 s[0:1], s[2:3], 1
	s_add_u32 s16, s12, s0
	s_addc_u32 s0, s13, s1
	v_lshl_add_u32 v1, v0, 4, 0
	s_waitcnt lgkmcnt(0)
	s_and_b32 s17, s17, 0xffff
	v_add_lshl_u32 v4, v0, s17, 3
	s_lshl_b32 s18, s17, 3
	s_lshl_b32 s19, s17, 4
	s_mov_b64 s[12:13], 0
	v_mov_b32_e32 v3, 0
	v_mov_b32_e32 v2, s0
	;; [unrolled: 1-line block ×3, first 2 shown]
.LBB322_2:                              ; =>This Inner Loop Header: Depth=1
	v_ashrrev_i32_e32 v7, 31, v6
	v_lshlrev_b64 v[8:9], 4, v[6:7]
	v_add_co_u32_e64 v8, s[0:1], s16, v8
	v_addc_co_u32_e64 v9, s[0:1], v2, v9, s[0:1]
	global_load_dwordx4 v[8:11], v[8:9], off
	v_ashrrev_i32_e32 v5, 31, v4
	v_cmp_le_i64_e64 s[0:1], s[14:15], v[4:5]
	v_add_u32_e32 v6, s17, v6
	v_add_u32_e32 v4, s18, v4
	s_or_b64 s[12:13], s[0:1], s[12:13]
	s_waitcnt vmcnt(0)
	v_lshlrev_b32_e32 v5, 16, v8
	v_and_b32_e32 v7, 0xffff0000, v8
	v_add_f32_e32 v3, v3, v5
	ds_write_b128 v1, v[8:11]
	v_lshlrev_b32_e32 v8, 16, v9
	v_add_f32_e32 v3, v3, v7
	v_and_b32_e32 v9, 0xffff0000, v9
	v_add_f32_e32 v3, v3, v8
	v_lshlrev_b32_e32 v12, 16, v10
	v_add_f32_e32 v3, v3, v9
	v_and_b32_e32 v10, 0xffff0000, v10
	v_add_f32_e32 v3, v3, v12
	;; [unrolled: 4-line block ×3, first 2 shown]
	v_add_u32_e32 v1, s19, v1
	v_add_f32_e32 v3, v3, v11
	s_andn2_b64 exec, exec, s[12:13]
	s_cbranch_execnz .LBB322_2
; %bb.3:
	s_or_b64 exec, exec, s[12:13]
.LBB322_4:
	s_or_b64 exec, exec, s[6:7]
	v_mbcnt_lo_u32_b32 v1, -1, 0
	v_mbcnt_hi_u32_b32 v6, -1, v1
	v_and_b32_e32 v9, 63, v6
	v_cmp_gt_u32_e64 s[0:1], 32, v9
	v_cndmask_b32_e64 v1, 0, 1, s[0:1]
	v_lshlrev_b32_e32 v1, 5, v1
	v_add_lshl_u32 v1, v1, v6, 2
	ds_bpermute_b32 v2, v1, v3
	v_cmp_gt_u32_e64 s[0:1], 48, v9
	v_cndmask_b32_e64 v4, 0, 1, s[0:1]
	v_lshlrev_b32_e32 v4, 4, v4
	v_cmp_gt_u32_e64 s[0:1], 56, v9
	s_waitcnt lgkmcnt(0)
	v_add_f32_e32 v3, v3, v2
	v_add_lshl_u32 v2, v4, v6, 2
	ds_bpermute_b32 v4, v2, v3
	v_cndmask_b32_e64 v5, 0, 1, s[0:1]
	v_lshlrev_b32_e32 v5, 3, v5
	v_cmp_gt_u32_e64 s[0:1], 60, v9
	v_cndmask_b32_e64 v7, 0, 1, s[0:1]
	s_waitcnt lgkmcnt(0)
	v_add_f32_e32 v4, v3, v4
	v_add_lshl_u32 v3, v5, v6, 2
	ds_bpermute_b32 v5, v3, v4
	v_lshlrev_b32_e32 v7, 2, v7
	v_cmp_gt_u32_e64 s[0:1], 62, v9
	v_cndmask_b32_e64 v8, 0, 1, s[0:1]
	v_lshlrev_b32_e32 v8, 1, v8
	s_waitcnt lgkmcnt(0)
	v_add_f32_e32 v5, v4, v5
	v_add_lshl_u32 v4, v7, v6, 2
	ds_bpermute_b32 v7, v4, v5
	s_lshl_b32 s0, s14, 1
	s_add_i32 s12, s0, 0
	v_cmp_ne_u32_e64 s[0:1], 63, v9
	s_waitcnt lgkmcnt(0)
	v_add_f32_e32 v10, v5, v7
	v_add_lshl_u32 v5, v8, v6, 2
	ds_bpermute_b32 v8, v5, v10
	v_addc_co_u32_e64 v6, s[0:1], 0, v6, s[0:1]
	v_lshlrev_b32_e32 v6, 2, v6
	v_and_b32_e32 v7, 63, v0
	s_waitcnt lgkmcnt(0)
	v_add_f32_e32 v8, v10, v8
	ds_bpermute_b32 v9, v6, v8
	v_cmp_eq_u32_e64 s[0:1], 0, v7
	s_barrier
	s_waitcnt lgkmcnt(0)
	s_and_saveexec_b64 s[6:7], s[0:1]
	s_cbranch_execz .LBB322_6
; %bb.5:
	v_lshrrev_b32_e32 v10, 4, v0
	v_add_u32_e32 v10, s12, v10
	v_add_f32_e32 v8, v8, v9
	ds_write_b32 v10, v8
.LBB322_6:
	s_or_b64 exec, exec, s[6:7]
	s_waitcnt lgkmcnt(0)
	s_barrier
	s_load_dword s6, s[4:5], 0x2c
	v_mov_b32_e32 v8, 0
	s_waitcnt lgkmcnt(0)
	s_bfe_u32 s0, s6, 0xa0006
	v_cmp_gt_u32_e64 s[0:1], s0, v0
	s_and_saveexec_b64 s[4:5], s[0:1]
	s_cbranch_execnz .LBB322_14
; %bb.7:
	s_or_b64 exec, exec, s[4:5]
	v_cmp_gt_u32_e64 s[0:1], 64, v0
	s_and_saveexec_b64 s[4:5], s[0:1]
	s_cbranch_execnz .LBB322_15
.LBB322_8:
	s_or_b64 exec, exec, s[4:5]
	v_cmp_eq_u32_e64 s[0:1], 0, v0
	s_and_saveexec_b64 s[4:5], s[0:1]
	s_cbranch_execz .LBB322_10
.LBB322_9:
	v_mov_b32_e32 v1, s12
	s_waitcnt lgkmcnt(0)
	ds_write_b32 v1, v8
.LBB322_10:
	s_or_b64 exec, exec, s[4:5]
	s_waitcnt lgkmcnt(0)
	s_barrier
	s_and_saveexec_b64 s[0:1], vcc
	s_cbranch_execz .LBB322_13
; %bb.11:
	v_mov_b32_e32 v1, s12
	ds_read_b32 v6, v1
	s_and_b32 s18, s6, 0xffff
	s_lshl_b64 s[0:1], s[2:3], 1
	s_add_u32 s19, s8, s0
	s_addc_u32 s2, s9, s1
	s_add_u32 s20, s10, s0
	s_addc_u32 s0, s11, s1
	s_waitcnt lgkmcnt(0)
	v_xor_b32_e32 v10, 0x80000000, v6
	v_mov_b32_e32 v7, v6
	v_add_lshl_u32 v8, v0, s18, 3
	s_lshl_b32 s21, s18, 3
	s_lshl_b32 s22, s18, 4
	s_mov_b64 s[16:17], 0
	v_mov_b32_e32 v15, s0
	v_mov_b32_e32 v16, s2
	s_mov_b32 s23, 0x3fb8aa3b
	s_mov_b32 s24, 0xc2ce8ed0
	;; [unrolled: 1-line block ×3, first 2 shown]
	v_mov_b32_e32 v17, 0x7f800000
	v_mov_b32_e32 v11, v10
	s_movk_i32 s26, 0x7fff
	v_mov_b32_e32 v18, 0x7fc0
	s_mov_b32 s27, 0x5040100
.LBB322_12:                             ; =>This Inner Loop Header: Depth=1
	v_ashrrev_i32_e32 v1, 31, v0
	v_lshlrev_b64 v[12:13], 4, v[0:1]
	v_add_co_u32_e64 v20, s[0:1], s20, v12
	v_addc_co_u32_e64 v21, s[0:1], v15, v13, s[0:1]
	global_load_dwordx4 v[20:23], v[20:21], off
	ds_read_b128 v[2:5], v14
	v_ashrrev_i32_e32 v9, 31, v8
	v_cmp_le_i64_e32 vcc, s[14:15], v[8:9]
	v_add_co_u32_e64 v12, s[0:1], s19, v12
	s_waitcnt lgkmcnt(0)
	v_and_b32_e32 v25, 0xffff0000, v3
	v_and_b32_e32 v27, 0xffff0000, v2
	v_lshlrev_b32_e32 v24, 16, v3
	v_lshlrev_b32_e32 v26, 16, v2
	v_and_b32_e32 v3, 0xffff0000, v5
	v_and_b32_e32 v29, 0xffff0000, v4
	v_lshlrev_b32_e32 v2, 16, v5
	v_lshlrev_b32_e32 v28, 16, v4
	v_addc_co_u32_e64 v13, s[0:1], v16, v13, s[0:1]
	s_or_b64 s[16:17], vcc, s[16:17]
	v_add_u32_e32 v14, s22, v14
	v_add_u32_e32 v0, s18, v0
	;; [unrolled: 1-line block ×3, first 2 shown]
	s_waitcnt vmcnt(0)
	v_lshlrev_b32_e32 v1, 16, v20
	v_and_b32_e32 v4, 0xffff0000, v20
	v_lshlrev_b32_e32 v5, 16, v21
	v_and_b32_e32 v9, 0xffff0000, v21
	;; [unrolled: 2-line block ×4, first 2 shown]
	v_mul_f32_e32 v23, 0x3fb8aa3b, v9
	v_mul_f32_e32 v30, 0x3fb8aa3b, v5
	;; [unrolled: 1-line block ×8, first 2 shown]
	v_fma_f32 v37, v9, s23, -v23
	v_rndne_f32_e32 v38, v23
	v_fma_f32 v39, v5, s23, -v30
	v_rndne_f32_e32 v40, v30
	;; [unrolled: 2-line block ×8, first 2 shown]
	v_fmac_f32_e32 v37, 0x32a5705f, v9
	v_sub_f32_e32 v23, v23, v38
	v_fmac_f32_e32 v39, 0x32a5705f, v5
	v_sub_f32_e32 v30, v30, v40
	;; [unrolled: 2-line block ×8, first 2 shown]
	v_add_f32_e32 v23, v23, v37
	v_add_f32_e32 v30, v30, v39
	;; [unrolled: 1-line block ×8, first 2 shown]
	v_cvt_i32_f32_e32 v38, v38
	v_cvt_i32_f32_e32 v40, v40
	;; [unrolled: 1-line block ×8, first 2 shown]
	v_exp_f32_e32 v23, v23
	v_exp_f32_e32 v30, v30
	;; [unrolled: 1-line block ×8, first 2 shown]
	v_ldexp_f32 v23, v23, v38
	v_ldexp_f32 v30, v30, v40
	v_cmp_ngt_f32_e32 vcc, s24, v5
	v_ldexp_f32 v31, v31, v42
	v_cmp_ngt_f32_e64 s[0:1], s24, v4
	v_ldexp_f32 v32, v32, v44
	v_cmp_ngt_f32_e64 s[2:3], s24, v1
	;; [unrolled: 2-line block ×6, first 2 shown]
	v_cmp_ngt_f32_e64 s[12:13], s24, v9
	v_cndmask_b32_e64 v23, 0, v23, s[12:13]
	v_cndmask_b32_e32 v30, 0, v30, vcc
	v_cmp_nlt_f32_e32 vcc, s25, v5
	v_cndmask_b32_e64 v31, 0, v31, s[0:1]
	v_cmp_nlt_f32_e64 s[0:1], s25, v4
	v_cndmask_b32_e64 v32, 0, v32, s[2:3]
	v_cmp_nlt_f32_e64 s[2:3], s25, v1
	;; [unrolled: 2-line block ×6, first 2 shown]
	v_cmp_nlt_f32_e64 s[12:13], s25, v9
	v_cndmask_b32_e64 v5, v17, v23, s[12:13]
	v_cndmask_b32_e32 v4, v17, v30, vcc
	v_cndmask_b32_e64 v21, v17, v31, s[0:1]
	v_cndmask_b32_e64 v20, v17, v32, s[2:3]
	;; [unrolled: 1-line block ×6, first 2 shown]
	v_pk_fma_f32 v[20:21], v[6:7], v[20:21], v[26:27] neg_lo:[1,0,0] neg_hi:[1,0,0]
	v_pk_fma_f32 v[4:5], v[10:11], v[4:5], v[24:25]
	v_pk_fma_f32 v[24:25], v[6:7], v[30:31], v[28:29] neg_lo:[1,0,0] neg_hi:[1,0,0]
	v_pk_fma_f32 v[2:3], v[10:11], v[22:23], v[2:3]
	v_bfe_u32 v1, v20, 16, 1
	v_bfe_u32 v9, v21, 16, 1
	;; [unrolled: 1-line block ×8, first 2 shown]
	v_add3_u32 v22, v5, v22, s26
	v_add3_u32 v19, v4, v19, s26
	;; [unrolled: 1-line block ×8, first 2 shown]
	v_lshrrev_b32_e32 v1, 16, v1
	v_lshrrev_b32_e32 v9, 16, v9
	;; [unrolled: 1-line block ×4, first 2 shown]
	v_cmp_o_f32_e32 vcc, v21, v21
	v_cmp_o_f32_e64 s[0:1], v4, v4
	v_cmp_o_f32_e64 s[2:3], v5, v5
	v_lshrrev_b32_e32 v4, 16, v23
	v_lshrrev_b32_e32 v5, 16, v26
	;; [unrolled: 1-line block ×4, first 2 shown]
	v_cmp_o_f32_e64 s[4:5], v24, v24
	v_cmp_o_f32_e64 s[6:7], v25, v25
	;; [unrolled: 1-line block ×5, first 2 shown]
	v_cndmask_b32_e64 v1, v18, v1, s[12:13]
	v_cndmask_b32_e32 v2, v18, v9, vcc
	v_cndmask_b32_e64 v3, v18, v19, s[0:1]
	v_cndmask_b32_e64 v9, v18, v22, s[2:3]
	;; [unrolled: 1-line block ×6, first 2 shown]
	v_perm_b32 v5, v20, v5, s27
	v_perm_b32 v4, v19, v4, s27
	;; [unrolled: 1-line block ×4, first 2 shown]
	global_store_dwordx4 v[12:13], v[2:5], off
	s_andn2_b64 exec, exec, s[16:17]
	s_cbranch_execnz .LBB322_12
.LBB322_13:
	s_endpgm
.LBB322_14:
	v_lshl_add_u32 v7, v7, 2, s12
	ds_read_b32 v8, v7
	s_or_b64 exec, exec, s[4:5]
	v_cmp_gt_u32_e64 s[0:1], 64, v0
	s_and_saveexec_b64 s[4:5], s[0:1]
	s_cbranch_execz .LBB322_8
.LBB322_15:
	s_waitcnt lgkmcnt(0)
	ds_bpermute_b32 v1, v1, v8
	s_waitcnt lgkmcnt(0)
	v_add_f32_e32 v1, v8, v1
	ds_bpermute_b32 v2, v2, v1
	s_waitcnt lgkmcnt(0)
	v_add_f32_e32 v1, v1, v2
	;; [unrolled: 3-line block ×6, first 2 shown]
	s_or_b64 exec, exec, s[4:5]
	v_cmp_eq_u32_e64 s[0:1], 0, v0
	s_and_saveexec_b64 s[4:5], s[0:1]
	s_cbranch_execnz .LBB322_9
	s_branch .LBB322_10
	.section	.rodata,"a",@progbits
	.p2align	6, 0x0
	.amdhsa_kernel _ZN2at6native12_GLOBAL__N_124cunn_SoftMaxBackwardSmemILi8EN3c108BFloat16EfS4_NS1_26LogSoftMaxBackwardEpilogueEEEvPT0_PKT2_SA_l
		.amdhsa_group_segment_fixed_size 0
		.amdhsa_private_segment_fixed_size 0
		.amdhsa_kernarg_size 288
		.amdhsa_user_sgpr_count 6
		.amdhsa_user_sgpr_private_segment_buffer 1
		.amdhsa_user_sgpr_dispatch_ptr 0
		.amdhsa_user_sgpr_queue_ptr 0
		.amdhsa_user_sgpr_kernarg_segment_ptr 1
		.amdhsa_user_sgpr_dispatch_id 0
		.amdhsa_user_sgpr_flat_scratch_init 0
		.amdhsa_user_sgpr_kernarg_preload_length 0
		.amdhsa_user_sgpr_kernarg_preload_offset 0
		.amdhsa_user_sgpr_private_segment_size 0
		.amdhsa_uses_dynamic_stack 0
		.amdhsa_system_sgpr_private_segment_wavefront_offset 0
		.amdhsa_system_sgpr_workgroup_id_x 1
		.amdhsa_system_sgpr_workgroup_id_y 0
		.amdhsa_system_sgpr_workgroup_id_z 0
		.amdhsa_system_sgpr_workgroup_info 0
		.amdhsa_system_vgpr_workitem_id 0
		.amdhsa_next_free_vgpr 53
		.amdhsa_next_free_sgpr 28
		.amdhsa_accum_offset 56
		.amdhsa_reserve_vcc 1
		.amdhsa_reserve_flat_scratch 0
		.amdhsa_float_round_mode_32 0
		.amdhsa_float_round_mode_16_64 0
		.amdhsa_float_denorm_mode_32 3
		.amdhsa_float_denorm_mode_16_64 3
		.amdhsa_dx10_clamp 1
		.amdhsa_ieee_mode 1
		.amdhsa_fp16_overflow 0
		.amdhsa_tg_split 0
		.amdhsa_exception_fp_ieee_invalid_op 0
		.amdhsa_exception_fp_denorm_src 0
		.amdhsa_exception_fp_ieee_div_zero 0
		.amdhsa_exception_fp_ieee_overflow 0
		.amdhsa_exception_fp_ieee_underflow 0
		.amdhsa_exception_fp_ieee_inexact 0
		.amdhsa_exception_int_div_zero 0
	.end_amdhsa_kernel
	.section	.text._ZN2at6native12_GLOBAL__N_124cunn_SoftMaxBackwardSmemILi8EN3c108BFloat16EfS4_NS1_26LogSoftMaxBackwardEpilogueEEEvPT0_PKT2_SA_l,"axG",@progbits,_ZN2at6native12_GLOBAL__N_124cunn_SoftMaxBackwardSmemILi8EN3c108BFloat16EfS4_NS1_26LogSoftMaxBackwardEpilogueEEEvPT0_PKT2_SA_l,comdat
.Lfunc_end322:
	.size	_ZN2at6native12_GLOBAL__N_124cunn_SoftMaxBackwardSmemILi8EN3c108BFloat16EfS4_NS1_26LogSoftMaxBackwardEpilogueEEEvPT0_PKT2_SA_l, .Lfunc_end322-_ZN2at6native12_GLOBAL__N_124cunn_SoftMaxBackwardSmemILi8EN3c108BFloat16EfS4_NS1_26LogSoftMaxBackwardEpilogueEEEvPT0_PKT2_SA_l
                                        ; -- End function
	.section	.AMDGPU.csdata,"",@progbits
; Kernel info:
; codeLenInByte = 2260
; NumSgprs: 32
; NumVgprs: 53
; NumAgprs: 0
; TotalNumVgprs: 53
; ScratchSize: 0
; MemoryBound: 0
; FloatMode: 240
; IeeeMode: 1
; LDSByteSize: 0 bytes/workgroup (compile time only)
; SGPRBlocks: 3
; VGPRBlocks: 6
; NumSGPRsForWavesPerEU: 32
; NumVGPRsForWavesPerEU: 53
; AccumOffset: 56
; Occupancy: 8
; WaveLimiterHint : 0
; COMPUTE_PGM_RSRC2:SCRATCH_EN: 0
; COMPUTE_PGM_RSRC2:USER_SGPR: 6
; COMPUTE_PGM_RSRC2:TRAP_HANDLER: 0
; COMPUTE_PGM_RSRC2:TGID_X_EN: 1
; COMPUTE_PGM_RSRC2:TGID_Y_EN: 0
; COMPUTE_PGM_RSRC2:TGID_Z_EN: 0
; COMPUTE_PGM_RSRC2:TIDIG_COMP_CNT: 0
; COMPUTE_PGM_RSRC3_GFX90A:ACCUM_OFFSET: 13
; COMPUTE_PGM_RSRC3_GFX90A:TG_SPLIT: 0
	.section	.text._ZN2at6native12_GLOBAL__N_120cunn_SoftMaxBackwardILi8EN3c108BFloat16EfS4_NS1_26LogSoftMaxBackwardEpilogueEEEvPT0_PKT2_SA_l,"axG",@progbits,_ZN2at6native12_GLOBAL__N_120cunn_SoftMaxBackwardILi8EN3c108BFloat16EfS4_NS1_26LogSoftMaxBackwardEpilogueEEEvPT0_PKT2_SA_l,comdat
	.globl	_ZN2at6native12_GLOBAL__N_120cunn_SoftMaxBackwardILi8EN3c108BFloat16EfS4_NS1_26LogSoftMaxBackwardEpilogueEEEvPT0_PKT2_SA_l ; -- Begin function _ZN2at6native12_GLOBAL__N_120cunn_SoftMaxBackwardILi8EN3c108BFloat16EfS4_NS1_26LogSoftMaxBackwardEpilogueEEEvPT0_PKT2_SA_l
	.p2align	8
	.type	_ZN2at6native12_GLOBAL__N_120cunn_SoftMaxBackwardILi8EN3c108BFloat16EfS4_NS1_26LogSoftMaxBackwardEpilogueEEEvPT0_PKT2_SA_l,@function
_ZN2at6native12_GLOBAL__N_120cunn_SoftMaxBackwardILi8EN3c108BFloat16EfS4_NS1_26LogSoftMaxBackwardEpilogueEEEvPT0_PKT2_SA_l: ; @_ZN2at6native12_GLOBAL__N_120cunn_SoftMaxBackwardILi8EN3c108BFloat16EfS4_NS1_26LogSoftMaxBackwardEpilogueEEEvPT0_PKT2_SA_l
; %bb.0:
	s_load_dwordx8 s[12:19], s[4:5], 0x0
	v_mov_b32_e32 v2, 0x7ffffffe
	v_mov_b32_e32 v3, 0
	s_mov_b32 s11, 0
	s_waitcnt lgkmcnt(0)
	s_mul_i32 s1, s6, s19
	s_mul_hi_u32 s2, s6, s18
	s_mul_i32 s0, s6, s18
	s_add_i32 s1, s2, s1
	s_lshl_b64 s[8:9], s[0:1], 1
	s_add_u32 s20, s16, s8
	s_addc_u32 s21, s17, s9
	s_bfe_u32 s10, s20, 0x30001
	v_cmp_gt_i64_e64 s[0:1], s[18:19], v[2:3]
	s_cmp_lg_u32 s10, 0
	s_cselect_b64 s[2:3], -1, 0
	s_and_b64 vcc, exec, s[0:1]
	s_cbranch_vccz .LBB323_16
; %bb.1:
	v_mov_b32_e32 v1, 0
	s_and_b64 vcc, exec, s[2:3]
	s_cbranch_vccz .LBB323_39
; %bb.2:
	s_lshl_b32 s7, s10, 1
	s_sub_u32 s24, s20, s7
	s_subb_u32 s25, s21, 0
	v_cmp_le_u64_e32 vcc, s[10:11], v[0:1]
	v_mov_b32_e32 v8, v1
	s_and_saveexec_b64 s[22:23], vcc
	s_cbranch_execz .LBB323_4
; %bb.3:
	v_lshlrev_b32_e32 v2, 1, v0
	global_load_ushort v2, v2, s[24:25]
	s_waitcnt vmcnt(0)
	v_lshlrev_b32_e32 v2, 16, v2
	v_add_f32_e32 v8, 0, v2
.LBB323_4:
	s_or_b64 exec, exec, s[22:23]
	s_load_dword s7, s[4:5], 0x2c
	s_add_u32 s22, s10, s18
	s_addc_u32 s23, 0, s19
	s_add_u32 s26, s4, 32
	s_addc_u32 s27, s5, 0
	s_waitcnt lgkmcnt(0)
	s_and_b32 s7, s7, 0xffff
	s_sub_u32 s22, s22, s7
	s_subb_u32 s23, s23, 0
	s_lshl_b32 s7, s7, 1
	s_add_u32 s24, s24, s7
	s_addc_u32 s25, s25, 0
	s_branch .LBB323_6
.LBB323_5:
	s_add_u32 s26, s4, 32
	s_addc_u32 s27, s5, 0
	v_mov_b32_e32 v8, 0
	s_mov_b64 s[22:23], s[18:19]
	s_mov_b64 s[24:25], s[20:21]
.LBB323_6:
	s_load_dword s7, s[26:27], 0x0
	v_mov_b32_e32 v2, 0
	s_waitcnt lgkmcnt(0)
	s_cmp_lt_u32 s6, s7
	s_cselect_b32 s7, 12, 18
	s_add_u32 s26, s26, s7
	s_addc_u32 s27, s27, 0
	global_load_ushort v2, v2, s[26:27]
	s_mov_b32 s26, 0
	s_mov_b32 s27, s23
	s_waitcnt vmcnt(0)
	v_readfirstlane_b32 s7, v2
	s_and_b32 s7, 0xffff, s7
	s_lshl_b32 s7, s7, 3
	s_cmp_lg_u64 s[26:27], 0
	v_and_b32_e32 v9, 0xffff, v2
	s_cbranch_scc0 .LBB323_40
; %bb.7:
	v_cvt_f32_u32_e32 v2, s7
	v_mov_b32_e32 v3, 0x4f800000
	s_sub_u32 s28, 0, s7
	s_subb_u32 s29, 0, 0
	v_mac_f32_e32 v2, 0, v3
	v_rcp_f32_e32 v2, v2
	v_mul_f32_e32 v2, 0x5f7ffffc, v2
	v_mul_f32_e32 v3, 0x2f800000, v2
	v_trunc_f32_e32 v3, v3
	v_madmk_f32 v2, v3, 0xcf800000, v2
	v_cvt_u32_f32_e32 v3, v3
	v_cvt_u32_f32_e32 v2, v2
	v_readfirstlane_b32 s30, v3
	v_readfirstlane_b32 s31, v2
	s_mul_i32 s33, s28, s30
	s_mul_hi_u32 s35, s28, s31
	s_mul_i32 s34, s29, s31
	s_add_i32 s33, s35, s33
	s_add_i32 s33, s33, s34
	s_mul_i32 s36, s28, s31
	s_mul_hi_u32 s34, s31, s33
	s_mul_i32 s35, s31, s33
	s_mul_hi_u32 s31, s31, s36
	s_add_u32 s31, s31, s35
	s_addc_u32 s34, 0, s34
	s_mul_hi_u32 s37, s30, s36
	s_mul_i32 s36, s30, s36
	s_add_u32 s31, s31, s36
	s_mul_hi_u32 s35, s30, s33
	s_addc_u32 s31, s34, s37
	s_addc_u32 s34, s35, 0
	s_mul_i32 s33, s30, s33
	s_add_u32 s31, s31, s33
	s_addc_u32 s33, 0, s34
	v_add_co_u32_e32 v2, vcc, s31, v2
	s_cmp_lg_u64 vcc, 0
	s_addc_u32 s30, s30, s33
	v_readfirstlane_b32 s33, v2
	s_mul_i32 s31, s28, s30
	s_mul_hi_u32 s34, s28, s33
	s_add_i32 s31, s34, s31
	s_mul_i32 s29, s29, s33
	s_add_i32 s31, s31, s29
	s_mul_i32 s28, s28, s33
	s_mul_hi_u32 s34, s30, s28
	s_mul_i32 s35, s30, s28
	s_mul_i32 s37, s33, s31
	s_mul_hi_u32 s28, s33, s28
	s_mul_hi_u32 s36, s33, s31
	s_add_u32 s28, s28, s37
	s_addc_u32 s33, 0, s36
	s_add_u32 s28, s28, s35
	s_mul_hi_u32 s29, s30, s31
	s_addc_u32 s28, s33, s34
	s_addc_u32 s29, s29, 0
	s_mul_i32 s31, s30, s31
	s_add_u32 s28, s28, s31
	s_addc_u32 s29, 0, s29
	v_add_co_u32_e32 v2, vcc, s28, v2
	s_cmp_lg_u64 vcc, 0
	s_addc_u32 s28, s30, s29
	v_readfirstlane_b32 s31, v2
	s_mul_i32 s30, s22, s28
	s_mul_hi_u32 s33, s22, s31
	s_mul_hi_u32 s29, s22, s28
	s_add_u32 s30, s33, s30
	s_addc_u32 s29, 0, s29
	s_mul_hi_u32 s34, s23, s31
	s_mul_i32 s31, s23, s31
	s_add_u32 s30, s30, s31
	s_mul_hi_u32 s33, s23, s28
	s_addc_u32 s29, s29, s34
	s_addc_u32 s30, s33, 0
	s_mul_i32 s28, s23, s28
	s_add_u32 s28, s29, s28
	s_addc_u32 s29, 0, s30
	s_mul_hi_u32 s30, s7, s28
	s_mul_i32 s28, s7, s28
	s_mul_i32 s29, s7, s29
	v_mov_b32_e32 v2, s28
	s_add_i32 s30, s30, s29
	v_sub_co_u32_e32 v2, vcc, s22, v2
	s_cmp_lg_u64 vcc, 0
	s_subb_u32 s28, s23, s30
	v_subrev_co_u32_e32 v3, vcc, s7, v2
	s_cmp_lg_u64 vcc, 0
	s_subb_u32 s29, s28, 0
	v_subrev_co_u32_e32 v4, vcc, s7, v3
	s_cmp_lg_u64 vcc, 0
	s_subb_u32 s30, s29, 0
	v_cmp_le_u32_e32 vcc, s7, v3
	s_cmp_eq_u32 s29, 0
	v_cndmask_b32_e64 v5, 0, -1, vcc
	s_cselect_b64 vcc, -1, 0
	v_cndmask_b32_e32 v5, -1, v5, vcc
	v_mov_b32_e32 v6, s29
	v_mov_b32_e32 v7, s30
	v_cmp_ne_u32_e32 vcc, 0, v5
	v_cndmask_b32_e32 v5, v6, v7, vcc
	v_cndmask_b32_e32 v4, v3, v4, vcc
	v_cmp_le_u32_e32 vcc, s7, v2
	s_cmp_eq_u32 s28, 0
	v_cndmask_b32_e64 v3, 0, -1, vcc
	s_cselect_b64 vcc, -1, 0
	v_cndmask_b32_e32 v3, -1, v3, vcc
	v_mov_b32_e32 v6, s28
	v_cmp_ne_u32_e32 vcc, 0, v3
	v_cndmask_b32_e32 v3, v6, v5, vcc
	v_cndmask_b32_e32 v2, v2, v4, vcc
	s_cbranch_execnz .LBB323_9
.LBB323_8:
	v_cvt_f32_u32_e32 v2, s7
	s_sub_i32 s26, 0, s7
	v_rcp_iflag_f32_e32 v2, v2
	v_mul_f32_e32 v2, 0x4f7ffffe, v2
	v_cvt_u32_f32_e32 v2, v2
	v_mul_lo_u32 v3, s26, v2
	v_mul_hi_u32 v3, v2, v3
	v_add_u32_e32 v2, v2, v3
	v_mul_hi_u32 v2, s22, v2
	v_mul_lo_u32 v2, v2, s7
	v_sub_u32_e32 v2, s22, v2
	v_subrev_u32_e32 v3, s7, v2
	v_cmp_le_u32_e32 vcc, s7, v2
	v_cndmask_b32_e32 v2, v2, v3, vcc
	v_subrev_u32_e32 v3, s7, v2
	v_cmp_le_u32_e32 vcc, s7, v2
	v_cndmask_b32_e32 v2, v2, v3, vcc
	v_mov_b32_e32 v3, 0
.LBB323_9:
	v_mov_b32_e32 v4, s23
	v_sub_co_u32_e32 v2, vcc, s22, v2
	v_subb_co_u32_e32 v3, vcc, v4, v3, vcc
	v_lshlrev_b32_e32 v4, 4, v0
	v_mov_b32_e32 v5, s25
	v_add_co_u32_e32 v4, vcc, s24, v4
	v_addc_co_u32_e32 v5, vcc, 0, v5, vcc
	v_lshlrev_b32_e32 v10, 4, v9
	s_mov_b64 s[26:27], 0
	v_pk_mov_b32 v[6:7], v[0:1], v[0:1] op_sel:[0,1]
.LBB323_10:                             ; =>This Inner Loop Header: Depth=1
	global_load_dwordx4 v[12:15], v[4:5], off
	v_add_co_u32_e32 v6, vcc, v6, v9
	v_addc_co_u32_e32 v7, vcc, 0, v7, vcc
	v_add_co_u32_e32 v4, vcc, v4, v10
	v_addc_co_u32_e32 v5, vcc, 0, v5, vcc
	v_lshlrev_b64 v[16:17], 3, v[6:7]
	v_cmp_ge_i64_e32 vcc, v[16:17], v[2:3]
	s_or_b64 s[26:27], vcc, s[26:27]
	s_waitcnt vmcnt(0)
	v_lshlrev_b32_e32 v1, 16, v12
	v_and_b32_e32 v11, 0xffff0000, v12
	v_add_f32_e32 v1, v8, v1
	v_lshlrev_b32_e32 v12, 16, v13
	v_add_f32_e32 v1, v1, v11
	v_and_b32_e32 v13, 0xffff0000, v13
	v_add_f32_e32 v1, v1, v12
	v_lshlrev_b32_e32 v16, 16, v14
	v_add_f32_e32 v1, v1, v13
	v_and_b32_e32 v14, 0xffff0000, v14
	v_add_f32_e32 v1, v1, v16
	v_lshlrev_b32_e32 v17, 16, v15
	v_add_f32_e32 v1, v1, v14
	v_and_b32_e32 v15, 0xffff0000, v15
	v_add_f32_e32 v1, v1, v17
	v_add_f32_e32 v8, v1, v15
	s_andn2_b64 exec, exec, s[26:27]
	s_cbranch_execnz .LBB323_10
; %bb.11:
	s_or_b64 exec, exec, s[26:27]
	v_add_co_u32_e32 v2, vcc, v2, v0
	v_addc_co_u32_e32 v3, vcc, 0, v3, vcc
	v_cmp_gt_i64_e32 vcc, s[22:23], v[2:3]
	s_and_saveexec_b64 s[26:27], vcc
	s_cbranch_execz .LBB323_15
; %bb.12:
	s_mov_b64 s[28:29], 0
	v_mov_b32_e32 v1, s25
.LBB323_13:                             ; =>This Inner Loop Header: Depth=1
	v_lshlrev_b64 v[4:5], 1, v[2:3]
	v_add_co_u32_e32 v4, vcc, s24, v4
	v_addc_co_u32_e32 v5, vcc, v1, v5, vcc
	global_load_ushort v4, v[4:5], off
	v_add_co_u32_e32 v2, vcc, v2, v9
	v_addc_co_u32_e32 v3, vcc, 0, v3, vcc
	v_cmp_le_i64_e32 vcc, s[22:23], v[2:3]
	s_or_b64 s[28:29], vcc, s[28:29]
	s_waitcnt vmcnt(0)
	v_lshlrev_b32_e32 v4, 16, v4
	v_add_f32_e32 v8, v8, v4
	s_andn2_b64 exec, exec, s[28:29]
	s_cbranch_execnz .LBB323_13
; %bb.14:
	s_or_b64 exec, exec, s[28:29]
.LBB323_15:
	s_or_b64 exec, exec, s[26:27]
	s_branch .LBB323_31
.LBB323_16:
                                        ; implicit-def: $vgpr8
	s_cbranch_execz .LBB323_31
; %bb.17:
	s_and_b64 vcc, exec, s[2:3]
	s_cbranch_vccz .LBB323_41
; %bb.18:
	s_lshl_b64 s[2:3], s[10:11], 1
	s_sub_u32 s24, s20, s2
	s_subb_u32 s25, s21, s3
	s_add_i32 s7, s10, s18
	v_cmp_le_u32_e32 vcc, s10, v0
	v_cmp_gt_i32_e64 s[2:3], s7, v0
	s_and_b64 s[22:23], vcc, s[2:3]
	v_mov_b32_e32 v8, 0
	s_and_saveexec_b64 s[2:3], s[22:23]
	s_cbranch_execz .LBB323_20
; %bb.19:
	v_lshlrev_b32_e32 v1, 1, v0
	global_load_ushort v1, v1, s[24:25]
	s_waitcnt vmcnt(0)
	v_lshlrev_b32_e32 v1, 16, v1
	v_add_f32_e32 v8, 0, v1
.LBB323_20:
	s_or_b64 exec, exec, s[2:3]
	s_load_dword s2, s[4:5], 0x2c
	s_add_u32 s22, s4, 32
	s_addc_u32 s23, s5, 0
	s_waitcnt lgkmcnt(0)
	s_and_b32 s2, s2, 0xffff
	v_mov_b32_e32 v1, s2
	s_lshl_b32 s2, s2, 1
	v_sub_u32_e64 v1, s7, v1 clamp
	s_add_u32 s2, s24, s2
	v_readfirstlane_b32 s7, v1
	s_addc_u32 s3, s25, 0
	s_branch .LBB323_22
.LBB323_21:
	s_add_u32 s22, s4, 32
	s_addc_u32 s23, s5, 0
	v_mov_b32_e32 v8, 0
	s_mov_b32 s7, s18
	s_mov_b64 s[2:3], s[20:21]
.LBB323_22:
	s_load_dword s24, s[22:23], 0x0
	v_mov_b32_e32 v1, 0
	s_waitcnt lgkmcnt(0)
	s_cmp_lt_u32 s6, s24
	s_cselect_b32 s24, 12, 18
	s_add_u32 s22, s22, s24
	s_addc_u32 s23, s23, 0
	global_load_ushort v1, v1, s[22:23]
	s_waitcnt vmcnt(0)
	v_readfirstlane_b32 s22, v1
	s_lshl_b32 s22, s22, 3
	v_cvt_f32_u32_e32 v2, s22
	s_sub_i32 s23, 0, s22
	v_rcp_iflag_f32_e32 v2, v2
	v_mul_f32_e32 v2, 0x4f7ffffe, v2
	v_cvt_u32_f32_e32 v2, v2
	v_readfirstlane_b32 s24, v2
	s_mul_i32 s23, s23, s24
	s_mul_hi_u32 s23, s24, s23
	s_add_i32 s24, s24, s23
	s_mul_hi_u32 s23, s7, s24
	s_mul_i32 s23, s23, s22
	s_sub_i32 s23, s7, s23
	s_sub_i32 s24, s23, s22
	s_cmp_ge_u32 s23, s22
	s_cselect_b32 s23, s24, s23
	s_sub_i32 s24, s23, s22
	s_cmp_ge_u32 s23, s22
	s_cselect_b32 s22, s24, s23
	s_sub_i32 s26, s7, s22
	v_lshlrev_b32_e32 v2, 3, v0
	v_cmp_gt_i32_e32 vcc, s26, v2
	s_and_saveexec_b64 s[22:23], vcc
	s_cbranch_execz .LBB323_26
; %bb.23:
	s_mov_b64 s[24:25], 0
	v_mov_b32_e32 v4, s3
	v_mov_b32_e32 v2, v0
.LBB323_24:                             ; =>This Inner Loop Header: Depth=1
	v_ashrrev_i32_e32 v3, 31, v2
	v_lshlrev_b64 v[6:7], 4, v[2:3]
	v_add_co_u32_e32 v6, vcc, s2, v6
	v_addc_co_u32_e32 v7, vcc, v4, v7, vcc
	global_load_dwordx4 v[10:13], v[6:7], off
	v_add_u32_e32 v2, v2, v1
	v_lshlrev_b32_e32 v3, 3, v2
	v_cmp_le_i32_e32 vcc, s26, v3
	s_or_b64 s[24:25], vcc, s[24:25]
	s_waitcnt vmcnt(0)
	v_lshlrev_b32_e32 v3, 16, v10
	v_and_b32_e32 v5, 0xffff0000, v10
	v_add_f32_e32 v3, v8, v3
	v_lshlrev_b32_e32 v6, 16, v11
	v_add_f32_e32 v3, v3, v5
	v_and_b32_e32 v7, 0xffff0000, v11
	v_add_f32_e32 v3, v3, v6
	v_lshlrev_b32_e32 v9, 16, v12
	v_add_f32_e32 v3, v3, v7
	v_and_b32_e32 v10, 0xffff0000, v12
	v_add_f32_e32 v3, v3, v9
	v_lshlrev_b32_e32 v11, 16, v13
	v_add_f32_e32 v3, v3, v10
	v_and_b32_e32 v12, 0xffff0000, v13
	v_add_f32_e32 v3, v3, v11
	v_add_f32_e32 v8, v3, v12
	s_andn2_b64 exec, exec, s[24:25]
	s_cbranch_execnz .LBB323_24
; %bb.25:
	s_or_b64 exec, exec, s[24:25]
.LBB323_26:
	s_or_b64 exec, exec, s[22:23]
	v_add_u32_e32 v2, s26, v0
	v_cmp_gt_i32_e32 vcc, s7, v2
	s_and_saveexec_b64 s[22:23], vcc
	s_cbranch_execz .LBB323_30
; %bb.27:
	s_mov_b64 s[24:25], 0
	v_mov_b32_e32 v4, s3
.LBB323_28:                             ; =>This Inner Loop Header: Depth=1
	v_ashrrev_i32_e32 v3, 31, v2
	v_lshlrev_b64 v[6:7], 1, v[2:3]
	v_add_co_u32_e32 v6, vcc, s2, v6
	v_addc_co_u32_e32 v7, vcc, v4, v7, vcc
	global_load_ushort v3, v[6:7], off
	v_add_u32_e32 v2, v2, v1
	v_cmp_le_i32_e32 vcc, s7, v2
	s_or_b64 s[24:25], vcc, s[24:25]
	s_waitcnt vmcnt(0)
	v_lshlrev_b32_e32 v3, 16, v3
	v_add_f32_e32 v8, v8, v3
	s_andn2_b64 exec, exec, s[24:25]
	s_cbranch_execnz .LBB323_28
; %bb.29:
	s_or_b64 exec, exec, s[24:25]
.LBB323_30:
	s_or_b64 exec, exec, s[22:23]
.LBB323_31:
	v_lshl_add_u32 v1, v0, 2, 0
	s_barrier
	ds_write_b32 v1, v8
	s_waitcnt lgkmcnt(0)
	s_barrier
	s_load_dword s7, s[4:5], 0x2c
	s_add_u32 s28, s4, 32
	s_addc_u32 s29, s5, 0
	s_waitcnt lgkmcnt(0)
	s_bfe_u32 s4, s7, 0xa0006
	s_min_u32 s2, s4, 64
	v_cmp_gt_u32_e32 vcc, s2, v0
	s_and_saveexec_b64 s[2:3], vcc
	s_cbranch_execz .LBB323_33
; %bb.32:
	s_movk_i32 s5, 0xfc
	v_mad_u32_u24 v10, v0, s5, v1
	ds_read2_b32 v[2:3], v10 offset1:1
	ds_read2_b32 v[4:5], v10 offset0:2 offset1:3
	ds_read2_b32 v[6:7], v10 offset0:4 offset1:5
	ds_read2_b32 v[8:9], v10 offset0:6 offset1:7
	s_waitcnt lgkmcnt(3)
	v_add_f32_e32 v2, 0, v2
	v_add_f32_e32 v2, v2, v3
	s_waitcnt lgkmcnt(2)
	v_add_f32_e32 v2, v2, v4
	v_add_f32_e32 v2, v2, v5
	s_waitcnt lgkmcnt(1)
	v_add_f32_e32 v2, v2, v6
	v_add_f32_e32 v2, v2, v7
	s_waitcnt lgkmcnt(0)
	v_add_f32_e32 v4, v2, v8
	ds_read2_b32 v[2:3], v10 offset0:8 offset1:9
	v_add_f32_e32 v11, v4, v9
	ds_read2_b32 v[4:5], v10 offset0:10 offset1:11
	ds_read2_b32 v[6:7], v10 offset0:12 offset1:13
	ds_read2_b32 v[8:9], v10 offset0:14 offset1:15
	s_waitcnt lgkmcnt(3)
	v_add_f32_e32 v2, v11, v2
	v_add_f32_e32 v2, v2, v3
	s_waitcnt lgkmcnt(2)
	v_add_f32_e32 v2, v2, v4
	v_add_f32_e32 v2, v2, v5
	s_waitcnt lgkmcnt(1)
	v_add_f32_e32 v2, v2, v6
	v_add_f32_e32 v2, v2, v7
	s_waitcnt lgkmcnt(0)
	v_add_f32_e32 v4, v2, v8
	ds_read2_b32 v[2:3], v10 offset0:16 offset1:17
	v_add_f32_e32 v11, v4, v9
	;; [unrolled: 16-line block ×7, first 2 shown]
	ds_read2_b32 v[4:5], v10 offset0:58 offset1:59
	ds_read2_b32 v[6:7], v10 offset0:60 offset1:61
	;; [unrolled: 1-line block ×3, first 2 shown]
	s_waitcnt lgkmcnt(3)
	v_add_f32_e32 v2, v11, v2
	v_add_f32_e32 v2, v2, v3
	s_waitcnt lgkmcnt(2)
	v_add_f32_e32 v2, v2, v4
	v_add_f32_e32 v2, v2, v5
	;; [unrolled: 3-line block ×4, first 2 shown]
	ds_write_b32 v1, v2
.LBB323_33:
	s_or_b64 exec, exec, s[2:3]
	s_and_b32 s30, s7, 0xffff
	v_cmp_eq_u32_e32 vcc, 0, v0
	s_waitcnt lgkmcnt(0)
	s_barrier
	s_and_saveexec_b64 s[2:3], vcc
	s_cbranch_execz .LBB323_46
; %bb.34:
	s_cmp_lt_u32 s30, 64
	v_mov_b32_e32 v1, 0
	s_cbranch_scc1 .LBB323_45
; %bb.35:
	s_add_i32 s5, s4, -1
	s_cmp_lt_u32 s5, 7
	s_cbranch_scc1 .LBB323_42
; %bb.36:
	s_and_b32 s5, s4, 0x3f8
	s_mov_b32 s7, 0
	s_mov_b32 s22, 0
	v_mov_b32_e32 v1, 0
.LBB323_37:                             ; =>This Inner Loop Header: Depth=1
	v_mov_b32_e32 v8, s22
	ds_read2_b32 v[2:3], v8 offset1:1
	ds_read2_b32 v[4:5], v8 offset0:2 offset1:3
	ds_read2_b32 v[6:7], v8 offset0:4 offset1:5
	ds_read2_b32 v[8:9], v8 offset0:6 offset1:7
	s_add_i32 s7, s7, 8
	s_waitcnt lgkmcnt(3)
	v_add_f32_e32 v1, v1, v2
	v_add_f32_e32 v1, v1, v3
	s_waitcnt lgkmcnt(2)
	v_add_f32_e32 v1, v1, v4
	v_add_f32_e32 v1, v1, v5
	s_waitcnt lgkmcnt(1)
	v_add_f32_e32 v1, v1, v6
	v_add_f32_e32 v1, v1, v7
	s_add_i32 s22, s22, 32
	s_waitcnt lgkmcnt(0)
	v_add_f32_e32 v1, v1, v8
	s_cmp_eq_u32 s5, s7
	v_add_f32_e32 v1, v1, v9
	s_cbranch_scc0 .LBB323_37
; %bb.38:
	s_and_b32 s4, s4, 7
	s_cmp_eq_u32 s4, 0
	s_cbranch_scc0 .LBB323_43
	s_branch .LBB323_45
.LBB323_39:
                                        ; implicit-def: $sgpr24_sgpr25
                                        ; implicit-def: $sgpr22_sgpr23
                                        ; implicit-def: $vgpr8
                                        ; implicit-def: $sgpr26_sgpr27
	s_cbranch_execnz .LBB323_5
	s_branch .LBB323_6
.LBB323_40:
                                        ; implicit-def: $vgpr2_vgpr3
	s_branch .LBB323_8
.LBB323_41:
                                        ; implicit-def: $sgpr2_sgpr3
                                        ; implicit-def: $sgpr7
                                        ; implicit-def: $vgpr8
                                        ; implicit-def: $sgpr22_sgpr23
	s_cbranch_execnz .LBB323_21
	s_branch .LBB323_22
.LBB323_42:
	s_mov_b32 s5, 0
	v_mov_b32_e32 v1, 0
	s_and_b32 s4, s4, 7
	s_cmp_eq_u32 s4, 0
	s_cbranch_scc1 .LBB323_45
.LBB323_43:
	s_lshl_b32 s5, s5, 2
	s_add_i32 s5, s5, 0
.LBB323_44:                             ; =>This Inner Loop Header: Depth=1
	v_mov_b32_e32 v2, s5
	ds_read_b32 v2, v2
	s_add_i32 s5, s5, 4
	s_add_i32 s4, s4, -1
	s_cmp_lg_u32 s4, 0
	s_waitcnt lgkmcnt(0)
	v_add_f32_e32 v1, v1, v2
	s_cbranch_scc1 .LBB323_44
.LBB323_45:
	v_mov_b32_e32 v2, 0
	ds_write_b32 v2, v1
.LBB323_46:
	s_or_b64 exec, exec, s[2:3]
	s_add_u32 s24, s12, s8
	s_addc_u32 s25, s13, s9
	s_add_u32 s26, s14, s8
	v_mov_b32_e32 v1, 0
	s_mov_b32 s35, 0
	s_addc_u32 s27, s15, s9
	s_waitcnt lgkmcnt(0)
	s_barrier
	ds_read_b32 v1, v1
	s_bfe_u32 s34, s24, 0x30001
	s_bfe_u32 s2, s26, 0x30001
	s_mov_b32 s3, s35
	s_cmp_eq_u64 s[34:35], s[2:3]
	s_cselect_b64 s[2:3], -1, 0
	s_cmp_eq_u64 s[34:35], s[10:11]
	s_cselect_b64 s[4:5], -1, 0
	s_and_b64 s[2:3], s[2:3], s[4:5]
	s_waitcnt lgkmcnt(0)
	v_readfirstlane_b32 s22, v1
	s_andn2_b64 vcc, exec, s[2:3]
	s_mov_b64 s[2:3], -1
	s_cbranch_vccz .LBB323_65
; %bb.47:
	s_and_b64 vcc, exec, s[0:1]
	s_cbranch_vccz .LBB323_56
; %bb.48:
	s_lshl_b32 s7, s30, 3
	v_cvt_f32_u32_e32 v1, s7
	s_sub_i32 s3, 0, s7
	s_mov_b32 s2, 0
	v_rcp_iflag_f32_e32 v1, v1
	v_mul_f32_e32 v1, 0x4f7ffffe, v1
	v_cvt_u32_f32_e32 v2, v1
	v_mov_b32_e32 v1, 0
	v_readfirstlane_b32 s4, v2
	s_mul_i32 s3, s3, s4
	s_mul_hi_u32 s3, s4, s3
	s_add_i32 s4, s4, s3
	s_mul_hi_u32 s3, s18, s4
	s_mul_i32 s3, s3, s7
	s_sub_i32 s3, s18, s3
	s_sub_i32 s4, s3, s7
	s_cmp_ge_u32 s3, s7
	s_cselect_b32 s3, s4, s3
	s_sub_i32 s4, s3, s7
	s_cmp_ge_u32 s3, s7
	s_cselect_b32 s3, s4, s3
	s_bfe_i64 s[10:11], s[18:19], 0x200000
	s_sub_u32 s36, s10, s3
	s_subb_u32 s37, s11, 0
	v_cmp_gt_i64_e32 vcc, s[36:37], v[0:1]
	v_pk_mov_b32 v[2:3], v[0:1], v[0:1] op_sel:[0,1]
	s_and_saveexec_b64 s[38:39], vcc
	s_cbranch_execz .LBB323_52
; %bb.49:
	v_lshlrev_b64 v[2:3], 1, v[0:1]
	v_mov_b32_e32 v5, s9
	v_add_co_u32_e32 v4, vcc, s8, v2
	s_lshl_b32 s23, s30, 1
	v_addc_co_u32_e32 v5, vcc, v5, v3, vcc
	s_lshl_b32 s31, s30, 4
	s_mov_b64 s[40:41], 0
	v_mov_b32_e32 v22, s15
	v_mov_b32_e32 v23, s17
	;; [unrolled: 1-line block ×4, first 2 shown]
	s_mov_b32 s33, 0x3fb8aa3b
	s_mov_b32 s42, 0xc2ce8ed0
	;; [unrolled: 1-line block ×3, first 2 shown]
	v_mov_b32_e32 v26, 0x7f800000
	s_movk_i32 s44, 0x7fff
	v_mov_b32_e32 v27, 0x7fc0
	v_mov_b32_e32 v28, s2
	;; [unrolled: 1-line block ×3, first 2 shown]
	v_pk_mov_b32 v[2:3], v[0:1], v[0:1] op_sel:[0,1]
.LBB323_50:                             ; =>This Inner Loop Header: Depth=1
	v_add_co_u32_e32 v8, vcc, s14, v4
	v_addc_co_u32_e32 v9, vcc, v22, v5, vcc
	v_add_co_u32_e32 v10, vcc, s16, v4
	v_addc_co_u32_e32 v11, vcc, v23, v5, vcc
	;; [unrolled: 2-line block ×7, first 2 shown]
	global_load_ushort v1, v[8:9], off
	global_load_ushort v34, v[10:11], off
	v_add_co_u32_e32 v8, vcc, s23, v6
	v_addc_co_u32_e32 v9, vcc, v7, v24, vcc
	v_add_co_u32_e64 v16, s[2:3], s23, v12
	v_cmp_le_i64_e32 vcc, s[36:37], v[2:3]
	v_addc_co_u32_e64 v17, s[2:3], v13, v24, s[2:3]
	v_add_co_u32_e64 v18, s[2:3], s23, v14
	global_load_ushort v35, v[12:13], off
	global_load_ushort v36, v[14:15], off
	s_or_b64 s[40:41], vcc, s[40:41]
	v_add_co_u32_e32 v14, vcc, s23, v16
	v_addc_co_u32_e64 v19, s[2:3], v15, v24, s[2:3]
	v_addc_co_u32_e32 v15, vcc, v17, v24, vcc
	v_add_co_u32_e32 v20, vcc, s23, v18
	v_add_co_u32_e64 v10, s[2:3], s23, v8
	v_addc_co_u32_e32 v21, vcc, v19, v24, vcc
	v_addc_co_u32_e64 v11, s[2:3], v9, v24, s[2:3]
	v_add_co_u32_e32 v12, vcc, s23, v10
	v_addc_co_u32_e32 v13, vcc, v11, v24, vcc
	global_load_ushort v37, v[16:17], off
	global_load_ushort v38, v[18:19], off
	v_add_co_u32_e32 v16, vcc, s23, v14
	v_addc_co_u32_e32 v17, vcc, v15, v24, vcc
	v_add_co_u32_e32 v18, vcc, s23, v20
	v_addc_co_u32_e32 v19, vcc, v21, v24, vcc
	global_load_ushort v39, v[14:15], off
	global_load_ushort v40, v[20:21], off
	v_add_co_u32_e32 v14, vcc, s23, v12
	v_addc_co_u32_e32 v15, vcc, v13, v24, vcc
	v_add_co_u32_e32 v20, vcc, s23, v16
	v_addc_co_u32_e32 v21, vcc, v17, v24, vcc
	;; [unrolled: 2-line block ×3, first 2 shown]
	global_load_ushort v41, v[16:17], off
	global_load_ushort v42, v[18:19], off
	v_add_co_u32_e32 v16, vcc, s23, v14
	v_addc_co_u32_e32 v17, vcc, v15, v24, vcc
	v_add_co_u32_e32 v32, vcc, s23, v20
	v_addc_co_u32_e32 v33, vcc, v21, v24, vcc
	global_load_ushort v43, v[20:21], off
	global_load_ushort v44, v[30:31], off
	v_add_co_u32_e32 v20, vcc, s23, v30
	v_addc_co_u32_e32 v21, vcc, v31, v24, vcc
	v_add_co_u32_e32 v18, vcc, s23, v16
	v_addc_co_u32_e32 v19, vcc, v17, v24, vcc
	v_add_co_u32_e32 v30, vcc, s23, v32
	global_load_ushort v45, v[32:33], off
	global_load_ushort v46, v[20:21], off
	v_addc_co_u32_e32 v31, vcc, v33, v24, vcc
	v_add_co_u32_e32 v32, vcc, s23, v20
	v_addc_co_u32_e32 v33, vcc, v21, v24, vcc
	global_load_ushort v47, v[30:31], off
	global_load_ushort v48, v[32:33], off
	s_waitcnt vmcnt(15)
	v_lshlrev_b32_e32 v1, 16, v1
	v_mul_f32_e32 v31, 0x3fb8aa3b, v1
	s_waitcnt vmcnt(14)
	v_lshlrev_b32_e32 v30, 16, v34
	v_fma_f32 v34, v1, s33, -v31
	v_fmac_f32_e32 v34, 0x32a5705f, v1
	v_add_co_u32_e32 v20, vcc, s23, v18
	v_addc_co_u32_e32 v21, vcc, v19, v24, vcc
	s_waitcnt vmcnt(13)
	v_lshlrev_b32_e32 v32, 16, v35
	s_waitcnt vmcnt(12)
	v_lshlrev_b32_e32 v33, 16, v36
	v_rndne_f32_e32 v35, v31
	v_mul_f32_e32 v36, 0x3fb8aa3b, v32
	v_sub_f32_e32 v31, v31, v35
	v_fma_f32 v49, v32, s33, -v36
	v_rndne_f32_e32 v50, v36
	v_add_f32_e32 v31, v31, v34
	v_fmac_f32_e32 v49, 0x32a5705f, v32
	v_sub_f32_e32 v34, v36, v50
	v_cvt_i32_f32_e32 v36, v50
	v_cvt_i32_f32_e32 v35, v35
	v_exp_f32_e32 v31, v31
	v_add_f32_e32 v34, v34, v49
	v_exp_f32_e32 v34, v34
	v_cmp_ngt_f32_e32 vcc, s42, v1
	v_ldexp_f32 v31, v31, v35
	v_cndmask_b32_e32 v31, 0, v31, vcc
	v_ldexp_f32 v34, v34, v36
	v_cmp_nlt_f32_e32 vcc, s43, v1
	s_waitcnt vmcnt(11)
	v_lshlrev_b32_e32 v37, 16, v37
	v_mul_f32_e32 v51, 0x3fb8aa3b, v37
	v_fma_f32 v50, v37, s33, -v51
	v_rndne_f32_e32 v52, v51
	v_fmac_f32_e32 v50, 0x32a5705f, v37
	v_sub_f32_e32 v49, v51, v52
	v_cvt_i32_f32_e32 v51, v52
	v_add_f32_e32 v49, v49, v50
	v_exp_f32_e32 v49, v49
	s_waitcnt vmcnt(9)
	v_lshlrev_b32_e32 v39, 16, v39
	v_mul_f32_e32 v53, 0x3fb8aa3b, v39
	v_fma_f32 v52, v39, s33, -v53
	v_rndne_f32_e32 v54, v53
	v_fmac_f32_e32 v52, 0x32a5705f, v39
	v_sub_f32_e32 v50, v53, v54
	v_cvt_i32_f32_e32 v53, v54
	v_add_f32_e32 v50, v50, v52
	v_exp_f32_e32 v50, v50
	v_cmp_ngt_f32_e64 s[2:3], s42, v32
	v_cndmask_b32_e32 v31, v26, v31, vcc
	v_cndmask_b32_e64 v34, 0, v34, s[2:3]
	v_ldexp_f32 v49, v49, v51
	s_waitcnt vmcnt(7)
	v_lshlrev_b32_e32 v41, 16, v41
	v_mul_f32_e32 v55, 0x3fb8aa3b, v41
	v_fma_f32 v54, v41, s33, -v55
	v_rndne_f32_e32 v56, v55
	v_fmac_f32_e32 v54, 0x32a5705f, v41
	v_sub_f32_e32 v52, v55, v56
	v_cvt_i32_f32_e32 v55, v56
	v_add_f32_e32 v52, v52, v54
	v_exp_f32_e32 v52, v52
	s_waitcnt vmcnt(5)
	v_lshlrev_b32_e32 v43, 16, v43
	v_mul_f32_e32 v57, 0x3fb8aa3b, v43
	v_fma_f32 v56, v43, s33, -v57
	v_rndne_f32_e32 v58, v57
	v_fmac_f32_e32 v56, 0x32a5705f, v43
	v_sub_f32_e32 v57, v57, v58
	v_add_f32_e32 v56, v57, v56
	v_cvt_i32_f32_e32 v58, v58
	v_exp_f32_e32 v56, v56
	v_cmp_ngt_f32_e32 vcc, s42, v37
	v_cmp_nlt_f32_e64 s[2:3], s43, v32
	s_waitcnt vmcnt(3)
	v_lshlrev_b32_e32 v45, 16, v45
	v_mul_f32_e32 v54, 0x3fb8aa3b, v45
	v_fma_f32 v35, v45, s33, -v54
	v_rndne_f32_e32 v57, v54
	v_fmac_f32_e32 v35, 0x32a5705f, v45
	v_sub_f32_e32 v54, v54, v57
	v_add_f32_e32 v35, v54, v35
	s_waitcnt vmcnt(1)
	v_lshlrev_b32_e32 v47, 16, v47
	v_mul_f32_e32 v36, 0x3fb8aa3b, v47
	v_fma_f32 v54, v47, s33, -v36
	v_rndne_f32_e32 v1, v36
	v_fmac_f32_e32 v54, 0x32a5705f, v47
	v_sub_f32_e32 v36, v36, v1
	v_cvt_i32_f32_e32 v57, v57
	v_exp_f32_e32 v35, v35
	v_add_f32_e32 v36, v36, v54
	v_cvt_i32_f32_e32 v1, v1
	v_fma_f32 v30, -s22, v31, v30
	v_cndmask_b32_e64 v31, v26, v34, s[2:3]
	v_cndmask_b32_e32 v32, 0, v49, vcc
	v_ldexp_f32 v34, v50, v53
	v_cmp_ngt_f32_e32 vcc, s42, v39
	v_exp_f32_e32 v36, v36
	v_cmp_nlt_f32_e64 s[2:3], s43, v37
	v_lshlrev_b32_e32 v38, 16, v38
	v_bfe_u32 v37, v30, 16, 1
	v_fma_f32 v31, -s22, v31, v33
	v_cndmask_b32_e64 v32, v26, v32, s[2:3]
	v_cndmask_b32_e32 v33, 0, v34, vcc
	v_ldexp_f32 v34, v52, v55
	v_cmp_ngt_f32_e32 vcc, s42, v41
	v_cmp_nlt_f32_e64 s[2:3], s43, v39
	v_lshlrev_b32_e32 v40, 16, v40
	v_add3_u32 v37, v30, v37, s44
	v_bfe_u32 v39, v31, 16, 1
	v_fma_f32 v32, -s22, v32, v38
	v_cndmask_b32_e64 v33, v26, v33, s[2:3]
	v_cndmask_b32_e32 v34, 0, v34, vcc
	v_ldexp_f32 v38, v56, v58
	v_cmp_ngt_f32_e32 vcc, s42, v43
	v_cmp_nlt_f32_e64 s[2:3], s43, v41
	v_lshlrev_b32_e32 v42, 16, v42
	v_lshrrev_b32_e32 v37, 16, v37
	v_add3_u32 v39, v31, v39, s44
	v_bfe_u32 v41, v32, 16, 1
	v_fma_f32 v33, -s22, v33, v40
	v_cndmask_b32_e64 v34, v26, v34, s[2:3]
	v_cndmask_b32_e32 v38, 0, v38, vcc
	v_cmp_nlt_f32_e32 vcc, s43, v43
	v_ldexp_f32 v35, v35, v57
	v_cmp_ngt_f32_e64 s[2:3], s42, v45
	v_cmp_o_f32_e64 s[4:5], v30, v30
	v_lshlrev_b32_e32 v44, 16, v44
	v_cndmask_b32_e64 v30, v27, v37, s[4:5]
	v_lshrrev_b32_e32 v37, 16, v39
	v_add3_u32 v39, v32, v41, s44
	v_bfe_u32 v40, v33, 16, 1
	v_fma_f32 v34, -s22, v34, v42
	v_cndmask_b32_e32 v38, v26, v38, vcc
	v_cndmask_b32_e64 v35, 0, v35, s[2:3]
	v_cmp_nlt_f32_e32 vcc, s43, v45
	v_ldexp_f32 v1, v36, v1
	v_cmp_ngt_f32_e64 s[2:3], s42, v47
	v_cmp_o_f32_e64 s[4:5], v31, v31
	v_lshlrev_b32_e32 v46, 16, v46
	global_store_short v[6:7], v30, off
	v_cndmask_b32_e64 v6, v27, v37, s[4:5]
	v_lshrrev_b32_e32 v7, 16, v39
	v_add3_u32 v30, v33, v40, s44
	v_bfe_u32 v31, v34, 16, 1
	v_fma_f32 v36, -s22, v38, v44
	v_cndmask_b32_e32 v35, v26, v35, vcc
	v_cndmask_b32_e64 v1, 0, v1, s[2:3]
	v_cmp_nlt_f32_e32 vcc, s43, v47
	v_cmp_o_f32_e64 s[2:3], v32, v32
	s_waitcnt vmcnt(1)
	v_lshlrev_b32_e32 v48, 16, v48
	global_store_short v[8:9], v6, off
	v_cndmask_b32_e64 v6, v27, v7, s[2:3]
	v_lshrrev_b32_e32 v7, 16, v30
	v_add3_u32 v8, v34, v31, s44
	v_bfe_u32 v9, v36, 16, 1
	v_fma_f32 v30, -s22, v35, v46
	v_cndmask_b32_e32 v1, v26, v1, vcc
	v_cmp_o_f32_e32 vcc, v33, v33
	global_store_short v[10:11], v6, off
	v_cndmask_b32_e32 v6, v27, v7, vcc
	v_lshrrev_b32_e32 v7, 16, v8
	v_add3_u32 v8, v36, v9, s44
	v_bfe_u32 v9, v30, 16, 1
	v_fma_f32 v1, -s22, v1, v48
	v_cmp_o_f32_e32 vcc, v34, v34
	global_store_short v[12:13], v6, off
	v_cndmask_b32_e32 v6, v27, v7, vcc
	v_lshrrev_b32_e32 v7, 16, v8
	v_add3_u32 v8, v30, v9, s44
	v_bfe_u32 v9, v1, 16, 1
	v_cmp_o_f32_e32 vcc, v36, v36
	global_store_short v[14:15], v6, off
	v_cndmask_b32_e32 v6, v27, v7, vcc
	v_lshrrev_b32_e32 v7, 16, v8
	v_add3_u32 v8, v1, v9, s44
	v_cmp_o_f32_e32 vcc, v30, v30
	global_store_short v[16:17], v6, off
	v_cndmask_b32_e32 v6, v27, v7, vcc
	v_lshrrev_b32_e32 v7, 16, v8
	v_cmp_o_f32_e32 vcc, v1, v1
	v_cndmask_b32_e32 v1, v27, v7, vcc
	global_store_short v[18:19], v6, off
	global_store_short v[20:21], v1, off
	s_andn2_b64 exec, exec, s[40:41]
	s_cbranch_execnz .LBB323_50
; %bb.51:
	s_or_b64 exec, exec, s[40:41]
.LBB323_52:
	s_or_b64 exec, exec, s[38:39]
	v_cmp_gt_i64_e32 vcc, s[10:11], v[2:3]
	s_and_saveexec_b64 s[2:3], vcc
	s_cbranch_execz .LBB323_55
; %bb.53:
	v_lshlrev_b64 v[4:5], 1, v[2:3]
	s_mov_b32 s23, 0
	v_mov_b32_e32 v1, s9
	v_add_co_u32_e32 v4, vcc, s8, v4
	v_addc_co_u32_e32 v1, vcc, v1, v5, vcc
	s_lshl_b32 s7, s30, 1
	s_mov_b64 s[4:5], 0
	v_mov_b32_e32 v5, s17
	v_mov_b32_e32 v6, s15
	s_mov_b32 s8, 0x3fb8aa3b
	s_mov_b32 s9, 0xc2ce8ed0
	;; [unrolled: 1-line block ×3, first 2 shown]
	v_mov_b32_e32 v7, 0x7f800000
	s_movk_i32 s17, 0x7fff
	v_mov_b32_e32 v8, 0x7fc0
	v_mov_b32_e32 v9, s13
	;; [unrolled: 1-line block ×4, first 2 shown]
	s_mov_b32 s31, s23
.LBB323_54:                             ; =>This Inner Loop Header: Depth=1
	v_add_co_u32_e32 v12, vcc, s16, v4
	v_addc_co_u32_e32 v13, vcc, v5, v1, vcc
	v_add_co_u32_e32 v14, vcc, s14, v4
	v_addc_co_u32_e32 v15, vcc, v6, v1, vcc
	global_load_ushort v16, v[14:15], off
	global_load_ushort v17, v[12:13], off
	v_add_co_u32_e32 v12, vcc, s12, v4
	v_addc_co_u32_e32 v13, vcc, v9, v1, vcc
	v_add_co_u32_e32 v2, vcc, s30, v2
	v_addc_co_u32_e32 v3, vcc, v3, v10, vcc
	;; [unrolled: 2-line block ×3, first 2 shown]
	v_cmp_le_i64_e32 vcc, s[10:11], v[2:3]
	s_or_b64 s[4:5], vcc, s[4:5]
	s_waitcnt vmcnt(1)
	v_lshlrev_b32_e32 v14, 16, v16
	v_mul_f32_e32 v16, 0x3fb8aa3b, v14
	s_waitcnt vmcnt(0)
	v_lshlrev_b32_e32 v15, 16, v17
	v_fma_f32 v17, v14, s8, -v16
	v_rndne_f32_e32 v18, v16
	v_fmac_f32_e32 v17, 0x32a5705f, v14
	v_sub_f32_e32 v16, v16, v18
	v_add_f32_e32 v16, v16, v17
	v_cvt_i32_f32_e32 v18, v18
	v_exp_f32_e32 v16, v16
	v_cmp_ngt_f32_e32 vcc, s9, v14
	v_ldexp_f32 v16, v16, v18
	v_cndmask_b32_e32 v16, 0, v16, vcc
	v_cmp_nlt_f32_e32 vcc, s15, v14
	v_cndmask_b32_e32 v14, v7, v16, vcc
	v_fma_f32 v14, -s22, v14, v15
	v_bfe_u32 v15, v14, 16, 1
	v_add3_u32 v15, v14, v15, s17
	v_lshrrev_b32_e32 v15, 16, v15
	v_cmp_o_f32_e32 vcc, v14, v14
	v_cndmask_b32_e32 v14, v8, v15, vcc
	global_store_short v[12:13], v14, off
	s_andn2_b64 exec, exec, s[4:5]
	s_cbranch_execnz .LBB323_54
.LBB323_55:
	s_or_b64 exec, exec, s[2:3]
	s_mov_b64 s[2:3], 0
.LBB323_56:
	s_and_b64 vcc, exec, s[2:3]
	s_cbranch_vccz .LBB323_92
; %bb.57:
	s_lshl_b32 s2, s30, 3
	v_cvt_f32_u32_e32 v1, s2
	s_sub_i32 s3, 0, s2
	v_mov_b32_e32 v2, v0
	v_rcp_iflag_f32_e32 v1, v1
	v_mul_f32_e32 v1, 0x4f7ffffe, v1
	v_cvt_u32_f32_e32 v1, v1
	v_readfirstlane_b32 s4, v1
	s_mul_i32 s3, s3, s4
	s_mul_hi_u32 s3, s4, s3
	s_add_i32 s4, s4, s3
	s_mul_hi_u32 s3, s18, s4
	s_mul_i32 s3, s3, s2
	s_sub_i32 s3, s18, s3
	s_sub_i32 s4, s3, s2
	s_cmp_ge_u32 s3, s2
	s_cselect_b32 s3, s4, s3
	s_sub_i32 s4, s3, s2
	s_cmp_ge_u32 s3, s2
	s_cselect_b32 s2, s4, s3
	s_sub_i32 s7, s18, s2
	v_cmp_gt_i32_e32 vcc, s7, v0
	s_and_saveexec_b64 s[36:37], vcc
	s_cbranch_execz .LBB323_61
; %bb.58:
	s_add_i32 s47, s30, s30
	s_add_i32 s2, s47, s30
	s_add_i32 s2, s47, s2
	s_lshl_b32 s23, s30, 1
	s_mul_i32 s31, s30, 3
	s_lshl_b32 s33, s30, 2
	s_mul_i32 s40, s30, 5
	s_mul_i32 s41, s30, 6
	;; [unrolled: 1-line block ×3, first 2 shown]
	s_mov_b64 s[38:39], 0
	v_mov_b32_e32 v1, s27
	v_mov_b32_e32 v26, s21
	s_mov_b32 s43, 0x3fb8aa3b
	s_mov_b32 s44, 0xc2ce8ed0
	;; [unrolled: 1-line block ×3, first 2 shown]
	v_mov_b32_e32 v27, 0x7f800000
	s_movk_i32 s46, 0x7fff
	v_mov_b32_e32 v28, 0x7fc0
	v_mov_b32_e32 v29, s25
	s_add_i32 s47, s47, s2
	v_mov_b32_e32 v3, 0
	v_mov_b32_e32 v2, v0
.LBB323_59:                             ; =>This Inner Loop Header: Depth=1
	v_lshlrev_b64 v[4:5], 1, v[2:3]
	v_add_co_u32_e32 v16, vcc, s26, v4
	v_addc_co_u32_e32 v17, vcc, v1, v5, vcc
	v_add_co_u32_e32 v24, vcc, s20, v4
	v_addc_co_u32_e32 v25, vcc, v26, v5, vcc
	v_add_u32_e32 v6, s30, v2
	v_mov_b32_e32 v7, v3
	v_add_co_u32_e32 v4, vcc, s24, v4
	v_add_u32_e32 v10, s31, v2
	v_mov_b32_e32 v11, v3
	v_add_u32_e32 v30, s40, v2
	v_mov_b32_e32 v31, v3
	v_lshlrev_b64 v[22:23], 1, v[6:7]
	v_addc_co_u32_e32 v5, vcc, v29, v5, vcc
	v_lshlrev_b64 v[18:19], 1, v[10:11]
	v_lshlrev_b64 v[10:11], 1, v[30:31]
	v_add_co_u32_e32 v30, vcc, s26, v22
	v_add_u32_e32 v8, s23, v2
	v_mov_b32_e32 v9, v3
	v_add_u32_e32 v32, s41, v2
	v_mov_b32_e32 v33, v3
	v_addc_co_u32_e32 v31, vcc, v1, v23, vcc
	v_lshlrev_b64 v[20:21], 1, v[8:9]
	v_lshlrev_b64 v[8:9], 1, v[32:33]
	v_add_co_u32_e32 v32, vcc, s20, v22
	v_addc_co_u32_e32 v33, vcc, v26, v23, vcc
	v_add_co_u32_e32 v34, vcc, s26, v20
	v_addc_co_u32_e32 v35, vcc, v1, v21, vcc
	v_add_co_u32_e32 v36, vcc, s20, v20
	v_addc_co_u32_e32 v37, vcc, v26, v21, vcc
	v_add_co_u32_e32 v38, vcc, s26, v18
	v_addc_co_u32_e32 v39, vcc, v1, v19, vcc
	v_add_u32_e32 v12, s33, v2
	v_mov_b32_e32 v13, v3
	v_add_co_u32_e32 v40, vcc, s20, v18
	v_lshlrev_b64 v[14:15], 1, v[12:13]
	v_addc_co_u32_e32 v41, vcc, v26, v19, vcc
	v_add_co_u32_e32 v42, vcc, s26, v14
	v_addc_co_u32_e32 v43, vcc, v1, v15, vcc
	v_add_co_u32_e32 v44, vcc, s20, v14
	;; [unrolled: 2-line block ×5, first 2 shown]
	v_addc_co_u32_e32 v51, vcc, v1, v9, vcc
	v_add_u32_e32 v2, s42, v2
	v_add_co_u32_e32 v52, vcc, s20, v8
	v_lshlrev_b64 v[12:13], 1, v[2:3]
	v_addc_co_u32_e32 v53, vcc, v26, v9, vcc
	v_add_co_u32_e32 v54, vcc, s26, v12
	v_addc_co_u32_e32 v55, vcc, v1, v13, vcc
	v_add_co_u32_e32 v56, vcc, s20, v12
	v_addc_co_u32_e32 v57, vcc, v26, v13, vcc
	v_add_u32_e32 v2, s47, v6
	v_add_co_u32_e32 v6, vcc, s24, v22
	v_addc_co_u32_e32 v7, vcc, v29, v23, vcc
	global_load_ushort v58, v[16:17], off
	global_load_ushort v59, v[24:25], off
	v_add_co_u32_e32 v16, vcc, s24, v20
	v_addc_co_u32_e32 v17, vcc, v29, v21, vcc
	global_load_ushort v20, v[30:31], off
	global_load_ushort v21, v[32:33], off
	;; [unrolled: 1-line block ×10, first 2 shown]
                                        ; kill: killed $vgpr40 killed $vgpr41
                                        ; kill: killed $vgpr34 killed $vgpr35
                                        ; kill: killed $vgpr48 killed $vgpr49
                                        ; kill: killed $vgpr42 killed $vgpr43
                                        ; kill: killed $vgpr36 killed $vgpr37
                                        ; kill: killed $vgpr30 killed $vgpr31
                                        ; kill: killed $vgpr44 killed $vgpr45
                                        ; kill: killed $vgpr38 killed $vgpr39
                                        ; kill: killed $vgpr46 killed $vgpr47
                                        ; kill: killed $vgpr32 killed $vgpr33
	global_load_ushort v30, v[50:51], off
	global_load_ushort v31, v[52:53], off
	;; [unrolled: 1-line block ×4, first 2 shown]
	v_add_co_u32_e32 v18, vcc, s24, v18
	v_addc_co_u32_e32 v19, vcc, v29, v19, vcc
	v_add_co_u32_e32 v14, vcc, s24, v14
	v_addc_co_u32_e32 v15, vcc, v29, v15, vcc
	;; [unrolled: 2-line block ×5, first 2 shown]
	v_cmp_le_i32_e32 vcc, s7, v2
	s_or_b64 s[38:39], vcc, s[38:39]
	s_waitcnt vmcnt(13)
	v_lshlrev_b32_e32 v20, 16, v20
	v_mul_f32_e32 v43, 0x3fb8aa3b, v20
	s_waitcnt vmcnt(11)
	v_lshlrev_b32_e32 v22, 16, v22
	v_mul_f32_e32 v44, 0x3fb8aa3b, v22
	s_waitcnt vmcnt(9)
	v_lshlrev_b32_e32 v24, 16, v24
	v_fma_f32 v50, v20, s43, -v43
	s_waitcnt vmcnt(7)
	v_lshlrev_b32_e32 v37, 16, v60
	v_rndne_f32_e32 v51, v43
	s_waitcnt vmcnt(5)
	v_lshlrev_b32_e32 v39, 16, v62
	v_fma_f32 v52, v22, s43, -v44
	v_rndne_f32_e32 v53, v44
	v_mul_f32_e32 v45, 0x3fb8aa3b, v24
	v_mul_f32_e32 v46, 0x3fb8aa3b, v37
	;; [unrolled: 1-line block ×3, first 2 shown]
	v_fmac_f32_e32 v50, 0x32a5705f, v20
	v_sub_f32_e32 v43, v43, v51
	v_fmac_f32_e32 v52, 0x32a5705f, v22
	v_lshlrev_b32_e32 v34, 16, v58
	v_mul_f32_e32 v36, 0x3fb8aa3b, v34
	v_fma_f32 v41, v34, s43, -v36
	s_waitcnt vmcnt(3)
	v_lshlrev_b32_e32 v30, 16, v30
	v_rndne_f32_e32 v42, v36
	s_waitcnt vmcnt(1)
	v_lshlrev_b32_e32 v32, 16, v32
	v_mul_f32_e32 v49, 0x3fb8aa3b, v32
	v_sub_f32_e32 v44, v44, v53
	v_lshlrev_b32_e32 v35, 16, v59
	v_mul_f32_e32 v48, 0x3fb8aa3b, v30
	v_fmac_f32_e32 v41, 0x32a5705f, v34
	v_sub_f32_e32 v36, v36, v42
	v_fma_f32 v54, v24, s43, -v45
	v_rndne_f32_e32 v55, v45
	v_fma_f32 v56, v37, s43, -v46
	v_rndne_f32_e32 v57, v46
	;; [unrolled: 2-line block ×3, first 2 shown]
	v_add_f32_e32 v43, v43, v50
	v_fma_f32 v50, v32, s43, -v49
	v_add_f32_e32 v44, v44, v52
	v_rndne_f32_e32 v52, v49
	v_fma_f32 v60, v30, s43, -v48
	v_add_f32_e32 v36, v36, v41
	v_rndne_f32_e32 v41, v48
	v_fmac_f32_e32 v54, 0x32a5705f, v24
	v_sub_f32_e32 v45, v45, v55
	v_fmac_f32_e32 v56, 0x32a5705f, v37
	v_sub_f32_e32 v46, v46, v57
	;; [unrolled: 2-line block ×4, first 2 shown]
	v_cvt_i32_f32_e32 v42, v42
	v_fmac_f32_e32 v60, 0x32a5705f, v30
	v_sub_f32_e32 v48, v48, v41
	v_exp_f32_e32 v36, v36
	v_add_f32_e32 v45, v45, v54
	v_add_f32_e32 v46, v46, v56
	;; [unrolled: 1-line block ×4, first 2 shown]
	v_cvt_i32_f32_e32 v51, v51
	v_cvt_i32_f32_e32 v53, v53
	;; [unrolled: 1-line block ×6, first 2 shown]
	v_add_f32_e32 v48, v48, v60
	v_exp_f32_e32 v43, v43
	v_exp_f32_e32 v44, v44
	;; [unrolled: 1-line block ×6, first 2 shown]
	v_cvt_i32_f32_e32 v41, v41
	v_exp_f32_e32 v48, v48
	v_ldexp_f32 v36, v36, v42
	v_cmp_ngt_f32_e32 vcc, s44, v34
	v_cndmask_b32_e32 v36, 0, v36, vcc
	v_ldexp_f32 v42, v43, v51
	v_cmp_ngt_f32_e32 vcc, s44, v20
	v_ldexp_f32 v43, v44, v53
	v_ldexp_f32 v44, v45, v55
	v_cmp_ngt_f32_e64 s[4:5], s44, v24
	v_ldexp_f32 v45, v46, v57
	v_ldexp_f32 v46, v47, v59
	v_cmp_ngt_f32_e64 s[10:11], s44, v39
	v_ldexp_f32 v47, v49, v52
	v_cmp_ngt_f32_e64 s[14:15], s44, v32
	v_cmp_nlt_f32_e64 s[16:17], s45, v34
	v_cmp_ngt_f32_e64 s[2:3], s44, v22
	v_cmp_ngt_f32_e64 s[8:9], s44, v37
	v_ldexp_f32 v41, v48, v41
	v_cmp_ngt_f32_e64 s[12:13], s44, v30
	v_cndmask_b32_e64 v34, v27, v36, s[16:17]
	v_cndmask_b32_e32 v36, 0, v42, vcc
	v_cmp_nlt_f32_e32 vcc, s45, v22
	v_cndmask_b32_e64 v22, 0, v44, s[4:5]
	v_cmp_nlt_f32_e64 s[4:5], s45, v37
	v_cndmask_b32_e64 v37, 0, v46, s[10:11]
	v_cmp_nlt_f32_e64 s[10:11], s45, v30
	;; [unrolled: 2-line block ×3, first 2 shown]
	v_lshlrev_b32_e32 v21, 16, v21
	v_cndmask_b32_e64 v42, 0, v43, s[2:3]
	v_cmp_nlt_f32_e64 s[2:3], s45, v24
	v_cndmask_b32_e64 v24, 0, v45, s[8:9]
	v_cmp_nlt_f32_e64 s[8:9], s45, v39
	v_cndmask_b32_e64 v39, 0, v41, s[12:13]
	v_cmp_nlt_f32_e64 s[12:13], s45, v32
	v_fma_f32 v20, -s22, v34, v35
	v_cndmask_b32_e64 v32, v27, v36, s[14:15]
	v_lshlrev_b32_e32 v23, 16, v23
	v_lshlrev_b32_e32 v25, 16, v25
	;; [unrolled: 1-line block ×5, first 2 shown]
	s_waitcnt vmcnt(0)
	v_lshlrev_b32_e32 v33, 16, v33
	v_cndmask_b32_e32 v34, v27, v42, vcc
	v_cndmask_b32_e64 v22, v27, v22, s[2:3]
	v_cndmask_b32_e64 v24, v27, v24, s[4:5]
	;; [unrolled: 1-line block ×5, first 2 shown]
	v_bfe_u32 v37, v20, 16, 1
	v_fma_f32 v21, -s22, v32, v21
	v_fma_f32 v23, -s22, v34, v23
	;; [unrolled: 1-line block ×7, first 2 shown]
	v_add3_u32 v32, v20, v37, s46
	v_bfe_u32 v33, v21, 16, 1
	v_bfe_u32 v34, v23, 16, 1
	;; [unrolled: 1-line block ×7, first 2 shown]
	v_lshrrev_b32_e32 v32, 16, v32
	v_add3_u32 v33, v21, v33, s46
	v_cmp_o_f32_e32 vcc, v20, v20
	v_add3_u32 v34, v23, v34, s46
	v_add3_u32 v35, v22, v35, s46
	v_add3_u32 v36, v24, v36, s46
	v_add3_u32 v37, v25, v37, s46
	v_add3_u32 v38, v31, v38, s46
	v_add3_u32 v39, v30, v39, s46
	v_cndmask_b32_e32 v20, v28, v32, vcc
	v_lshrrev_b32_e32 v32, 16, v33
	v_cmp_o_f32_e64 s[14:15], v21, v21
	v_lshrrev_b32_e32 v33, 16, v34
	v_cmp_o_f32_e32 vcc, v23, v23
	v_lshrrev_b32_e32 v23, 16, v35
	v_cmp_o_f32_e64 s[2:3], v22, v22
	v_lshrrev_b32_e32 v22, 16, v36
	v_cmp_o_f32_e64 s[4:5], v24, v24
	;; [unrolled: 2-line block ×5, first 2 shown]
	global_store_short v[4:5], v20, off
	v_cndmask_b32_e64 v4, v28, v32, s[14:15]
	v_cndmask_b32_e32 v5, v28, v33, vcc
	v_cndmask_b32_e64 v20, v28, v23, s[2:3]
	v_cndmask_b32_e64 v21, v28, v22, s[4:5]
	;; [unrolled: 1-line block ×5, first 2 shown]
	global_store_short v[6:7], v4, off
	global_store_short v[16:17], v5, off
	;; [unrolled: 1-line block ×7, first 2 shown]
	s_andn2_b64 exec, exec, s[38:39]
	s_cbranch_execnz .LBB323_59
; %bb.60:
	s_or_b64 exec, exec, s[38:39]
.LBB323_61:
	s_or_b64 exec, exec, s[36:37]
	v_cmp_gt_i32_e32 vcc, s18, v2
	s_and_saveexec_b64 s[4:5], vcc
	s_cbranch_execz .LBB323_64
; %bb.62:
	s_mov_b64 s[8:9], 0
	v_mov_b32_e32 v1, s21
	v_mov_b32_e32 v4, s27
	s_mov_b32 s7, 0x3fb8aa3b
	s_mov_b32 s10, 0xc2ce8ed0
	;; [unrolled: 1-line block ×3, first 2 shown]
	v_mov_b32_e32 v5, 0x7f800000
	s_movk_i32 s12, 0x7fff
	v_mov_b32_e32 v6, 0x7fc0
	v_mov_b32_e32 v7, s25
.LBB323_63:                             ; =>This Inner Loop Header: Depth=1
	v_ashrrev_i32_e32 v3, 31, v2
	v_lshlrev_b64 v[8:9], 1, v[2:3]
	v_add_co_u32_e32 v10, vcc, s26, v8
	v_addc_co_u32_e32 v11, vcc, v4, v9, vcc
	global_load_ushort v3, v[10:11], off
	v_add_co_u32_e32 v10, vcc, s20, v8
	v_addc_co_u32_e32 v11, vcc, v1, v9, vcc
	global_load_ushort v10, v[10:11], off
	v_add_co_u32_e32 v8, vcc, s24, v8
	v_add_u32_e32 v2, s30, v2
	v_addc_co_u32_e32 v9, vcc, v7, v9, vcc
	v_cmp_le_i32_e32 vcc, s18, v2
	s_or_b64 s[8:9], vcc, s[8:9]
	s_waitcnt vmcnt(1)
	v_lshlrev_b32_e32 v3, 16, v3
	v_mul_f32_e32 v11, 0x3fb8aa3b, v3
	v_fma_f32 v12, v3, s7, -v11
	v_rndne_f32_e32 v13, v11
	v_fmac_f32_e32 v12, 0x32a5705f, v3
	v_sub_f32_e32 v11, v11, v13
	v_add_f32_e32 v11, v11, v12
	v_cvt_i32_f32_e32 v13, v13
	v_exp_f32_e32 v11, v11
	v_cmp_ngt_f32_e64 s[2:3], s10, v3
	s_waitcnt vmcnt(0)
	v_lshlrev_b32_e32 v10, 16, v10
	v_ldexp_f32 v11, v11, v13
	v_cndmask_b32_e64 v11, 0, v11, s[2:3]
	v_cmp_nlt_f32_e64 s[2:3], s11, v3
	v_cndmask_b32_e64 v3, v5, v11, s[2:3]
	v_fma_f32 v3, -s22, v3, v10
	v_bfe_u32 v10, v3, 16, 1
	v_add3_u32 v10, v3, v10, s12
	v_lshrrev_b32_e32 v10, 16, v10
	v_cmp_o_f32_e64 s[2:3], v3, v3
	v_cndmask_b32_e64 v3, v6, v10, s[2:3]
	global_store_short v[8:9], v3, off
	s_andn2_b64 exec, exec, s[8:9]
	s_cbranch_execnz .LBB323_63
.LBB323_64:
	s_or_b64 exec, exec, s[4:5]
	s_mov_b64 s[2:3], 0
.LBB323_65:
	s_andn2_b64 vcc, exec, s[2:3]
	s_cbranch_vccnz .LBB323_93
.LBB323_66:
	s_cmp_lg_u64 s[34:35], 0
	s_cselect_b64 s[4:5], -1, 0
	v_cndmask_b32_e64 v1, 0, 1, s[4:5]
	s_mov_b64 s[2:3], -1
	s_and_b64 vcc, exec, s[0:1]
	v_cmp_ne_u32_e64 s[0:1], 1, v1
	s_cbranch_vccz .LBB323_81
; %bb.67:
	v_mov_b32_e32 v1, 0
	s_and_b64 vcc, exec, s[0:1]
	s_mov_b64 s[36:37], s[18:19]
	s_mov_b64 s[38:39], s[24:25]
	;; [unrolled: 1-line block ×4, first 2 shown]
	s_cbranch_vccnz .LBB323_71
; %bb.68:
	s_lshl_b32 s2, s34, 1
	s_sub_u32 s9, s24, s2
	s_subb_u32 s10, s25, 0
	s_sub_u32 s7, s26, s2
	s_subb_u32 s8, s27, 0
	s_sub_u32 s4, s20, s2
	s_mov_b32 s31, 0
	s_subb_u32 s5, s21, 0
	v_cmp_le_u64_e32 vcc, s[34:35], v[0:1]
	s_and_saveexec_b64 s[2:3], vcc
	s_cbranch_execz .LBB323_70
; %bb.69:
	v_lshlrev_b64 v[2:3], 1, v[0:1]
	v_mov_b32_e32 v5, s8
	v_add_co_u32_e32 v4, vcc, s7, v2
	v_addc_co_u32_e32 v5, vcc, v5, v3, vcc
	global_load_ushort v6, v[4:5], off
	v_mov_b32_e32 v5, s5
	v_add_co_u32_e32 v4, vcc, s4, v2
	v_addc_co_u32_e32 v5, vcc, v5, v3, vcc
	global_load_ushort v4, v[4:5], off
	s_mov_b32 s11, 0x3fb8aa3b
	s_mov_b32 s12, 0xc2ce8ed0
	s_mov_b32 s13, 0x42b17218
	v_mov_b32_e32 v5, 0x7f800000
	s_movk_i32 s14, 0x7fff
	v_mov_b32_e32 v10, s10
	s_waitcnt vmcnt(1)
	v_lshlrev_b32_e32 v6, 16, v6
	v_mul_f32_e32 v7, 0x3fb8aa3b, v6
	v_fma_f32 v8, v6, s11, -v7
	v_rndne_f32_e32 v9, v7
	v_fmac_f32_e32 v8, 0x32a5705f, v6
	v_sub_f32_e32 v7, v7, v9
	v_add_f32_e32 v7, v7, v8
	v_cvt_i32_f32_e32 v9, v9
	v_exp_f32_e32 v7, v7
	v_cmp_ngt_f32_e32 vcc, s12, v6
	s_waitcnt vmcnt(0)
	v_lshlrev_b32_e32 v4, 16, v4
	v_mov_b32_e32 v8, 0x7fc0
	v_ldexp_f32 v7, v7, v9
	v_cndmask_b32_e32 v7, 0, v7, vcc
	v_cmp_nlt_f32_e32 vcc, s13, v6
	v_cndmask_b32_e32 v5, v5, v7, vcc
	v_fma_f32 v4, -s22, v5, v4
	v_bfe_u32 v5, v4, 16, 1
	v_add3_u32 v5, v4, v5, s14
	v_lshrrev_b32_e32 v5, 16, v5
	v_cmp_o_f32_e32 vcc, v4, v4
	v_cndmask_b32_e32 v4, v8, v5, vcc
	v_add_co_u32_e32 v2, vcc, s9, v2
	v_addc_co_u32_e32 v3, vcc, v10, v3, vcc
	global_store_short v[2:3], v4, off
.LBB323_70:
	s_or_b64 exec, exec, s[2:3]
	s_add_u32 s2, s34, s18
	s_addc_u32 s3, 0, s19
	v_pk_mov_b32 v[2:3], s[30:31], s[30:31] op_sel:[0,1]
	v_cmp_lt_i64_e32 vcc, s[2:3], v[2:3]
	s_and_b64 s[12:13], vcc, exec
	s_cselect_b32 s12, s2, s30
	s_cselect_b32 s11, s3, 0
	s_sub_u32 s36, s2, s12
	s_subb_u32 s37, s3, s11
	s_lshl_b32 s2, s30, 1
	s_add_u32 s38, s9, s2
	s_addc_u32 s39, s10, 0
	s_add_u32 s40, s7, s2
	s_addc_u32 s41, s8, 0
	;; [unrolled: 2-line block ×3, first 2 shown]
.LBB323_71:
	s_load_dword s2, s[28:29], 0x0
	v_mov_b32_e32 v2, 0
	s_waitcnt lgkmcnt(0)
	s_cmp_lt_u32 s6, s2
	s_cselect_b32 s2, 12, 18
	s_add_u32 s2, s28, s2
	s_addc_u32 s3, s29, 0
	global_load_ushort v4, v2, s[2:3]
	s_mov_b32 s2, 0
	s_waitcnt vmcnt(0)
	v_readfirstlane_b32 s3, v4
	s_and_b32 s3, 0xffff, s3
	s_lshl_b32 s4, s3, 3
	s_mov_b32 s3, s37
	s_cmp_lg_u64 s[2:3], 0
	s_cbranch_scc0 .LBB323_94
; %bb.72:
	v_cvt_f32_u32_e32 v2, s4
	v_cvt_f32_ubyte0_e32 v3, 0
	s_sub_u32 s5, 0, s4
	s_subb_u32 s7, 0, 0
	v_madmk_f32 v2, v3, 0x4f800000, v2
	v_rcp_f32_e32 v2, v2
	v_mul_f32_e32 v2, 0x5f7ffffc, v2
	v_mul_f32_e32 v3, 0x2f800000, v2
	v_trunc_f32_e32 v3, v3
	v_madmk_f32 v2, v3, 0xcf800000, v2
	v_cvt_u32_f32_e32 v3, v3
	v_cvt_u32_f32_e32 v2, v2
	v_readfirstlane_b32 s8, v3
	v_readfirstlane_b32 s9, v2
	s_mul_i32 s10, s5, s8
	s_mul_hi_u32 s12, s5, s9
	s_mul_i32 s11, s7, s9
	s_add_i32 s10, s12, s10
	s_add_i32 s10, s10, s11
	s_mul_i32 s13, s5, s9
	s_mul_hi_u32 s11, s9, s10
	s_mul_i32 s12, s9, s10
	s_mul_hi_u32 s9, s9, s13
	s_add_u32 s9, s9, s12
	s_addc_u32 s11, 0, s11
	s_mul_hi_u32 s14, s8, s13
	s_mul_i32 s13, s8, s13
	s_add_u32 s9, s9, s13
	s_mul_hi_u32 s12, s8, s10
	s_addc_u32 s9, s11, s14
	s_addc_u32 s11, s12, 0
	s_mul_i32 s10, s8, s10
	s_add_u32 s9, s9, s10
	s_addc_u32 s10, 0, s11
	v_add_co_u32_e32 v2, vcc, s9, v2
	s_cmp_lg_u64 vcc, 0
	s_addc_u32 s8, s8, s10
	v_readfirstlane_b32 s10, v2
	s_mul_i32 s9, s5, s8
	s_mul_hi_u32 s11, s5, s10
	s_add_i32 s9, s11, s9
	s_mul_i32 s7, s7, s10
	s_add_i32 s9, s9, s7
	s_mul_i32 s5, s5, s10
	s_mul_hi_u32 s11, s8, s5
	s_mul_i32 s12, s8, s5
	s_mul_i32 s14, s10, s9
	s_mul_hi_u32 s5, s10, s5
	s_mul_hi_u32 s13, s10, s9
	s_add_u32 s5, s5, s14
	s_addc_u32 s10, 0, s13
	s_add_u32 s5, s5, s12
	s_mul_hi_u32 s7, s8, s9
	s_addc_u32 s5, s10, s11
	s_addc_u32 s7, s7, 0
	s_mul_i32 s9, s8, s9
	s_add_u32 s5, s5, s9
	s_addc_u32 s7, 0, s7
	v_add_co_u32_e32 v2, vcc, s5, v2
	s_cmp_lg_u64 vcc, 0
	s_addc_u32 s5, s8, s7
	s_ashr_i32 s8, s37, 31
	s_add_u32 s10, s36, s8
	s_mov_b32 s9, s8
	s_addc_u32 s11, s37, s8
	s_xor_b64 s[10:11], s[10:11], s[8:9]
	v_readfirstlane_b32 s12, v2
	s_mul_i32 s9, s10, s5
	s_mul_hi_u32 s13, s10, s12
	s_mul_hi_u32 s7, s10, s5
	s_add_u32 s9, s13, s9
	s_addc_u32 s7, 0, s7
	s_mul_hi_u32 s14, s11, s12
	s_mul_i32 s12, s11, s12
	s_add_u32 s9, s9, s12
	s_mul_hi_u32 s13, s11, s5
	s_addc_u32 s7, s7, s14
	s_addc_u32 s9, s13, 0
	s_mul_i32 s5, s11, s5
	s_add_u32 s5, s7, s5
	s_addc_u32 s7, 0, s9
	s_mul_hi_u32 s9, s4, s5
	s_mul_i32 s5, s4, s5
	s_mul_i32 s7, s4, s7
	v_mov_b32_e32 v2, s5
	s_add_i32 s9, s9, s7
	v_sub_co_u32_e32 v2, vcc, s10, v2
	s_cmp_lg_u64 vcc, 0
	s_subb_u32 s5, s11, s9
	v_subrev_co_u32_e32 v3, vcc, s4, v2
	s_cmp_lg_u64 vcc, 0
	s_subb_u32 s7, s5, 0
	v_subrev_co_u32_e32 v5, vcc, s4, v3
	s_cmp_lg_u64 vcc, 0
	s_subb_u32 s9, s7, 0
	v_cmp_le_u32_e32 vcc, s4, v3
	s_cmp_eq_u32 s7, 0
	v_cndmask_b32_e64 v6, 0, -1, vcc
	s_cselect_b64 vcc, -1, 0
	v_cndmask_b32_e32 v6, -1, v6, vcc
	v_mov_b32_e32 v7, s7
	v_mov_b32_e32 v8, s9
	v_cmp_ne_u32_e32 vcc, 0, v6
	v_cndmask_b32_e32 v6, v7, v8, vcc
	v_cndmask_b32_e32 v3, v3, v5, vcc
	v_cmp_le_u32_e32 vcc, s4, v2
	s_cmp_eq_u32 s5, 0
	v_cndmask_b32_e64 v5, 0, -1, vcc
	s_cselect_b64 vcc, -1, 0
	v_cndmask_b32_e32 v5, -1, v5, vcc
	v_cmp_ne_u32_e32 vcc, 0, v5
	v_mov_b32_e32 v7, s5
	v_cndmask_b32_e32 v2, v2, v3, vcc
	v_cndmask_b32_e32 v5, v7, v6, vcc
	v_xor_b32_e32 v2, s8, v2
	v_xor_b32_e32 v3, s8, v5
	v_mov_b32_e32 v5, s8
	v_subrev_co_u32_e32 v2, vcc, s8, v2
	v_subb_co_u32_e32 v3, vcc, v3, v5, vcc
	v_and_b32_e32 v14, 0xffff, v4
	s_cbranch_execnz .LBB323_74
.LBB323_73:
	v_cvt_f32_u32_e32 v2, s4
	s_sub_i32 s2, 0, s4
	v_rcp_iflag_f32_e32 v2, v2
	v_mul_f32_e32 v2, 0x4f7ffffe, v2
	v_cvt_u32_f32_e32 v2, v2
	v_mul_lo_u32 v3, s2, v2
	v_mul_hi_u32 v3, v2, v3
	v_add_u32_e32 v2, v2, v3
	v_mul_hi_u32 v2, s36, v2
	v_mul_lo_u32 v2, v2, s4
	v_sub_u32_e32 v2, s36, v2
	v_subrev_u32_e32 v3, s4, v2
	v_cmp_le_u32_e32 vcc, s4, v2
	v_cndmask_b32_e32 v2, v2, v3, vcc
	v_subrev_u32_e32 v3, s4, v2
	v_cmp_le_u32_e32 vcc, s4, v2
	v_cndmask_b32_e32 v2, v2, v3, vcc
	v_mov_b32_e32 v3, 0
.LBB323_74:
	v_mov_b32_e32 v4, s37
	v_sub_co_u32_e32 v2, vcc, s36, v2
	v_subb_co_u32_e32 v3, vcc, v4, v3, vcc
	v_lshlrev_b64 v[4:5], 3, v[0:1]
	v_cmp_lt_i64_e32 vcc, v[4:5], v[2:3]
	s_and_saveexec_b64 s[44:45], vcc
	s_cbranch_execz .LBB323_77
; %bb.75:
	v_lshlrev_b64 v[4:5], 4, v[0:1]
	s_mov_b32 s23, s22
	v_or_b32_e32 v4, 8, v4
	v_lshlrev_b32_e32 v15, 4, v14
	s_mov_b64 s[46:47], 0
	v_mov_b32_e32 v16, s41
	v_mov_b32_e32 v17, s43
	;; [unrolled: 1-line block ×3, first 2 shown]
	s_mov_b32 s7, 0x3fb8aa3b
	s_mov_b32 s19, 0xc2ce8ed0
	;; [unrolled: 1-line block ×3, first 2 shown]
	v_mov_b32_e32 v19, 0x7f800000
	s_xor_b32 s49, s22, 0x80000000
	s_xor_b32 s48, s22, 0x80000000
	s_movk_i32 s33, 0x7fff
	v_mov_b32_e32 v20, 0x7fc0
	s_mov_b32 s35, 0x5040100
	v_pk_mov_b32 v[6:7], v[0:1], v[0:1] op_sel:[0,1]
.LBB323_76:                             ; =>This Inner Loop Header: Depth=1
	v_add_co_u32_e32 v10, vcc, s40, v4
	v_addc_co_u32_e32 v11, vcc, v16, v5, vcc
	v_add_co_u32_e32 v12, vcc, s42, v4
	v_addc_co_u32_e32 v13, vcc, v17, v5, vcc
	global_load_dwordx4 v[22:25], v[10:11], off offset:-8
	global_load_dwordx4 v[26:29], v[12:13], off offset:-8
	v_add_co_u32_e32 v8, vcc, s38, v4
	v_addc_co_u32_e32 v9, vcc, v18, v5, vcc
	v_add_co_u32_e32 v6, vcc, v6, v14
	v_addc_co_u32_e32 v7, vcc, 0, v7, vcc
	;; [unrolled: 2-line block ×3, first 2 shown]
	v_lshlrev_b64 v[10:11], 3, v[6:7]
	v_cmp_ge_i64_e32 vcc, v[10:11], v[2:3]
	s_or_b64 s[46:47], vcc, s[46:47]
	s_waitcnt vmcnt(1)
	v_lshlrev_b32_e32 v1, 16, v22
	v_and_b32_e32 v21, 0xffff0000, v22
	v_lshlrev_b32_e32 v30, 16, v23
	v_and_b32_e32 v31, 0xffff0000, v23
	s_waitcnt vmcnt(0)
	v_and_b32_e32 v11, 0xffff0000, v27
	v_lshlrev_b32_e32 v10, 16, v27
	v_and_b32_e32 v13, 0xffff0000, v26
	v_lshlrev_b32_e32 v12, 16, v26
	v_lshlrev_b32_e32 v26, 16, v24
	v_and_b32_e32 v27, 0xffff0000, v24
	v_lshlrev_b32_e32 v32, 16, v25
	v_and_b32_e32 v33, 0xffff0000, v25
	v_and_b32_e32 v23, 0xffff0000, v29
	v_lshlrev_b32_e32 v22, 16, v29
	v_and_b32_e32 v25, 0xffff0000, v28
	v_lshlrev_b32_e32 v24, 16, v28
	v_mul_f32_e32 v28, 0x3fb8aa3b, v31
	v_mul_f32_e32 v29, 0x3fb8aa3b, v30
	;; [unrolled: 1-line block ×8, first 2 shown]
	v_fma_f32 v40, v31, s7, -v28
	v_rndne_f32_e32 v41, v28
	v_fma_f32 v42, v30, s7, -v29
	v_rndne_f32_e32 v43, v29
	;; [unrolled: 2-line block ×8, first 2 shown]
	v_fmac_f32_e32 v40, 0x32a5705f, v31
	v_sub_f32_e32 v28, v28, v41
	v_fmac_f32_e32 v42, 0x32a5705f, v30
	v_sub_f32_e32 v29, v29, v43
	;; [unrolled: 2-line block ×8, first 2 shown]
	v_add_f32_e32 v28, v28, v40
	v_add_f32_e32 v29, v29, v42
	v_add_f32_e32 v34, v34, v44
	v_add_f32_e32 v35, v35, v46
	v_add_f32_e32 v36, v36, v48
	v_add_f32_e32 v37, v37, v50
	v_add_f32_e32 v38, v38, v52
	v_add_f32_e32 v39, v39, v54
	v_cvt_i32_f32_e32 v41, v41
	v_cvt_i32_f32_e32 v43, v43
	;; [unrolled: 1-line block ×8, first 2 shown]
	v_exp_f32_e32 v28, v28
	v_exp_f32_e32 v29, v29
	;; [unrolled: 1-line block ×8, first 2 shown]
	v_ldexp_f32 v28, v28, v41
	v_ldexp_f32 v29, v29, v43
	v_cmp_ngt_f32_e32 vcc, s19, v30
	v_ldexp_f32 v34, v34, v45
	v_cmp_ngt_f32_e64 s[2:3], s19, v21
	v_ldexp_f32 v35, v35, v47
	v_cmp_ngt_f32_e64 s[4:5], s19, v1
	v_ldexp_f32 v36, v36, v49
	v_cmp_ngt_f32_e64 s[8:9], s19, v33
	v_ldexp_f32 v37, v37, v51
	v_cmp_ngt_f32_e64 s[10:11], s19, v32
	v_ldexp_f32 v38, v38, v53
	v_cmp_ngt_f32_e64 s[12:13], s19, v27
	v_ldexp_f32 v39, v39, v55
	v_cmp_ngt_f32_e64 s[14:15], s19, v26
	v_cmp_ngt_f32_e64 s[16:17], s19, v31
	v_cndmask_b32_e64 v28, 0, v28, s[16:17]
	v_cndmask_b32_e32 v29, 0, v29, vcc
	v_cmp_nlt_f32_e32 vcc, s31, v30
	v_cndmask_b32_e64 v30, 0, v34, s[2:3]
	v_cmp_nlt_f32_e64 s[2:3], s31, v21
	v_cndmask_b32_e64 v21, 0, v35, s[4:5]
	v_cmp_nlt_f32_e64 s[4:5], s31, v1
	;; [unrolled: 2-line block ×6, first 2 shown]
	v_cmp_nlt_f32_e64 s[16:17], s31, v31
	v_cndmask_b32_e64 v27, v19, v28, s[16:17]
	v_cndmask_b32_e32 v26, v19, v29, vcc
	v_cndmask_b32_e64 v29, v19, v30, s[2:3]
	v_cndmask_b32_e64 v28, v19, v21, s[4:5]
	;; [unrolled: 1-line block ×6, first 2 shown]
	v_pk_fma_f32 v[12:13], s[22:23], v[28:29], v[12:13] neg_lo:[1,0,0] neg_hi:[1,0,0]
	v_pk_fma_f32 v[10:11], s[48:49], v[26:27], v[10:11]
	v_pk_fma_f32 v[24:25], s[22:23], v[32:33], v[24:25] neg_lo:[1,0,0] neg_hi:[1,0,0]
	v_pk_fma_f32 v[22:23], s[48:49], v[30:31], v[22:23]
	v_bfe_u32 v1, v12, 16, 1
	v_bfe_u32 v21, v13, 16, 1
	;; [unrolled: 1-line block ×8, first 2 shown]
	v_add3_u32 v27, v11, v27, s33
	v_add3_u32 v26, v10, v26, s33
	;; [unrolled: 1-line block ×8, first 2 shown]
	v_lshrrev_b32_e32 v1, 16, v1
	v_lshrrev_b32_e32 v21, 16, v21
	;; [unrolled: 1-line block ×4, first 2 shown]
	v_cmp_o_f32_e32 vcc, v13, v13
	v_cmp_o_f32_e64 s[2:3], v10, v10
	v_cmp_o_f32_e64 s[4:5], v11, v11
	v_lshrrev_b32_e32 v10, 16, v28
	v_lshrrev_b32_e32 v11, 16, v29
	;; [unrolled: 1-line block ×4, first 2 shown]
	v_cmp_o_f32_e64 s[8:9], v24, v24
	v_cmp_o_f32_e64 s[10:11], v25, v25
	;; [unrolled: 1-line block ×5, first 2 shown]
	v_cndmask_b32_e64 v1, v20, v1, s[16:17]
	v_cndmask_b32_e32 v21, v20, v21, vcc
	v_cndmask_b32_e64 v22, v20, v26, s[2:3]
	v_cndmask_b32_e64 v23, v20, v27, s[4:5]
	;; [unrolled: 1-line block ×6, first 2 shown]
	v_perm_b32 v13, v13, v12, s35
	v_perm_b32 v12, v11, v10, s35
	;; [unrolled: 1-line block ×4, first 2 shown]
	global_store_dwordx4 v[8:9], v[10:13], off offset:-8
	s_andn2_b64 exec, exec, s[46:47]
	s_cbranch_execnz .LBB323_76
.LBB323_77:
	s_or_b64 exec, exec, s[44:45]
	v_add_co_u32_e32 v2, vcc, v2, v0
	v_addc_co_u32_e32 v3, vcc, 0, v3, vcc
	v_cmp_gt_i64_e32 vcc, s[36:37], v[2:3]
	s_and_saveexec_b64 s[2:3], vcc
	s_cbranch_execz .LBB323_80
; %bb.78:
	v_lshlrev_b64 v[4:5], 1, v[2:3]
	v_lshlrev_b32_e32 v1, 1, v14
	s_mov_b64 s[4:5], 0
	v_mov_b32_e32 v6, s43
	v_mov_b32_e32 v7, s41
	s_mov_b32 s7, 0x3fb8aa3b
	s_mov_b32 s8, 0xc2ce8ed0
	;; [unrolled: 1-line block ×3, first 2 shown]
	v_mov_b32_e32 v8, 0x7f800000
	s_movk_i32 s10, 0x7fff
	v_mov_b32_e32 v9, 0x7fc0
	v_mov_b32_e32 v10, s39
.LBB323_79:                             ; =>This Inner Loop Header: Depth=1
	v_add_co_u32_e32 v12, vcc, s42, v4
	v_addc_co_u32_e32 v13, vcc, v6, v5, vcc
	v_add_co_u32_e32 v16, vcc, s40, v4
	v_addc_co_u32_e32 v17, vcc, v7, v5, vcc
	global_load_ushort v11, v[16:17], off
	global_load_ushort v15, v[12:13], off
	v_add_co_u32_e32 v12, vcc, s38, v4
	v_addc_co_u32_e32 v13, vcc, v10, v5, vcc
	v_add_co_u32_e32 v2, vcc, v2, v14
	v_addc_co_u32_e32 v3, vcc, 0, v3, vcc
	;; [unrolled: 2-line block ×3, first 2 shown]
	v_cmp_le_i64_e32 vcc, s[36:37], v[2:3]
	s_or_b64 s[4:5], vcc, s[4:5]
	s_waitcnt vmcnt(1)
	v_lshlrev_b32_e32 v11, 16, v11
	v_mul_f32_e32 v16, 0x3fb8aa3b, v11
	v_fma_f32 v17, v11, s7, -v16
	v_rndne_f32_e32 v18, v16
	v_fmac_f32_e32 v17, 0x32a5705f, v11
	v_sub_f32_e32 v16, v16, v18
	v_add_f32_e32 v16, v16, v17
	v_cvt_i32_f32_e32 v18, v18
	v_exp_f32_e32 v16, v16
	v_cmp_ngt_f32_e32 vcc, s8, v11
	s_waitcnt vmcnt(0)
	v_lshlrev_b32_e32 v15, 16, v15
	v_ldexp_f32 v16, v16, v18
	v_cndmask_b32_e32 v16, 0, v16, vcc
	v_cmp_nlt_f32_e32 vcc, s9, v11
	v_cndmask_b32_e32 v11, v8, v16, vcc
	v_fma_f32 v11, -s22, v11, v15
	v_bfe_u32 v15, v11, 16, 1
	v_add3_u32 v15, v11, v15, s10
	v_lshrrev_b32_e32 v15, 16, v15
	v_cmp_o_f32_e32 vcc, v11, v11
	v_cndmask_b32_e32 v11, v9, v15, vcc
	global_store_short v[12:13], v11, off
	s_andn2_b64 exec, exec, s[4:5]
	s_cbranch_execnz .LBB323_79
.LBB323_80:
	s_or_b64 exec, exec, s[2:3]
	s_mov_b64 s[2:3], 0
.LBB323_81:
	s_and_b64 vcc, exec, s[2:3]
	s_cbranch_vccz .LBB323_93
; %bb.82:
	s_and_b64 vcc, exec, s[0:1]
	s_cbranch_vccnz .LBB323_86
; %bb.83:
	s_lshl_b32 s0, s34, 1
	s_sub_u32 s7, s24, s0
	s_subb_u32 s8, s25, 0
	s_sub_u32 s4, s26, s0
	s_subb_u32 s5, s27, 0
	;; [unrolled: 2-line block ×3, first 2 shown]
	v_cmp_le_u32_e32 vcc, s34, v0
	s_and_saveexec_b64 s[0:1], vcc
	s_cbranch_execz .LBB323_85
; %bb.84:
	v_mov_b32_e32 v1, 0
	v_lshlrev_b64 v[2:3], 1, v[0:1]
	v_mov_b32_e32 v1, s5
	v_add_co_u32_e32 v4, vcc, s4, v2
	v_addc_co_u32_e32 v5, vcc, v1, v3, vcc
	global_load_ushort v1, v[4:5], off
	v_mov_b32_e32 v5, s3
	v_add_co_u32_e32 v4, vcc, s2, v2
	v_addc_co_u32_e32 v5, vcc, v5, v3, vcc
	global_load_ushort v4, v[4:5], off
	s_mov_b32 s9, 0x3fb8aa3b
	s_mov_b32 s10, 0xc2ce8ed0
	;; [unrolled: 1-line block ×3, first 2 shown]
	v_mov_b32_e32 v5, 0x7f800000
	s_movk_i32 s12, 0x7fff
	v_mov_b32_e32 v9, s8
	s_waitcnt vmcnt(1)
	v_lshlrev_b32_e32 v1, 16, v1
	v_mul_f32_e32 v6, 0x3fb8aa3b, v1
	v_fma_f32 v7, v1, s9, -v6
	v_rndne_f32_e32 v8, v6
	v_fmac_f32_e32 v7, 0x32a5705f, v1
	v_sub_f32_e32 v6, v6, v8
	v_add_f32_e32 v6, v6, v7
	v_cvt_i32_f32_e32 v8, v8
	v_exp_f32_e32 v6, v6
	v_cmp_ngt_f32_e32 vcc, s10, v1
	s_waitcnt vmcnt(0)
	v_lshlrev_b32_e32 v4, 16, v4
	v_mov_b32_e32 v7, 0x7fc0
	v_ldexp_f32 v6, v6, v8
	v_cndmask_b32_e32 v6, 0, v6, vcc
	v_cmp_nlt_f32_e32 vcc, s11, v1
	v_cndmask_b32_e32 v1, v5, v6, vcc
	v_fma_f32 v1, -s22, v1, v4
	v_bfe_u32 v4, v1, 16, 1
	v_add3_u32 v4, v1, v4, s12
	v_lshrrev_b32_e32 v4, 16, v4
	v_cmp_o_f32_e32 vcc, v1, v1
	v_cndmask_b32_e32 v1, v7, v4, vcc
	v_add_co_u32_e32 v2, vcc, s7, v2
	v_addc_co_u32_e32 v3, vcc, v9, v3, vcc
	global_store_short v[2:3], v1, off
.LBB323_85:
	s_or_b64 exec, exec, s[0:1]
	s_add_i32 s0, s34, s18
	v_mov_b32_e32 v1, s30
	v_sub_u32_e64 v1, s0, v1 clamp
	s_lshl_b32 s0, s30, 1
	s_add_u32 s24, s7, s0
	s_addc_u32 s25, s8, 0
	s_add_u32 s26, s4, s0
	s_addc_u32 s27, s5, 0
	s_add_u32 s20, s2, s0
	v_readfirstlane_b32 s18, v1
	s_addc_u32 s21, s3, 0
.LBB323_86:
	s_load_dword s0, s[28:29], 0x0
	v_mov_b32_e32 v1, 0
	s_waitcnt lgkmcnt(0)
	s_cmp_lt_u32 s6, s0
	s_cselect_b32 s0, 12, 18
	s_add_u32 s0, s28, s0
	s_addc_u32 s1, s29, 0
	global_load_ushort v14, v1, s[0:1]
	s_waitcnt vmcnt(0)
	v_readfirstlane_b32 s0, v14
	s_lshl_b32 s0, s0, 3
	v_cvt_f32_u32_e32 v1, s0
	s_sub_i32 s1, 0, s0
	v_rcp_iflag_f32_e32 v1, v1
	v_mul_f32_e32 v1, 0x4f7ffffe, v1
	v_cvt_u32_f32_e32 v1, v1
	v_readfirstlane_b32 s2, v1
	s_mul_i32 s1, s1, s2
	s_mul_hi_u32 s1, s2, s1
	s_add_i32 s2, s2, s1
	s_mul_hi_u32 s1, s18, s2
	s_mul_i32 s1, s1, s0
	s_sub_i32 s1, s18, s1
	s_sub_i32 s2, s1, s0
	s_cmp_ge_u32 s1, s0
	s_cselect_b32 s1, s2, s1
	s_sub_i32 s2, s1, s0
	s_cmp_ge_u32 s1, s0
	s_cselect_b32 s0, s2, s1
	s_sub_i32 s6, s18, s0
	v_lshlrev_b32_e32 v1, 3, v0
	v_cmp_gt_i32_e32 vcc, s6, v1
	s_and_saveexec_b64 s[0:1], vcc
	s_cbranch_execz .LBB323_89
; %bb.87:
	s_mov_b32 s23, s22
	s_mov_b64 s[2:3], 0
	v_mov_b32_e32 v1, s27
	v_mov_b32_e32 v15, s21
	;; [unrolled: 1-line block ×3, first 2 shown]
	s_mov_b32 s7, 0x3fb8aa3b
	s_mov_b32 s8, 0xc2ce8ed0
	;; [unrolled: 1-line block ×3, first 2 shown]
	v_mov_b32_e32 v17, 0x7f800000
	s_xor_b32 s5, s22, 0x80000000
	s_xor_b32 s4, s22, 0x80000000
	s_movk_i32 s10, 0x7fff
	v_mov_b32_e32 v18, 0x7fc0
	s_mov_b32 s11, 0x5040100
	v_mov_b32_e32 v10, v0
.LBB323_88:                             ; =>This Inner Loop Header: Depth=1
	v_ashrrev_i32_e32 v11, 31, v10
	v_lshlrev_b64 v[12:13], 4, v[10:11]
	v_add_co_u32_e32 v2, vcc, s26, v12
	v_addc_co_u32_e32 v3, vcc, v1, v13, vcc
	global_load_dwordx4 v[6:9], v[2:3], off
	v_add_co_u32_e32 v2, vcc, s20, v12
	v_addc_co_u32_e32 v3, vcc, v15, v13, vcc
	global_load_dwordx4 v[2:5], v[2:3], off
	v_add_co_u32_e32 v12, vcc, s24, v12
	v_addc_co_u32_e32 v13, vcc, v16, v13, vcc
	v_add_u32_e32 v10, v10, v14
	s_waitcnt vmcnt(1)
	v_and_b32_e32 v21, 0xffff0000, v7
	v_lshlrev_b32_e32 v20, 16, v7
	v_mul_f32_e32 v22, 0x3fb8aa3b, v21
	v_and_b32_e32 v19, 0xffff0000, v6
	v_mul_f32_e32 v23, 0x3fb8aa3b, v20
	v_fma_f32 v28, v21, s7, -v22
	v_rndne_f32_e32 v29, v22
	v_lshlrev_b32_e32 v11, 16, v6
	v_mul_f32_e32 v25, 0x3fb8aa3b, v19
	v_fma_f32 v30, v20, s7, -v23
	v_rndne_f32_e32 v31, v23
	v_fmac_f32_e32 v28, 0x32a5705f, v21
	v_sub_f32_e32 v22, v22, v29
	v_mul_f32_e32 v26, 0x3fb8aa3b, v11
	v_fma_f32 v32, v19, s7, -v25
	v_rndne_f32_e32 v33, v25
	v_fmac_f32_e32 v30, 0x32a5705f, v20
	v_sub_f32_e32 v23, v23, v31
	v_add_f32_e32 v22, v22, v28
	v_fma_f32 v34, v11, s7, -v26
	v_rndne_f32_e32 v35, v26
	v_cvt_i32_f32_e32 v29, v29
	v_fmac_f32_e32 v32, 0x32a5705f, v19
	v_sub_f32_e32 v25, v25, v33
	v_add_f32_e32 v23, v23, v30
	v_exp_f32_e32 v22, v22
	v_cvt_i32_f32_e32 v31, v31
	v_fmac_f32_e32 v34, 0x32a5705f, v11
	v_sub_f32_e32 v26, v26, v35
	v_add_f32_e32 v25, v25, v32
	v_exp_f32_e32 v23, v23
	v_cvt_i32_f32_e32 v33, v33
	v_add_f32_e32 v26, v26, v34
	v_exp_f32_e32 v25, v25
	v_cvt_i32_f32_e32 v35, v35
	v_exp_f32_e32 v26, v26
	v_ldexp_f32 v22, v22, v29
	v_cmp_ngt_f32_e32 vcc, s8, v21
	v_ldexp_f32 v23, v23, v31
	v_cndmask_b32_e32 v22, 0, v22, vcc
	v_cmp_ngt_f32_e32 vcc, s8, v20
	v_ldexp_f32 v25, v25, v33
	v_cndmask_b32_e32 v23, 0, v23, vcc
	;; [unrolled: 3-line block ×3, first 2 shown]
	v_cmp_ngt_f32_e32 vcc, s8, v11
	v_cndmask_b32_e32 v26, 0, v26, vcc
	v_cmp_nlt_f32_e32 vcc, s9, v21
	v_cndmask_b32_e32 v21, v17, v22, vcc
	v_cmp_nlt_f32_e32 vcc, s9, v20
	;; [unrolled: 2-line block ×4, first 2 shown]
	s_waitcnt vmcnt(0)
	v_and_b32_e32 v7, 0xffff0000, v3
	v_lshlrev_b32_e32 v6, 16, v3
	v_and_b32_e32 v3, 0xffff0000, v2
	v_lshlrev_b32_e32 v2, 16, v2
	v_cndmask_b32_e32 v22, v17, v26, vcc
	v_pk_fma_f32 v[2:3], s[22:23], v[22:23], v[2:3] neg_lo:[1,0,0] neg_hi:[1,0,0]
	v_bfe_u32 v11, v2, 16, 1
	v_and_b32_e32 v24, 0xffff0000, v9
	v_bfe_u32 v19, v3, 16, 1
	v_add3_u32 v11, v2, v11, s10
	v_mul_f32_e32 v27, 0x3fb8aa3b, v24
	v_pk_fma_f32 v[6:7], s[4:5], v[20:21], v[6:7]
	v_add3_u32 v19, v3, v19, s10
	v_lshrrev_b32_e32 v11, 16, v11
	v_cmp_o_f32_e32 vcc, v2, v2
	v_bfe_u32 v20, v6, 16, 1
	v_lshrrev_b32_e32 v19, 16, v19
	v_cndmask_b32_e32 v11, v18, v11, vcc
	v_cmp_o_f32_e32 vcc, v3, v3
	v_fma_f32 v2, v24, s7, -v27
	v_rndne_f32_e32 v3, v27
	v_add3_u32 v20, v6, v20, s10
	v_cndmask_b32_e32 v19, v18, v19, vcc
	v_cmp_o_f32_e32 vcc, v6, v6
	v_fmac_f32_e32 v2, 0x32a5705f, v24
	v_sub_f32_e32 v6, v27, v3
	v_add_f32_e32 v2, v6, v2
	v_exp_f32_e32 v2, v2
	v_cvt_i32_f32_e32 v3, v3
	v_bfe_u32 v21, v7, 16, 1
	v_lshrrev_b32_e32 v20, 16, v20
	v_add3_u32 v21, v7, v21, s10
	v_cndmask_b32_e32 v20, v18, v20, vcc
	v_cmp_o_f32_e32 vcc, v7, v7
	v_lshlrev_b32_e32 v6, 16, v8
	v_and_b32_e32 v7, 0xffff0000, v8
	v_lshlrev_b32_e32 v8, 16, v9
	v_ldexp_f32 v2, v2, v3
	v_mul_f32_e32 v3, 0x3fb8aa3b, v8
	v_fma_f32 v9, v8, s7, -v3
	v_rndne_f32_e32 v22, v3
	v_fmac_f32_e32 v9, 0x32a5705f, v8
	v_sub_f32_e32 v3, v3, v22
	v_add_f32_e32 v3, v3, v9
	v_exp_f32_e32 v9, v3
	v_cvt_i32_f32_e32 v22, v22
	v_lshrrev_b32_e32 v21, 16, v21
	v_cndmask_b32_e32 v21, v18, v21, vcc
	v_cmp_ngt_f32_e32 vcc, s8, v24
	v_cndmask_b32_e32 v2, 0, v2, vcc
	v_cmp_nlt_f32_e32 vcc, s9, v24
	v_cndmask_b32_e32 v3, v17, v2, vcc
	v_ldexp_f32 v2, v9, v22
	v_mul_f32_e32 v9, 0x3fb8aa3b, v7
	v_fma_f32 v22, v7, s7, -v9
	v_rndne_f32_e32 v23, v9
	v_fmac_f32_e32 v22, 0x32a5705f, v7
	v_sub_f32_e32 v9, v9, v23
	v_add_f32_e32 v9, v9, v22
	v_exp_f32_e32 v9, v9
	v_cvt_i32_f32_e32 v22, v23
	v_cmp_ngt_f32_e32 vcc, s8, v8
	v_cndmask_b32_e32 v2, 0, v2, vcc
	v_cmp_nlt_f32_e32 vcc, s9, v8
	v_ldexp_f32 v8, v9, v22
	v_mul_f32_e32 v9, 0x3fb8aa3b, v6
	v_fma_f32 v22, v6, s7, -v9
	v_rndne_f32_e32 v23, v9
	v_fmac_f32_e32 v22, 0x32a5705f, v6
	v_sub_f32_e32 v9, v9, v23
	v_add_f32_e32 v9, v9, v22
	v_exp_f32_e32 v9, v9
	v_cvt_i32_f32_e32 v22, v23
	v_cndmask_b32_e32 v2, v17, v2, vcc
	v_cmp_ngt_f32_e32 vcc, s8, v7
	v_cndmask_b32_e32 v8, 0, v8, vcc
	v_cmp_nlt_f32_e32 vcc, s9, v7
	v_cndmask_b32_e32 v7, v17, v8, vcc
	v_ldexp_f32 v8, v9, v22
	v_cmp_ngt_f32_e32 vcc, s8, v6
	v_cndmask_b32_e32 v8, 0, v8, vcc
	v_cmp_nlt_f32_e32 vcc, s9, v6
	v_cndmask_b32_e32 v6, v17, v8, vcc
	v_and_b32_e32 v9, 0xffff0000, v5
	v_lshlrev_b32_e32 v8, 16, v5
	v_and_b32_e32 v5, 0xffff0000, v4
	v_lshlrev_b32_e32 v4, 16, v4
	v_pk_fma_f32 v[4:5], s[22:23], v[6:7], v[4:5] neg_lo:[1,0,0] neg_hi:[1,0,0]
	v_bfe_u32 v6, v4, 16, 1
	v_pk_fma_f32 v[2:3], s[4:5], v[2:3], v[8:9]
	v_bfe_u32 v7, v5, 16, 1
	v_add3_u32 v6, v4, v6, s10
	v_bfe_u32 v8, v2, 16, 1
	v_add3_u32 v7, v5, v7, s10
	v_lshrrev_b32_e32 v6, 16, v6
	v_cmp_o_f32_e32 vcc, v4, v4
	v_bfe_u32 v9, v3, 16, 1
	v_add3_u32 v8, v2, v8, s10
	v_lshrrev_b32_e32 v7, 16, v7
	v_cndmask_b32_e32 v4, v18, v6, vcc
	v_cmp_o_f32_e32 vcc, v5, v5
	v_add3_u32 v9, v3, v9, s10
	v_lshrrev_b32_e32 v8, 16, v8
	v_cndmask_b32_e32 v6, v18, v7, vcc
	v_cmp_o_f32_e32 vcc, v2, v2
	v_lshrrev_b32_e32 v9, 16, v9
	v_cndmask_b32_e32 v2, v18, v8, vcc
	v_cmp_o_f32_e32 vcc, v3, v3
	v_perm_b32 v4, v6, v4, s11
	v_lshlrev_b32_e32 v6, 3, v10
	v_cndmask_b32_e32 v3, v18, v9, vcc
	v_cmp_le_i32_e32 vcc, s6, v6
	v_perm_b32 v5, v3, v2, s11
	v_perm_b32 v3, v21, v20, s11
	;; [unrolled: 1-line block ×3, first 2 shown]
	s_or_b64 s[2:3], vcc, s[2:3]
	global_store_dwordx4 v[12:13], v[2:5], off
	s_andn2_b64 exec, exec, s[2:3]
	s_cbranch_execnz .LBB323_88
.LBB323_89:
	s_or_b64 exec, exec, s[0:1]
	v_add_u32_e32 v0, s6, v0
	v_cmp_gt_i32_e32 vcc, s18, v0
	s_and_saveexec_b64 s[0:1], vcc
	s_cbranch_execz .LBB323_93
; %bb.90:
	s_mov_b64 s[2:3], 0
	v_mov_b32_e32 v2, s21
	v_mov_b32_e32 v3, s27
	s_mov_b32 s4, 0x3fb8aa3b
	s_mov_b32 s5, 0xc2ce8ed0
	s_mov_b32 s6, 0x42b17218
	v_mov_b32_e32 v4, 0x7f800000
	s_movk_i32 s7, 0x7fff
	v_mov_b32_e32 v5, 0x7fc0
	v_mov_b32_e32 v6, s25
.LBB323_91:                             ; =>This Inner Loop Header: Depth=1
	v_ashrrev_i32_e32 v1, 31, v0
	v_lshlrev_b64 v[8:9], 1, v[0:1]
	v_add_co_u32_e32 v10, vcc, s26, v8
	v_addc_co_u32_e32 v11, vcc, v3, v9, vcc
	global_load_ushort v1, v[10:11], off
	v_add_co_u32_e32 v10, vcc, s20, v8
	v_addc_co_u32_e32 v11, vcc, v2, v9, vcc
	global_load_ushort v7, v[10:11], off
	v_add_co_u32_e32 v8, vcc, s24, v8
	v_add_u32_e32 v0, v0, v14
	v_addc_co_u32_e32 v9, vcc, v6, v9, vcc
	v_cmp_le_i32_e32 vcc, s18, v0
	s_or_b64 s[2:3], vcc, s[2:3]
	s_waitcnt vmcnt(1)
	v_lshlrev_b32_e32 v1, 16, v1
	v_mul_f32_e32 v10, 0x3fb8aa3b, v1
	v_fma_f32 v11, v1, s4, -v10
	v_rndne_f32_e32 v12, v10
	v_fmac_f32_e32 v11, 0x32a5705f, v1
	v_sub_f32_e32 v10, v10, v12
	v_add_f32_e32 v10, v10, v11
	v_cvt_i32_f32_e32 v12, v12
	v_exp_f32_e32 v10, v10
	v_cmp_ngt_f32_e64 s[0:1], s5, v1
	s_waitcnt vmcnt(0)
	v_lshlrev_b32_e32 v7, 16, v7
	v_ldexp_f32 v10, v10, v12
	v_cndmask_b32_e64 v10, 0, v10, s[0:1]
	v_cmp_nlt_f32_e64 s[0:1], s6, v1
	v_cndmask_b32_e64 v1, v4, v10, s[0:1]
	v_fma_f32 v1, -s22, v1, v7
	v_bfe_u32 v7, v1, 16, 1
	v_add3_u32 v7, v1, v7, s7
	v_lshrrev_b32_e32 v7, 16, v7
	v_cmp_o_f32_e64 s[0:1], v1, v1
	v_cndmask_b32_e64 v1, v5, v7, s[0:1]
	global_store_short v[8:9], v1, off
	s_andn2_b64 exec, exec, s[2:3]
	s_cbranch_execnz .LBB323_91
	s_branch .LBB323_93
.LBB323_92:
	s_cbranch_execz .LBB323_66
.LBB323_93:
	s_endpgm
.LBB323_94:
                                        ; implicit-def: $vgpr2_vgpr3
	v_and_b32_e32 v14, 0xffff, v4
	s_branch .LBB323_73
	.section	.rodata,"a",@progbits
	.p2align	6, 0x0
	.amdhsa_kernel _ZN2at6native12_GLOBAL__N_120cunn_SoftMaxBackwardILi8EN3c108BFloat16EfS4_NS1_26LogSoftMaxBackwardEpilogueEEEvPT0_PKT2_SA_l
		.amdhsa_group_segment_fixed_size 0
		.amdhsa_private_segment_fixed_size 0
		.amdhsa_kernarg_size 288
		.amdhsa_user_sgpr_count 6
		.amdhsa_user_sgpr_private_segment_buffer 1
		.amdhsa_user_sgpr_dispatch_ptr 0
		.amdhsa_user_sgpr_queue_ptr 0
		.amdhsa_user_sgpr_kernarg_segment_ptr 1
		.amdhsa_user_sgpr_dispatch_id 0
		.amdhsa_user_sgpr_flat_scratch_init 0
		.amdhsa_user_sgpr_kernarg_preload_length 0
		.amdhsa_user_sgpr_kernarg_preload_offset 0
		.amdhsa_user_sgpr_private_segment_size 0
		.amdhsa_uses_dynamic_stack 0
		.amdhsa_system_sgpr_private_segment_wavefront_offset 0
		.amdhsa_system_sgpr_workgroup_id_x 1
		.amdhsa_system_sgpr_workgroup_id_y 0
		.amdhsa_system_sgpr_workgroup_id_z 0
		.amdhsa_system_sgpr_workgroup_info 0
		.amdhsa_system_vgpr_workitem_id 0
		.amdhsa_next_free_vgpr 64
		.amdhsa_next_free_sgpr 50
		.amdhsa_accum_offset 64
		.amdhsa_reserve_vcc 1
		.amdhsa_reserve_flat_scratch 0
		.amdhsa_float_round_mode_32 0
		.amdhsa_float_round_mode_16_64 0
		.amdhsa_float_denorm_mode_32 3
		.amdhsa_float_denorm_mode_16_64 3
		.amdhsa_dx10_clamp 1
		.amdhsa_ieee_mode 1
		.amdhsa_fp16_overflow 0
		.amdhsa_tg_split 0
		.amdhsa_exception_fp_ieee_invalid_op 0
		.amdhsa_exception_fp_denorm_src 0
		.amdhsa_exception_fp_ieee_div_zero 0
		.amdhsa_exception_fp_ieee_overflow 0
		.amdhsa_exception_fp_ieee_underflow 0
		.amdhsa_exception_fp_ieee_inexact 0
		.amdhsa_exception_int_div_zero 0
	.end_amdhsa_kernel
	.section	.text._ZN2at6native12_GLOBAL__N_120cunn_SoftMaxBackwardILi8EN3c108BFloat16EfS4_NS1_26LogSoftMaxBackwardEpilogueEEEvPT0_PKT2_SA_l,"axG",@progbits,_ZN2at6native12_GLOBAL__N_120cunn_SoftMaxBackwardILi8EN3c108BFloat16EfS4_NS1_26LogSoftMaxBackwardEpilogueEEEvPT0_PKT2_SA_l,comdat
.Lfunc_end323:
	.size	_ZN2at6native12_GLOBAL__N_120cunn_SoftMaxBackwardILi8EN3c108BFloat16EfS4_NS1_26LogSoftMaxBackwardEpilogueEEEvPT0_PKT2_SA_l, .Lfunc_end323-_ZN2at6native12_GLOBAL__N_120cunn_SoftMaxBackwardILi8EN3c108BFloat16EfS4_NS1_26LogSoftMaxBackwardEpilogueEEEvPT0_PKT2_SA_l
                                        ; -- End function
	.section	.AMDGPU.csdata,"",@progbits
; Kernel info:
; codeLenInByte = 11680
; NumSgprs: 54
; NumVgprs: 64
; NumAgprs: 0
; TotalNumVgprs: 64
; ScratchSize: 0
; MemoryBound: 0
; FloatMode: 240
; IeeeMode: 1
; LDSByteSize: 0 bytes/workgroup (compile time only)
; SGPRBlocks: 6
; VGPRBlocks: 7
; NumSGPRsForWavesPerEU: 54
; NumVGPRsForWavesPerEU: 64
; AccumOffset: 64
; Occupancy: 8
; WaveLimiterHint : 0
; COMPUTE_PGM_RSRC2:SCRATCH_EN: 0
; COMPUTE_PGM_RSRC2:USER_SGPR: 6
; COMPUTE_PGM_RSRC2:TRAP_HANDLER: 0
; COMPUTE_PGM_RSRC2:TGID_X_EN: 1
; COMPUTE_PGM_RSRC2:TGID_Y_EN: 0
; COMPUTE_PGM_RSRC2:TGID_Z_EN: 0
; COMPUTE_PGM_RSRC2:TIDIG_COMP_CNT: 0
; COMPUTE_PGM_RSRC3_GFX90A:ACCUM_OFFSET: 15
; COMPUTE_PGM_RSRC3_GFX90A:TG_SPLIT: 0
	.section	.text._ZN12_GLOBAL__N_121softmax_warp_backwardIfN3c108BFloat16EfLi0ELb1ELb0ELi64EEEvPT0_PKT_S7_iiiPKb,"axG",@progbits,_ZN12_GLOBAL__N_121softmax_warp_backwardIfN3c108BFloat16EfLi0ELb1ELb0ELi64EEEvPT0_PKT_S7_iiiPKb,comdat
	.globl	_ZN12_GLOBAL__N_121softmax_warp_backwardIfN3c108BFloat16EfLi0ELb1ELb0ELi64EEEvPT0_PKT_S7_iiiPKb ; -- Begin function _ZN12_GLOBAL__N_121softmax_warp_backwardIfN3c108BFloat16EfLi0ELb1ELb0ELi64EEEvPT0_PKT_S7_iiiPKb
	.p2align	8
	.type	_ZN12_GLOBAL__N_121softmax_warp_backwardIfN3c108BFloat16EfLi0ELb1ELb0ELi64EEEvPT0_PKT_S7_iiiPKb,@function
_ZN12_GLOBAL__N_121softmax_warp_backwardIfN3c108BFloat16EfLi0ELb1ELb0ELi64EEEvPT0_PKT_S7_iiiPKb: ; @_ZN12_GLOBAL__N_121softmax_warp_backwardIfN3c108BFloat16EfLi0ELb1ELb0ELi64EEEvPT0_PKT_S7_iiiPKb
; %bb.0:
	s_load_dword s2, s[4:5], 0x3c
	s_load_dwordx4 s[8:11], s[4:5], 0x18
	s_load_dwordx4 s[12:15], s[4:5], 0x0
	s_load_dwordx2 s[0:1], s[4:5], 0x10
	v_bfe_u32 v0, v0, 10, 10
	s_waitcnt lgkmcnt(0)
	s_lshr_b32 s2, s2, 16
	s_mul_i32 s6, s6, s2
	v_add_lshl_u32 v0, s6, v0, 1
	v_sub_u32_e32 v7, s8, v0
	v_mul_lo_u32 v0, v0, s9
	v_ashrrev_i32_e32 v1, 31, v0
	v_lshlrev_b64 v[4:5], 2, v[0:1]
	v_mov_b32_e32 v3, s15
	v_add_co_u32_e32 v2, vcc, s14, v4
	v_addc_co_u32_e32 v3, vcc, v3, v5, vcc
	v_mov_b32_e32 v6, s1
	v_add_co_u32_e32 v4, vcc, s0, v4
	v_addc_co_u32_e32 v5, vcc, v6, v5, vcc
	s_cmp_gt_i32 s10, 0
	s_cselect_b64 s[2:3], -1, 0
	v_cmp_lt_i32_e32 vcc, 0, v7
	s_and_b64 s[4:5], s[2:3], vcc
	v_mov_b32_e32 v6, 0
	v_mov_b32_e32 v9, 0
	;; [unrolled: 1-line block ×3, first 2 shown]
	s_and_saveexec_b64 s[0:1], s[4:5]
	s_cbranch_execz .LBB324_2
; %bb.1:
	global_load_dword v9, v[2:3], off
	global_load_dword v10, v[4:5], off
.LBB324_2:
	s_or_b64 exec, exec, s[0:1]
	v_cmp_lt_i32_e64 s[0:1], 1, v7
	s_and_b64 s[0:1], s[2:3], s[0:1]
	s_mov_b32 s11, 0
	v_mov_b32_e32 v8, 0
	s_and_saveexec_b64 s[4:5], s[0:1]
	s_cbranch_execz .LBB324_4
; %bb.3:
	s_lshl_b64 s[6:7], s[10:11], 2
	v_mov_b32_e32 v8, s7
	v_add_co_u32_e64 v2, s[0:1], s6, v2
	v_addc_co_u32_e64 v3, s[0:1], v3, v8, s[0:1]
	global_load_dword v6, v[2:3], off
	v_add_co_u32_e64 v2, s[0:1], s6, v4
	v_addc_co_u32_e64 v3, s[0:1], v5, v8, s[0:1]
	global_load_dword v8, v[2:3], off
.LBB324_4:
	s_or_b64 exec, exec, s[4:5]
	s_and_saveexec_b64 s[0:1], vcc
	s_cbranch_execz .LBB324_10
; %bb.5:
	v_lshlrev_b64 v[0:1], 1, v[0:1]
	v_mov_b32_e32 v2, s13
	v_cndmask_b32_e64 v3, 0, 1, s[2:3]
	s_andn2_b64 vcc, exec, s[2:3]
	v_add_co_u32_e64 v0, s[2:3], s12, v0
	v_cmp_ne_u32_e64 s[0:1], 1, v3
	v_addc_co_u32_e64 v1, s[2:3], v2, v1, s[2:3]
	s_cbranch_vccnz .LBB324_7
; %bb.6:
	s_waitcnt vmcnt(0)
	v_mul_f32_e32 v2, 0x3fb8aa3b, v10
	s_mov_b32 s2, 0x3fb8aa3b
	v_rndne_f32_e32 v3, v2
	v_sub_f32_e32 v4, v2, v3
	v_fma_f32 v2, v10, s2, -v2
	v_fmac_f32_e32 v2, 0x32a5705f, v10
	v_add_f32_e32 v2, v4, v2
	v_exp_f32_e32 v2, v2
	v_cvt_i32_f32_e32 v3, v3
	s_mov_b32 s2, 0xc2ce8ed0
	v_cmp_ngt_f32_e32 vcc, s2, v10
	s_mov_b32 s2, 0x42b17218
	v_ldexp_f32 v2, v2, v3
	v_cndmask_b32_e32 v2, 0, v2, vcc
	v_mov_b32_e32 v3, 0x7f800000
	v_cmp_nlt_f32_e32 vcc, s2, v10
	v_cndmask_b32_e32 v2, v3, v2, vcc
	v_add_f32_e32 v3, 0, v9
	v_fma_f32 v2, -v3, v2, v9
	v_bfe_u32 v3, v2, 16, 1
	s_movk_i32 s2, 0x7fff
	v_add3_u32 v3, v2, v3, s2
	v_lshrrev_b32_e32 v3, 16, v3
	v_mov_b32_e32 v4, 0x7fc0
	v_cmp_o_f32_e32 vcc, v2, v2
	v_cndmask_b32_e32 v2, v4, v3, vcc
	global_store_short v[0:1], v2, off
.LBB324_7:
	v_cmp_ne_u32_e32 vcc, 1, v7
	s_and_b64 exec, exec, vcc
	s_cbranch_execz .LBB324_10
; %bb.8:
	s_and_b64 vcc, exec, s[0:1]
	s_cbranch_vccnz .LBB324_10
; %bb.9:
	s_waitcnt vmcnt(0)
	v_mul_f32_e32 v2, 0x3fb8aa3b, v8
	s_mov_b32 s0, 0x3fb8aa3b
	v_rndne_f32_e32 v3, v2
	v_sub_f32_e32 v4, v2, v3
	v_fma_f32 v2, v8, s0, -v2
	v_fmac_f32_e32 v2, 0x32a5705f, v8
	v_add_f32_e32 v2, v4, v2
	v_exp_f32_e32 v2, v2
	v_cvt_i32_f32_e32 v3, v3
	s_mov_b32 s0, 0xc2ce8ed0
	v_cmp_ngt_f32_e32 vcc, s0, v8
	s_mov_b32 s0, 0x42b17218
	v_ldexp_f32 v2, v2, v3
	v_cndmask_b32_e32 v2, 0, v2, vcc
	v_mov_b32_e32 v3, 0x7f800000
	v_cmp_nlt_f32_e32 vcc, s0, v8
	v_cndmask_b32_e32 v2, v3, v2, vcc
	v_add_f32_e32 v3, 0, v6
	v_fma_f32 v2, -v3, v2, v6
	v_bfe_u32 v3, v2, 16, 1
	s_movk_i32 s0, 0x7fff
	v_add3_u32 v3, v2, v3, s0
	v_lshrrev_b32_e32 v3, 16, v3
	v_mov_b32_e32 v4, 0x7fc0
	v_cmp_o_f32_e32 vcc, v2, v2
	s_lshl_b64 s[0:1], s[10:11], 1
	v_cndmask_b32_e32 v2, v4, v3, vcc
	v_mov_b32_e32 v3, s1
	v_add_co_u32_e32 v0, vcc, s0, v0
	v_addc_co_u32_e32 v1, vcc, v1, v3, vcc
	global_store_short v[0:1], v2, off
.LBB324_10:
	s_endpgm
	.section	.rodata,"a",@progbits
	.p2align	6, 0x0
	.amdhsa_kernel _ZN12_GLOBAL__N_121softmax_warp_backwardIfN3c108BFloat16EfLi0ELb1ELb0ELi64EEEvPT0_PKT_S7_iiiPKb
		.amdhsa_group_segment_fixed_size 0
		.amdhsa_private_segment_fixed_size 0
		.amdhsa_kernarg_size 304
		.amdhsa_user_sgpr_count 6
		.amdhsa_user_sgpr_private_segment_buffer 1
		.amdhsa_user_sgpr_dispatch_ptr 0
		.amdhsa_user_sgpr_queue_ptr 0
		.amdhsa_user_sgpr_kernarg_segment_ptr 1
		.amdhsa_user_sgpr_dispatch_id 0
		.amdhsa_user_sgpr_flat_scratch_init 0
		.amdhsa_user_sgpr_kernarg_preload_length 0
		.amdhsa_user_sgpr_kernarg_preload_offset 0
		.amdhsa_user_sgpr_private_segment_size 0
		.amdhsa_uses_dynamic_stack 0
		.amdhsa_system_sgpr_private_segment_wavefront_offset 0
		.amdhsa_system_sgpr_workgroup_id_x 1
		.amdhsa_system_sgpr_workgroup_id_y 0
		.amdhsa_system_sgpr_workgroup_id_z 0
		.amdhsa_system_sgpr_workgroup_info 0
		.amdhsa_system_vgpr_workitem_id 1
		.amdhsa_next_free_vgpr 11
		.amdhsa_next_free_sgpr 16
		.amdhsa_accum_offset 12
		.amdhsa_reserve_vcc 1
		.amdhsa_reserve_flat_scratch 0
		.amdhsa_float_round_mode_32 0
		.amdhsa_float_round_mode_16_64 0
		.amdhsa_float_denorm_mode_32 3
		.amdhsa_float_denorm_mode_16_64 3
		.amdhsa_dx10_clamp 1
		.amdhsa_ieee_mode 1
		.amdhsa_fp16_overflow 0
		.amdhsa_tg_split 0
		.amdhsa_exception_fp_ieee_invalid_op 0
		.amdhsa_exception_fp_denorm_src 0
		.amdhsa_exception_fp_ieee_div_zero 0
		.amdhsa_exception_fp_ieee_overflow 0
		.amdhsa_exception_fp_ieee_underflow 0
		.amdhsa_exception_fp_ieee_inexact 0
		.amdhsa_exception_int_div_zero 0
	.end_amdhsa_kernel
	.section	.text._ZN12_GLOBAL__N_121softmax_warp_backwardIfN3c108BFloat16EfLi0ELb1ELb0ELi64EEEvPT0_PKT_S7_iiiPKb,"axG",@progbits,_ZN12_GLOBAL__N_121softmax_warp_backwardIfN3c108BFloat16EfLi0ELb1ELb0ELi64EEEvPT0_PKT_S7_iiiPKb,comdat
.Lfunc_end324:
	.size	_ZN12_GLOBAL__N_121softmax_warp_backwardIfN3c108BFloat16EfLi0ELb1ELb0ELi64EEEvPT0_PKT_S7_iiiPKb, .Lfunc_end324-_ZN12_GLOBAL__N_121softmax_warp_backwardIfN3c108BFloat16EfLi0ELb1ELb0ELi64EEEvPT0_PKT_S7_iiiPKb
                                        ; -- End function
	.section	.AMDGPU.csdata,"",@progbits
; Kernel info:
; codeLenInByte = 680
; NumSgprs: 20
; NumVgprs: 11
; NumAgprs: 0
; TotalNumVgprs: 11
; ScratchSize: 0
; MemoryBound: 0
; FloatMode: 240
; IeeeMode: 1
; LDSByteSize: 0 bytes/workgroup (compile time only)
; SGPRBlocks: 2
; VGPRBlocks: 1
; NumSGPRsForWavesPerEU: 20
; NumVGPRsForWavesPerEU: 11
; AccumOffset: 12
; Occupancy: 8
; WaveLimiterHint : 0
; COMPUTE_PGM_RSRC2:SCRATCH_EN: 0
; COMPUTE_PGM_RSRC2:USER_SGPR: 6
; COMPUTE_PGM_RSRC2:TRAP_HANDLER: 0
; COMPUTE_PGM_RSRC2:TGID_X_EN: 1
; COMPUTE_PGM_RSRC2:TGID_Y_EN: 0
; COMPUTE_PGM_RSRC2:TGID_Z_EN: 0
; COMPUTE_PGM_RSRC2:TIDIG_COMP_CNT: 1
; COMPUTE_PGM_RSRC3_GFX90A:ACCUM_OFFSET: 2
; COMPUTE_PGM_RSRC3_GFX90A:TG_SPLIT: 0
	.section	.text._ZN12_GLOBAL__N_121softmax_warp_backwardIfN3c108BFloat16EfLi0ELb1ELb0ELi32EEEvPT0_PKT_S7_iiiPKb,"axG",@progbits,_ZN12_GLOBAL__N_121softmax_warp_backwardIfN3c108BFloat16EfLi0ELb1ELb0ELi32EEEvPT0_PKT_S7_iiiPKb,comdat
	.globl	_ZN12_GLOBAL__N_121softmax_warp_backwardIfN3c108BFloat16EfLi0ELb1ELb0ELi32EEEvPT0_PKT_S7_iiiPKb ; -- Begin function _ZN12_GLOBAL__N_121softmax_warp_backwardIfN3c108BFloat16EfLi0ELb1ELb0ELi32EEEvPT0_PKT_S7_iiiPKb
	.p2align	8
	.type	_ZN12_GLOBAL__N_121softmax_warp_backwardIfN3c108BFloat16EfLi0ELb1ELb0ELi32EEEvPT0_PKT_S7_iiiPKb,@function
_ZN12_GLOBAL__N_121softmax_warp_backwardIfN3c108BFloat16EfLi0ELb1ELb0ELi32EEEvPT0_PKT_S7_iiiPKb: ; @_ZN12_GLOBAL__N_121softmax_warp_backwardIfN3c108BFloat16EfLi0ELb1ELb0ELi32EEEvPT0_PKT_S7_iiiPKb
; %bb.0:
	s_load_dword s2, s[4:5], 0x3c
	s_load_dwordx4 s[8:11], s[4:5], 0x18
	s_load_dwordx4 s[12:15], s[4:5], 0x0
	s_load_dwordx2 s[0:1], s[4:5], 0x10
	v_bfe_u32 v0, v0, 10, 10
	s_waitcnt lgkmcnt(0)
	s_lshr_b32 s2, s2, 16
	s_mul_i32 s6, s6, s2
	v_add_lshl_u32 v0, s6, v0, 1
	v_sub_u32_e32 v7, s8, v0
	v_mul_lo_u32 v0, v0, s9
	v_ashrrev_i32_e32 v1, 31, v0
	v_lshlrev_b64 v[4:5], 2, v[0:1]
	v_mov_b32_e32 v3, s15
	v_add_co_u32_e32 v2, vcc, s14, v4
	v_addc_co_u32_e32 v3, vcc, v3, v5, vcc
	v_mov_b32_e32 v6, s1
	v_add_co_u32_e32 v4, vcc, s0, v4
	v_addc_co_u32_e32 v5, vcc, v6, v5, vcc
	s_cmp_gt_i32 s10, 0
	s_cselect_b64 s[2:3], -1, 0
	v_cmp_lt_i32_e32 vcc, 0, v7
	s_and_b64 s[4:5], s[2:3], vcc
	v_mov_b32_e32 v6, 0
	v_mov_b32_e32 v9, 0
	;; [unrolled: 1-line block ×3, first 2 shown]
	s_and_saveexec_b64 s[0:1], s[4:5]
	s_cbranch_execz .LBB325_2
; %bb.1:
	global_load_dword v9, v[2:3], off
	global_load_dword v10, v[4:5], off
.LBB325_2:
	s_or_b64 exec, exec, s[0:1]
	v_cmp_lt_i32_e64 s[0:1], 1, v7
	s_and_b64 s[0:1], s[2:3], s[0:1]
	s_mov_b32 s11, 0
	v_mov_b32_e32 v8, 0
	s_and_saveexec_b64 s[4:5], s[0:1]
	s_cbranch_execz .LBB325_4
; %bb.3:
	s_lshl_b64 s[6:7], s[10:11], 2
	v_mov_b32_e32 v8, s7
	v_add_co_u32_e64 v2, s[0:1], s6, v2
	v_addc_co_u32_e64 v3, s[0:1], v3, v8, s[0:1]
	global_load_dword v6, v[2:3], off
	v_add_co_u32_e64 v2, s[0:1], s6, v4
	v_addc_co_u32_e64 v3, s[0:1], v5, v8, s[0:1]
	global_load_dword v8, v[2:3], off
.LBB325_4:
	s_or_b64 exec, exec, s[4:5]
	s_and_saveexec_b64 s[0:1], vcc
	s_cbranch_execz .LBB325_10
; %bb.5:
	v_lshlrev_b64 v[0:1], 1, v[0:1]
	v_mov_b32_e32 v2, s13
	v_cndmask_b32_e64 v3, 0, 1, s[2:3]
	s_andn2_b64 vcc, exec, s[2:3]
	v_add_co_u32_e64 v0, s[2:3], s12, v0
	v_cmp_ne_u32_e64 s[0:1], 1, v3
	v_addc_co_u32_e64 v1, s[2:3], v2, v1, s[2:3]
	s_cbranch_vccnz .LBB325_7
; %bb.6:
	s_waitcnt vmcnt(0)
	v_mul_f32_e32 v2, 0x3fb8aa3b, v10
	s_mov_b32 s2, 0x3fb8aa3b
	v_rndne_f32_e32 v3, v2
	v_sub_f32_e32 v4, v2, v3
	v_fma_f32 v2, v10, s2, -v2
	v_fmac_f32_e32 v2, 0x32a5705f, v10
	v_add_f32_e32 v2, v4, v2
	v_exp_f32_e32 v2, v2
	v_cvt_i32_f32_e32 v3, v3
	s_mov_b32 s2, 0xc2ce8ed0
	v_cmp_ngt_f32_e32 vcc, s2, v10
	s_mov_b32 s2, 0x42b17218
	v_ldexp_f32 v2, v2, v3
	v_cndmask_b32_e32 v2, 0, v2, vcc
	v_mov_b32_e32 v3, 0x7f800000
	v_cmp_nlt_f32_e32 vcc, s2, v10
	v_cndmask_b32_e32 v2, v3, v2, vcc
	v_add_f32_e32 v3, 0, v9
	v_fma_f32 v2, -v3, v2, v9
	v_bfe_u32 v3, v2, 16, 1
	s_movk_i32 s2, 0x7fff
	v_add3_u32 v3, v2, v3, s2
	v_lshrrev_b32_e32 v3, 16, v3
	v_mov_b32_e32 v4, 0x7fc0
	v_cmp_o_f32_e32 vcc, v2, v2
	v_cndmask_b32_e32 v2, v4, v3, vcc
	global_store_short v[0:1], v2, off
.LBB325_7:
	v_cmp_ne_u32_e32 vcc, 1, v7
	s_and_b64 exec, exec, vcc
	s_cbranch_execz .LBB325_10
; %bb.8:
	s_and_b64 vcc, exec, s[0:1]
	s_cbranch_vccnz .LBB325_10
; %bb.9:
	s_waitcnt vmcnt(0)
	v_mul_f32_e32 v2, 0x3fb8aa3b, v8
	s_mov_b32 s0, 0x3fb8aa3b
	v_rndne_f32_e32 v3, v2
	v_sub_f32_e32 v4, v2, v3
	v_fma_f32 v2, v8, s0, -v2
	v_fmac_f32_e32 v2, 0x32a5705f, v8
	v_add_f32_e32 v2, v4, v2
	v_exp_f32_e32 v2, v2
	v_cvt_i32_f32_e32 v3, v3
	s_mov_b32 s0, 0xc2ce8ed0
	v_cmp_ngt_f32_e32 vcc, s0, v8
	s_mov_b32 s0, 0x42b17218
	v_ldexp_f32 v2, v2, v3
	v_cndmask_b32_e32 v2, 0, v2, vcc
	v_mov_b32_e32 v3, 0x7f800000
	v_cmp_nlt_f32_e32 vcc, s0, v8
	v_cndmask_b32_e32 v2, v3, v2, vcc
	v_add_f32_e32 v3, 0, v6
	v_fma_f32 v2, -v3, v2, v6
	v_bfe_u32 v3, v2, 16, 1
	s_movk_i32 s0, 0x7fff
	v_add3_u32 v3, v2, v3, s0
	v_lshrrev_b32_e32 v3, 16, v3
	v_mov_b32_e32 v4, 0x7fc0
	v_cmp_o_f32_e32 vcc, v2, v2
	s_lshl_b64 s[0:1], s[10:11], 1
	v_cndmask_b32_e32 v2, v4, v3, vcc
	v_mov_b32_e32 v3, s1
	v_add_co_u32_e32 v0, vcc, s0, v0
	v_addc_co_u32_e32 v1, vcc, v1, v3, vcc
	global_store_short v[0:1], v2, off
.LBB325_10:
	s_endpgm
	.section	.rodata,"a",@progbits
	.p2align	6, 0x0
	.amdhsa_kernel _ZN12_GLOBAL__N_121softmax_warp_backwardIfN3c108BFloat16EfLi0ELb1ELb0ELi32EEEvPT0_PKT_S7_iiiPKb
		.amdhsa_group_segment_fixed_size 0
		.amdhsa_private_segment_fixed_size 0
		.amdhsa_kernarg_size 304
		.amdhsa_user_sgpr_count 6
		.amdhsa_user_sgpr_private_segment_buffer 1
		.amdhsa_user_sgpr_dispatch_ptr 0
		.amdhsa_user_sgpr_queue_ptr 0
		.amdhsa_user_sgpr_kernarg_segment_ptr 1
		.amdhsa_user_sgpr_dispatch_id 0
		.amdhsa_user_sgpr_flat_scratch_init 0
		.amdhsa_user_sgpr_kernarg_preload_length 0
		.amdhsa_user_sgpr_kernarg_preload_offset 0
		.amdhsa_user_sgpr_private_segment_size 0
		.amdhsa_uses_dynamic_stack 0
		.amdhsa_system_sgpr_private_segment_wavefront_offset 0
		.amdhsa_system_sgpr_workgroup_id_x 1
		.amdhsa_system_sgpr_workgroup_id_y 0
		.amdhsa_system_sgpr_workgroup_id_z 0
		.amdhsa_system_sgpr_workgroup_info 0
		.amdhsa_system_vgpr_workitem_id 1
		.amdhsa_next_free_vgpr 11
		.amdhsa_next_free_sgpr 16
		.amdhsa_accum_offset 12
		.amdhsa_reserve_vcc 1
		.amdhsa_reserve_flat_scratch 0
		.amdhsa_float_round_mode_32 0
		.amdhsa_float_round_mode_16_64 0
		.amdhsa_float_denorm_mode_32 3
		.amdhsa_float_denorm_mode_16_64 3
		.amdhsa_dx10_clamp 1
		.amdhsa_ieee_mode 1
		.amdhsa_fp16_overflow 0
		.amdhsa_tg_split 0
		.amdhsa_exception_fp_ieee_invalid_op 0
		.amdhsa_exception_fp_denorm_src 0
		.amdhsa_exception_fp_ieee_div_zero 0
		.amdhsa_exception_fp_ieee_overflow 0
		.amdhsa_exception_fp_ieee_underflow 0
		.amdhsa_exception_fp_ieee_inexact 0
		.amdhsa_exception_int_div_zero 0
	.end_amdhsa_kernel
	.section	.text._ZN12_GLOBAL__N_121softmax_warp_backwardIfN3c108BFloat16EfLi0ELb1ELb0ELi32EEEvPT0_PKT_S7_iiiPKb,"axG",@progbits,_ZN12_GLOBAL__N_121softmax_warp_backwardIfN3c108BFloat16EfLi0ELb1ELb0ELi32EEEvPT0_PKT_S7_iiiPKb,comdat
.Lfunc_end325:
	.size	_ZN12_GLOBAL__N_121softmax_warp_backwardIfN3c108BFloat16EfLi0ELb1ELb0ELi32EEEvPT0_PKT_S7_iiiPKb, .Lfunc_end325-_ZN12_GLOBAL__N_121softmax_warp_backwardIfN3c108BFloat16EfLi0ELb1ELb0ELi32EEEvPT0_PKT_S7_iiiPKb
                                        ; -- End function
	.section	.AMDGPU.csdata,"",@progbits
; Kernel info:
; codeLenInByte = 680
; NumSgprs: 20
; NumVgprs: 11
; NumAgprs: 0
; TotalNumVgprs: 11
; ScratchSize: 0
; MemoryBound: 0
; FloatMode: 240
; IeeeMode: 1
; LDSByteSize: 0 bytes/workgroup (compile time only)
; SGPRBlocks: 2
; VGPRBlocks: 1
; NumSGPRsForWavesPerEU: 20
; NumVGPRsForWavesPerEU: 11
; AccumOffset: 12
; Occupancy: 8
; WaveLimiterHint : 0
; COMPUTE_PGM_RSRC2:SCRATCH_EN: 0
; COMPUTE_PGM_RSRC2:USER_SGPR: 6
; COMPUTE_PGM_RSRC2:TRAP_HANDLER: 0
; COMPUTE_PGM_RSRC2:TGID_X_EN: 1
; COMPUTE_PGM_RSRC2:TGID_Y_EN: 0
; COMPUTE_PGM_RSRC2:TGID_Z_EN: 0
; COMPUTE_PGM_RSRC2:TIDIG_COMP_CNT: 1
; COMPUTE_PGM_RSRC3_GFX90A:ACCUM_OFFSET: 2
; COMPUTE_PGM_RSRC3_GFX90A:TG_SPLIT: 0
	.section	.text._ZN12_GLOBAL__N_121softmax_warp_backwardIfN3c108BFloat16EfLi1ELb1ELb0ELi64EEEvPT0_PKT_S7_iiiPKb,"axG",@progbits,_ZN12_GLOBAL__N_121softmax_warp_backwardIfN3c108BFloat16EfLi1ELb1ELb0ELi64EEEvPT0_PKT_S7_iiiPKb,comdat
	.globl	_ZN12_GLOBAL__N_121softmax_warp_backwardIfN3c108BFloat16EfLi1ELb1ELb0ELi64EEEvPT0_PKT_S7_iiiPKb ; -- Begin function _ZN12_GLOBAL__N_121softmax_warp_backwardIfN3c108BFloat16EfLi1ELb1ELb0ELi64EEEvPT0_PKT_S7_iiiPKb
	.p2align	8
	.type	_ZN12_GLOBAL__N_121softmax_warp_backwardIfN3c108BFloat16EfLi1ELb1ELb0ELi64EEEvPT0_PKT_S7_iiiPKb,@function
_ZN12_GLOBAL__N_121softmax_warp_backwardIfN3c108BFloat16EfLi1ELb1ELb0ELi64EEEvPT0_PKT_S7_iiiPKb: ; @_ZN12_GLOBAL__N_121softmax_warp_backwardIfN3c108BFloat16EfLi1ELb1ELb0ELi64EEEvPT0_PKT_S7_iiiPKb
; %bb.0:
	s_load_dword s2, s[4:5], 0x3c
	s_load_dwordx4 s[8:11], s[4:5], 0x18
	s_load_dwordx4 s[12:15], s[4:5], 0x0
	s_load_dwordx2 s[0:1], s[4:5], 0x10
	v_bfe_u32 v1, v0, 10, 10
	s_waitcnt lgkmcnt(0)
	s_lshr_b32 s2, s2, 16
	s_mul_i32 s6, s6, s2
	v_add_lshl_u32 v1, s6, v1, 1
	v_sub_u32_e32 v8, s8, v1
	v_mul_lo_u32 v1, v1, s9
	v_and_b32_e32 v9, 1, v0
	v_or_b32_e32 v2, v1, v9
	v_ashrrev_i32_e32 v3, 31, v2
	v_lshlrev_b64 v[0:1], 2, v[2:3]
	v_mov_b32_e32 v5, s15
	v_add_co_u32_e32 v4, vcc, s14, v0
	v_addc_co_u32_e32 v5, vcc, v5, v1, vcc
	v_mov_b32_e32 v7, s1
	v_add_co_u32_e32 v6, vcc, s0, v0
	v_addc_co_u32_e32 v7, vcc, v7, v1, vcc
	v_cmp_gt_i32_e32 vcc, s10, v9
	v_cmp_lt_i32_e64 s[0:1], 0, v8
	s_and_b64 s[4:5], vcc, s[0:1]
	v_mov_b32_e32 v1, 0
	v_mov_b32_e32 v0, 0
	;; [unrolled: 1-line block ×3, first 2 shown]
	s_and_saveexec_b64 s[2:3], s[4:5]
	s_cbranch_execz .LBB326_2
; %bb.1:
	global_load_dword v0, v[4:5], off
	global_load_dword v10, v[6:7], off
.LBB326_2:
	s_or_b64 exec, exec, s[2:3]
	v_cmp_lt_i32_e64 s[2:3], 1, v8
	s_and_b64 s[2:3], vcc, s[2:3]
	s_mov_b32 s11, 0
	v_mov_b32_e32 v9, 0
	s_and_saveexec_b64 s[4:5], s[2:3]
	s_cbranch_execz .LBB326_4
; %bb.3:
	s_lshl_b64 s[6:7], s[10:11], 2
	v_mov_b32_e32 v9, s7
	v_add_co_u32_e64 v4, s[2:3], s6, v4
	v_addc_co_u32_e64 v5, s[2:3], v5, v9, s[2:3]
	global_load_dword v1, v[4:5], off
	v_add_co_u32_e64 v4, s[2:3], s6, v6
	v_addc_co_u32_e64 v5, s[2:3], v7, v9, s[2:3]
	global_load_dword v9, v[4:5], off
.LBB326_4:
	s_or_b64 exec, exec, s[4:5]
	v_mbcnt_lo_u32_b32 v6, -1, 0
	v_mbcnt_hi_u32_b32 v6, -1, v6
	v_and_b32_e32 v11, 0x7e, v6
	v_xor_b32_e32 v7, 1, v6
	v_add_u32_e32 v11, 2, v11
	v_cmp_lt_i32_e64 s[2:3], v7, v11
	v_cndmask_b32_e64 v6, v6, v7, s[2:3]
	s_waitcnt vmcnt(1)
	v_pk_add_f32 v[4:5], v[0:1], 0 op_sel_hi:[1,0]
	v_lshlrev_b32_e32 v7, 2, v6
	ds_bpermute_b32 v6, v7, v4
	ds_bpermute_b32 v7, v7, v5
	s_and_saveexec_b64 s[2:3], s[0:1]
	s_cbranch_execz .LBB326_10
; %bb.5:
	v_lshlrev_b64 v[2:3], 1, v[2:3]
	v_mov_b32_e32 v11, s13
	v_add_co_u32_e64 v2, s[0:1], s12, v2
	v_addc_co_u32_e64 v3, s[0:1], v11, v3, s[0:1]
	s_waitcnt lgkmcnt(0)
	v_pk_add_f32 v[4:5], v[4:5], v[6:7]
	s_and_saveexec_b64 s[2:3], vcc
	s_cbranch_execz .LBB326_7
; %bb.6:
	s_waitcnt vmcnt(0)
	v_mul_f32_e32 v6, 0x3fb8aa3b, v10
	s_mov_b32 s0, 0x3fb8aa3b
	v_rndne_f32_e32 v7, v6
	v_sub_f32_e32 v11, v6, v7
	v_fma_f32 v6, v10, s0, -v6
	v_fmac_f32_e32 v6, 0x32a5705f, v10
	v_add_f32_e32 v6, v11, v6
	v_exp_f32_e32 v6, v6
	v_cvt_i32_f32_e32 v7, v7
	s_mov_b32 s0, 0xc2ce8ed0
	v_cmp_ngt_f32_e64 s[0:1], s0, v10
	v_ldexp_f32 v6, v6, v7
	v_cndmask_b32_e64 v6, 0, v6, s[0:1]
	s_mov_b32 s0, 0x42b17218
	v_mov_b32_e32 v7, 0x7f800000
	v_cmp_nlt_f32_e64 s[0:1], s0, v10
	v_cndmask_b32_e64 v6, v7, v6, s[0:1]
	v_fma_f32 v0, -v4, v6, v0
	v_bfe_u32 v4, v0, 16, 1
	s_movk_i32 s0, 0x7fff
	v_add3_u32 v4, v0, v4, s0
	v_lshrrev_b32_e32 v4, 16, v4
	v_mov_b32_e32 v6, 0x7fc0
	v_cmp_o_f32_e64 s[0:1], v0, v0
	v_cndmask_b32_e64 v0, v6, v4, s[0:1]
	global_store_short v[2:3], v0, off
.LBB326_7:
	s_or_b64 exec, exec, s[2:3]
	v_cmp_ne_u32_e64 s[0:1], 1, v8
	s_and_b64 exec, exec, s[0:1]
	s_cbranch_execz .LBB326_10
; %bb.8:
	s_and_b64 exec, exec, vcc
	s_cbranch_execz .LBB326_10
; %bb.9:
	s_waitcnt vmcnt(0)
	v_mul_f32_e32 v0, 0x3fb8aa3b, v9
	s_mov_b32 s0, 0x3fb8aa3b
	v_rndne_f32_e32 v4, v0
	v_sub_f32_e32 v6, v0, v4
	v_fma_f32 v0, v9, s0, -v0
	v_fmac_f32_e32 v0, 0x32a5705f, v9
	v_add_f32_e32 v0, v6, v0
	v_exp_f32_e32 v0, v0
	v_cvt_i32_f32_e32 v4, v4
	s_mov_b32 s0, 0xc2ce8ed0
	v_cmp_ngt_f32_e32 vcc, s0, v9
	s_mov_b32 s0, 0x42b17218
	v_ldexp_f32 v0, v0, v4
	v_cndmask_b32_e32 v0, 0, v0, vcc
	v_mov_b32_e32 v4, 0x7f800000
	v_cmp_nlt_f32_e32 vcc, s0, v9
	v_cndmask_b32_e32 v0, v4, v0, vcc
	v_fma_f32 v0, -v5, v0, v1
	v_bfe_u32 v1, v0, 16, 1
	s_movk_i32 s0, 0x7fff
	v_add3_u32 v1, v0, v1, s0
	v_lshrrev_b32_e32 v1, 16, v1
	v_mov_b32_e32 v4, 0x7fc0
	v_cmp_o_f32_e32 vcc, v0, v0
	s_lshl_b64 s[0:1], s[10:11], 1
	v_cndmask_b32_e32 v4, v4, v1, vcc
	v_mov_b32_e32 v1, s1
	v_add_co_u32_e32 v0, vcc, s0, v2
	v_addc_co_u32_e32 v1, vcc, v3, v1, vcc
	global_store_short v[0:1], v4, off
.LBB326_10:
	s_endpgm
	.section	.rodata,"a",@progbits
	.p2align	6, 0x0
	.amdhsa_kernel _ZN12_GLOBAL__N_121softmax_warp_backwardIfN3c108BFloat16EfLi1ELb1ELb0ELi64EEEvPT0_PKT_S7_iiiPKb
		.amdhsa_group_segment_fixed_size 0
		.amdhsa_private_segment_fixed_size 0
		.amdhsa_kernarg_size 304
		.amdhsa_user_sgpr_count 6
		.amdhsa_user_sgpr_private_segment_buffer 1
		.amdhsa_user_sgpr_dispatch_ptr 0
		.amdhsa_user_sgpr_queue_ptr 0
		.amdhsa_user_sgpr_kernarg_segment_ptr 1
		.amdhsa_user_sgpr_dispatch_id 0
		.amdhsa_user_sgpr_flat_scratch_init 0
		.amdhsa_user_sgpr_kernarg_preload_length 0
		.amdhsa_user_sgpr_kernarg_preload_offset 0
		.amdhsa_user_sgpr_private_segment_size 0
		.amdhsa_uses_dynamic_stack 0
		.amdhsa_system_sgpr_private_segment_wavefront_offset 0
		.amdhsa_system_sgpr_workgroup_id_x 1
		.amdhsa_system_sgpr_workgroup_id_y 0
		.amdhsa_system_sgpr_workgroup_id_z 0
		.amdhsa_system_sgpr_workgroup_info 0
		.amdhsa_system_vgpr_workitem_id 1
		.amdhsa_next_free_vgpr 12
		.amdhsa_next_free_sgpr 16
		.amdhsa_accum_offset 12
		.amdhsa_reserve_vcc 1
		.amdhsa_reserve_flat_scratch 0
		.amdhsa_float_round_mode_32 0
		.amdhsa_float_round_mode_16_64 0
		.amdhsa_float_denorm_mode_32 3
		.amdhsa_float_denorm_mode_16_64 3
		.amdhsa_dx10_clamp 1
		.amdhsa_ieee_mode 1
		.amdhsa_fp16_overflow 0
		.amdhsa_tg_split 0
		.amdhsa_exception_fp_ieee_invalid_op 0
		.amdhsa_exception_fp_denorm_src 0
		.amdhsa_exception_fp_ieee_div_zero 0
		.amdhsa_exception_fp_ieee_overflow 0
		.amdhsa_exception_fp_ieee_underflow 0
		.amdhsa_exception_fp_ieee_inexact 0
		.amdhsa_exception_int_div_zero 0
	.end_amdhsa_kernel
	.section	.text._ZN12_GLOBAL__N_121softmax_warp_backwardIfN3c108BFloat16EfLi1ELb1ELb0ELi64EEEvPT0_PKT_S7_iiiPKb,"axG",@progbits,_ZN12_GLOBAL__N_121softmax_warp_backwardIfN3c108BFloat16EfLi1ELb1ELb0ELi64EEEvPT0_PKT_S7_iiiPKb,comdat
.Lfunc_end326:
	.size	_ZN12_GLOBAL__N_121softmax_warp_backwardIfN3c108BFloat16EfLi1ELb1ELb0ELi64EEEvPT0_PKT_S7_iiiPKb, .Lfunc_end326-_ZN12_GLOBAL__N_121softmax_warp_backwardIfN3c108BFloat16EfLi1ELb1ELb0ELi64EEEvPT0_PKT_S7_iiiPKb
                                        ; -- End function
	.section	.AMDGPU.csdata,"",@progbits
; Kernel info:
; codeLenInByte = 788
; NumSgprs: 20
; NumVgprs: 12
; NumAgprs: 0
; TotalNumVgprs: 12
; ScratchSize: 0
; MemoryBound: 0
; FloatMode: 240
; IeeeMode: 1
; LDSByteSize: 0 bytes/workgroup (compile time only)
; SGPRBlocks: 2
; VGPRBlocks: 1
; NumSGPRsForWavesPerEU: 20
; NumVGPRsForWavesPerEU: 12
; AccumOffset: 12
; Occupancy: 8
; WaveLimiterHint : 0
; COMPUTE_PGM_RSRC2:SCRATCH_EN: 0
; COMPUTE_PGM_RSRC2:USER_SGPR: 6
; COMPUTE_PGM_RSRC2:TRAP_HANDLER: 0
; COMPUTE_PGM_RSRC2:TGID_X_EN: 1
; COMPUTE_PGM_RSRC2:TGID_Y_EN: 0
; COMPUTE_PGM_RSRC2:TGID_Z_EN: 0
; COMPUTE_PGM_RSRC2:TIDIG_COMP_CNT: 1
; COMPUTE_PGM_RSRC3_GFX90A:ACCUM_OFFSET: 2
; COMPUTE_PGM_RSRC3_GFX90A:TG_SPLIT: 0
	.section	.text._ZN12_GLOBAL__N_121softmax_warp_backwardIfN3c108BFloat16EfLi1ELb1ELb0ELi32EEEvPT0_PKT_S7_iiiPKb,"axG",@progbits,_ZN12_GLOBAL__N_121softmax_warp_backwardIfN3c108BFloat16EfLi1ELb1ELb0ELi32EEEvPT0_PKT_S7_iiiPKb,comdat
	.globl	_ZN12_GLOBAL__N_121softmax_warp_backwardIfN3c108BFloat16EfLi1ELb1ELb0ELi32EEEvPT0_PKT_S7_iiiPKb ; -- Begin function _ZN12_GLOBAL__N_121softmax_warp_backwardIfN3c108BFloat16EfLi1ELb1ELb0ELi32EEEvPT0_PKT_S7_iiiPKb
	.p2align	8
	.type	_ZN12_GLOBAL__N_121softmax_warp_backwardIfN3c108BFloat16EfLi1ELb1ELb0ELi32EEEvPT0_PKT_S7_iiiPKb,@function
_ZN12_GLOBAL__N_121softmax_warp_backwardIfN3c108BFloat16EfLi1ELb1ELb0ELi32EEEvPT0_PKT_S7_iiiPKb: ; @_ZN12_GLOBAL__N_121softmax_warp_backwardIfN3c108BFloat16EfLi1ELb1ELb0ELi32EEEvPT0_PKT_S7_iiiPKb
; %bb.0:
	s_load_dword s2, s[4:5], 0x3c
	s_load_dwordx4 s[8:11], s[4:5], 0x18
	s_load_dwordx4 s[12:15], s[4:5], 0x0
	s_load_dwordx2 s[0:1], s[4:5], 0x10
	v_bfe_u32 v1, v0, 10, 10
	s_waitcnt lgkmcnt(0)
	s_lshr_b32 s2, s2, 16
	s_mul_i32 s6, s6, s2
	v_add_lshl_u32 v1, s6, v1, 1
	v_sub_u32_e32 v8, s8, v1
	v_mul_lo_u32 v1, v1, s9
	v_and_b32_e32 v9, 1, v0
	v_or_b32_e32 v2, v1, v9
	v_ashrrev_i32_e32 v3, 31, v2
	v_lshlrev_b64 v[0:1], 2, v[2:3]
	v_mov_b32_e32 v5, s15
	v_add_co_u32_e32 v4, vcc, s14, v0
	v_addc_co_u32_e32 v5, vcc, v5, v1, vcc
	v_mov_b32_e32 v7, s1
	v_add_co_u32_e32 v6, vcc, s0, v0
	v_addc_co_u32_e32 v7, vcc, v7, v1, vcc
	v_cmp_gt_i32_e32 vcc, s10, v9
	v_cmp_lt_i32_e64 s[0:1], 0, v8
	s_and_b64 s[4:5], vcc, s[0:1]
	v_mov_b32_e32 v1, 0
	v_mov_b32_e32 v0, 0
	;; [unrolled: 1-line block ×3, first 2 shown]
	s_and_saveexec_b64 s[2:3], s[4:5]
	s_cbranch_execz .LBB327_2
; %bb.1:
	global_load_dword v0, v[4:5], off
	global_load_dword v10, v[6:7], off
.LBB327_2:
	s_or_b64 exec, exec, s[2:3]
	v_cmp_lt_i32_e64 s[2:3], 1, v8
	s_and_b64 s[2:3], vcc, s[2:3]
	s_mov_b32 s11, 0
	v_mov_b32_e32 v9, 0
	s_and_saveexec_b64 s[4:5], s[2:3]
	s_cbranch_execz .LBB327_4
; %bb.3:
	s_lshl_b64 s[6:7], s[10:11], 2
	v_mov_b32_e32 v9, s7
	v_add_co_u32_e64 v4, s[2:3], s6, v4
	v_addc_co_u32_e64 v5, s[2:3], v5, v9, s[2:3]
	global_load_dword v1, v[4:5], off
	v_add_co_u32_e64 v4, s[2:3], s6, v6
	v_addc_co_u32_e64 v5, s[2:3], v7, v9, s[2:3]
	global_load_dword v9, v[4:5], off
.LBB327_4:
	s_or_b64 exec, exec, s[4:5]
	v_mbcnt_lo_u32_b32 v6, -1, 0
	v_mbcnt_hi_u32_b32 v6, -1, v6
	v_and_b32_e32 v11, 0x7e, v6
	v_xor_b32_e32 v7, 1, v6
	v_add_u32_e32 v11, 2, v11
	v_cmp_lt_i32_e64 s[2:3], v7, v11
	v_cndmask_b32_e64 v6, v6, v7, s[2:3]
	s_waitcnt vmcnt(1)
	v_pk_add_f32 v[4:5], v[0:1], 0 op_sel_hi:[1,0]
	v_lshlrev_b32_e32 v7, 2, v6
	ds_bpermute_b32 v6, v7, v4
	ds_bpermute_b32 v7, v7, v5
	s_and_saveexec_b64 s[2:3], s[0:1]
	s_cbranch_execz .LBB327_10
; %bb.5:
	v_lshlrev_b64 v[2:3], 1, v[2:3]
	v_mov_b32_e32 v11, s13
	v_add_co_u32_e64 v2, s[0:1], s12, v2
	v_addc_co_u32_e64 v3, s[0:1], v11, v3, s[0:1]
	s_waitcnt lgkmcnt(0)
	v_pk_add_f32 v[4:5], v[4:5], v[6:7]
	s_and_saveexec_b64 s[2:3], vcc
	s_cbranch_execz .LBB327_7
; %bb.6:
	s_waitcnt vmcnt(0)
	v_mul_f32_e32 v6, 0x3fb8aa3b, v10
	s_mov_b32 s0, 0x3fb8aa3b
	v_rndne_f32_e32 v7, v6
	v_sub_f32_e32 v11, v6, v7
	v_fma_f32 v6, v10, s0, -v6
	v_fmac_f32_e32 v6, 0x32a5705f, v10
	v_add_f32_e32 v6, v11, v6
	v_exp_f32_e32 v6, v6
	v_cvt_i32_f32_e32 v7, v7
	s_mov_b32 s0, 0xc2ce8ed0
	v_cmp_ngt_f32_e64 s[0:1], s0, v10
	v_ldexp_f32 v6, v6, v7
	v_cndmask_b32_e64 v6, 0, v6, s[0:1]
	s_mov_b32 s0, 0x42b17218
	v_mov_b32_e32 v7, 0x7f800000
	v_cmp_nlt_f32_e64 s[0:1], s0, v10
	v_cndmask_b32_e64 v6, v7, v6, s[0:1]
	v_fma_f32 v0, -v4, v6, v0
	v_bfe_u32 v4, v0, 16, 1
	s_movk_i32 s0, 0x7fff
	v_add3_u32 v4, v0, v4, s0
	v_lshrrev_b32_e32 v4, 16, v4
	v_mov_b32_e32 v6, 0x7fc0
	v_cmp_o_f32_e64 s[0:1], v0, v0
	v_cndmask_b32_e64 v0, v6, v4, s[0:1]
	global_store_short v[2:3], v0, off
.LBB327_7:
	s_or_b64 exec, exec, s[2:3]
	v_cmp_ne_u32_e64 s[0:1], 1, v8
	s_and_b64 exec, exec, s[0:1]
	s_cbranch_execz .LBB327_10
; %bb.8:
	s_and_b64 exec, exec, vcc
	s_cbranch_execz .LBB327_10
; %bb.9:
	s_waitcnt vmcnt(0)
	v_mul_f32_e32 v0, 0x3fb8aa3b, v9
	s_mov_b32 s0, 0x3fb8aa3b
	v_rndne_f32_e32 v4, v0
	v_sub_f32_e32 v6, v0, v4
	v_fma_f32 v0, v9, s0, -v0
	v_fmac_f32_e32 v0, 0x32a5705f, v9
	v_add_f32_e32 v0, v6, v0
	v_exp_f32_e32 v0, v0
	v_cvt_i32_f32_e32 v4, v4
	s_mov_b32 s0, 0xc2ce8ed0
	v_cmp_ngt_f32_e32 vcc, s0, v9
	s_mov_b32 s0, 0x42b17218
	v_ldexp_f32 v0, v0, v4
	v_cndmask_b32_e32 v0, 0, v0, vcc
	v_mov_b32_e32 v4, 0x7f800000
	v_cmp_nlt_f32_e32 vcc, s0, v9
	v_cndmask_b32_e32 v0, v4, v0, vcc
	v_fma_f32 v0, -v5, v0, v1
	v_bfe_u32 v1, v0, 16, 1
	s_movk_i32 s0, 0x7fff
	v_add3_u32 v1, v0, v1, s0
	v_lshrrev_b32_e32 v1, 16, v1
	v_mov_b32_e32 v4, 0x7fc0
	v_cmp_o_f32_e32 vcc, v0, v0
	s_lshl_b64 s[0:1], s[10:11], 1
	v_cndmask_b32_e32 v4, v4, v1, vcc
	v_mov_b32_e32 v1, s1
	v_add_co_u32_e32 v0, vcc, s0, v2
	v_addc_co_u32_e32 v1, vcc, v3, v1, vcc
	global_store_short v[0:1], v4, off
.LBB327_10:
	s_endpgm
	.section	.rodata,"a",@progbits
	.p2align	6, 0x0
	.amdhsa_kernel _ZN12_GLOBAL__N_121softmax_warp_backwardIfN3c108BFloat16EfLi1ELb1ELb0ELi32EEEvPT0_PKT_S7_iiiPKb
		.amdhsa_group_segment_fixed_size 0
		.amdhsa_private_segment_fixed_size 0
		.amdhsa_kernarg_size 304
		.amdhsa_user_sgpr_count 6
		.amdhsa_user_sgpr_private_segment_buffer 1
		.amdhsa_user_sgpr_dispatch_ptr 0
		.amdhsa_user_sgpr_queue_ptr 0
		.amdhsa_user_sgpr_kernarg_segment_ptr 1
		.amdhsa_user_sgpr_dispatch_id 0
		.amdhsa_user_sgpr_flat_scratch_init 0
		.amdhsa_user_sgpr_kernarg_preload_length 0
		.amdhsa_user_sgpr_kernarg_preload_offset 0
		.amdhsa_user_sgpr_private_segment_size 0
		.amdhsa_uses_dynamic_stack 0
		.amdhsa_system_sgpr_private_segment_wavefront_offset 0
		.amdhsa_system_sgpr_workgroup_id_x 1
		.amdhsa_system_sgpr_workgroup_id_y 0
		.amdhsa_system_sgpr_workgroup_id_z 0
		.amdhsa_system_sgpr_workgroup_info 0
		.amdhsa_system_vgpr_workitem_id 1
		.amdhsa_next_free_vgpr 12
		.amdhsa_next_free_sgpr 16
		.amdhsa_accum_offset 12
		.amdhsa_reserve_vcc 1
		.amdhsa_reserve_flat_scratch 0
		.amdhsa_float_round_mode_32 0
		.amdhsa_float_round_mode_16_64 0
		.amdhsa_float_denorm_mode_32 3
		.amdhsa_float_denorm_mode_16_64 3
		.amdhsa_dx10_clamp 1
		.amdhsa_ieee_mode 1
		.amdhsa_fp16_overflow 0
		.amdhsa_tg_split 0
		.amdhsa_exception_fp_ieee_invalid_op 0
		.amdhsa_exception_fp_denorm_src 0
		.amdhsa_exception_fp_ieee_div_zero 0
		.amdhsa_exception_fp_ieee_overflow 0
		.amdhsa_exception_fp_ieee_underflow 0
		.amdhsa_exception_fp_ieee_inexact 0
		.amdhsa_exception_int_div_zero 0
	.end_amdhsa_kernel
	.section	.text._ZN12_GLOBAL__N_121softmax_warp_backwardIfN3c108BFloat16EfLi1ELb1ELb0ELi32EEEvPT0_PKT_S7_iiiPKb,"axG",@progbits,_ZN12_GLOBAL__N_121softmax_warp_backwardIfN3c108BFloat16EfLi1ELb1ELb0ELi32EEEvPT0_PKT_S7_iiiPKb,comdat
.Lfunc_end327:
	.size	_ZN12_GLOBAL__N_121softmax_warp_backwardIfN3c108BFloat16EfLi1ELb1ELb0ELi32EEEvPT0_PKT_S7_iiiPKb, .Lfunc_end327-_ZN12_GLOBAL__N_121softmax_warp_backwardIfN3c108BFloat16EfLi1ELb1ELb0ELi32EEEvPT0_PKT_S7_iiiPKb
                                        ; -- End function
	.section	.AMDGPU.csdata,"",@progbits
; Kernel info:
; codeLenInByte = 788
; NumSgprs: 20
; NumVgprs: 12
; NumAgprs: 0
; TotalNumVgprs: 12
; ScratchSize: 0
; MemoryBound: 0
; FloatMode: 240
; IeeeMode: 1
; LDSByteSize: 0 bytes/workgroup (compile time only)
; SGPRBlocks: 2
; VGPRBlocks: 1
; NumSGPRsForWavesPerEU: 20
; NumVGPRsForWavesPerEU: 12
; AccumOffset: 12
; Occupancy: 8
; WaveLimiterHint : 0
; COMPUTE_PGM_RSRC2:SCRATCH_EN: 0
; COMPUTE_PGM_RSRC2:USER_SGPR: 6
; COMPUTE_PGM_RSRC2:TRAP_HANDLER: 0
; COMPUTE_PGM_RSRC2:TGID_X_EN: 1
; COMPUTE_PGM_RSRC2:TGID_Y_EN: 0
; COMPUTE_PGM_RSRC2:TGID_Z_EN: 0
; COMPUTE_PGM_RSRC2:TIDIG_COMP_CNT: 1
; COMPUTE_PGM_RSRC3_GFX90A:ACCUM_OFFSET: 2
; COMPUTE_PGM_RSRC3_GFX90A:TG_SPLIT: 0
	.section	.text._ZN12_GLOBAL__N_121softmax_warp_backwardIfN3c108BFloat16EfLi2ELb1ELb0ELi64EEEvPT0_PKT_S7_iiiPKb,"axG",@progbits,_ZN12_GLOBAL__N_121softmax_warp_backwardIfN3c108BFloat16EfLi2ELb1ELb0ELi64EEEvPT0_PKT_S7_iiiPKb,comdat
	.globl	_ZN12_GLOBAL__N_121softmax_warp_backwardIfN3c108BFloat16EfLi2ELb1ELb0ELi64EEEvPT0_PKT_S7_iiiPKb ; -- Begin function _ZN12_GLOBAL__N_121softmax_warp_backwardIfN3c108BFloat16EfLi2ELb1ELb0ELi64EEEvPT0_PKT_S7_iiiPKb
	.p2align	8
	.type	_ZN12_GLOBAL__N_121softmax_warp_backwardIfN3c108BFloat16EfLi2ELb1ELb0ELi64EEEvPT0_PKT_S7_iiiPKb,@function
_ZN12_GLOBAL__N_121softmax_warp_backwardIfN3c108BFloat16EfLi2ELb1ELb0ELi64EEEvPT0_PKT_S7_iiiPKb: ; @_ZN12_GLOBAL__N_121softmax_warp_backwardIfN3c108BFloat16EfLi2ELb1ELb0ELi64EEEvPT0_PKT_S7_iiiPKb
; %bb.0:
	s_load_dword s2, s[4:5], 0x3c
	s_load_dwordx4 s[8:11], s[4:5], 0x18
	s_load_dwordx4 s[12:15], s[4:5], 0x0
	s_load_dwordx2 s[0:1], s[4:5], 0x10
	v_bfe_u32 v1, v0, 10, 10
	s_waitcnt lgkmcnt(0)
	s_lshr_b32 s2, s2, 16
	s_mul_i32 s6, s6, s2
	v_add_lshl_u32 v1, s6, v1, 1
	v_and_b32_e32 v0, 3, v0
	v_mad_u64_u32 v[2:3], s[2:3], v1, s9, v[0:1]
	v_ashrrev_i32_e32 v3, 31, v2
	v_lshlrev_b64 v[6:7], 2, v[2:3]
	v_sub_u32_e32 v8, s8, v1
	v_mov_b32_e32 v1, s15
	v_add_co_u32_e32 v4, vcc, s14, v6
	v_addc_co_u32_e32 v5, vcc, v1, v7, vcc
	v_mov_b32_e32 v1, s1
	v_add_co_u32_e32 v6, vcc, s0, v6
	v_addc_co_u32_e32 v7, vcc, v1, v7, vcc
	v_cmp_gt_i32_e32 vcc, s10, v0
	v_cmp_lt_i32_e64 s[0:1], 0, v8
	s_and_b64 s[4:5], vcc, s[0:1]
	v_mov_b32_e32 v1, 0
	v_mov_b32_e32 v0, 0
	;; [unrolled: 1-line block ×3, first 2 shown]
	s_and_saveexec_b64 s[2:3], s[4:5]
	s_cbranch_execz .LBB328_2
; %bb.1:
	global_load_dword v0, v[4:5], off
	global_load_dword v10, v[6:7], off
.LBB328_2:
	s_or_b64 exec, exec, s[2:3]
	v_cmp_lt_i32_e64 s[2:3], 1, v8
	s_and_b64 s[2:3], vcc, s[2:3]
	s_mov_b32 s11, 0
	v_mov_b32_e32 v9, 0
	s_and_saveexec_b64 s[4:5], s[2:3]
	s_cbranch_execz .LBB328_4
; %bb.3:
	s_lshl_b64 s[6:7], s[10:11], 2
	v_mov_b32_e32 v9, s7
	v_add_co_u32_e64 v4, s[2:3], s6, v4
	v_addc_co_u32_e64 v5, s[2:3], v5, v9, s[2:3]
	global_load_dword v1, v[4:5], off
	v_add_co_u32_e64 v4, s[2:3], s6, v6
	v_addc_co_u32_e64 v5, s[2:3], v7, v9, s[2:3]
	global_load_dword v9, v[4:5], off
.LBB328_4:
	s_or_b64 exec, exec, s[4:5]
	v_mbcnt_lo_u32_b32 v6, -1, 0
	v_mbcnt_hi_u32_b32 v11, -1, v6
	v_and_b32_e32 v6, 0x7c, v11
	v_add_u32_e32 v12, 4, v6
	v_xor_b32_e32 v6, 2, v11
	v_cmp_lt_i32_e64 s[2:3], v6, v12
	v_cndmask_b32_e64 v6, v11, v6, s[2:3]
	s_waitcnt vmcnt(1)
	v_pk_add_f32 v[4:5], v[0:1], 0 op_sel_hi:[1,0]
	v_lshlrev_b32_e32 v7, 2, v6
	ds_bpermute_b32 v6, v7, v4
	ds_bpermute_b32 v7, v7, v5
	v_xor_b32_e32 v13, 1, v11
	v_cmp_lt_i32_e64 s[2:3], v13, v12
	v_cndmask_b32_e64 v11, v11, v13, s[2:3]
	v_lshlrev_b32_e32 v11, 2, v11
	s_waitcnt lgkmcnt(0)
	v_pk_add_f32 v[4:5], v[4:5], v[6:7]
	ds_bpermute_b32 v6, v11, v4
	ds_bpermute_b32 v7, v11, v5
	s_and_saveexec_b64 s[2:3], s[0:1]
	s_cbranch_execz .LBB328_10
; %bb.5:
	v_lshlrev_b64 v[2:3], 1, v[2:3]
	v_mov_b32_e32 v11, s13
	v_add_co_u32_e64 v2, s[0:1], s12, v2
	v_addc_co_u32_e64 v3, s[0:1], v11, v3, s[0:1]
	s_waitcnt lgkmcnt(0)
	v_pk_add_f32 v[4:5], v[4:5], v[6:7]
	s_and_saveexec_b64 s[2:3], vcc
	s_cbranch_execz .LBB328_7
; %bb.6:
	s_waitcnt vmcnt(0)
	v_mul_f32_e32 v6, 0x3fb8aa3b, v10
	s_mov_b32 s0, 0x3fb8aa3b
	v_rndne_f32_e32 v7, v6
	v_sub_f32_e32 v11, v6, v7
	v_fma_f32 v6, v10, s0, -v6
	v_fmac_f32_e32 v6, 0x32a5705f, v10
	v_add_f32_e32 v6, v11, v6
	v_exp_f32_e32 v6, v6
	v_cvt_i32_f32_e32 v7, v7
	s_mov_b32 s0, 0xc2ce8ed0
	v_cmp_ngt_f32_e64 s[0:1], s0, v10
	v_ldexp_f32 v6, v6, v7
	v_cndmask_b32_e64 v6, 0, v6, s[0:1]
	s_mov_b32 s0, 0x42b17218
	v_mov_b32_e32 v7, 0x7f800000
	v_cmp_nlt_f32_e64 s[0:1], s0, v10
	v_cndmask_b32_e64 v6, v7, v6, s[0:1]
	v_fma_f32 v0, -v4, v6, v0
	v_bfe_u32 v4, v0, 16, 1
	s_movk_i32 s0, 0x7fff
	v_add3_u32 v4, v0, v4, s0
	v_lshrrev_b32_e32 v4, 16, v4
	v_mov_b32_e32 v6, 0x7fc0
	v_cmp_o_f32_e64 s[0:1], v0, v0
	v_cndmask_b32_e64 v0, v6, v4, s[0:1]
	global_store_short v[2:3], v0, off
.LBB328_7:
	s_or_b64 exec, exec, s[2:3]
	v_cmp_ne_u32_e64 s[0:1], 1, v8
	s_and_b64 exec, exec, s[0:1]
	s_cbranch_execz .LBB328_10
; %bb.8:
	s_and_b64 exec, exec, vcc
	s_cbranch_execz .LBB328_10
; %bb.9:
	s_waitcnt vmcnt(0)
	v_mul_f32_e32 v0, 0x3fb8aa3b, v9
	s_mov_b32 s0, 0x3fb8aa3b
	v_rndne_f32_e32 v4, v0
	v_sub_f32_e32 v6, v0, v4
	v_fma_f32 v0, v9, s0, -v0
	v_fmac_f32_e32 v0, 0x32a5705f, v9
	v_add_f32_e32 v0, v6, v0
	v_exp_f32_e32 v0, v0
	v_cvt_i32_f32_e32 v4, v4
	s_mov_b32 s0, 0xc2ce8ed0
	v_cmp_ngt_f32_e32 vcc, s0, v9
	s_mov_b32 s0, 0x42b17218
	v_ldexp_f32 v0, v0, v4
	v_cndmask_b32_e32 v0, 0, v0, vcc
	v_mov_b32_e32 v4, 0x7f800000
	v_cmp_nlt_f32_e32 vcc, s0, v9
	v_cndmask_b32_e32 v0, v4, v0, vcc
	v_fma_f32 v0, -v5, v0, v1
	v_bfe_u32 v1, v0, 16, 1
	s_movk_i32 s0, 0x7fff
	v_add3_u32 v1, v0, v1, s0
	v_lshrrev_b32_e32 v1, 16, v1
	v_mov_b32_e32 v4, 0x7fc0
	v_cmp_o_f32_e32 vcc, v0, v0
	s_lshl_b64 s[0:1], s[10:11], 1
	v_cndmask_b32_e32 v4, v4, v1, vcc
	v_mov_b32_e32 v1, s1
	v_add_co_u32_e32 v0, vcc, s0, v2
	v_addc_co_u32_e32 v1, vcc, v3, v1, vcc
	global_store_short v[0:1], v4, off
.LBB328_10:
	s_endpgm
	.section	.rodata,"a",@progbits
	.p2align	6, 0x0
	.amdhsa_kernel _ZN12_GLOBAL__N_121softmax_warp_backwardIfN3c108BFloat16EfLi2ELb1ELb0ELi64EEEvPT0_PKT_S7_iiiPKb
		.amdhsa_group_segment_fixed_size 0
		.amdhsa_private_segment_fixed_size 0
		.amdhsa_kernarg_size 304
		.amdhsa_user_sgpr_count 6
		.amdhsa_user_sgpr_private_segment_buffer 1
		.amdhsa_user_sgpr_dispatch_ptr 0
		.amdhsa_user_sgpr_queue_ptr 0
		.amdhsa_user_sgpr_kernarg_segment_ptr 1
		.amdhsa_user_sgpr_dispatch_id 0
		.amdhsa_user_sgpr_flat_scratch_init 0
		.amdhsa_user_sgpr_kernarg_preload_length 0
		.amdhsa_user_sgpr_kernarg_preload_offset 0
		.amdhsa_user_sgpr_private_segment_size 0
		.amdhsa_uses_dynamic_stack 0
		.amdhsa_system_sgpr_private_segment_wavefront_offset 0
		.amdhsa_system_sgpr_workgroup_id_x 1
		.amdhsa_system_sgpr_workgroup_id_y 0
		.amdhsa_system_sgpr_workgroup_id_z 0
		.amdhsa_system_sgpr_workgroup_info 0
		.amdhsa_system_vgpr_workitem_id 1
		.amdhsa_next_free_vgpr 14
		.amdhsa_next_free_sgpr 16
		.amdhsa_accum_offset 16
		.amdhsa_reserve_vcc 1
		.amdhsa_reserve_flat_scratch 0
		.amdhsa_float_round_mode_32 0
		.amdhsa_float_round_mode_16_64 0
		.amdhsa_float_denorm_mode_32 3
		.amdhsa_float_denorm_mode_16_64 3
		.amdhsa_dx10_clamp 1
		.amdhsa_ieee_mode 1
		.amdhsa_fp16_overflow 0
		.amdhsa_tg_split 0
		.amdhsa_exception_fp_ieee_invalid_op 0
		.amdhsa_exception_fp_denorm_src 0
		.amdhsa_exception_fp_ieee_div_zero 0
		.amdhsa_exception_fp_ieee_overflow 0
		.amdhsa_exception_fp_ieee_underflow 0
		.amdhsa_exception_fp_ieee_inexact 0
		.amdhsa_exception_int_div_zero 0
	.end_amdhsa_kernel
	.section	.text._ZN12_GLOBAL__N_121softmax_warp_backwardIfN3c108BFloat16EfLi2ELb1ELb0ELi64EEEvPT0_PKT_S7_iiiPKb,"axG",@progbits,_ZN12_GLOBAL__N_121softmax_warp_backwardIfN3c108BFloat16EfLi2ELb1ELb0ELi64EEEvPT0_PKT_S7_iiiPKb,comdat
.Lfunc_end328:
	.size	_ZN12_GLOBAL__N_121softmax_warp_backwardIfN3c108BFloat16EfLi2ELb1ELb0ELi64EEEvPT0_PKT_S7_iiiPKb, .Lfunc_end328-_ZN12_GLOBAL__N_121softmax_warp_backwardIfN3c108BFloat16EfLi2ELb1ELb0ELi64EEEvPT0_PKT_S7_iiiPKb
                                        ; -- End function
	.section	.AMDGPU.csdata,"",@progbits
; Kernel info:
; codeLenInByte = 836
; NumSgprs: 20
; NumVgprs: 14
; NumAgprs: 0
; TotalNumVgprs: 14
; ScratchSize: 0
; MemoryBound: 0
; FloatMode: 240
; IeeeMode: 1
; LDSByteSize: 0 bytes/workgroup (compile time only)
; SGPRBlocks: 2
; VGPRBlocks: 1
; NumSGPRsForWavesPerEU: 20
; NumVGPRsForWavesPerEU: 14
; AccumOffset: 16
; Occupancy: 8
; WaveLimiterHint : 0
; COMPUTE_PGM_RSRC2:SCRATCH_EN: 0
; COMPUTE_PGM_RSRC2:USER_SGPR: 6
; COMPUTE_PGM_RSRC2:TRAP_HANDLER: 0
; COMPUTE_PGM_RSRC2:TGID_X_EN: 1
; COMPUTE_PGM_RSRC2:TGID_Y_EN: 0
; COMPUTE_PGM_RSRC2:TGID_Z_EN: 0
; COMPUTE_PGM_RSRC2:TIDIG_COMP_CNT: 1
; COMPUTE_PGM_RSRC3_GFX90A:ACCUM_OFFSET: 3
; COMPUTE_PGM_RSRC3_GFX90A:TG_SPLIT: 0
	.section	.text._ZN12_GLOBAL__N_121softmax_warp_backwardIfN3c108BFloat16EfLi2ELb1ELb0ELi32EEEvPT0_PKT_S7_iiiPKb,"axG",@progbits,_ZN12_GLOBAL__N_121softmax_warp_backwardIfN3c108BFloat16EfLi2ELb1ELb0ELi32EEEvPT0_PKT_S7_iiiPKb,comdat
	.globl	_ZN12_GLOBAL__N_121softmax_warp_backwardIfN3c108BFloat16EfLi2ELb1ELb0ELi32EEEvPT0_PKT_S7_iiiPKb ; -- Begin function _ZN12_GLOBAL__N_121softmax_warp_backwardIfN3c108BFloat16EfLi2ELb1ELb0ELi32EEEvPT0_PKT_S7_iiiPKb
	.p2align	8
	.type	_ZN12_GLOBAL__N_121softmax_warp_backwardIfN3c108BFloat16EfLi2ELb1ELb0ELi32EEEvPT0_PKT_S7_iiiPKb,@function
_ZN12_GLOBAL__N_121softmax_warp_backwardIfN3c108BFloat16EfLi2ELb1ELb0ELi32EEEvPT0_PKT_S7_iiiPKb: ; @_ZN12_GLOBAL__N_121softmax_warp_backwardIfN3c108BFloat16EfLi2ELb1ELb0ELi32EEEvPT0_PKT_S7_iiiPKb
; %bb.0:
	s_load_dword s2, s[4:5], 0x3c
	s_load_dwordx4 s[8:11], s[4:5], 0x18
	s_load_dwordx4 s[12:15], s[4:5], 0x0
	s_load_dwordx2 s[0:1], s[4:5], 0x10
	v_bfe_u32 v1, v0, 10, 10
	s_waitcnt lgkmcnt(0)
	s_lshr_b32 s2, s2, 16
	s_mul_i32 s6, s6, s2
	v_add_lshl_u32 v1, s6, v1, 1
	v_and_b32_e32 v0, 3, v0
	v_mad_u64_u32 v[2:3], s[2:3], v1, s9, v[0:1]
	v_ashrrev_i32_e32 v3, 31, v2
	v_lshlrev_b64 v[6:7], 2, v[2:3]
	v_sub_u32_e32 v8, s8, v1
	v_mov_b32_e32 v1, s15
	v_add_co_u32_e32 v4, vcc, s14, v6
	v_addc_co_u32_e32 v5, vcc, v1, v7, vcc
	v_mov_b32_e32 v1, s1
	v_add_co_u32_e32 v6, vcc, s0, v6
	v_addc_co_u32_e32 v7, vcc, v1, v7, vcc
	v_cmp_gt_i32_e32 vcc, s10, v0
	v_cmp_lt_i32_e64 s[0:1], 0, v8
	s_and_b64 s[4:5], vcc, s[0:1]
	v_mov_b32_e32 v1, 0
	v_mov_b32_e32 v0, 0
	;; [unrolled: 1-line block ×3, first 2 shown]
	s_and_saveexec_b64 s[2:3], s[4:5]
	s_cbranch_execz .LBB329_2
; %bb.1:
	global_load_dword v0, v[4:5], off
	global_load_dword v10, v[6:7], off
.LBB329_2:
	s_or_b64 exec, exec, s[2:3]
	v_cmp_lt_i32_e64 s[2:3], 1, v8
	s_and_b64 s[2:3], vcc, s[2:3]
	s_mov_b32 s11, 0
	v_mov_b32_e32 v9, 0
	s_and_saveexec_b64 s[4:5], s[2:3]
	s_cbranch_execz .LBB329_4
; %bb.3:
	s_lshl_b64 s[6:7], s[10:11], 2
	v_mov_b32_e32 v9, s7
	v_add_co_u32_e64 v4, s[2:3], s6, v4
	v_addc_co_u32_e64 v5, s[2:3], v5, v9, s[2:3]
	global_load_dword v1, v[4:5], off
	v_add_co_u32_e64 v4, s[2:3], s6, v6
	v_addc_co_u32_e64 v5, s[2:3], v7, v9, s[2:3]
	global_load_dword v9, v[4:5], off
.LBB329_4:
	s_or_b64 exec, exec, s[4:5]
	v_mbcnt_lo_u32_b32 v6, -1, 0
	v_mbcnt_hi_u32_b32 v11, -1, v6
	v_and_b32_e32 v6, 0x7c, v11
	v_add_u32_e32 v12, 4, v6
	v_xor_b32_e32 v6, 2, v11
	v_cmp_lt_i32_e64 s[2:3], v6, v12
	v_cndmask_b32_e64 v6, v11, v6, s[2:3]
	s_waitcnt vmcnt(1)
	v_pk_add_f32 v[4:5], v[0:1], 0 op_sel_hi:[1,0]
	v_lshlrev_b32_e32 v7, 2, v6
	ds_bpermute_b32 v6, v7, v4
	ds_bpermute_b32 v7, v7, v5
	v_xor_b32_e32 v13, 1, v11
	v_cmp_lt_i32_e64 s[2:3], v13, v12
	v_cndmask_b32_e64 v11, v11, v13, s[2:3]
	v_lshlrev_b32_e32 v11, 2, v11
	s_waitcnt lgkmcnt(0)
	v_pk_add_f32 v[4:5], v[4:5], v[6:7]
	ds_bpermute_b32 v6, v11, v4
	ds_bpermute_b32 v7, v11, v5
	s_and_saveexec_b64 s[2:3], s[0:1]
	s_cbranch_execz .LBB329_10
; %bb.5:
	v_lshlrev_b64 v[2:3], 1, v[2:3]
	v_mov_b32_e32 v11, s13
	v_add_co_u32_e64 v2, s[0:1], s12, v2
	v_addc_co_u32_e64 v3, s[0:1], v11, v3, s[0:1]
	s_waitcnt lgkmcnt(0)
	v_pk_add_f32 v[4:5], v[4:5], v[6:7]
	s_and_saveexec_b64 s[2:3], vcc
	s_cbranch_execz .LBB329_7
; %bb.6:
	s_waitcnt vmcnt(0)
	v_mul_f32_e32 v6, 0x3fb8aa3b, v10
	s_mov_b32 s0, 0x3fb8aa3b
	v_rndne_f32_e32 v7, v6
	v_sub_f32_e32 v11, v6, v7
	v_fma_f32 v6, v10, s0, -v6
	v_fmac_f32_e32 v6, 0x32a5705f, v10
	v_add_f32_e32 v6, v11, v6
	v_exp_f32_e32 v6, v6
	v_cvt_i32_f32_e32 v7, v7
	s_mov_b32 s0, 0xc2ce8ed0
	v_cmp_ngt_f32_e64 s[0:1], s0, v10
	v_ldexp_f32 v6, v6, v7
	v_cndmask_b32_e64 v6, 0, v6, s[0:1]
	s_mov_b32 s0, 0x42b17218
	v_mov_b32_e32 v7, 0x7f800000
	v_cmp_nlt_f32_e64 s[0:1], s0, v10
	v_cndmask_b32_e64 v6, v7, v6, s[0:1]
	v_fma_f32 v0, -v4, v6, v0
	v_bfe_u32 v4, v0, 16, 1
	s_movk_i32 s0, 0x7fff
	v_add3_u32 v4, v0, v4, s0
	v_lshrrev_b32_e32 v4, 16, v4
	v_mov_b32_e32 v6, 0x7fc0
	v_cmp_o_f32_e64 s[0:1], v0, v0
	v_cndmask_b32_e64 v0, v6, v4, s[0:1]
	global_store_short v[2:3], v0, off
.LBB329_7:
	s_or_b64 exec, exec, s[2:3]
	v_cmp_ne_u32_e64 s[0:1], 1, v8
	s_and_b64 exec, exec, s[0:1]
	s_cbranch_execz .LBB329_10
; %bb.8:
	s_and_b64 exec, exec, vcc
	s_cbranch_execz .LBB329_10
; %bb.9:
	s_waitcnt vmcnt(0)
	v_mul_f32_e32 v0, 0x3fb8aa3b, v9
	s_mov_b32 s0, 0x3fb8aa3b
	v_rndne_f32_e32 v4, v0
	v_sub_f32_e32 v6, v0, v4
	v_fma_f32 v0, v9, s0, -v0
	v_fmac_f32_e32 v0, 0x32a5705f, v9
	v_add_f32_e32 v0, v6, v0
	v_exp_f32_e32 v0, v0
	v_cvt_i32_f32_e32 v4, v4
	s_mov_b32 s0, 0xc2ce8ed0
	v_cmp_ngt_f32_e32 vcc, s0, v9
	s_mov_b32 s0, 0x42b17218
	v_ldexp_f32 v0, v0, v4
	v_cndmask_b32_e32 v0, 0, v0, vcc
	v_mov_b32_e32 v4, 0x7f800000
	v_cmp_nlt_f32_e32 vcc, s0, v9
	v_cndmask_b32_e32 v0, v4, v0, vcc
	v_fma_f32 v0, -v5, v0, v1
	v_bfe_u32 v1, v0, 16, 1
	s_movk_i32 s0, 0x7fff
	v_add3_u32 v1, v0, v1, s0
	v_lshrrev_b32_e32 v1, 16, v1
	v_mov_b32_e32 v4, 0x7fc0
	v_cmp_o_f32_e32 vcc, v0, v0
	s_lshl_b64 s[0:1], s[10:11], 1
	v_cndmask_b32_e32 v4, v4, v1, vcc
	v_mov_b32_e32 v1, s1
	v_add_co_u32_e32 v0, vcc, s0, v2
	v_addc_co_u32_e32 v1, vcc, v3, v1, vcc
	global_store_short v[0:1], v4, off
.LBB329_10:
	s_endpgm
	.section	.rodata,"a",@progbits
	.p2align	6, 0x0
	.amdhsa_kernel _ZN12_GLOBAL__N_121softmax_warp_backwardIfN3c108BFloat16EfLi2ELb1ELb0ELi32EEEvPT0_PKT_S7_iiiPKb
		.amdhsa_group_segment_fixed_size 0
		.amdhsa_private_segment_fixed_size 0
		.amdhsa_kernarg_size 304
		.amdhsa_user_sgpr_count 6
		.amdhsa_user_sgpr_private_segment_buffer 1
		.amdhsa_user_sgpr_dispatch_ptr 0
		.amdhsa_user_sgpr_queue_ptr 0
		.amdhsa_user_sgpr_kernarg_segment_ptr 1
		.amdhsa_user_sgpr_dispatch_id 0
		.amdhsa_user_sgpr_flat_scratch_init 0
		.amdhsa_user_sgpr_kernarg_preload_length 0
		.amdhsa_user_sgpr_kernarg_preload_offset 0
		.amdhsa_user_sgpr_private_segment_size 0
		.amdhsa_uses_dynamic_stack 0
		.amdhsa_system_sgpr_private_segment_wavefront_offset 0
		.amdhsa_system_sgpr_workgroup_id_x 1
		.amdhsa_system_sgpr_workgroup_id_y 0
		.amdhsa_system_sgpr_workgroup_id_z 0
		.amdhsa_system_sgpr_workgroup_info 0
		.amdhsa_system_vgpr_workitem_id 1
		.amdhsa_next_free_vgpr 14
		.amdhsa_next_free_sgpr 16
		.amdhsa_accum_offset 16
		.amdhsa_reserve_vcc 1
		.amdhsa_reserve_flat_scratch 0
		.amdhsa_float_round_mode_32 0
		.amdhsa_float_round_mode_16_64 0
		.amdhsa_float_denorm_mode_32 3
		.amdhsa_float_denorm_mode_16_64 3
		.amdhsa_dx10_clamp 1
		.amdhsa_ieee_mode 1
		.amdhsa_fp16_overflow 0
		.amdhsa_tg_split 0
		.amdhsa_exception_fp_ieee_invalid_op 0
		.amdhsa_exception_fp_denorm_src 0
		.amdhsa_exception_fp_ieee_div_zero 0
		.amdhsa_exception_fp_ieee_overflow 0
		.amdhsa_exception_fp_ieee_underflow 0
		.amdhsa_exception_fp_ieee_inexact 0
		.amdhsa_exception_int_div_zero 0
	.end_amdhsa_kernel
	.section	.text._ZN12_GLOBAL__N_121softmax_warp_backwardIfN3c108BFloat16EfLi2ELb1ELb0ELi32EEEvPT0_PKT_S7_iiiPKb,"axG",@progbits,_ZN12_GLOBAL__N_121softmax_warp_backwardIfN3c108BFloat16EfLi2ELb1ELb0ELi32EEEvPT0_PKT_S7_iiiPKb,comdat
.Lfunc_end329:
	.size	_ZN12_GLOBAL__N_121softmax_warp_backwardIfN3c108BFloat16EfLi2ELb1ELb0ELi32EEEvPT0_PKT_S7_iiiPKb, .Lfunc_end329-_ZN12_GLOBAL__N_121softmax_warp_backwardIfN3c108BFloat16EfLi2ELb1ELb0ELi32EEEvPT0_PKT_S7_iiiPKb
                                        ; -- End function
	.section	.AMDGPU.csdata,"",@progbits
; Kernel info:
; codeLenInByte = 836
; NumSgprs: 20
; NumVgprs: 14
; NumAgprs: 0
; TotalNumVgprs: 14
; ScratchSize: 0
; MemoryBound: 0
; FloatMode: 240
; IeeeMode: 1
; LDSByteSize: 0 bytes/workgroup (compile time only)
; SGPRBlocks: 2
; VGPRBlocks: 1
; NumSGPRsForWavesPerEU: 20
; NumVGPRsForWavesPerEU: 14
; AccumOffset: 16
; Occupancy: 8
; WaveLimiterHint : 0
; COMPUTE_PGM_RSRC2:SCRATCH_EN: 0
; COMPUTE_PGM_RSRC2:USER_SGPR: 6
; COMPUTE_PGM_RSRC2:TRAP_HANDLER: 0
; COMPUTE_PGM_RSRC2:TGID_X_EN: 1
; COMPUTE_PGM_RSRC2:TGID_Y_EN: 0
; COMPUTE_PGM_RSRC2:TGID_Z_EN: 0
; COMPUTE_PGM_RSRC2:TIDIG_COMP_CNT: 1
; COMPUTE_PGM_RSRC3_GFX90A:ACCUM_OFFSET: 3
; COMPUTE_PGM_RSRC3_GFX90A:TG_SPLIT: 0
	.section	.text._ZN12_GLOBAL__N_121softmax_warp_backwardIfN3c108BFloat16EfLi3ELb1ELb0ELi64EEEvPT0_PKT_S7_iiiPKb,"axG",@progbits,_ZN12_GLOBAL__N_121softmax_warp_backwardIfN3c108BFloat16EfLi3ELb1ELb0ELi64EEEvPT0_PKT_S7_iiiPKb,comdat
	.globl	_ZN12_GLOBAL__N_121softmax_warp_backwardIfN3c108BFloat16EfLi3ELb1ELb0ELi64EEEvPT0_PKT_S7_iiiPKb ; -- Begin function _ZN12_GLOBAL__N_121softmax_warp_backwardIfN3c108BFloat16EfLi3ELb1ELb0ELi64EEEvPT0_PKT_S7_iiiPKb
	.p2align	8
	.type	_ZN12_GLOBAL__N_121softmax_warp_backwardIfN3c108BFloat16EfLi3ELb1ELb0ELi64EEEvPT0_PKT_S7_iiiPKb,@function
_ZN12_GLOBAL__N_121softmax_warp_backwardIfN3c108BFloat16EfLi3ELb1ELb0ELi64EEEvPT0_PKT_S7_iiiPKb: ; @_ZN12_GLOBAL__N_121softmax_warp_backwardIfN3c108BFloat16EfLi3ELb1ELb0ELi64EEEvPT0_PKT_S7_iiiPKb
; %bb.0:
	s_load_dword s2, s[4:5], 0x3c
	s_load_dwordx4 s[8:11], s[4:5], 0x18
	s_load_dwordx4 s[12:15], s[4:5], 0x0
	s_load_dwordx2 s[0:1], s[4:5], 0x10
	v_bfe_u32 v1, v0, 10, 10
	s_waitcnt lgkmcnt(0)
	s_lshr_b32 s2, s2, 16
	s_mul_i32 s6, s6, s2
	v_add_lshl_u32 v1, s6, v1, 1
	v_and_b32_e32 v0, 7, v0
	v_mad_u64_u32 v[2:3], s[2:3], v1, s9, v[0:1]
	v_ashrrev_i32_e32 v3, 31, v2
	v_lshlrev_b64 v[6:7], 2, v[2:3]
	v_sub_u32_e32 v8, s8, v1
	v_mov_b32_e32 v1, s15
	v_add_co_u32_e32 v4, vcc, s14, v6
	v_addc_co_u32_e32 v5, vcc, v1, v7, vcc
	v_mov_b32_e32 v1, s1
	v_add_co_u32_e32 v6, vcc, s0, v6
	v_addc_co_u32_e32 v7, vcc, v1, v7, vcc
	v_cmp_gt_i32_e32 vcc, s10, v0
	v_cmp_lt_i32_e64 s[0:1], 0, v8
	s_and_b64 s[4:5], vcc, s[0:1]
	v_mov_b32_e32 v1, 0
	v_mov_b32_e32 v0, 0
	;; [unrolled: 1-line block ×3, first 2 shown]
	s_and_saveexec_b64 s[2:3], s[4:5]
	s_cbranch_execz .LBB330_2
; %bb.1:
	global_load_dword v0, v[4:5], off
	global_load_dword v10, v[6:7], off
.LBB330_2:
	s_or_b64 exec, exec, s[2:3]
	v_cmp_lt_i32_e64 s[2:3], 1, v8
	s_and_b64 s[2:3], vcc, s[2:3]
	s_mov_b32 s11, 0
	v_mov_b32_e32 v9, 0
	s_and_saveexec_b64 s[4:5], s[2:3]
	s_cbranch_execz .LBB330_4
; %bb.3:
	s_lshl_b64 s[6:7], s[10:11], 2
	v_mov_b32_e32 v9, s7
	v_add_co_u32_e64 v4, s[2:3], s6, v4
	v_addc_co_u32_e64 v5, s[2:3], v5, v9, s[2:3]
	global_load_dword v1, v[4:5], off
	v_add_co_u32_e64 v4, s[2:3], s6, v6
	v_addc_co_u32_e64 v5, s[2:3], v7, v9, s[2:3]
	global_load_dword v9, v[4:5], off
.LBB330_4:
	s_or_b64 exec, exec, s[4:5]
	v_mbcnt_lo_u32_b32 v6, -1, 0
	v_mbcnt_hi_u32_b32 v11, -1, v6
	v_and_b32_e32 v6, 0x78, v11
	v_add_u32_e32 v12, 8, v6
	v_xor_b32_e32 v6, 4, v11
	v_cmp_lt_i32_e64 s[2:3], v6, v12
	v_cndmask_b32_e64 v6, v11, v6, s[2:3]
	s_waitcnt vmcnt(1)
	v_pk_add_f32 v[4:5], v[0:1], 0 op_sel_hi:[1,0]
	v_lshlrev_b32_e32 v7, 2, v6
	ds_bpermute_b32 v6, v7, v4
	ds_bpermute_b32 v7, v7, v5
	v_xor_b32_e32 v13, 2, v11
	v_cmp_lt_i32_e64 s[2:3], v13, v12
	v_cndmask_b32_e64 v13, v11, v13, s[2:3]
	v_lshlrev_b32_e32 v13, 2, v13
	s_waitcnt lgkmcnt(0)
	v_pk_add_f32 v[4:5], v[4:5], v[6:7]
	ds_bpermute_b32 v6, v13, v4
	ds_bpermute_b32 v7, v13, v5
	v_xor_b32_e32 v13, 1, v11
	v_cmp_lt_i32_e64 s[2:3], v13, v12
	v_cndmask_b32_e64 v11, v11, v13, s[2:3]
	v_lshlrev_b32_e32 v11, 2, v11
	s_waitcnt lgkmcnt(0)
	v_pk_add_f32 v[4:5], v[4:5], v[6:7]
	ds_bpermute_b32 v6, v11, v4
	ds_bpermute_b32 v7, v11, v5
	s_and_saveexec_b64 s[2:3], s[0:1]
	s_cbranch_execz .LBB330_10
; %bb.5:
	v_lshlrev_b64 v[2:3], 1, v[2:3]
	v_mov_b32_e32 v11, s13
	v_add_co_u32_e64 v2, s[0:1], s12, v2
	v_addc_co_u32_e64 v3, s[0:1], v11, v3, s[0:1]
	s_waitcnt lgkmcnt(0)
	v_pk_add_f32 v[4:5], v[4:5], v[6:7]
	s_and_saveexec_b64 s[2:3], vcc
	s_cbranch_execz .LBB330_7
; %bb.6:
	s_waitcnt vmcnt(0)
	v_mul_f32_e32 v6, 0x3fb8aa3b, v10
	s_mov_b32 s0, 0x3fb8aa3b
	v_rndne_f32_e32 v7, v6
	v_sub_f32_e32 v11, v6, v7
	v_fma_f32 v6, v10, s0, -v6
	v_fmac_f32_e32 v6, 0x32a5705f, v10
	v_add_f32_e32 v6, v11, v6
	v_exp_f32_e32 v6, v6
	v_cvt_i32_f32_e32 v7, v7
	s_mov_b32 s0, 0xc2ce8ed0
	v_cmp_ngt_f32_e64 s[0:1], s0, v10
	v_ldexp_f32 v6, v6, v7
	v_cndmask_b32_e64 v6, 0, v6, s[0:1]
	s_mov_b32 s0, 0x42b17218
	v_mov_b32_e32 v7, 0x7f800000
	v_cmp_nlt_f32_e64 s[0:1], s0, v10
	v_cndmask_b32_e64 v6, v7, v6, s[0:1]
	v_fma_f32 v0, -v4, v6, v0
	v_bfe_u32 v4, v0, 16, 1
	s_movk_i32 s0, 0x7fff
	v_add3_u32 v4, v0, v4, s0
	v_lshrrev_b32_e32 v4, 16, v4
	v_mov_b32_e32 v6, 0x7fc0
	v_cmp_o_f32_e64 s[0:1], v0, v0
	v_cndmask_b32_e64 v0, v6, v4, s[0:1]
	global_store_short v[2:3], v0, off
.LBB330_7:
	s_or_b64 exec, exec, s[2:3]
	v_cmp_ne_u32_e64 s[0:1], 1, v8
	s_and_b64 exec, exec, s[0:1]
	s_cbranch_execz .LBB330_10
; %bb.8:
	s_and_b64 exec, exec, vcc
	s_cbranch_execz .LBB330_10
; %bb.9:
	s_waitcnt vmcnt(0)
	v_mul_f32_e32 v0, 0x3fb8aa3b, v9
	s_mov_b32 s0, 0x3fb8aa3b
	v_rndne_f32_e32 v4, v0
	v_sub_f32_e32 v6, v0, v4
	v_fma_f32 v0, v9, s0, -v0
	v_fmac_f32_e32 v0, 0x32a5705f, v9
	v_add_f32_e32 v0, v6, v0
	v_exp_f32_e32 v0, v0
	v_cvt_i32_f32_e32 v4, v4
	s_mov_b32 s0, 0xc2ce8ed0
	v_cmp_ngt_f32_e32 vcc, s0, v9
	s_mov_b32 s0, 0x42b17218
	v_ldexp_f32 v0, v0, v4
	v_cndmask_b32_e32 v0, 0, v0, vcc
	v_mov_b32_e32 v4, 0x7f800000
	v_cmp_nlt_f32_e32 vcc, s0, v9
	v_cndmask_b32_e32 v0, v4, v0, vcc
	v_fma_f32 v0, -v5, v0, v1
	v_bfe_u32 v1, v0, 16, 1
	s_movk_i32 s0, 0x7fff
	v_add3_u32 v1, v0, v1, s0
	v_lshrrev_b32_e32 v1, 16, v1
	v_mov_b32_e32 v4, 0x7fc0
	v_cmp_o_f32_e32 vcc, v0, v0
	s_lshl_b64 s[0:1], s[10:11], 1
	v_cndmask_b32_e32 v4, v4, v1, vcc
	v_mov_b32_e32 v1, s1
	v_add_co_u32_e32 v0, vcc, s0, v2
	v_addc_co_u32_e32 v1, vcc, v3, v1, vcc
	global_store_short v[0:1], v4, off
.LBB330_10:
	s_endpgm
	.section	.rodata,"a",@progbits
	.p2align	6, 0x0
	.amdhsa_kernel _ZN12_GLOBAL__N_121softmax_warp_backwardIfN3c108BFloat16EfLi3ELb1ELb0ELi64EEEvPT0_PKT_S7_iiiPKb
		.amdhsa_group_segment_fixed_size 0
		.amdhsa_private_segment_fixed_size 0
		.amdhsa_kernarg_size 304
		.amdhsa_user_sgpr_count 6
		.amdhsa_user_sgpr_private_segment_buffer 1
		.amdhsa_user_sgpr_dispatch_ptr 0
		.amdhsa_user_sgpr_queue_ptr 0
		.amdhsa_user_sgpr_kernarg_segment_ptr 1
		.amdhsa_user_sgpr_dispatch_id 0
		.amdhsa_user_sgpr_flat_scratch_init 0
		.amdhsa_user_sgpr_kernarg_preload_length 0
		.amdhsa_user_sgpr_kernarg_preload_offset 0
		.amdhsa_user_sgpr_private_segment_size 0
		.amdhsa_uses_dynamic_stack 0
		.amdhsa_system_sgpr_private_segment_wavefront_offset 0
		.amdhsa_system_sgpr_workgroup_id_x 1
		.amdhsa_system_sgpr_workgroup_id_y 0
		.amdhsa_system_sgpr_workgroup_id_z 0
		.amdhsa_system_sgpr_workgroup_info 0
		.amdhsa_system_vgpr_workitem_id 1
		.amdhsa_next_free_vgpr 14
		.amdhsa_next_free_sgpr 16
		.amdhsa_accum_offset 16
		.amdhsa_reserve_vcc 1
		.amdhsa_reserve_flat_scratch 0
		.amdhsa_float_round_mode_32 0
		.amdhsa_float_round_mode_16_64 0
		.amdhsa_float_denorm_mode_32 3
		.amdhsa_float_denorm_mode_16_64 3
		.amdhsa_dx10_clamp 1
		.amdhsa_ieee_mode 1
		.amdhsa_fp16_overflow 0
		.amdhsa_tg_split 0
		.amdhsa_exception_fp_ieee_invalid_op 0
		.amdhsa_exception_fp_denorm_src 0
		.amdhsa_exception_fp_ieee_div_zero 0
		.amdhsa_exception_fp_ieee_overflow 0
		.amdhsa_exception_fp_ieee_underflow 0
		.amdhsa_exception_fp_ieee_inexact 0
		.amdhsa_exception_int_div_zero 0
	.end_amdhsa_kernel
	.section	.text._ZN12_GLOBAL__N_121softmax_warp_backwardIfN3c108BFloat16EfLi3ELb1ELb0ELi64EEEvPT0_PKT_S7_iiiPKb,"axG",@progbits,_ZN12_GLOBAL__N_121softmax_warp_backwardIfN3c108BFloat16EfLi3ELb1ELb0ELi64EEEvPT0_PKT_S7_iiiPKb,comdat
.Lfunc_end330:
	.size	_ZN12_GLOBAL__N_121softmax_warp_backwardIfN3c108BFloat16EfLi3ELb1ELb0ELi64EEEvPT0_PKT_S7_iiiPKb, .Lfunc_end330-_ZN12_GLOBAL__N_121softmax_warp_backwardIfN3c108BFloat16EfLi3ELb1ELb0ELi64EEEvPT0_PKT_S7_iiiPKb
                                        ; -- End function
	.section	.AMDGPU.csdata,"",@progbits
; Kernel info:
; codeLenInByte = 888
; NumSgprs: 20
; NumVgprs: 14
; NumAgprs: 0
; TotalNumVgprs: 14
; ScratchSize: 0
; MemoryBound: 0
; FloatMode: 240
; IeeeMode: 1
; LDSByteSize: 0 bytes/workgroup (compile time only)
; SGPRBlocks: 2
; VGPRBlocks: 1
; NumSGPRsForWavesPerEU: 20
; NumVGPRsForWavesPerEU: 14
; AccumOffset: 16
; Occupancy: 8
; WaveLimiterHint : 0
; COMPUTE_PGM_RSRC2:SCRATCH_EN: 0
; COMPUTE_PGM_RSRC2:USER_SGPR: 6
; COMPUTE_PGM_RSRC2:TRAP_HANDLER: 0
; COMPUTE_PGM_RSRC2:TGID_X_EN: 1
; COMPUTE_PGM_RSRC2:TGID_Y_EN: 0
; COMPUTE_PGM_RSRC2:TGID_Z_EN: 0
; COMPUTE_PGM_RSRC2:TIDIG_COMP_CNT: 1
; COMPUTE_PGM_RSRC3_GFX90A:ACCUM_OFFSET: 3
; COMPUTE_PGM_RSRC3_GFX90A:TG_SPLIT: 0
	.section	.text._ZN12_GLOBAL__N_121softmax_warp_backwardIfN3c108BFloat16EfLi3ELb1ELb0ELi32EEEvPT0_PKT_S7_iiiPKb,"axG",@progbits,_ZN12_GLOBAL__N_121softmax_warp_backwardIfN3c108BFloat16EfLi3ELb1ELb0ELi32EEEvPT0_PKT_S7_iiiPKb,comdat
	.globl	_ZN12_GLOBAL__N_121softmax_warp_backwardIfN3c108BFloat16EfLi3ELb1ELb0ELi32EEEvPT0_PKT_S7_iiiPKb ; -- Begin function _ZN12_GLOBAL__N_121softmax_warp_backwardIfN3c108BFloat16EfLi3ELb1ELb0ELi32EEEvPT0_PKT_S7_iiiPKb
	.p2align	8
	.type	_ZN12_GLOBAL__N_121softmax_warp_backwardIfN3c108BFloat16EfLi3ELb1ELb0ELi32EEEvPT0_PKT_S7_iiiPKb,@function
_ZN12_GLOBAL__N_121softmax_warp_backwardIfN3c108BFloat16EfLi3ELb1ELb0ELi32EEEvPT0_PKT_S7_iiiPKb: ; @_ZN12_GLOBAL__N_121softmax_warp_backwardIfN3c108BFloat16EfLi3ELb1ELb0ELi32EEEvPT0_PKT_S7_iiiPKb
; %bb.0:
	s_load_dword s2, s[4:5], 0x3c
	s_load_dwordx4 s[8:11], s[4:5], 0x18
	s_load_dwordx4 s[12:15], s[4:5], 0x0
	s_load_dwordx2 s[0:1], s[4:5], 0x10
	v_bfe_u32 v1, v0, 10, 10
	s_waitcnt lgkmcnt(0)
	s_lshr_b32 s2, s2, 16
	s_mul_i32 s6, s6, s2
	v_add_lshl_u32 v1, s6, v1, 1
	v_and_b32_e32 v0, 7, v0
	v_mad_u64_u32 v[2:3], s[2:3], v1, s9, v[0:1]
	v_ashrrev_i32_e32 v3, 31, v2
	v_lshlrev_b64 v[6:7], 2, v[2:3]
	v_sub_u32_e32 v8, s8, v1
	v_mov_b32_e32 v1, s15
	v_add_co_u32_e32 v4, vcc, s14, v6
	v_addc_co_u32_e32 v5, vcc, v1, v7, vcc
	v_mov_b32_e32 v1, s1
	v_add_co_u32_e32 v6, vcc, s0, v6
	v_addc_co_u32_e32 v7, vcc, v1, v7, vcc
	v_cmp_gt_i32_e32 vcc, s10, v0
	v_cmp_lt_i32_e64 s[0:1], 0, v8
	s_and_b64 s[4:5], vcc, s[0:1]
	v_mov_b32_e32 v1, 0
	v_mov_b32_e32 v0, 0
	;; [unrolled: 1-line block ×3, first 2 shown]
	s_and_saveexec_b64 s[2:3], s[4:5]
	s_cbranch_execz .LBB331_2
; %bb.1:
	global_load_dword v0, v[4:5], off
	global_load_dword v10, v[6:7], off
.LBB331_2:
	s_or_b64 exec, exec, s[2:3]
	v_cmp_lt_i32_e64 s[2:3], 1, v8
	s_and_b64 s[2:3], vcc, s[2:3]
	s_mov_b32 s11, 0
	v_mov_b32_e32 v9, 0
	s_and_saveexec_b64 s[4:5], s[2:3]
	s_cbranch_execz .LBB331_4
; %bb.3:
	s_lshl_b64 s[6:7], s[10:11], 2
	v_mov_b32_e32 v9, s7
	v_add_co_u32_e64 v4, s[2:3], s6, v4
	v_addc_co_u32_e64 v5, s[2:3], v5, v9, s[2:3]
	global_load_dword v1, v[4:5], off
	v_add_co_u32_e64 v4, s[2:3], s6, v6
	v_addc_co_u32_e64 v5, s[2:3], v7, v9, s[2:3]
	global_load_dword v9, v[4:5], off
.LBB331_4:
	s_or_b64 exec, exec, s[4:5]
	v_mbcnt_lo_u32_b32 v6, -1, 0
	v_mbcnt_hi_u32_b32 v11, -1, v6
	v_and_b32_e32 v6, 0x78, v11
	v_add_u32_e32 v12, 8, v6
	v_xor_b32_e32 v6, 4, v11
	v_cmp_lt_i32_e64 s[2:3], v6, v12
	v_cndmask_b32_e64 v6, v11, v6, s[2:3]
	s_waitcnt vmcnt(1)
	v_pk_add_f32 v[4:5], v[0:1], 0 op_sel_hi:[1,0]
	v_lshlrev_b32_e32 v7, 2, v6
	ds_bpermute_b32 v6, v7, v4
	ds_bpermute_b32 v7, v7, v5
	v_xor_b32_e32 v13, 2, v11
	v_cmp_lt_i32_e64 s[2:3], v13, v12
	v_cndmask_b32_e64 v13, v11, v13, s[2:3]
	v_lshlrev_b32_e32 v13, 2, v13
	s_waitcnt lgkmcnt(0)
	v_pk_add_f32 v[4:5], v[4:5], v[6:7]
	ds_bpermute_b32 v6, v13, v4
	ds_bpermute_b32 v7, v13, v5
	v_xor_b32_e32 v13, 1, v11
	v_cmp_lt_i32_e64 s[2:3], v13, v12
	v_cndmask_b32_e64 v11, v11, v13, s[2:3]
	v_lshlrev_b32_e32 v11, 2, v11
	s_waitcnt lgkmcnt(0)
	v_pk_add_f32 v[4:5], v[4:5], v[6:7]
	ds_bpermute_b32 v6, v11, v4
	ds_bpermute_b32 v7, v11, v5
	s_and_saveexec_b64 s[2:3], s[0:1]
	s_cbranch_execz .LBB331_10
; %bb.5:
	v_lshlrev_b64 v[2:3], 1, v[2:3]
	v_mov_b32_e32 v11, s13
	v_add_co_u32_e64 v2, s[0:1], s12, v2
	v_addc_co_u32_e64 v3, s[0:1], v11, v3, s[0:1]
	s_waitcnt lgkmcnt(0)
	v_pk_add_f32 v[4:5], v[4:5], v[6:7]
	s_and_saveexec_b64 s[2:3], vcc
	s_cbranch_execz .LBB331_7
; %bb.6:
	s_waitcnt vmcnt(0)
	v_mul_f32_e32 v6, 0x3fb8aa3b, v10
	s_mov_b32 s0, 0x3fb8aa3b
	v_rndne_f32_e32 v7, v6
	v_sub_f32_e32 v11, v6, v7
	v_fma_f32 v6, v10, s0, -v6
	v_fmac_f32_e32 v6, 0x32a5705f, v10
	v_add_f32_e32 v6, v11, v6
	v_exp_f32_e32 v6, v6
	v_cvt_i32_f32_e32 v7, v7
	s_mov_b32 s0, 0xc2ce8ed0
	v_cmp_ngt_f32_e64 s[0:1], s0, v10
	v_ldexp_f32 v6, v6, v7
	v_cndmask_b32_e64 v6, 0, v6, s[0:1]
	s_mov_b32 s0, 0x42b17218
	v_mov_b32_e32 v7, 0x7f800000
	v_cmp_nlt_f32_e64 s[0:1], s0, v10
	v_cndmask_b32_e64 v6, v7, v6, s[0:1]
	v_fma_f32 v0, -v4, v6, v0
	v_bfe_u32 v4, v0, 16, 1
	s_movk_i32 s0, 0x7fff
	v_add3_u32 v4, v0, v4, s0
	v_lshrrev_b32_e32 v4, 16, v4
	v_mov_b32_e32 v6, 0x7fc0
	v_cmp_o_f32_e64 s[0:1], v0, v0
	v_cndmask_b32_e64 v0, v6, v4, s[0:1]
	global_store_short v[2:3], v0, off
.LBB331_7:
	s_or_b64 exec, exec, s[2:3]
	v_cmp_ne_u32_e64 s[0:1], 1, v8
	s_and_b64 exec, exec, s[0:1]
	s_cbranch_execz .LBB331_10
; %bb.8:
	s_and_b64 exec, exec, vcc
	s_cbranch_execz .LBB331_10
; %bb.9:
	s_waitcnt vmcnt(0)
	v_mul_f32_e32 v0, 0x3fb8aa3b, v9
	s_mov_b32 s0, 0x3fb8aa3b
	v_rndne_f32_e32 v4, v0
	v_sub_f32_e32 v6, v0, v4
	v_fma_f32 v0, v9, s0, -v0
	v_fmac_f32_e32 v0, 0x32a5705f, v9
	v_add_f32_e32 v0, v6, v0
	v_exp_f32_e32 v0, v0
	v_cvt_i32_f32_e32 v4, v4
	s_mov_b32 s0, 0xc2ce8ed0
	v_cmp_ngt_f32_e32 vcc, s0, v9
	s_mov_b32 s0, 0x42b17218
	v_ldexp_f32 v0, v0, v4
	v_cndmask_b32_e32 v0, 0, v0, vcc
	v_mov_b32_e32 v4, 0x7f800000
	v_cmp_nlt_f32_e32 vcc, s0, v9
	v_cndmask_b32_e32 v0, v4, v0, vcc
	v_fma_f32 v0, -v5, v0, v1
	v_bfe_u32 v1, v0, 16, 1
	s_movk_i32 s0, 0x7fff
	v_add3_u32 v1, v0, v1, s0
	v_lshrrev_b32_e32 v1, 16, v1
	v_mov_b32_e32 v4, 0x7fc0
	v_cmp_o_f32_e32 vcc, v0, v0
	s_lshl_b64 s[0:1], s[10:11], 1
	v_cndmask_b32_e32 v4, v4, v1, vcc
	v_mov_b32_e32 v1, s1
	v_add_co_u32_e32 v0, vcc, s0, v2
	v_addc_co_u32_e32 v1, vcc, v3, v1, vcc
	global_store_short v[0:1], v4, off
.LBB331_10:
	s_endpgm
	.section	.rodata,"a",@progbits
	.p2align	6, 0x0
	.amdhsa_kernel _ZN12_GLOBAL__N_121softmax_warp_backwardIfN3c108BFloat16EfLi3ELb1ELb0ELi32EEEvPT0_PKT_S7_iiiPKb
		.amdhsa_group_segment_fixed_size 0
		.amdhsa_private_segment_fixed_size 0
		.amdhsa_kernarg_size 304
		.amdhsa_user_sgpr_count 6
		.amdhsa_user_sgpr_private_segment_buffer 1
		.amdhsa_user_sgpr_dispatch_ptr 0
		.amdhsa_user_sgpr_queue_ptr 0
		.amdhsa_user_sgpr_kernarg_segment_ptr 1
		.amdhsa_user_sgpr_dispatch_id 0
		.amdhsa_user_sgpr_flat_scratch_init 0
		.amdhsa_user_sgpr_kernarg_preload_length 0
		.amdhsa_user_sgpr_kernarg_preload_offset 0
		.amdhsa_user_sgpr_private_segment_size 0
		.amdhsa_uses_dynamic_stack 0
		.amdhsa_system_sgpr_private_segment_wavefront_offset 0
		.amdhsa_system_sgpr_workgroup_id_x 1
		.amdhsa_system_sgpr_workgroup_id_y 0
		.amdhsa_system_sgpr_workgroup_id_z 0
		.amdhsa_system_sgpr_workgroup_info 0
		.amdhsa_system_vgpr_workitem_id 1
		.amdhsa_next_free_vgpr 14
		.amdhsa_next_free_sgpr 16
		.amdhsa_accum_offset 16
		.amdhsa_reserve_vcc 1
		.amdhsa_reserve_flat_scratch 0
		.amdhsa_float_round_mode_32 0
		.amdhsa_float_round_mode_16_64 0
		.amdhsa_float_denorm_mode_32 3
		.amdhsa_float_denorm_mode_16_64 3
		.amdhsa_dx10_clamp 1
		.amdhsa_ieee_mode 1
		.amdhsa_fp16_overflow 0
		.amdhsa_tg_split 0
		.amdhsa_exception_fp_ieee_invalid_op 0
		.amdhsa_exception_fp_denorm_src 0
		.amdhsa_exception_fp_ieee_div_zero 0
		.amdhsa_exception_fp_ieee_overflow 0
		.amdhsa_exception_fp_ieee_underflow 0
		.amdhsa_exception_fp_ieee_inexact 0
		.amdhsa_exception_int_div_zero 0
	.end_amdhsa_kernel
	.section	.text._ZN12_GLOBAL__N_121softmax_warp_backwardIfN3c108BFloat16EfLi3ELb1ELb0ELi32EEEvPT0_PKT_S7_iiiPKb,"axG",@progbits,_ZN12_GLOBAL__N_121softmax_warp_backwardIfN3c108BFloat16EfLi3ELb1ELb0ELi32EEEvPT0_PKT_S7_iiiPKb,comdat
.Lfunc_end331:
	.size	_ZN12_GLOBAL__N_121softmax_warp_backwardIfN3c108BFloat16EfLi3ELb1ELb0ELi32EEEvPT0_PKT_S7_iiiPKb, .Lfunc_end331-_ZN12_GLOBAL__N_121softmax_warp_backwardIfN3c108BFloat16EfLi3ELb1ELb0ELi32EEEvPT0_PKT_S7_iiiPKb
                                        ; -- End function
	.section	.AMDGPU.csdata,"",@progbits
; Kernel info:
; codeLenInByte = 888
; NumSgprs: 20
; NumVgprs: 14
; NumAgprs: 0
; TotalNumVgprs: 14
; ScratchSize: 0
; MemoryBound: 0
; FloatMode: 240
; IeeeMode: 1
; LDSByteSize: 0 bytes/workgroup (compile time only)
; SGPRBlocks: 2
; VGPRBlocks: 1
; NumSGPRsForWavesPerEU: 20
; NumVGPRsForWavesPerEU: 14
; AccumOffset: 16
; Occupancy: 8
; WaveLimiterHint : 0
; COMPUTE_PGM_RSRC2:SCRATCH_EN: 0
; COMPUTE_PGM_RSRC2:USER_SGPR: 6
; COMPUTE_PGM_RSRC2:TRAP_HANDLER: 0
; COMPUTE_PGM_RSRC2:TGID_X_EN: 1
; COMPUTE_PGM_RSRC2:TGID_Y_EN: 0
; COMPUTE_PGM_RSRC2:TGID_Z_EN: 0
; COMPUTE_PGM_RSRC2:TIDIG_COMP_CNT: 1
; COMPUTE_PGM_RSRC3_GFX90A:ACCUM_OFFSET: 3
; COMPUTE_PGM_RSRC3_GFX90A:TG_SPLIT: 0
	.section	.text._ZN12_GLOBAL__N_121softmax_warp_backwardIfN3c108BFloat16EfLi4ELb1ELb0ELi64EEEvPT0_PKT_S7_iiiPKb,"axG",@progbits,_ZN12_GLOBAL__N_121softmax_warp_backwardIfN3c108BFloat16EfLi4ELb1ELb0ELi64EEEvPT0_PKT_S7_iiiPKb,comdat
	.globl	_ZN12_GLOBAL__N_121softmax_warp_backwardIfN3c108BFloat16EfLi4ELb1ELb0ELi64EEEvPT0_PKT_S7_iiiPKb ; -- Begin function _ZN12_GLOBAL__N_121softmax_warp_backwardIfN3c108BFloat16EfLi4ELb1ELb0ELi64EEEvPT0_PKT_S7_iiiPKb
	.p2align	8
	.type	_ZN12_GLOBAL__N_121softmax_warp_backwardIfN3c108BFloat16EfLi4ELb1ELb0ELi64EEEvPT0_PKT_S7_iiiPKb,@function
_ZN12_GLOBAL__N_121softmax_warp_backwardIfN3c108BFloat16EfLi4ELb1ELb0ELi64EEEvPT0_PKT_S7_iiiPKb: ; @_ZN12_GLOBAL__N_121softmax_warp_backwardIfN3c108BFloat16EfLi4ELb1ELb0ELi64EEEvPT0_PKT_S7_iiiPKb
; %bb.0:
	s_load_dword s2, s[4:5], 0x3c
	s_load_dwordx4 s[8:11], s[4:5], 0x18
	s_load_dwordx4 s[12:15], s[4:5], 0x0
	s_load_dwordx2 s[0:1], s[4:5], 0x10
	v_bfe_u32 v1, v0, 10, 10
	s_waitcnt lgkmcnt(0)
	s_lshr_b32 s2, s2, 16
	s_mul_i32 s6, s6, s2
	v_add_lshl_u32 v1, s6, v1, 1
	v_and_b32_e32 v0, 15, v0
	v_mad_u64_u32 v[2:3], s[2:3], v1, s9, v[0:1]
	v_ashrrev_i32_e32 v3, 31, v2
	v_lshlrev_b64 v[6:7], 2, v[2:3]
	v_sub_u32_e32 v8, s8, v1
	v_mov_b32_e32 v1, s15
	v_add_co_u32_e32 v4, vcc, s14, v6
	v_addc_co_u32_e32 v5, vcc, v1, v7, vcc
	v_mov_b32_e32 v1, s1
	v_add_co_u32_e32 v6, vcc, s0, v6
	v_addc_co_u32_e32 v7, vcc, v1, v7, vcc
	v_cmp_gt_i32_e32 vcc, s10, v0
	v_cmp_lt_i32_e64 s[0:1], 0, v8
	s_and_b64 s[4:5], vcc, s[0:1]
	v_mov_b32_e32 v1, 0
	v_mov_b32_e32 v0, 0
	;; [unrolled: 1-line block ×3, first 2 shown]
	s_and_saveexec_b64 s[2:3], s[4:5]
	s_cbranch_execz .LBB332_2
; %bb.1:
	global_load_dword v0, v[4:5], off
	global_load_dword v10, v[6:7], off
.LBB332_2:
	s_or_b64 exec, exec, s[2:3]
	v_cmp_lt_i32_e64 s[2:3], 1, v8
	s_and_b64 s[2:3], vcc, s[2:3]
	s_mov_b32 s11, 0
	v_mov_b32_e32 v9, 0
	s_and_saveexec_b64 s[4:5], s[2:3]
	s_cbranch_execz .LBB332_4
; %bb.3:
	s_lshl_b64 s[6:7], s[10:11], 2
	v_mov_b32_e32 v9, s7
	v_add_co_u32_e64 v4, s[2:3], s6, v4
	v_addc_co_u32_e64 v5, s[2:3], v5, v9, s[2:3]
	global_load_dword v1, v[4:5], off
	v_add_co_u32_e64 v4, s[2:3], s6, v6
	v_addc_co_u32_e64 v5, s[2:3], v7, v9, s[2:3]
	global_load_dword v9, v[4:5], off
.LBB332_4:
	s_or_b64 exec, exec, s[4:5]
	v_mbcnt_lo_u32_b32 v6, -1, 0
	v_mbcnt_hi_u32_b32 v11, -1, v6
	v_and_b32_e32 v6, 0x70, v11
	v_add_u32_e32 v12, 16, v6
	v_xor_b32_e32 v6, 8, v11
	v_cmp_lt_i32_e64 s[2:3], v6, v12
	v_cndmask_b32_e64 v6, v11, v6, s[2:3]
	s_waitcnt vmcnt(1)
	v_pk_add_f32 v[4:5], v[0:1], 0 op_sel_hi:[1,0]
	v_lshlrev_b32_e32 v7, 2, v6
	ds_bpermute_b32 v6, v7, v4
	ds_bpermute_b32 v7, v7, v5
	v_xor_b32_e32 v13, 4, v11
	v_cmp_lt_i32_e64 s[2:3], v13, v12
	v_cndmask_b32_e64 v13, v11, v13, s[2:3]
	v_lshlrev_b32_e32 v13, 2, v13
	s_waitcnt lgkmcnt(0)
	v_pk_add_f32 v[4:5], v[4:5], v[6:7]
	ds_bpermute_b32 v6, v13, v4
	ds_bpermute_b32 v7, v13, v5
	v_xor_b32_e32 v13, 2, v11
	v_cmp_lt_i32_e64 s[2:3], v13, v12
	v_cndmask_b32_e64 v13, v11, v13, s[2:3]
	v_lshlrev_b32_e32 v13, 2, v13
	s_waitcnt lgkmcnt(0)
	v_pk_add_f32 v[4:5], v[4:5], v[6:7]
	;; [unrolled: 8-line block ×3, first 2 shown]
	ds_bpermute_b32 v6, v11, v4
	ds_bpermute_b32 v7, v11, v5
	s_and_saveexec_b64 s[2:3], s[0:1]
	s_cbranch_execz .LBB332_10
; %bb.5:
	v_lshlrev_b64 v[2:3], 1, v[2:3]
	v_mov_b32_e32 v11, s13
	v_add_co_u32_e64 v2, s[0:1], s12, v2
	v_addc_co_u32_e64 v3, s[0:1], v11, v3, s[0:1]
	s_waitcnt lgkmcnt(0)
	v_pk_add_f32 v[4:5], v[4:5], v[6:7]
	s_and_saveexec_b64 s[2:3], vcc
	s_cbranch_execz .LBB332_7
; %bb.6:
	s_waitcnt vmcnt(0)
	v_mul_f32_e32 v6, 0x3fb8aa3b, v10
	s_mov_b32 s0, 0x3fb8aa3b
	v_rndne_f32_e32 v7, v6
	v_sub_f32_e32 v11, v6, v7
	v_fma_f32 v6, v10, s0, -v6
	v_fmac_f32_e32 v6, 0x32a5705f, v10
	v_add_f32_e32 v6, v11, v6
	v_exp_f32_e32 v6, v6
	v_cvt_i32_f32_e32 v7, v7
	s_mov_b32 s0, 0xc2ce8ed0
	v_cmp_ngt_f32_e64 s[0:1], s0, v10
	v_ldexp_f32 v6, v6, v7
	v_cndmask_b32_e64 v6, 0, v6, s[0:1]
	s_mov_b32 s0, 0x42b17218
	v_mov_b32_e32 v7, 0x7f800000
	v_cmp_nlt_f32_e64 s[0:1], s0, v10
	v_cndmask_b32_e64 v6, v7, v6, s[0:1]
	v_fma_f32 v0, -v4, v6, v0
	v_bfe_u32 v4, v0, 16, 1
	s_movk_i32 s0, 0x7fff
	v_add3_u32 v4, v0, v4, s0
	v_lshrrev_b32_e32 v4, 16, v4
	v_mov_b32_e32 v6, 0x7fc0
	v_cmp_o_f32_e64 s[0:1], v0, v0
	v_cndmask_b32_e64 v0, v6, v4, s[0:1]
	global_store_short v[2:3], v0, off
.LBB332_7:
	s_or_b64 exec, exec, s[2:3]
	v_cmp_ne_u32_e64 s[0:1], 1, v8
	s_and_b64 exec, exec, s[0:1]
	s_cbranch_execz .LBB332_10
; %bb.8:
	s_and_b64 exec, exec, vcc
	s_cbranch_execz .LBB332_10
; %bb.9:
	s_waitcnt vmcnt(0)
	v_mul_f32_e32 v0, 0x3fb8aa3b, v9
	s_mov_b32 s0, 0x3fb8aa3b
	v_rndne_f32_e32 v4, v0
	v_sub_f32_e32 v6, v0, v4
	v_fma_f32 v0, v9, s0, -v0
	v_fmac_f32_e32 v0, 0x32a5705f, v9
	v_add_f32_e32 v0, v6, v0
	v_exp_f32_e32 v0, v0
	v_cvt_i32_f32_e32 v4, v4
	s_mov_b32 s0, 0xc2ce8ed0
	v_cmp_ngt_f32_e32 vcc, s0, v9
	s_mov_b32 s0, 0x42b17218
	v_ldexp_f32 v0, v0, v4
	v_cndmask_b32_e32 v0, 0, v0, vcc
	v_mov_b32_e32 v4, 0x7f800000
	v_cmp_nlt_f32_e32 vcc, s0, v9
	v_cndmask_b32_e32 v0, v4, v0, vcc
	v_fma_f32 v0, -v5, v0, v1
	v_bfe_u32 v1, v0, 16, 1
	s_movk_i32 s0, 0x7fff
	v_add3_u32 v1, v0, v1, s0
	v_lshrrev_b32_e32 v1, 16, v1
	v_mov_b32_e32 v4, 0x7fc0
	v_cmp_o_f32_e32 vcc, v0, v0
	s_lshl_b64 s[0:1], s[10:11], 1
	v_cndmask_b32_e32 v4, v4, v1, vcc
	v_mov_b32_e32 v1, s1
	v_add_co_u32_e32 v0, vcc, s0, v2
	v_addc_co_u32_e32 v1, vcc, v3, v1, vcc
	global_store_short v[0:1], v4, off
.LBB332_10:
	s_endpgm
	.section	.rodata,"a",@progbits
	.p2align	6, 0x0
	.amdhsa_kernel _ZN12_GLOBAL__N_121softmax_warp_backwardIfN3c108BFloat16EfLi4ELb1ELb0ELi64EEEvPT0_PKT_S7_iiiPKb
		.amdhsa_group_segment_fixed_size 0
		.amdhsa_private_segment_fixed_size 0
		.amdhsa_kernarg_size 304
		.amdhsa_user_sgpr_count 6
		.amdhsa_user_sgpr_private_segment_buffer 1
		.amdhsa_user_sgpr_dispatch_ptr 0
		.amdhsa_user_sgpr_queue_ptr 0
		.amdhsa_user_sgpr_kernarg_segment_ptr 1
		.amdhsa_user_sgpr_dispatch_id 0
		.amdhsa_user_sgpr_flat_scratch_init 0
		.amdhsa_user_sgpr_kernarg_preload_length 0
		.amdhsa_user_sgpr_kernarg_preload_offset 0
		.amdhsa_user_sgpr_private_segment_size 0
		.amdhsa_uses_dynamic_stack 0
		.amdhsa_system_sgpr_private_segment_wavefront_offset 0
		.amdhsa_system_sgpr_workgroup_id_x 1
		.amdhsa_system_sgpr_workgroup_id_y 0
		.amdhsa_system_sgpr_workgroup_id_z 0
		.amdhsa_system_sgpr_workgroup_info 0
		.amdhsa_system_vgpr_workitem_id 1
		.amdhsa_next_free_vgpr 14
		.amdhsa_next_free_sgpr 16
		.amdhsa_accum_offset 16
		.amdhsa_reserve_vcc 1
		.amdhsa_reserve_flat_scratch 0
		.amdhsa_float_round_mode_32 0
		.amdhsa_float_round_mode_16_64 0
		.amdhsa_float_denorm_mode_32 3
		.amdhsa_float_denorm_mode_16_64 3
		.amdhsa_dx10_clamp 1
		.amdhsa_ieee_mode 1
		.amdhsa_fp16_overflow 0
		.amdhsa_tg_split 0
		.amdhsa_exception_fp_ieee_invalid_op 0
		.amdhsa_exception_fp_denorm_src 0
		.amdhsa_exception_fp_ieee_div_zero 0
		.amdhsa_exception_fp_ieee_overflow 0
		.amdhsa_exception_fp_ieee_underflow 0
		.amdhsa_exception_fp_ieee_inexact 0
		.amdhsa_exception_int_div_zero 0
	.end_amdhsa_kernel
	.section	.text._ZN12_GLOBAL__N_121softmax_warp_backwardIfN3c108BFloat16EfLi4ELb1ELb0ELi64EEEvPT0_PKT_S7_iiiPKb,"axG",@progbits,_ZN12_GLOBAL__N_121softmax_warp_backwardIfN3c108BFloat16EfLi4ELb1ELb0ELi64EEEvPT0_PKT_S7_iiiPKb,comdat
.Lfunc_end332:
	.size	_ZN12_GLOBAL__N_121softmax_warp_backwardIfN3c108BFloat16EfLi4ELb1ELb0ELi64EEEvPT0_PKT_S7_iiiPKb, .Lfunc_end332-_ZN12_GLOBAL__N_121softmax_warp_backwardIfN3c108BFloat16EfLi4ELb1ELb0ELi64EEEvPT0_PKT_S7_iiiPKb
                                        ; -- End function
	.section	.AMDGPU.csdata,"",@progbits
; Kernel info:
; codeLenInByte = 940
; NumSgprs: 20
; NumVgprs: 14
; NumAgprs: 0
; TotalNumVgprs: 14
; ScratchSize: 0
; MemoryBound: 0
; FloatMode: 240
; IeeeMode: 1
; LDSByteSize: 0 bytes/workgroup (compile time only)
; SGPRBlocks: 2
; VGPRBlocks: 1
; NumSGPRsForWavesPerEU: 20
; NumVGPRsForWavesPerEU: 14
; AccumOffset: 16
; Occupancy: 8
; WaveLimiterHint : 0
; COMPUTE_PGM_RSRC2:SCRATCH_EN: 0
; COMPUTE_PGM_RSRC2:USER_SGPR: 6
; COMPUTE_PGM_RSRC2:TRAP_HANDLER: 0
; COMPUTE_PGM_RSRC2:TGID_X_EN: 1
; COMPUTE_PGM_RSRC2:TGID_Y_EN: 0
; COMPUTE_PGM_RSRC2:TGID_Z_EN: 0
; COMPUTE_PGM_RSRC2:TIDIG_COMP_CNT: 1
; COMPUTE_PGM_RSRC3_GFX90A:ACCUM_OFFSET: 3
; COMPUTE_PGM_RSRC3_GFX90A:TG_SPLIT: 0
	.section	.text._ZN12_GLOBAL__N_121softmax_warp_backwardIfN3c108BFloat16EfLi4ELb1ELb0ELi32EEEvPT0_PKT_S7_iiiPKb,"axG",@progbits,_ZN12_GLOBAL__N_121softmax_warp_backwardIfN3c108BFloat16EfLi4ELb1ELb0ELi32EEEvPT0_PKT_S7_iiiPKb,comdat
	.globl	_ZN12_GLOBAL__N_121softmax_warp_backwardIfN3c108BFloat16EfLi4ELb1ELb0ELi32EEEvPT0_PKT_S7_iiiPKb ; -- Begin function _ZN12_GLOBAL__N_121softmax_warp_backwardIfN3c108BFloat16EfLi4ELb1ELb0ELi32EEEvPT0_PKT_S7_iiiPKb
	.p2align	8
	.type	_ZN12_GLOBAL__N_121softmax_warp_backwardIfN3c108BFloat16EfLi4ELb1ELb0ELi32EEEvPT0_PKT_S7_iiiPKb,@function
_ZN12_GLOBAL__N_121softmax_warp_backwardIfN3c108BFloat16EfLi4ELb1ELb0ELi32EEEvPT0_PKT_S7_iiiPKb: ; @_ZN12_GLOBAL__N_121softmax_warp_backwardIfN3c108BFloat16EfLi4ELb1ELb0ELi32EEEvPT0_PKT_S7_iiiPKb
; %bb.0:
	s_load_dword s2, s[4:5], 0x3c
	s_load_dwordx4 s[8:11], s[4:5], 0x18
	s_load_dwordx4 s[12:15], s[4:5], 0x0
	s_load_dwordx2 s[0:1], s[4:5], 0x10
	v_bfe_u32 v1, v0, 10, 10
	s_waitcnt lgkmcnt(0)
	s_lshr_b32 s2, s2, 16
	s_mul_i32 s6, s6, s2
	v_add_lshl_u32 v1, s6, v1, 1
	v_and_b32_e32 v0, 15, v0
	v_mad_u64_u32 v[2:3], s[2:3], v1, s9, v[0:1]
	v_ashrrev_i32_e32 v3, 31, v2
	v_lshlrev_b64 v[6:7], 2, v[2:3]
	v_sub_u32_e32 v8, s8, v1
	v_mov_b32_e32 v1, s15
	v_add_co_u32_e32 v4, vcc, s14, v6
	v_addc_co_u32_e32 v5, vcc, v1, v7, vcc
	v_mov_b32_e32 v1, s1
	v_add_co_u32_e32 v6, vcc, s0, v6
	v_addc_co_u32_e32 v7, vcc, v1, v7, vcc
	v_cmp_gt_i32_e32 vcc, s10, v0
	v_cmp_lt_i32_e64 s[0:1], 0, v8
	s_and_b64 s[4:5], vcc, s[0:1]
	v_mov_b32_e32 v1, 0
	v_mov_b32_e32 v0, 0
	;; [unrolled: 1-line block ×3, first 2 shown]
	s_and_saveexec_b64 s[2:3], s[4:5]
	s_cbranch_execz .LBB333_2
; %bb.1:
	global_load_dword v0, v[4:5], off
	global_load_dword v10, v[6:7], off
.LBB333_2:
	s_or_b64 exec, exec, s[2:3]
	v_cmp_lt_i32_e64 s[2:3], 1, v8
	s_and_b64 s[2:3], vcc, s[2:3]
	s_mov_b32 s11, 0
	v_mov_b32_e32 v9, 0
	s_and_saveexec_b64 s[4:5], s[2:3]
	s_cbranch_execz .LBB333_4
; %bb.3:
	s_lshl_b64 s[6:7], s[10:11], 2
	v_mov_b32_e32 v9, s7
	v_add_co_u32_e64 v4, s[2:3], s6, v4
	v_addc_co_u32_e64 v5, s[2:3], v5, v9, s[2:3]
	global_load_dword v1, v[4:5], off
	v_add_co_u32_e64 v4, s[2:3], s6, v6
	v_addc_co_u32_e64 v5, s[2:3], v7, v9, s[2:3]
	global_load_dword v9, v[4:5], off
.LBB333_4:
	s_or_b64 exec, exec, s[4:5]
	v_mbcnt_lo_u32_b32 v6, -1, 0
	v_mbcnt_hi_u32_b32 v11, -1, v6
	v_and_b32_e32 v6, 0x70, v11
	v_add_u32_e32 v12, 16, v6
	v_xor_b32_e32 v6, 8, v11
	v_cmp_lt_i32_e64 s[2:3], v6, v12
	v_cndmask_b32_e64 v6, v11, v6, s[2:3]
	s_waitcnt vmcnt(1)
	v_pk_add_f32 v[4:5], v[0:1], 0 op_sel_hi:[1,0]
	v_lshlrev_b32_e32 v7, 2, v6
	ds_bpermute_b32 v6, v7, v4
	ds_bpermute_b32 v7, v7, v5
	v_xor_b32_e32 v13, 4, v11
	v_cmp_lt_i32_e64 s[2:3], v13, v12
	v_cndmask_b32_e64 v13, v11, v13, s[2:3]
	v_lshlrev_b32_e32 v13, 2, v13
	s_waitcnt lgkmcnt(0)
	v_pk_add_f32 v[4:5], v[4:5], v[6:7]
	ds_bpermute_b32 v6, v13, v4
	ds_bpermute_b32 v7, v13, v5
	v_xor_b32_e32 v13, 2, v11
	v_cmp_lt_i32_e64 s[2:3], v13, v12
	v_cndmask_b32_e64 v13, v11, v13, s[2:3]
	v_lshlrev_b32_e32 v13, 2, v13
	s_waitcnt lgkmcnt(0)
	v_pk_add_f32 v[4:5], v[4:5], v[6:7]
	;; [unrolled: 8-line block ×3, first 2 shown]
	ds_bpermute_b32 v6, v11, v4
	ds_bpermute_b32 v7, v11, v5
	s_and_saveexec_b64 s[2:3], s[0:1]
	s_cbranch_execz .LBB333_10
; %bb.5:
	v_lshlrev_b64 v[2:3], 1, v[2:3]
	v_mov_b32_e32 v11, s13
	v_add_co_u32_e64 v2, s[0:1], s12, v2
	v_addc_co_u32_e64 v3, s[0:1], v11, v3, s[0:1]
	s_waitcnt lgkmcnt(0)
	v_pk_add_f32 v[4:5], v[4:5], v[6:7]
	s_and_saveexec_b64 s[2:3], vcc
	s_cbranch_execz .LBB333_7
; %bb.6:
	s_waitcnt vmcnt(0)
	v_mul_f32_e32 v6, 0x3fb8aa3b, v10
	s_mov_b32 s0, 0x3fb8aa3b
	v_rndne_f32_e32 v7, v6
	v_sub_f32_e32 v11, v6, v7
	v_fma_f32 v6, v10, s0, -v6
	v_fmac_f32_e32 v6, 0x32a5705f, v10
	v_add_f32_e32 v6, v11, v6
	v_exp_f32_e32 v6, v6
	v_cvt_i32_f32_e32 v7, v7
	s_mov_b32 s0, 0xc2ce8ed0
	v_cmp_ngt_f32_e64 s[0:1], s0, v10
	v_ldexp_f32 v6, v6, v7
	v_cndmask_b32_e64 v6, 0, v6, s[0:1]
	s_mov_b32 s0, 0x42b17218
	v_mov_b32_e32 v7, 0x7f800000
	v_cmp_nlt_f32_e64 s[0:1], s0, v10
	v_cndmask_b32_e64 v6, v7, v6, s[0:1]
	v_fma_f32 v0, -v4, v6, v0
	v_bfe_u32 v4, v0, 16, 1
	s_movk_i32 s0, 0x7fff
	v_add3_u32 v4, v0, v4, s0
	v_lshrrev_b32_e32 v4, 16, v4
	v_mov_b32_e32 v6, 0x7fc0
	v_cmp_o_f32_e64 s[0:1], v0, v0
	v_cndmask_b32_e64 v0, v6, v4, s[0:1]
	global_store_short v[2:3], v0, off
.LBB333_7:
	s_or_b64 exec, exec, s[2:3]
	v_cmp_ne_u32_e64 s[0:1], 1, v8
	s_and_b64 exec, exec, s[0:1]
	s_cbranch_execz .LBB333_10
; %bb.8:
	s_and_b64 exec, exec, vcc
	s_cbranch_execz .LBB333_10
; %bb.9:
	s_waitcnt vmcnt(0)
	v_mul_f32_e32 v0, 0x3fb8aa3b, v9
	s_mov_b32 s0, 0x3fb8aa3b
	v_rndne_f32_e32 v4, v0
	v_sub_f32_e32 v6, v0, v4
	v_fma_f32 v0, v9, s0, -v0
	v_fmac_f32_e32 v0, 0x32a5705f, v9
	v_add_f32_e32 v0, v6, v0
	v_exp_f32_e32 v0, v0
	v_cvt_i32_f32_e32 v4, v4
	s_mov_b32 s0, 0xc2ce8ed0
	v_cmp_ngt_f32_e32 vcc, s0, v9
	s_mov_b32 s0, 0x42b17218
	v_ldexp_f32 v0, v0, v4
	v_cndmask_b32_e32 v0, 0, v0, vcc
	v_mov_b32_e32 v4, 0x7f800000
	v_cmp_nlt_f32_e32 vcc, s0, v9
	v_cndmask_b32_e32 v0, v4, v0, vcc
	v_fma_f32 v0, -v5, v0, v1
	v_bfe_u32 v1, v0, 16, 1
	s_movk_i32 s0, 0x7fff
	v_add3_u32 v1, v0, v1, s0
	v_lshrrev_b32_e32 v1, 16, v1
	v_mov_b32_e32 v4, 0x7fc0
	v_cmp_o_f32_e32 vcc, v0, v0
	s_lshl_b64 s[0:1], s[10:11], 1
	v_cndmask_b32_e32 v4, v4, v1, vcc
	v_mov_b32_e32 v1, s1
	v_add_co_u32_e32 v0, vcc, s0, v2
	v_addc_co_u32_e32 v1, vcc, v3, v1, vcc
	global_store_short v[0:1], v4, off
.LBB333_10:
	s_endpgm
	.section	.rodata,"a",@progbits
	.p2align	6, 0x0
	.amdhsa_kernel _ZN12_GLOBAL__N_121softmax_warp_backwardIfN3c108BFloat16EfLi4ELb1ELb0ELi32EEEvPT0_PKT_S7_iiiPKb
		.amdhsa_group_segment_fixed_size 0
		.amdhsa_private_segment_fixed_size 0
		.amdhsa_kernarg_size 304
		.amdhsa_user_sgpr_count 6
		.amdhsa_user_sgpr_private_segment_buffer 1
		.amdhsa_user_sgpr_dispatch_ptr 0
		.amdhsa_user_sgpr_queue_ptr 0
		.amdhsa_user_sgpr_kernarg_segment_ptr 1
		.amdhsa_user_sgpr_dispatch_id 0
		.amdhsa_user_sgpr_flat_scratch_init 0
		.amdhsa_user_sgpr_kernarg_preload_length 0
		.amdhsa_user_sgpr_kernarg_preload_offset 0
		.amdhsa_user_sgpr_private_segment_size 0
		.amdhsa_uses_dynamic_stack 0
		.amdhsa_system_sgpr_private_segment_wavefront_offset 0
		.amdhsa_system_sgpr_workgroup_id_x 1
		.amdhsa_system_sgpr_workgroup_id_y 0
		.amdhsa_system_sgpr_workgroup_id_z 0
		.amdhsa_system_sgpr_workgroup_info 0
		.amdhsa_system_vgpr_workitem_id 1
		.amdhsa_next_free_vgpr 14
		.amdhsa_next_free_sgpr 16
		.amdhsa_accum_offset 16
		.amdhsa_reserve_vcc 1
		.amdhsa_reserve_flat_scratch 0
		.amdhsa_float_round_mode_32 0
		.amdhsa_float_round_mode_16_64 0
		.amdhsa_float_denorm_mode_32 3
		.amdhsa_float_denorm_mode_16_64 3
		.amdhsa_dx10_clamp 1
		.amdhsa_ieee_mode 1
		.amdhsa_fp16_overflow 0
		.amdhsa_tg_split 0
		.amdhsa_exception_fp_ieee_invalid_op 0
		.amdhsa_exception_fp_denorm_src 0
		.amdhsa_exception_fp_ieee_div_zero 0
		.amdhsa_exception_fp_ieee_overflow 0
		.amdhsa_exception_fp_ieee_underflow 0
		.amdhsa_exception_fp_ieee_inexact 0
		.amdhsa_exception_int_div_zero 0
	.end_amdhsa_kernel
	.section	.text._ZN12_GLOBAL__N_121softmax_warp_backwardIfN3c108BFloat16EfLi4ELb1ELb0ELi32EEEvPT0_PKT_S7_iiiPKb,"axG",@progbits,_ZN12_GLOBAL__N_121softmax_warp_backwardIfN3c108BFloat16EfLi4ELb1ELb0ELi32EEEvPT0_PKT_S7_iiiPKb,comdat
.Lfunc_end333:
	.size	_ZN12_GLOBAL__N_121softmax_warp_backwardIfN3c108BFloat16EfLi4ELb1ELb0ELi32EEEvPT0_PKT_S7_iiiPKb, .Lfunc_end333-_ZN12_GLOBAL__N_121softmax_warp_backwardIfN3c108BFloat16EfLi4ELb1ELb0ELi32EEEvPT0_PKT_S7_iiiPKb
                                        ; -- End function
	.section	.AMDGPU.csdata,"",@progbits
; Kernel info:
; codeLenInByte = 940
; NumSgprs: 20
; NumVgprs: 14
; NumAgprs: 0
; TotalNumVgprs: 14
; ScratchSize: 0
; MemoryBound: 0
; FloatMode: 240
; IeeeMode: 1
; LDSByteSize: 0 bytes/workgroup (compile time only)
; SGPRBlocks: 2
; VGPRBlocks: 1
; NumSGPRsForWavesPerEU: 20
; NumVGPRsForWavesPerEU: 14
; AccumOffset: 16
; Occupancy: 8
; WaveLimiterHint : 0
; COMPUTE_PGM_RSRC2:SCRATCH_EN: 0
; COMPUTE_PGM_RSRC2:USER_SGPR: 6
; COMPUTE_PGM_RSRC2:TRAP_HANDLER: 0
; COMPUTE_PGM_RSRC2:TGID_X_EN: 1
; COMPUTE_PGM_RSRC2:TGID_Y_EN: 0
; COMPUTE_PGM_RSRC2:TGID_Z_EN: 0
; COMPUTE_PGM_RSRC2:TIDIG_COMP_CNT: 1
; COMPUTE_PGM_RSRC3_GFX90A:ACCUM_OFFSET: 3
; COMPUTE_PGM_RSRC3_GFX90A:TG_SPLIT: 0
	.section	.text._ZN12_GLOBAL__N_121softmax_warp_backwardIfN3c108BFloat16EfLi5ELb1ELb0ELi64EEEvPT0_PKT_S7_iiiPKb,"axG",@progbits,_ZN12_GLOBAL__N_121softmax_warp_backwardIfN3c108BFloat16EfLi5ELb1ELb0ELi64EEEvPT0_PKT_S7_iiiPKb,comdat
	.globl	_ZN12_GLOBAL__N_121softmax_warp_backwardIfN3c108BFloat16EfLi5ELb1ELb0ELi64EEEvPT0_PKT_S7_iiiPKb ; -- Begin function _ZN12_GLOBAL__N_121softmax_warp_backwardIfN3c108BFloat16EfLi5ELb1ELb0ELi64EEEvPT0_PKT_S7_iiiPKb
	.p2align	8
	.type	_ZN12_GLOBAL__N_121softmax_warp_backwardIfN3c108BFloat16EfLi5ELb1ELb0ELi64EEEvPT0_PKT_S7_iiiPKb,@function
_ZN12_GLOBAL__N_121softmax_warp_backwardIfN3c108BFloat16EfLi5ELb1ELb0ELi64EEEvPT0_PKT_S7_iiiPKb: ; @_ZN12_GLOBAL__N_121softmax_warp_backwardIfN3c108BFloat16EfLi5ELb1ELb0ELi64EEEvPT0_PKT_S7_iiiPKb
; %bb.0:
	s_load_dword s2, s[4:5], 0x3c
	s_load_dwordx4 s[8:11], s[4:5], 0x18
	s_load_dwordx4 s[12:15], s[4:5], 0x0
	s_load_dwordx2 s[0:1], s[4:5], 0x10
	v_bfe_u32 v1, v0, 10, 10
	s_waitcnt lgkmcnt(0)
	s_lshr_b32 s2, s2, 16
	s_mul_i32 s6, s6, s2
	v_add_lshl_u32 v1, s6, v1, 1
	v_and_b32_e32 v0, 31, v0
	v_mad_u64_u32 v[2:3], s[2:3], v1, s9, v[0:1]
	v_ashrrev_i32_e32 v3, 31, v2
	v_lshlrev_b64 v[6:7], 2, v[2:3]
	v_sub_u32_e32 v8, s8, v1
	v_mov_b32_e32 v1, s15
	v_add_co_u32_e32 v4, vcc, s14, v6
	v_addc_co_u32_e32 v5, vcc, v1, v7, vcc
	v_mov_b32_e32 v1, s1
	v_add_co_u32_e32 v6, vcc, s0, v6
	v_addc_co_u32_e32 v7, vcc, v1, v7, vcc
	v_cmp_gt_i32_e32 vcc, s10, v0
	v_cmp_lt_i32_e64 s[0:1], 0, v8
	s_and_b64 s[4:5], vcc, s[0:1]
	v_mov_b32_e32 v1, 0
	v_mov_b32_e32 v0, 0
	;; [unrolled: 1-line block ×3, first 2 shown]
	s_and_saveexec_b64 s[2:3], s[4:5]
	s_cbranch_execz .LBB334_2
; %bb.1:
	global_load_dword v0, v[4:5], off
	global_load_dword v10, v[6:7], off
.LBB334_2:
	s_or_b64 exec, exec, s[2:3]
	v_cmp_lt_i32_e64 s[2:3], 1, v8
	s_and_b64 s[2:3], vcc, s[2:3]
	s_mov_b32 s11, 0
	v_mov_b32_e32 v9, 0
	s_and_saveexec_b64 s[4:5], s[2:3]
	s_cbranch_execz .LBB334_4
; %bb.3:
	s_lshl_b64 s[6:7], s[10:11], 2
	v_mov_b32_e32 v9, s7
	v_add_co_u32_e64 v4, s[2:3], s6, v4
	v_addc_co_u32_e64 v5, s[2:3], v5, v9, s[2:3]
	global_load_dword v1, v[4:5], off
	v_add_co_u32_e64 v4, s[2:3], s6, v6
	v_addc_co_u32_e64 v5, s[2:3], v7, v9, s[2:3]
	global_load_dword v9, v[4:5], off
.LBB334_4:
	s_or_b64 exec, exec, s[4:5]
	v_mbcnt_lo_u32_b32 v6, -1, 0
	v_mbcnt_hi_u32_b32 v11, -1, v6
	v_and_b32_e32 v6, 0x60, v11
	v_add_u32_e32 v12, 32, v6
	v_xor_b32_e32 v6, 16, v11
	v_cmp_lt_i32_e64 s[2:3], v6, v12
	v_cndmask_b32_e64 v6, v11, v6, s[2:3]
	s_waitcnt vmcnt(1)
	v_pk_add_f32 v[4:5], v[0:1], 0 op_sel_hi:[1,0]
	v_lshlrev_b32_e32 v7, 2, v6
	ds_bpermute_b32 v6, v7, v4
	ds_bpermute_b32 v7, v7, v5
	v_xor_b32_e32 v13, 8, v11
	v_cmp_lt_i32_e64 s[2:3], v13, v12
	v_cndmask_b32_e64 v13, v11, v13, s[2:3]
	v_lshlrev_b32_e32 v13, 2, v13
	s_waitcnt lgkmcnt(0)
	v_pk_add_f32 v[4:5], v[4:5], v[6:7]
	ds_bpermute_b32 v6, v13, v4
	ds_bpermute_b32 v7, v13, v5
	v_xor_b32_e32 v13, 4, v11
	v_cmp_lt_i32_e64 s[2:3], v13, v12
	v_cndmask_b32_e64 v13, v11, v13, s[2:3]
	v_lshlrev_b32_e32 v13, 2, v13
	s_waitcnt lgkmcnt(0)
	v_pk_add_f32 v[4:5], v[4:5], v[6:7]
	ds_bpermute_b32 v6, v13, v4
	ds_bpermute_b32 v7, v13, v5
	v_xor_b32_e32 v13, 2, v11
	v_cmp_lt_i32_e64 s[2:3], v13, v12
	v_cndmask_b32_e64 v13, v11, v13, s[2:3]
	v_lshlrev_b32_e32 v13, 2, v13
	s_waitcnt lgkmcnt(0)
	v_pk_add_f32 v[4:5], v[4:5], v[6:7]
	ds_bpermute_b32 v6, v13, v4
	ds_bpermute_b32 v7, v13, v5
	v_xor_b32_e32 v13, 1, v11
	v_cmp_lt_i32_e64 s[2:3], v13, v12
	v_cndmask_b32_e64 v11, v11, v13, s[2:3]
	v_lshlrev_b32_e32 v11, 2, v11
	s_waitcnt lgkmcnt(0)
	v_pk_add_f32 v[4:5], v[4:5], v[6:7]
	ds_bpermute_b32 v6, v11, v4
	ds_bpermute_b32 v7, v11, v5
	s_and_saveexec_b64 s[2:3], s[0:1]
	s_cbranch_execz .LBB334_10
; %bb.5:
	v_lshlrev_b64 v[2:3], 1, v[2:3]
	v_mov_b32_e32 v11, s13
	v_add_co_u32_e64 v2, s[0:1], s12, v2
	v_addc_co_u32_e64 v3, s[0:1], v11, v3, s[0:1]
	s_waitcnt lgkmcnt(0)
	v_pk_add_f32 v[4:5], v[4:5], v[6:7]
	s_and_saveexec_b64 s[2:3], vcc
	s_cbranch_execz .LBB334_7
; %bb.6:
	s_waitcnt vmcnt(0)
	v_mul_f32_e32 v6, 0x3fb8aa3b, v10
	s_mov_b32 s0, 0x3fb8aa3b
	v_rndne_f32_e32 v7, v6
	v_sub_f32_e32 v11, v6, v7
	v_fma_f32 v6, v10, s0, -v6
	v_fmac_f32_e32 v6, 0x32a5705f, v10
	v_add_f32_e32 v6, v11, v6
	v_exp_f32_e32 v6, v6
	v_cvt_i32_f32_e32 v7, v7
	s_mov_b32 s0, 0xc2ce8ed0
	v_cmp_ngt_f32_e64 s[0:1], s0, v10
	v_ldexp_f32 v6, v6, v7
	v_cndmask_b32_e64 v6, 0, v6, s[0:1]
	s_mov_b32 s0, 0x42b17218
	v_mov_b32_e32 v7, 0x7f800000
	v_cmp_nlt_f32_e64 s[0:1], s0, v10
	v_cndmask_b32_e64 v6, v7, v6, s[0:1]
	v_fma_f32 v0, -v4, v6, v0
	v_bfe_u32 v4, v0, 16, 1
	s_movk_i32 s0, 0x7fff
	v_add3_u32 v4, v0, v4, s0
	v_lshrrev_b32_e32 v4, 16, v4
	v_mov_b32_e32 v6, 0x7fc0
	v_cmp_o_f32_e64 s[0:1], v0, v0
	v_cndmask_b32_e64 v0, v6, v4, s[0:1]
	global_store_short v[2:3], v0, off
.LBB334_7:
	s_or_b64 exec, exec, s[2:3]
	v_cmp_ne_u32_e64 s[0:1], 1, v8
	s_and_b64 exec, exec, s[0:1]
	s_cbranch_execz .LBB334_10
; %bb.8:
	s_and_b64 exec, exec, vcc
	s_cbranch_execz .LBB334_10
; %bb.9:
	s_waitcnt vmcnt(0)
	v_mul_f32_e32 v0, 0x3fb8aa3b, v9
	s_mov_b32 s0, 0x3fb8aa3b
	v_rndne_f32_e32 v4, v0
	v_sub_f32_e32 v6, v0, v4
	v_fma_f32 v0, v9, s0, -v0
	v_fmac_f32_e32 v0, 0x32a5705f, v9
	v_add_f32_e32 v0, v6, v0
	v_exp_f32_e32 v0, v0
	v_cvt_i32_f32_e32 v4, v4
	s_mov_b32 s0, 0xc2ce8ed0
	v_cmp_ngt_f32_e32 vcc, s0, v9
	s_mov_b32 s0, 0x42b17218
	v_ldexp_f32 v0, v0, v4
	v_cndmask_b32_e32 v0, 0, v0, vcc
	v_mov_b32_e32 v4, 0x7f800000
	v_cmp_nlt_f32_e32 vcc, s0, v9
	v_cndmask_b32_e32 v0, v4, v0, vcc
	v_fma_f32 v0, -v5, v0, v1
	v_bfe_u32 v1, v0, 16, 1
	s_movk_i32 s0, 0x7fff
	v_add3_u32 v1, v0, v1, s0
	v_lshrrev_b32_e32 v1, 16, v1
	v_mov_b32_e32 v4, 0x7fc0
	v_cmp_o_f32_e32 vcc, v0, v0
	s_lshl_b64 s[0:1], s[10:11], 1
	v_cndmask_b32_e32 v4, v4, v1, vcc
	v_mov_b32_e32 v1, s1
	v_add_co_u32_e32 v0, vcc, s0, v2
	v_addc_co_u32_e32 v1, vcc, v3, v1, vcc
	global_store_short v[0:1], v4, off
.LBB334_10:
	s_endpgm
	.section	.rodata,"a",@progbits
	.p2align	6, 0x0
	.amdhsa_kernel _ZN12_GLOBAL__N_121softmax_warp_backwardIfN3c108BFloat16EfLi5ELb1ELb0ELi64EEEvPT0_PKT_S7_iiiPKb
		.amdhsa_group_segment_fixed_size 0
		.amdhsa_private_segment_fixed_size 0
		.amdhsa_kernarg_size 304
		.amdhsa_user_sgpr_count 6
		.amdhsa_user_sgpr_private_segment_buffer 1
		.amdhsa_user_sgpr_dispatch_ptr 0
		.amdhsa_user_sgpr_queue_ptr 0
		.amdhsa_user_sgpr_kernarg_segment_ptr 1
		.amdhsa_user_sgpr_dispatch_id 0
		.amdhsa_user_sgpr_flat_scratch_init 0
		.amdhsa_user_sgpr_kernarg_preload_length 0
		.amdhsa_user_sgpr_kernarg_preload_offset 0
		.amdhsa_user_sgpr_private_segment_size 0
		.amdhsa_uses_dynamic_stack 0
		.amdhsa_system_sgpr_private_segment_wavefront_offset 0
		.amdhsa_system_sgpr_workgroup_id_x 1
		.amdhsa_system_sgpr_workgroup_id_y 0
		.amdhsa_system_sgpr_workgroup_id_z 0
		.amdhsa_system_sgpr_workgroup_info 0
		.amdhsa_system_vgpr_workitem_id 1
		.amdhsa_next_free_vgpr 14
		.amdhsa_next_free_sgpr 16
		.amdhsa_accum_offset 16
		.amdhsa_reserve_vcc 1
		.amdhsa_reserve_flat_scratch 0
		.amdhsa_float_round_mode_32 0
		.amdhsa_float_round_mode_16_64 0
		.amdhsa_float_denorm_mode_32 3
		.amdhsa_float_denorm_mode_16_64 3
		.amdhsa_dx10_clamp 1
		.amdhsa_ieee_mode 1
		.amdhsa_fp16_overflow 0
		.amdhsa_tg_split 0
		.amdhsa_exception_fp_ieee_invalid_op 0
		.amdhsa_exception_fp_denorm_src 0
		.amdhsa_exception_fp_ieee_div_zero 0
		.amdhsa_exception_fp_ieee_overflow 0
		.amdhsa_exception_fp_ieee_underflow 0
		.amdhsa_exception_fp_ieee_inexact 0
		.amdhsa_exception_int_div_zero 0
	.end_amdhsa_kernel
	.section	.text._ZN12_GLOBAL__N_121softmax_warp_backwardIfN3c108BFloat16EfLi5ELb1ELb0ELi64EEEvPT0_PKT_S7_iiiPKb,"axG",@progbits,_ZN12_GLOBAL__N_121softmax_warp_backwardIfN3c108BFloat16EfLi5ELb1ELb0ELi64EEEvPT0_PKT_S7_iiiPKb,comdat
.Lfunc_end334:
	.size	_ZN12_GLOBAL__N_121softmax_warp_backwardIfN3c108BFloat16EfLi5ELb1ELb0ELi64EEEvPT0_PKT_S7_iiiPKb, .Lfunc_end334-_ZN12_GLOBAL__N_121softmax_warp_backwardIfN3c108BFloat16EfLi5ELb1ELb0ELi64EEEvPT0_PKT_S7_iiiPKb
                                        ; -- End function
	.section	.AMDGPU.csdata,"",@progbits
; Kernel info:
; codeLenInByte = 992
; NumSgprs: 20
; NumVgprs: 14
; NumAgprs: 0
; TotalNumVgprs: 14
; ScratchSize: 0
; MemoryBound: 0
; FloatMode: 240
; IeeeMode: 1
; LDSByteSize: 0 bytes/workgroup (compile time only)
; SGPRBlocks: 2
; VGPRBlocks: 1
; NumSGPRsForWavesPerEU: 20
; NumVGPRsForWavesPerEU: 14
; AccumOffset: 16
; Occupancy: 8
; WaveLimiterHint : 0
; COMPUTE_PGM_RSRC2:SCRATCH_EN: 0
; COMPUTE_PGM_RSRC2:USER_SGPR: 6
; COMPUTE_PGM_RSRC2:TRAP_HANDLER: 0
; COMPUTE_PGM_RSRC2:TGID_X_EN: 1
; COMPUTE_PGM_RSRC2:TGID_Y_EN: 0
; COMPUTE_PGM_RSRC2:TGID_Z_EN: 0
; COMPUTE_PGM_RSRC2:TIDIG_COMP_CNT: 1
; COMPUTE_PGM_RSRC3_GFX90A:ACCUM_OFFSET: 3
; COMPUTE_PGM_RSRC3_GFX90A:TG_SPLIT: 0
	.section	.text._ZN12_GLOBAL__N_121softmax_warp_backwardIfN3c108BFloat16EfLi5ELb1ELb0ELi32EEEvPT0_PKT_S7_iiiPKb,"axG",@progbits,_ZN12_GLOBAL__N_121softmax_warp_backwardIfN3c108BFloat16EfLi5ELb1ELb0ELi32EEEvPT0_PKT_S7_iiiPKb,comdat
	.globl	_ZN12_GLOBAL__N_121softmax_warp_backwardIfN3c108BFloat16EfLi5ELb1ELb0ELi32EEEvPT0_PKT_S7_iiiPKb ; -- Begin function _ZN12_GLOBAL__N_121softmax_warp_backwardIfN3c108BFloat16EfLi5ELb1ELb0ELi32EEEvPT0_PKT_S7_iiiPKb
	.p2align	8
	.type	_ZN12_GLOBAL__N_121softmax_warp_backwardIfN3c108BFloat16EfLi5ELb1ELb0ELi32EEEvPT0_PKT_S7_iiiPKb,@function
_ZN12_GLOBAL__N_121softmax_warp_backwardIfN3c108BFloat16EfLi5ELb1ELb0ELi32EEEvPT0_PKT_S7_iiiPKb: ; @_ZN12_GLOBAL__N_121softmax_warp_backwardIfN3c108BFloat16EfLi5ELb1ELb0ELi32EEEvPT0_PKT_S7_iiiPKb
; %bb.0:
	s_load_dword s2, s[4:5], 0x3c
	s_load_dwordx4 s[8:11], s[4:5], 0x18
	s_load_dwordx4 s[12:15], s[4:5], 0x0
	s_load_dwordx2 s[0:1], s[4:5], 0x10
	v_bfe_u32 v1, v0, 10, 10
	s_waitcnt lgkmcnt(0)
	s_lshr_b32 s2, s2, 16
	s_mul_i32 s6, s6, s2
	v_add_lshl_u32 v1, s6, v1, 1
	v_and_b32_e32 v0, 31, v0
	v_mad_u64_u32 v[2:3], s[2:3], v1, s9, v[0:1]
	v_ashrrev_i32_e32 v3, 31, v2
	v_lshlrev_b64 v[6:7], 2, v[2:3]
	v_sub_u32_e32 v8, s8, v1
	v_mov_b32_e32 v1, s15
	v_add_co_u32_e32 v4, vcc, s14, v6
	v_addc_co_u32_e32 v5, vcc, v1, v7, vcc
	v_mov_b32_e32 v1, s1
	v_add_co_u32_e32 v6, vcc, s0, v6
	v_addc_co_u32_e32 v7, vcc, v1, v7, vcc
	v_cmp_gt_i32_e32 vcc, s10, v0
	v_cmp_lt_i32_e64 s[0:1], 0, v8
	s_and_b64 s[4:5], vcc, s[0:1]
	v_mov_b32_e32 v1, 0
	v_mov_b32_e32 v0, 0
	;; [unrolled: 1-line block ×3, first 2 shown]
	s_and_saveexec_b64 s[2:3], s[4:5]
	s_cbranch_execz .LBB335_2
; %bb.1:
	global_load_dword v0, v[4:5], off
	global_load_dword v10, v[6:7], off
.LBB335_2:
	s_or_b64 exec, exec, s[2:3]
	v_cmp_lt_i32_e64 s[2:3], 1, v8
	s_and_b64 s[2:3], vcc, s[2:3]
	s_mov_b32 s11, 0
	v_mov_b32_e32 v9, 0
	s_and_saveexec_b64 s[4:5], s[2:3]
	s_cbranch_execz .LBB335_4
; %bb.3:
	s_lshl_b64 s[6:7], s[10:11], 2
	v_mov_b32_e32 v9, s7
	v_add_co_u32_e64 v4, s[2:3], s6, v4
	v_addc_co_u32_e64 v5, s[2:3], v5, v9, s[2:3]
	global_load_dword v1, v[4:5], off
	v_add_co_u32_e64 v4, s[2:3], s6, v6
	v_addc_co_u32_e64 v5, s[2:3], v7, v9, s[2:3]
	global_load_dword v9, v[4:5], off
.LBB335_4:
	s_or_b64 exec, exec, s[4:5]
	v_mbcnt_lo_u32_b32 v6, -1, 0
	v_mbcnt_hi_u32_b32 v11, -1, v6
	v_and_b32_e32 v6, 0x60, v11
	v_add_u32_e32 v12, 32, v6
	v_xor_b32_e32 v6, 16, v11
	v_cmp_lt_i32_e64 s[2:3], v6, v12
	v_cndmask_b32_e64 v6, v11, v6, s[2:3]
	s_waitcnt vmcnt(1)
	v_pk_add_f32 v[4:5], v[0:1], 0 op_sel_hi:[1,0]
	v_lshlrev_b32_e32 v7, 2, v6
	ds_bpermute_b32 v6, v7, v4
	ds_bpermute_b32 v7, v7, v5
	v_xor_b32_e32 v13, 8, v11
	v_cmp_lt_i32_e64 s[2:3], v13, v12
	v_cndmask_b32_e64 v13, v11, v13, s[2:3]
	v_lshlrev_b32_e32 v13, 2, v13
	s_waitcnt lgkmcnt(0)
	v_pk_add_f32 v[4:5], v[4:5], v[6:7]
	ds_bpermute_b32 v6, v13, v4
	ds_bpermute_b32 v7, v13, v5
	v_xor_b32_e32 v13, 4, v11
	v_cmp_lt_i32_e64 s[2:3], v13, v12
	v_cndmask_b32_e64 v13, v11, v13, s[2:3]
	v_lshlrev_b32_e32 v13, 2, v13
	s_waitcnt lgkmcnt(0)
	v_pk_add_f32 v[4:5], v[4:5], v[6:7]
	;; [unrolled: 8-line block ×4, first 2 shown]
	ds_bpermute_b32 v6, v11, v4
	ds_bpermute_b32 v7, v11, v5
	s_and_saveexec_b64 s[2:3], s[0:1]
	s_cbranch_execz .LBB335_10
; %bb.5:
	v_lshlrev_b64 v[2:3], 1, v[2:3]
	v_mov_b32_e32 v11, s13
	v_add_co_u32_e64 v2, s[0:1], s12, v2
	v_addc_co_u32_e64 v3, s[0:1], v11, v3, s[0:1]
	s_waitcnt lgkmcnt(0)
	v_pk_add_f32 v[4:5], v[4:5], v[6:7]
	s_and_saveexec_b64 s[2:3], vcc
	s_cbranch_execz .LBB335_7
; %bb.6:
	s_waitcnt vmcnt(0)
	v_mul_f32_e32 v6, 0x3fb8aa3b, v10
	s_mov_b32 s0, 0x3fb8aa3b
	v_rndne_f32_e32 v7, v6
	v_sub_f32_e32 v11, v6, v7
	v_fma_f32 v6, v10, s0, -v6
	v_fmac_f32_e32 v6, 0x32a5705f, v10
	v_add_f32_e32 v6, v11, v6
	v_exp_f32_e32 v6, v6
	v_cvt_i32_f32_e32 v7, v7
	s_mov_b32 s0, 0xc2ce8ed0
	v_cmp_ngt_f32_e64 s[0:1], s0, v10
	v_ldexp_f32 v6, v6, v7
	v_cndmask_b32_e64 v6, 0, v6, s[0:1]
	s_mov_b32 s0, 0x42b17218
	v_mov_b32_e32 v7, 0x7f800000
	v_cmp_nlt_f32_e64 s[0:1], s0, v10
	v_cndmask_b32_e64 v6, v7, v6, s[0:1]
	v_fma_f32 v0, -v4, v6, v0
	v_bfe_u32 v4, v0, 16, 1
	s_movk_i32 s0, 0x7fff
	v_add3_u32 v4, v0, v4, s0
	v_lshrrev_b32_e32 v4, 16, v4
	v_mov_b32_e32 v6, 0x7fc0
	v_cmp_o_f32_e64 s[0:1], v0, v0
	v_cndmask_b32_e64 v0, v6, v4, s[0:1]
	global_store_short v[2:3], v0, off
.LBB335_7:
	s_or_b64 exec, exec, s[2:3]
	v_cmp_ne_u32_e64 s[0:1], 1, v8
	s_and_b64 exec, exec, s[0:1]
	s_cbranch_execz .LBB335_10
; %bb.8:
	s_and_b64 exec, exec, vcc
	s_cbranch_execz .LBB335_10
; %bb.9:
	s_waitcnt vmcnt(0)
	v_mul_f32_e32 v0, 0x3fb8aa3b, v9
	s_mov_b32 s0, 0x3fb8aa3b
	v_rndne_f32_e32 v4, v0
	v_sub_f32_e32 v6, v0, v4
	v_fma_f32 v0, v9, s0, -v0
	v_fmac_f32_e32 v0, 0x32a5705f, v9
	v_add_f32_e32 v0, v6, v0
	v_exp_f32_e32 v0, v0
	v_cvt_i32_f32_e32 v4, v4
	s_mov_b32 s0, 0xc2ce8ed0
	v_cmp_ngt_f32_e32 vcc, s0, v9
	s_mov_b32 s0, 0x42b17218
	v_ldexp_f32 v0, v0, v4
	v_cndmask_b32_e32 v0, 0, v0, vcc
	v_mov_b32_e32 v4, 0x7f800000
	v_cmp_nlt_f32_e32 vcc, s0, v9
	v_cndmask_b32_e32 v0, v4, v0, vcc
	v_fma_f32 v0, -v5, v0, v1
	v_bfe_u32 v1, v0, 16, 1
	s_movk_i32 s0, 0x7fff
	v_add3_u32 v1, v0, v1, s0
	v_lshrrev_b32_e32 v1, 16, v1
	v_mov_b32_e32 v4, 0x7fc0
	v_cmp_o_f32_e32 vcc, v0, v0
	s_lshl_b64 s[0:1], s[10:11], 1
	v_cndmask_b32_e32 v4, v4, v1, vcc
	v_mov_b32_e32 v1, s1
	v_add_co_u32_e32 v0, vcc, s0, v2
	v_addc_co_u32_e32 v1, vcc, v3, v1, vcc
	global_store_short v[0:1], v4, off
.LBB335_10:
	s_endpgm
	.section	.rodata,"a",@progbits
	.p2align	6, 0x0
	.amdhsa_kernel _ZN12_GLOBAL__N_121softmax_warp_backwardIfN3c108BFloat16EfLi5ELb1ELb0ELi32EEEvPT0_PKT_S7_iiiPKb
		.amdhsa_group_segment_fixed_size 0
		.amdhsa_private_segment_fixed_size 0
		.amdhsa_kernarg_size 304
		.amdhsa_user_sgpr_count 6
		.amdhsa_user_sgpr_private_segment_buffer 1
		.amdhsa_user_sgpr_dispatch_ptr 0
		.amdhsa_user_sgpr_queue_ptr 0
		.amdhsa_user_sgpr_kernarg_segment_ptr 1
		.amdhsa_user_sgpr_dispatch_id 0
		.amdhsa_user_sgpr_flat_scratch_init 0
		.amdhsa_user_sgpr_kernarg_preload_length 0
		.amdhsa_user_sgpr_kernarg_preload_offset 0
		.amdhsa_user_sgpr_private_segment_size 0
		.amdhsa_uses_dynamic_stack 0
		.amdhsa_system_sgpr_private_segment_wavefront_offset 0
		.amdhsa_system_sgpr_workgroup_id_x 1
		.amdhsa_system_sgpr_workgroup_id_y 0
		.amdhsa_system_sgpr_workgroup_id_z 0
		.amdhsa_system_sgpr_workgroup_info 0
		.amdhsa_system_vgpr_workitem_id 1
		.amdhsa_next_free_vgpr 14
		.amdhsa_next_free_sgpr 16
		.amdhsa_accum_offset 16
		.amdhsa_reserve_vcc 1
		.amdhsa_reserve_flat_scratch 0
		.amdhsa_float_round_mode_32 0
		.amdhsa_float_round_mode_16_64 0
		.amdhsa_float_denorm_mode_32 3
		.amdhsa_float_denorm_mode_16_64 3
		.amdhsa_dx10_clamp 1
		.amdhsa_ieee_mode 1
		.amdhsa_fp16_overflow 0
		.amdhsa_tg_split 0
		.amdhsa_exception_fp_ieee_invalid_op 0
		.amdhsa_exception_fp_denorm_src 0
		.amdhsa_exception_fp_ieee_div_zero 0
		.amdhsa_exception_fp_ieee_overflow 0
		.amdhsa_exception_fp_ieee_underflow 0
		.amdhsa_exception_fp_ieee_inexact 0
		.amdhsa_exception_int_div_zero 0
	.end_amdhsa_kernel
	.section	.text._ZN12_GLOBAL__N_121softmax_warp_backwardIfN3c108BFloat16EfLi5ELb1ELb0ELi32EEEvPT0_PKT_S7_iiiPKb,"axG",@progbits,_ZN12_GLOBAL__N_121softmax_warp_backwardIfN3c108BFloat16EfLi5ELb1ELb0ELi32EEEvPT0_PKT_S7_iiiPKb,comdat
.Lfunc_end335:
	.size	_ZN12_GLOBAL__N_121softmax_warp_backwardIfN3c108BFloat16EfLi5ELb1ELb0ELi32EEEvPT0_PKT_S7_iiiPKb, .Lfunc_end335-_ZN12_GLOBAL__N_121softmax_warp_backwardIfN3c108BFloat16EfLi5ELb1ELb0ELi32EEEvPT0_PKT_S7_iiiPKb
                                        ; -- End function
	.section	.AMDGPU.csdata,"",@progbits
; Kernel info:
; codeLenInByte = 992
; NumSgprs: 20
; NumVgprs: 14
; NumAgprs: 0
; TotalNumVgprs: 14
; ScratchSize: 0
; MemoryBound: 0
; FloatMode: 240
; IeeeMode: 1
; LDSByteSize: 0 bytes/workgroup (compile time only)
; SGPRBlocks: 2
; VGPRBlocks: 1
; NumSGPRsForWavesPerEU: 20
; NumVGPRsForWavesPerEU: 14
; AccumOffset: 16
; Occupancy: 8
; WaveLimiterHint : 0
; COMPUTE_PGM_RSRC2:SCRATCH_EN: 0
; COMPUTE_PGM_RSRC2:USER_SGPR: 6
; COMPUTE_PGM_RSRC2:TRAP_HANDLER: 0
; COMPUTE_PGM_RSRC2:TGID_X_EN: 1
; COMPUTE_PGM_RSRC2:TGID_Y_EN: 0
; COMPUTE_PGM_RSRC2:TGID_Z_EN: 0
; COMPUTE_PGM_RSRC2:TIDIG_COMP_CNT: 1
; COMPUTE_PGM_RSRC3_GFX90A:ACCUM_OFFSET: 3
; COMPUTE_PGM_RSRC3_GFX90A:TG_SPLIT: 0
	.section	.text._ZN12_GLOBAL__N_121softmax_warp_backwardIfN3c108BFloat16EfLi6ELb1ELb0ELi64EEEvPT0_PKT_S7_iiiPKb,"axG",@progbits,_ZN12_GLOBAL__N_121softmax_warp_backwardIfN3c108BFloat16EfLi6ELb1ELb0ELi64EEEvPT0_PKT_S7_iiiPKb,comdat
	.globl	_ZN12_GLOBAL__N_121softmax_warp_backwardIfN3c108BFloat16EfLi6ELb1ELb0ELi64EEEvPT0_PKT_S7_iiiPKb ; -- Begin function _ZN12_GLOBAL__N_121softmax_warp_backwardIfN3c108BFloat16EfLi6ELb1ELb0ELi64EEEvPT0_PKT_S7_iiiPKb
	.p2align	8
	.type	_ZN12_GLOBAL__N_121softmax_warp_backwardIfN3c108BFloat16EfLi6ELb1ELb0ELi64EEEvPT0_PKT_S7_iiiPKb,@function
_ZN12_GLOBAL__N_121softmax_warp_backwardIfN3c108BFloat16EfLi6ELb1ELb0ELi64EEEvPT0_PKT_S7_iiiPKb: ; @_ZN12_GLOBAL__N_121softmax_warp_backwardIfN3c108BFloat16EfLi6ELb1ELb0ELi64EEEvPT0_PKT_S7_iiiPKb
; %bb.0:
	s_load_dword s2, s[4:5], 0x3c
	s_load_dwordx4 s[8:11], s[4:5], 0x18
	s_load_dwordx4 s[12:15], s[4:5], 0x0
	s_load_dwordx2 s[0:1], s[4:5], 0x10
	v_bfe_u32 v1, v0, 10, 10
	s_waitcnt lgkmcnt(0)
	s_lshr_b32 s2, s2, 16
	s_mul_i32 s6, s6, s2
	v_add_lshl_u32 v1, s6, v1, 1
	v_and_b32_e32 v0, 63, v0
	v_mad_u64_u32 v[2:3], s[2:3], v1, s9, v[0:1]
	v_ashrrev_i32_e32 v3, 31, v2
	v_lshlrev_b64 v[6:7], 2, v[2:3]
	v_sub_u32_e32 v8, s8, v1
	v_mov_b32_e32 v1, s15
	v_add_co_u32_e32 v4, vcc, s14, v6
	v_addc_co_u32_e32 v5, vcc, v1, v7, vcc
	v_mov_b32_e32 v1, s1
	v_add_co_u32_e32 v6, vcc, s0, v6
	v_addc_co_u32_e32 v7, vcc, v1, v7, vcc
	v_cmp_gt_i32_e32 vcc, s10, v0
	v_cmp_lt_i32_e64 s[0:1], 0, v8
	s_and_b64 s[4:5], vcc, s[0:1]
	v_mov_b32_e32 v1, 0
	v_mov_b32_e32 v0, 0
	;; [unrolled: 1-line block ×3, first 2 shown]
	s_and_saveexec_b64 s[2:3], s[4:5]
	s_cbranch_execz .LBB336_2
; %bb.1:
	global_load_dword v0, v[4:5], off
	global_load_dword v10, v[6:7], off
.LBB336_2:
	s_or_b64 exec, exec, s[2:3]
	v_cmp_lt_i32_e64 s[2:3], 1, v8
	s_and_b64 s[2:3], vcc, s[2:3]
	s_mov_b32 s11, 0
	v_mov_b32_e32 v9, 0
	s_and_saveexec_b64 s[4:5], s[2:3]
	s_cbranch_execz .LBB336_4
; %bb.3:
	s_lshl_b64 s[6:7], s[10:11], 2
	v_mov_b32_e32 v9, s7
	v_add_co_u32_e64 v4, s[2:3], s6, v4
	v_addc_co_u32_e64 v5, s[2:3], v5, v9, s[2:3]
	global_load_dword v1, v[4:5], off
	v_add_co_u32_e64 v4, s[2:3], s6, v6
	v_addc_co_u32_e64 v5, s[2:3], v7, v9, s[2:3]
	global_load_dword v9, v[4:5], off
.LBB336_4:
	s_or_b64 exec, exec, s[4:5]
	v_mbcnt_lo_u32_b32 v6, -1, 0
	v_mbcnt_hi_u32_b32 v11, -1, v6
	v_and_b32_e32 v6, 64, v11
	v_add_u32_e32 v12, 64, v6
	v_xor_b32_e32 v6, 32, v11
	v_cmp_lt_i32_e64 s[2:3], v6, v12
	v_cndmask_b32_e64 v6, v11, v6, s[2:3]
	s_waitcnt vmcnt(1)
	v_pk_add_f32 v[4:5], v[0:1], 0 op_sel_hi:[1,0]
	v_lshlrev_b32_e32 v7, 2, v6
	ds_bpermute_b32 v6, v7, v4
	ds_bpermute_b32 v7, v7, v5
	v_xor_b32_e32 v13, 16, v11
	v_cmp_lt_i32_e64 s[2:3], v13, v12
	v_cndmask_b32_e64 v13, v11, v13, s[2:3]
	v_lshlrev_b32_e32 v13, 2, v13
	s_waitcnt lgkmcnt(0)
	v_pk_add_f32 v[4:5], v[4:5], v[6:7]
	ds_bpermute_b32 v6, v13, v4
	ds_bpermute_b32 v7, v13, v5
	v_xor_b32_e32 v13, 8, v11
	v_cmp_lt_i32_e64 s[2:3], v13, v12
	v_cndmask_b32_e64 v13, v11, v13, s[2:3]
	v_lshlrev_b32_e32 v13, 2, v13
	s_waitcnt lgkmcnt(0)
	v_pk_add_f32 v[4:5], v[4:5], v[6:7]
	;; [unrolled: 8-line block ×5, first 2 shown]
	ds_bpermute_b32 v6, v11, v4
	ds_bpermute_b32 v7, v11, v5
	s_and_saveexec_b64 s[2:3], s[0:1]
	s_cbranch_execz .LBB336_10
; %bb.5:
	v_lshlrev_b64 v[2:3], 1, v[2:3]
	v_mov_b32_e32 v11, s13
	v_add_co_u32_e64 v2, s[0:1], s12, v2
	v_addc_co_u32_e64 v3, s[0:1], v11, v3, s[0:1]
	s_waitcnt lgkmcnt(0)
	v_pk_add_f32 v[4:5], v[4:5], v[6:7]
	s_and_saveexec_b64 s[2:3], vcc
	s_cbranch_execz .LBB336_7
; %bb.6:
	s_waitcnt vmcnt(0)
	v_mul_f32_e32 v6, 0x3fb8aa3b, v10
	s_mov_b32 s0, 0x3fb8aa3b
	v_rndne_f32_e32 v7, v6
	v_sub_f32_e32 v11, v6, v7
	v_fma_f32 v6, v10, s0, -v6
	v_fmac_f32_e32 v6, 0x32a5705f, v10
	v_add_f32_e32 v6, v11, v6
	v_exp_f32_e32 v6, v6
	v_cvt_i32_f32_e32 v7, v7
	s_mov_b32 s0, 0xc2ce8ed0
	v_cmp_ngt_f32_e64 s[0:1], s0, v10
	v_ldexp_f32 v6, v6, v7
	v_cndmask_b32_e64 v6, 0, v6, s[0:1]
	s_mov_b32 s0, 0x42b17218
	v_mov_b32_e32 v7, 0x7f800000
	v_cmp_nlt_f32_e64 s[0:1], s0, v10
	v_cndmask_b32_e64 v6, v7, v6, s[0:1]
	v_fma_f32 v0, -v4, v6, v0
	v_bfe_u32 v4, v0, 16, 1
	s_movk_i32 s0, 0x7fff
	v_add3_u32 v4, v0, v4, s0
	v_lshrrev_b32_e32 v4, 16, v4
	v_mov_b32_e32 v6, 0x7fc0
	v_cmp_o_f32_e64 s[0:1], v0, v0
	v_cndmask_b32_e64 v0, v6, v4, s[0:1]
	global_store_short v[2:3], v0, off
.LBB336_7:
	s_or_b64 exec, exec, s[2:3]
	v_cmp_ne_u32_e64 s[0:1], 1, v8
	s_and_b64 exec, exec, s[0:1]
	s_cbranch_execz .LBB336_10
; %bb.8:
	s_and_b64 exec, exec, vcc
	s_cbranch_execz .LBB336_10
; %bb.9:
	s_waitcnt vmcnt(0)
	v_mul_f32_e32 v0, 0x3fb8aa3b, v9
	s_mov_b32 s0, 0x3fb8aa3b
	v_rndne_f32_e32 v4, v0
	v_sub_f32_e32 v6, v0, v4
	v_fma_f32 v0, v9, s0, -v0
	v_fmac_f32_e32 v0, 0x32a5705f, v9
	v_add_f32_e32 v0, v6, v0
	v_exp_f32_e32 v0, v0
	v_cvt_i32_f32_e32 v4, v4
	s_mov_b32 s0, 0xc2ce8ed0
	v_cmp_ngt_f32_e32 vcc, s0, v9
	s_mov_b32 s0, 0x42b17218
	v_ldexp_f32 v0, v0, v4
	v_cndmask_b32_e32 v0, 0, v0, vcc
	v_mov_b32_e32 v4, 0x7f800000
	v_cmp_nlt_f32_e32 vcc, s0, v9
	v_cndmask_b32_e32 v0, v4, v0, vcc
	v_fma_f32 v0, -v5, v0, v1
	v_bfe_u32 v1, v0, 16, 1
	s_movk_i32 s0, 0x7fff
	v_add3_u32 v1, v0, v1, s0
	v_lshrrev_b32_e32 v1, 16, v1
	v_mov_b32_e32 v4, 0x7fc0
	v_cmp_o_f32_e32 vcc, v0, v0
	s_lshl_b64 s[0:1], s[10:11], 1
	v_cndmask_b32_e32 v4, v4, v1, vcc
	v_mov_b32_e32 v1, s1
	v_add_co_u32_e32 v0, vcc, s0, v2
	v_addc_co_u32_e32 v1, vcc, v3, v1, vcc
	global_store_short v[0:1], v4, off
.LBB336_10:
	s_endpgm
	.section	.rodata,"a",@progbits
	.p2align	6, 0x0
	.amdhsa_kernel _ZN12_GLOBAL__N_121softmax_warp_backwardIfN3c108BFloat16EfLi6ELb1ELb0ELi64EEEvPT0_PKT_S7_iiiPKb
		.amdhsa_group_segment_fixed_size 0
		.amdhsa_private_segment_fixed_size 0
		.amdhsa_kernarg_size 304
		.amdhsa_user_sgpr_count 6
		.amdhsa_user_sgpr_private_segment_buffer 1
		.amdhsa_user_sgpr_dispatch_ptr 0
		.amdhsa_user_sgpr_queue_ptr 0
		.amdhsa_user_sgpr_kernarg_segment_ptr 1
		.amdhsa_user_sgpr_dispatch_id 0
		.amdhsa_user_sgpr_flat_scratch_init 0
		.amdhsa_user_sgpr_kernarg_preload_length 0
		.amdhsa_user_sgpr_kernarg_preload_offset 0
		.amdhsa_user_sgpr_private_segment_size 0
		.amdhsa_uses_dynamic_stack 0
		.amdhsa_system_sgpr_private_segment_wavefront_offset 0
		.amdhsa_system_sgpr_workgroup_id_x 1
		.amdhsa_system_sgpr_workgroup_id_y 0
		.amdhsa_system_sgpr_workgroup_id_z 0
		.amdhsa_system_sgpr_workgroup_info 0
		.amdhsa_system_vgpr_workitem_id 1
		.amdhsa_next_free_vgpr 14
		.amdhsa_next_free_sgpr 16
		.amdhsa_accum_offset 16
		.amdhsa_reserve_vcc 1
		.amdhsa_reserve_flat_scratch 0
		.amdhsa_float_round_mode_32 0
		.amdhsa_float_round_mode_16_64 0
		.amdhsa_float_denorm_mode_32 3
		.amdhsa_float_denorm_mode_16_64 3
		.amdhsa_dx10_clamp 1
		.amdhsa_ieee_mode 1
		.amdhsa_fp16_overflow 0
		.amdhsa_tg_split 0
		.amdhsa_exception_fp_ieee_invalid_op 0
		.amdhsa_exception_fp_denorm_src 0
		.amdhsa_exception_fp_ieee_div_zero 0
		.amdhsa_exception_fp_ieee_overflow 0
		.amdhsa_exception_fp_ieee_underflow 0
		.amdhsa_exception_fp_ieee_inexact 0
		.amdhsa_exception_int_div_zero 0
	.end_amdhsa_kernel
	.section	.text._ZN12_GLOBAL__N_121softmax_warp_backwardIfN3c108BFloat16EfLi6ELb1ELb0ELi64EEEvPT0_PKT_S7_iiiPKb,"axG",@progbits,_ZN12_GLOBAL__N_121softmax_warp_backwardIfN3c108BFloat16EfLi6ELb1ELb0ELi64EEEvPT0_PKT_S7_iiiPKb,comdat
.Lfunc_end336:
	.size	_ZN12_GLOBAL__N_121softmax_warp_backwardIfN3c108BFloat16EfLi6ELb1ELb0ELi64EEEvPT0_PKT_S7_iiiPKb, .Lfunc_end336-_ZN12_GLOBAL__N_121softmax_warp_backwardIfN3c108BFloat16EfLi6ELb1ELb0ELi64EEEvPT0_PKT_S7_iiiPKb
                                        ; -- End function
	.section	.AMDGPU.csdata,"",@progbits
; Kernel info:
; codeLenInByte = 1040
; NumSgprs: 20
; NumVgprs: 14
; NumAgprs: 0
; TotalNumVgprs: 14
; ScratchSize: 0
; MemoryBound: 0
; FloatMode: 240
; IeeeMode: 1
; LDSByteSize: 0 bytes/workgroup (compile time only)
; SGPRBlocks: 2
; VGPRBlocks: 1
; NumSGPRsForWavesPerEU: 20
; NumVGPRsForWavesPerEU: 14
; AccumOffset: 16
; Occupancy: 8
; WaveLimiterHint : 0
; COMPUTE_PGM_RSRC2:SCRATCH_EN: 0
; COMPUTE_PGM_RSRC2:USER_SGPR: 6
; COMPUTE_PGM_RSRC2:TRAP_HANDLER: 0
; COMPUTE_PGM_RSRC2:TGID_X_EN: 1
; COMPUTE_PGM_RSRC2:TGID_Y_EN: 0
; COMPUTE_PGM_RSRC2:TGID_Z_EN: 0
; COMPUTE_PGM_RSRC2:TIDIG_COMP_CNT: 1
; COMPUTE_PGM_RSRC3_GFX90A:ACCUM_OFFSET: 3
; COMPUTE_PGM_RSRC3_GFX90A:TG_SPLIT: 0
	.section	.text._ZN12_GLOBAL__N_121softmax_warp_backwardIfN3c108BFloat16EfLi6ELb1ELb0ELi32EEEvPT0_PKT_S7_iiiPKb,"axG",@progbits,_ZN12_GLOBAL__N_121softmax_warp_backwardIfN3c108BFloat16EfLi6ELb1ELb0ELi32EEEvPT0_PKT_S7_iiiPKb,comdat
	.globl	_ZN12_GLOBAL__N_121softmax_warp_backwardIfN3c108BFloat16EfLi6ELb1ELb0ELi32EEEvPT0_PKT_S7_iiiPKb ; -- Begin function _ZN12_GLOBAL__N_121softmax_warp_backwardIfN3c108BFloat16EfLi6ELb1ELb0ELi32EEEvPT0_PKT_S7_iiiPKb
	.p2align	8
	.type	_ZN12_GLOBAL__N_121softmax_warp_backwardIfN3c108BFloat16EfLi6ELb1ELb0ELi32EEEvPT0_PKT_S7_iiiPKb,@function
_ZN12_GLOBAL__N_121softmax_warp_backwardIfN3c108BFloat16EfLi6ELb1ELb0ELi32EEEvPT0_PKT_S7_iiiPKb: ; @_ZN12_GLOBAL__N_121softmax_warp_backwardIfN3c108BFloat16EfLi6ELb1ELb0ELi32EEEvPT0_PKT_S7_iiiPKb
; %bb.0:
	s_load_dword s2, s[4:5], 0x3c
	s_load_dwordx4 s[8:11], s[4:5], 0x18
	s_load_dwordx4 s[12:15], s[4:5], 0x0
	s_load_dwordx2 s[0:1], s[4:5], 0x10
	v_bfe_u32 v1, v0, 10, 10
	s_waitcnt lgkmcnt(0)
	s_lshr_b32 s2, s2, 16
	s_mul_i32 s6, s6, s2
	v_add_lshl_u32 v1, s6, v1, 1
	v_sub_u32_e32 v11, s8, v1
	v_and_b32_e32 v10, 31, v0
	v_mad_u64_u32 v[4:5], s[2:3], v1, s9, v[10:11]
	v_ashrrev_i32_e32 v5, 31, v4
	v_lshlrev_b64 v[0:1], 2, v[4:5]
	v_mov_b32_e32 v2, s15
	v_add_co_u32_e32 v6, vcc, s14, v0
	v_addc_co_u32_e32 v7, vcc, v2, v1, vcc
	v_mov_b32_e32 v2, s1
	v_add_co_u32_e32 v8, vcc, s0, v0
	v_cmp_lt_i32_e64 s[2:3], 0, v11
	v_cmp_gt_i32_e64 s[0:1], s10, v10
	v_addc_co_u32_e32 v9, vcc, v2, v1, vcc
	s_and_b64 s[6:7], s[2:3], s[0:1]
	v_mov_b32_e32 v0, 0
	v_mov_b32_e32 v2, 0
	;; [unrolled: 1-line block ×3, first 2 shown]
	s_and_saveexec_b64 s[4:5], s[6:7]
	s_cbranch_execz .LBB337_2
; %bb.1:
	global_load_dword v2, v[6:7], off
	global_load_dword v14, v[8:9], off
.LBB337_2:
	s_or_b64 exec, exec, s[4:5]
	v_or_b32_e32 v1, 32, v10
	v_cmp_gt_i32_e32 vcc, s10, v1
	s_and_b64 s[6:7], s[2:3], vcc
	v_mov_b32_e32 v13, 0
	s_and_saveexec_b64 s[4:5], s[6:7]
	s_cbranch_execz .LBB337_4
; %bb.3:
	global_load_dword v0, v[6:7], off offset:128
	global_load_dword v13, v[8:9], off offset:128
.LBB337_4:
	s_or_b64 exec, exec, s[4:5]
	v_cmp_lt_i32_e64 s[4:5], 1, v11
	s_and_b64 s[6:7], s[4:5], s[0:1]
	s_mov_b32 s11, 0
	v_mov_b32_e32 v1, 0
	v_mov_b32_e32 v3, 0
	;; [unrolled: 1-line block ×3, first 2 shown]
	s_and_saveexec_b64 s[8:9], s[6:7]
	s_cbranch_execz .LBB337_6
; %bb.5:
	s_lshl_b64 s[14:15], s[10:11], 2
	v_mov_b32_e32 v10, s15
	v_add_co_u32_e64 v16, s[6:7], s14, v6
	v_addc_co_u32_e64 v17, s[6:7], v7, v10, s[6:7]
	global_load_dword v3, v[16:17], off
	v_add_co_u32_e64 v16, s[6:7], s14, v8
	v_addc_co_u32_e64 v17, s[6:7], v9, v10, s[6:7]
	global_load_dword v12, v[16:17], off
.LBB337_6:
	s_or_b64 exec, exec, s[8:9]
	s_and_b64 s[4:5], s[4:5], vcc
	v_mov_b32_e32 v10, 0
	s_and_saveexec_b64 s[6:7], s[4:5]
	s_cbranch_execz .LBB337_8
; %bb.7:
	s_lshl_b64 s[8:9], s[10:11], 2
	v_mov_b32_e32 v10, s9
	v_add_co_u32_e64 v6, s[4:5], s8, v6
	v_addc_co_u32_e64 v7, s[4:5], v7, v10, s[4:5]
	global_load_dword v1, v[6:7], off offset:128
	v_add_co_u32_e64 v6, s[4:5], s8, v8
	v_addc_co_u32_e64 v7, s[4:5], v9, v10, s[4:5]
	global_load_dword v10, v[6:7], off offset:128
.LBB337_8:
	s_or_b64 exec, exec, s[6:7]
	v_mbcnt_lo_u32_b32 v8, -1, 0
	v_mbcnt_hi_u32_b32 v15, -1, v8
	v_and_b32_e32 v8, 0x60, v15
	v_add_u32_e32 v16, 32, v8
	v_xor_b32_e32 v8, 16, v15
	v_cmp_lt_i32_e64 s[4:5], v8, v16
	s_waitcnt vmcnt(1)
	v_pk_add_f32 v[6:7], v[2:3], 0 op_sel_hi:[1,0]
	v_cndmask_b32_e64 v8, v15, v8, s[4:5]
	v_lshlrev_b32_e32 v9, 2, v8
	v_pk_add_f32 v[6:7], v[6:7], v[0:1]
	ds_bpermute_b32 v8, v9, v6
	ds_bpermute_b32 v9, v9, v7
	v_xor_b32_e32 v17, 8, v15
	v_cmp_lt_i32_e64 s[4:5], v17, v16
	v_cndmask_b32_e64 v17, v15, v17, s[4:5]
	v_lshlrev_b32_e32 v17, 2, v17
	s_waitcnt lgkmcnt(0)
	v_pk_add_f32 v[6:7], v[6:7], v[8:9]
	ds_bpermute_b32 v8, v17, v6
	ds_bpermute_b32 v9, v17, v7
	v_xor_b32_e32 v17, 4, v15
	v_cmp_lt_i32_e64 s[4:5], v17, v16
	v_cndmask_b32_e64 v17, v15, v17, s[4:5]
	v_lshlrev_b32_e32 v17, 2, v17
	s_waitcnt lgkmcnt(0)
	;; [unrolled: 8-line block ×4, first 2 shown]
	v_pk_add_f32 v[6:7], v[6:7], v[8:9]
	ds_bpermute_b32 v8, v15, v6
	ds_bpermute_b32 v9, v15, v7
	s_and_saveexec_b64 s[4:5], s[2:3]
	s_cbranch_execz .LBB337_12
; %bb.9:
	v_lshlrev_b64 v[4:5], 1, v[4:5]
	v_mov_b32_e32 v15, s13
	v_add_co_u32_e64 v4, s[2:3], s12, v4
	v_addc_co_u32_e64 v5, s[2:3], v15, v5, s[2:3]
	s_waitcnt lgkmcnt(0)
	v_pk_add_f32 v[6:7], v[6:7], v[8:9]
	s_and_saveexec_b64 s[4:5], s[0:1]
	s_cbranch_execnz .LBB337_13
; %bb.10:
	s_or_b64 exec, exec, s[4:5]
	s_and_saveexec_b64 s[4:5], vcc
	s_cbranch_execnz .LBB337_14
.LBB337_11:
	s_or_b64 exec, exec, s[4:5]
	v_cmp_ne_u32_e64 s[2:3], 1, v11
	s_and_b64 exec, exec, s[2:3]
	s_cbranch_execnz .LBB337_15
.LBB337_12:
	s_endpgm
.LBB337_13:
	s_waitcnt vmcnt(0)
	v_mul_f32_e32 v8, 0x3fb8aa3b, v14
	s_mov_b32 s2, 0x3fb8aa3b
	v_rndne_f32_e32 v9, v8
	v_sub_f32_e32 v15, v8, v9
	v_fma_f32 v8, v14, s2, -v8
	v_fmac_f32_e32 v8, 0x32a5705f, v14
	v_add_f32_e32 v8, v15, v8
	v_exp_f32_e32 v8, v8
	v_cvt_i32_f32_e32 v9, v9
	s_mov_b32 s2, 0xc2ce8ed0
	v_cmp_ngt_f32_e64 s[2:3], s2, v14
	v_ldexp_f32 v8, v8, v9
	v_cndmask_b32_e64 v8, 0, v8, s[2:3]
	s_mov_b32 s2, 0x42b17218
	v_mov_b32_e32 v9, 0x7f800000
	v_cmp_nlt_f32_e64 s[2:3], s2, v14
	v_cndmask_b32_e64 v8, v9, v8, s[2:3]
	v_fma_f32 v2, -v6, v8, v2
	v_bfe_u32 v8, v2, 16, 1
	s_movk_i32 s2, 0x7fff
	v_add3_u32 v8, v2, v8, s2
	v_lshrrev_b32_e32 v8, 16, v8
	v_mov_b32_e32 v9, 0x7fc0
	v_cmp_o_f32_e64 s[2:3], v2, v2
	v_cndmask_b32_e64 v2, v9, v8, s[2:3]
	global_store_short v[4:5], v2, off
	s_or_b64 exec, exec, s[4:5]
	s_and_saveexec_b64 s[4:5], vcc
	s_cbranch_execz .LBB337_11
.LBB337_14:
	s_waitcnt vmcnt(0)
	v_mul_f32_e32 v2, 0x3fb8aa3b, v13
	s_mov_b32 s2, 0x3fb8aa3b
	v_rndne_f32_e32 v8, v2
	v_sub_f32_e32 v9, v2, v8
	v_fma_f32 v2, v13, s2, -v2
	v_fmac_f32_e32 v2, 0x32a5705f, v13
	v_add_f32_e32 v2, v9, v2
	v_exp_f32_e32 v2, v2
	v_cvt_i32_f32_e32 v8, v8
	s_mov_b32 s2, 0xc2ce8ed0
	v_cmp_ngt_f32_e64 s[2:3], s2, v13
	v_ldexp_f32 v2, v2, v8
	v_cndmask_b32_e64 v2, 0, v2, s[2:3]
	s_mov_b32 s2, 0x42b17218
	v_mov_b32_e32 v8, 0x7f800000
	v_cmp_nlt_f32_e64 s[2:3], s2, v13
	v_cndmask_b32_e64 v2, v8, v2, s[2:3]
	v_fma_f32 v0, -v6, v2, v0
	v_bfe_u32 v2, v0, 16, 1
	s_movk_i32 s2, 0x7fff
	v_add3_u32 v2, v0, v2, s2
	v_lshrrev_b32_e32 v2, 16, v2
	v_mov_b32_e32 v6, 0x7fc0
	v_cmp_o_f32_e64 s[2:3], v0, v0
	v_cndmask_b32_e64 v0, v6, v2, s[2:3]
	global_store_short v[4:5], v0, off offset:64
	s_or_b64 exec, exec, s[4:5]
	v_cmp_ne_u32_e64 s[2:3], 1, v11
	s_and_b64 exec, exec, s[2:3]
	s_cbranch_execz .LBB337_12
.LBB337_15:
	s_and_saveexec_b64 s[2:3], s[0:1]
	s_cbranch_execz .LBB337_17
; %bb.16:
	s_waitcnt vmcnt(0)
	v_mul_f32_e32 v0, 0x3fb8aa3b, v12
	s_mov_b32 s0, 0x3fb8aa3b
	v_rndne_f32_e32 v2, v0
	v_sub_f32_e32 v6, v0, v2
	v_fma_f32 v0, v12, s0, -v0
	v_fmac_f32_e32 v0, 0x32a5705f, v12
	v_add_f32_e32 v0, v6, v0
	v_exp_f32_e32 v0, v0
	v_cvt_i32_f32_e32 v2, v2
	s_mov_b32 s0, 0xc2ce8ed0
	v_cmp_ngt_f32_e64 s[0:1], s0, v12
	v_ldexp_f32 v0, v0, v2
	v_cndmask_b32_e64 v0, 0, v0, s[0:1]
	s_mov_b32 s0, 0x42b17218
	v_mov_b32_e32 v2, 0x7f800000
	v_cmp_nlt_f32_e64 s[0:1], s0, v12
	v_cndmask_b32_e64 v0, v2, v0, s[0:1]
	v_fma_f32 v0, -v7, v0, v3
	v_bfe_u32 v2, v0, 16, 1
	s_movk_i32 s0, 0x7fff
	v_add3_u32 v2, v0, v2, s0
	v_lshrrev_b32_e32 v2, 16, v2
	v_mov_b32_e32 v3, 0x7fc0
	v_cmp_o_f32_e64 s[0:1], v0, v0
	v_cndmask_b32_e64 v0, v3, v2, s[0:1]
	s_lshl_b64 s[0:1], s[10:11], 1
	v_mov_b32_e32 v3, s1
	v_add_co_u32_e64 v2, s[0:1], s0, v4
	v_addc_co_u32_e64 v3, s[0:1], v5, v3, s[0:1]
	global_store_short v[2:3], v0, off
.LBB337_17:
	s_or_b64 exec, exec, s[2:3]
	s_and_b64 exec, exec, vcc
	s_cbranch_execz .LBB337_12
; %bb.18:
	s_waitcnt vmcnt(0)
	v_mul_f32_e32 v0, 0x3fb8aa3b, v10
	s_mov_b32 s0, 0x3fb8aa3b
	v_rndne_f32_e32 v2, v0
	v_sub_f32_e32 v3, v0, v2
	v_fma_f32 v0, v10, s0, -v0
	v_fmac_f32_e32 v0, 0x32a5705f, v10
	v_add_f32_e32 v0, v3, v0
	v_exp_f32_e32 v0, v0
	v_cvt_i32_f32_e32 v2, v2
	s_mov_b32 s0, 0xc2ce8ed0
	v_cmp_ngt_f32_e32 vcc, s0, v10
	s_mov_b32 s0, 0x42b17218
	v_ldexp_f32 v0, v0, v2
	v_cndmask_b32_e32 v0, 0, v0, vcc
	v_mov_b32_e32 v2, 0x7f800000
	v_cmp_nlt_f32_e32 vcc, s0, v10
	v_cndmask_b32_e32 v0, v2, v0, vcc
	v_fma_f32 v0, -v7, v0, v1
	v_bfe_u32 v1, v0, 16, 1
	s_movk_i32 s0, 0x7fff
	v_add3_u32 v1, v0, v1, s0
	s_ashr_i32 s11, s10, 31
	v_lshrrev_b32_e32 v1, 16, v1
	v_mov_b32_e32 v2, 0x7fc0
	v_cmp_o_f32_e32 vcc, v0, v0
	s_lshl_b64 s[0:1], s[10:11], 1
	v_cndmask_b32_e32 v2, v2, v1, vcc
	v_mov_b32_e32 v1, s1
	v_add_co_u32_e32 v0, vcc, s0, v4
	v_addc_co_u32_e32 v1, vcc, v5, v1, vcc
	global_store_short v[0:1], v2, off offset:64
	s_endpgm
	.section	.rodata,"a",@progbits
	.p2align	6, 0x0
	.amdhsa_kernel _ZN12_GLOBAL__N_121softmax_warp_backwardIfN3c108BFloat16EfLi6ELb1ELb0ELi32EEEvPT0_PKT_S7_iiiPKb
		.amdhsa_group_segment_fixed_size 0
		.amdhsa_private_segment_fixed_size 0
		.amdhsa_kernarg_size 304
		.amdhsa_user_sgpr_count 6
		.amdhsa_user_sgpr_private_segment_buffer 1
		.amdhsa_user_sgpr_dispatch_ptr 0
		.amdhsa_user_sgpr_queue_ptr 0
		.amdhsa_user_sgpr_kernarg_segment_ptr 1
		.amdhsa_user_sgpr_dispatch_id 0
		.amdhsa_user_sgpr_flat_scratch_init 0
		.amdhsa_user_sgpr_kernarg_preload_length 0
		.amdhsa_user_sgpr_kernarg_preload_offset 0
		.amdhsa_user_sgpr_private_segment_size 0
		.amdhsa_uses_dynamic_stack 0
		.amdhsa_system_sgpr_private_segment_wavefront_offset 0
		.amdhsa_system_sgpr_workgroup_id_x 1
		.amdhsa_system_sgpr_workgroup_id_y 0
		.amdhsa_system_sgpr_workgroup_id_z 0
		.amdhsa_system_sgpr_workgroup_info 0
		.amdhsa_system_vgpr_workitem_id 1
		.amdhsa_next_free_vgpr 18
		.amdhsa_next_free_sgpr 16
		.amdhsa_accum_offset 20
		.amdhsa_reserve_vcc 1
		.amdhsa_reserve_flat_scratch 0
		.amdhsa_float_round_mode_32 0
		.amdhsa_float_round_mode_16_64 0
		.amdhsa_float_denorm_mode_32 3
		.amdhsa_float_denorm_mode_16_64 3
		.amdhsa_dx10_clamp 1
		.amdhsa_ieee_mode 1
		.amdhsa_fp16_overflow 0
		.amdhsa_tg_split 0
		.amdhsa_exception_fp_ieee_invalid_op 0
		.amdhsa_exception_fp_denorm_src 0
		.amdhsa_exception_fp_ieee_div_zero 0
		.amdhsa_exception_fp_ieee_overflow 0
		.amdhsa_exception_fp_ieee_underflow 0
		.amdhsa_exception_fp_ieee_inexact 0
		.amdhsa_exception_int_div_zero 0
	.end_amdhsa_kernel
	.section	.text._ZN12_GLOBAL__N_121softmax_warp_backwardIfN3c108BFloat16EfLi6ELb1ELb0ELi32EEEvPT0_PKT_S7_iiiPKb,"axG",@progbits,_ZN12_GLOBAL__N_121softmax_warp_backwardIfN3c108BFloat16EfLi6ELb1ELb0ELi32EEEvPT0_PKT_S7_iiiPKb,comdat
.Lfunc_end337:
	.size	_ZN12_GLOBAL__N_121softmax_warp_backwardIfN3c108BFloat16EfLi6ELb1ELb0ELi32EEEvPT0_PKT_S7_iiiPKb, .Lfunc_end337-_ZN12_GLOBAL__N_121softmax_warp_backwardIfN3c108BFloat16EfLi6ELb1ELb0ELi32EEEvPT0_PKT_S7_iiiPKb
                                        ; -- End function
	.section	.AMDGPU.csdata,"",@progbits
; Kernel info:
; codeLenInByte = 1588
; NumSgprs: 20
; NumVgprs: 18
; NumAgprs: 0
; TotalNumVgprs: 18
; ScratchSize: 0
; MemoryBound: 0
; FloatMode: 240
; IeeeMode: 1
; LDSByteSize: 0 bytes/workgroup (compile time only)
; SGPRBlocks: 2
; VGPRBlocks: 2
; NumSGPRsForWavesPerEU: 20
; NumVGPRsForWavesPerEU: 18
; AccumOffset: 20
; Occupancy: 8
; WaveLimiterHint : 0
; COMPUTE_PGM_RSRC2:SCRATCH_EN: 0
; COMPUTE_PGM_RSRC2:USER_SGPR: 6
; COMPUTE_PGM_RSRC2:TRAP_HANDLER: 0
; COMPUTE_PGM_RSRC2:TGID_X_EN: 1
; COMPUTE_PGM_RSRC2:TGID_Y_EN: 0
; COMPUTE_PGM_RSRC2:TGID_Z_EN: 0
; COMPUTE_PGM_RSRC2:TIDIG_COMP_CNT: 1
; COMPUTE_PGM_RSRC3_GFX90A:ACCUM_OFFSET: 4
; COMPUTE_PGM_RSRC3_GFX90A:TG_SPLIT: 0
	.section	.text._ZN12_GLOBAL__N_121softmax_warp_backwardIfN3c108BFloat16EfLi7ELb1ELb0ELi64EEEvPT0_PKT_S7_iiiPKb,"axG",@progbits,_ZN12_GLOBAL__N_121softmax_warp_backwardIfN3c108BFloat16EfLi7ELb1ELb0ELi64EEEvPT0_PKT_S7_iiiPKb,comdat
	.globl	_ZN12_GLOBAL__N_121softmax_warp_backwardIfN3c108BFloat16EfLi7ELb1ELb0ELi64EEEvPT0_PKT_S7_iiiPKb ; -- Begin function _ZN12_GLOBAL__N_121softmax_warp_backwardIfN3c108BFloat16EfLi7ELb1ELb0ELi64EEEvPT0_PKT_S7_iiiPKb
	.p2align	8
	.type	_ZN12_GLOBAL__N_121softmax_warp_backwardIfN3c108BFloat16EfLi7ELb1ELb0ELi64EEEvPT0_PKT_S7_iiiPKb,@function
_ZN12_GLOBAL__N_121softmax_warp_backwardIfN3c108BFloat16EfLi7ELb1ELb0ELi64EEEvPT0_PKT_S7_iiiPKb: ; @_ZN12_GLOBAL__N_121softmax_warp_backwardIfN3c108BFloat16EfLi7ELb1ELb0ELi64EEEvPT0_PKT_S7_iiiPKb
; %bb.0:
	s_load_dword s2, s[4:5], 0x3c
	s_load_dwordx4 s[8:11], s[4:5], 0x18
	s_load_dwordx4 s[12:15], s[4:5], 0x0
	s_load_dwordx2 s[0:1], s[4:5], 0x10
	v_bfe_u32 v1, v0, 10, 10
	s_waitcnt lgkmcnt(0)
	s_lshr_b32 s2, s2, 16
	s_mul_i32 s6, s6, s2
	v_add_lshl_u32 v1, s6, v1, 1
	v_sub_u32_e32 v11, s8, v1
	v_and_b32_e32 v10, 63, v0
	v_mad_u64_u32 v[4:5], s[2:3], v1, s9, v[10:11]
	v_ashrrev_i32_e32 v5, 31, v4
	v_lshlrev_b64 v[0:1], 2, v[4:5]
	v_mov_b32_e32 v2, s15
	v_add_co_u32_e32 v6, vcc, s14, v0
	v_addc_co_u32_e32 v7, vcc, v2, v1, vcc
	v_mov_b32_e32 v2, s1
	v_add_co_u32_e32 v8, vcc, s0, v0
	v_cmp_lt_i32_e64 s[2:3], 0, v11
	v_cmp_gt_i32_e64 s[0:1], s10, v10
	v_addc_co_u32_e32 v9, vcc, v2, v1, vcc
	s_and_b64 s[6:7], s[2:3], s[0:1]
	v_mov_b32_e32 v0, 0
	v_mov_b32_e32 v2, 0
	v_mov_b32_e32 v14, 0
	s_and_saveexec_b64 s[4:5], s[6:7]
	s_cbranch_execz .LBB338_2
; %bb.1:
	global_load_dword v2, v[6:7], off
	global_load_dword v14, v[8:9], off
.LBB338_2:
	s_or_b64 exec, exec, s[4:5]
	v_or_b32_e32 v1, 64, v10
	v_cmp_gt_i32_e32 vcc, s10, v1
	s_and_b64 s[6:7], s[2:3], vcc
	v_mov_b32_e32 v13, 0
	s_and_saveexec_b64 s[4:5], s[6:7]
	s_cbranch_execz .LBB338_4
; %bb.3:
	global_load_dword v0, v[6:7], off offset:256
	global_load_dword v13, v[8:9], off offset:256
.LBB338_4:
	s_or_b64 exec, exec, s[4:5]
	v_cmp_lt_i32_e64 s[4:5], 1, v11
	s_and_b64 s[6:7], s[4:5], s[0:1]
	s_mov_b32 s11, 0
	v_mov_b32_e32 v1, 0
	v_mov_b32_e32 v3, 0
	;; [unrolled: 1-line block ×3, first 2 shown]
	s_and_saveexec_b64 s[8:9], s[6:7]
	s_cbranch_execz .LBB338_6
; %bb.5:
	s_lshl_b64 s[14:15], s[10:11], 2
	v_mov_b32_e32 v10, s15
	v_add_co_u32_e64 v16, s[6:7], s14, v6
	v_addc_co_u32_e64 v17, s[6:7], v7, v10, s[6:7]
	global_load_dword v3, v[16:17], off
	v_add_co_u32_e64 v16, s[6:7], s14, v8
	v_addc_co_u32_e64 v17, s[6:7], v9, v10, s[6:7]
	global_load_dword v12, v[16:17], off
.LBB338_6:
	s_or_b64 exec, exec, s[8:9]
	s_and_b64 s[4:5], s[4:5], vcc
	v_mov_b32_e32 v10, 0
	s_and_saveexec_b64 s[6:7], s[4:5]
	s_cbranch_execz .LBB338_8
; %bb.7:
	s_lshl_b64 s[8:9], s[10:11], 2
	v_mov_b32_e32 v10, s9
	v_add_co_u32_e64 v6, s[4:5], s8, v6
	v_addc_co_u32_e64 v7, s[4:5], v7, v10, s[4:5]
	global_load_dword v1, v[6:7], off offset:256
	v_add_co_u32_e64 v6, s[4:5], s8, v8
	v_addc_co_u32_e64 v7, s[4:5], v9, v10, s[4:5]
	global_load_dword v10, v[6:7], off offset:256
.LBB338_8:
	s_or_b64 exec, exec, s[6:7]
	v_mbcnt_lo_u32_b32 v8, -1, 0
	v_mbcnt_hi_u32_b32 v15, -1, v8
	v_and_b32_e32 v8, 64, v15
	v_add_u32_e32 v16, 64, v8
	v_xor_b32_e32 v8, 32, v15
	v_cmp_lt_i32_e64 s[4:5], v8, v16
	s_waitcnt vmcnt(1)
	v_pk_add_f32 v[6:7], v[2:3], 0 op_sel_hi:[1,0]
	v_cndmask_b32_e64 v8, v15, v8, s[4:5]
	v_lshlrev_b32_e32 v9, 2, v8
	v_pk_add_f32 v[6:7], v[6:7], v[0:1]
	ds_bpermute_b32 v8, v9, v6
	ds_bpermute_b32 v9, v9, v7
	v_xor_b32_e32 v17, 16, v15
	v_cmp_lt_i32_e64 s[4:5], v17, v16
	v_cndmask_b32_e64 v17, v15, v17, s[4:5]
	v_lshlrev_b32_e32 v17, 2, v17
	s_waitcnt lgkmcnt(0)
	v_pk_add_f32 v[6:7], v[6:7], v[8:9]
	ds_bpermute_b32 v8, v17, v6
	ds_bpermute_b32 v9, v17, v7
	v_xor_b32_e32 v17, 8, v15
	v_cmp_lt_i32_e64 s[4:5], v17, v16
	v_cndmask_b32_e64 v17, v15, v17, s[4:5]
	v_lshlrev_b32_e32 v17, 2, v17
	s_waitcnt lgkmcnt(0)
	;; [unrolled: 8-line block ×5, first 2 shown]
	v_pk_add_f32 v[6:7], v[6:7], v[8:9]
	ds_bpermute_b32 v8, v15, v6
	ds_bpermute_b32 v9, v15, v7
	s_and_saveexec_b64 s[4:5], s[2:3]
	s_cbranch_execz .LBB338_12
; %bb.9:
	v_lshlrev_b64 v[4:5], 1, v[4:5]
	v_mov_b32_e32 v15, s13
	v_add_co_u32_e64 v4, s[2:3], s12, v4
	v_addc_co_u32_e64 v5, s[2:3], v15, v5, s[2:3]
	s_waitcnt lgkmcnt(0)
	v_pk_add_f32 v[6:7], v[6:7], v[8:9]
	s_and_saveexec_b64 s[4:5], s[0:1]
	s_cbranch_execnz .LBB338_13
; %bb.10:
	s_or_b64 exec, exec, s[4:5]
	s_and_saveexec_b64 s[4:5], vcc
	s_cbranch_execnz .LBB338_14
.LBB338_11:
	s_or_b64 exec, exec, s[4:5]
	v_cmp_ne_u32_e64 s[2:3], 1, v11
	s_and_b64 exec, exec, s[2:3]
	s_cbranch_execnz .LBB338_15
.LBB338_12:
	s_endpgm
.LBB338_13:
	s_waitcnt vmcnt(0)
	v_mul_f32_e32 v8, 0x3fb8aa3b, v14
	s_mov_b32 s2, 0x3fb8aa3b
	v_rndne_f32_e32 v9, v8
	v_sub_f32_e32 v15, v8, v9
	v_fma_f32 v8, v14, s2, -v8
	v_fmac_f32_e32 v8, 0x32a5705f, v14
	v_add_f32_e32 v8, v15, v8
	v_exp_f32_e32 v8, v8
	v_cvt_i32_f32_e32 v9, v9
	s_mov_b32 s2, 0xc2ce8ed0
	v_cmp_ngt_f32_e64 s[2:3], s2, v14
	v_ldexp_f32 v8, v8, v9
	v_cndmask_b32_e64 v8, 0, v8, s[2:3]
	s_mov_b32 s2, 0x42b17218
	v_mov_b32_e32 v9, 0x7f800000
	v_cmp_nlt_f32_e64 s[2:3], s2, v14
	v_cndmask_b32_e64 v8, v9, v8, s[2:3]
	v_fma_f32 v2, -v6, v8, v2
	v_bfe_u32 v8, v2, 16, 1
	s_movk_i32 s2, 0x7fff
	v_add3_u32 v8, v2, v8, s2
	v_lshrrev_b32_e32 v8, 16, v8
	v_mov_b32_e32 v9, 0x7fc0
	v_cmp_o_f32_e64 s[2:3], v2, v2
	v_cndmask_b32_e64 v2, v9, v8, s[2:3]
	global_store_short v[4:5], v2, off
	s_or_b64 exec, exec, s[4:5]
	s_and_saveexec_b64 s[4:5], vcc
	s_cbranch_execz .LBB338_11
.LBB338_14:
	s_waitcnt vmcnt(0)
	v_mul_f32_e32 v2, 0x3fb8aa3b, v13
	s_mov_b32 s2, 0x3fb8aa3b
	v_rndne_f32_e32 v8, v2
	v_sub_f32_e32 v9, v2, v8
	v_fma_f32 v2, v13, s2, -v2
	v_fmac_f32_e32 v2, 0x32a5705f, v13
	v_add_f32_e32 v2, v9, v2
	v_exp_f32_e32 v2, v2
	v_cvt_i32_f32_e32 v8, v8
	s_mov_b32 s2, 0xc2ce8ed0
	v_cmp_ngt_f32_e64 s[2:3], s2, v13
	v_ldexp_f32 v2, v2, v8
	v_cndmask_b32_e64 v2, 0, v2, s[2:3]
	s_mov_b32 s2, 0x42b17218
	v_mov_b32_e32 v8, 0x7f800000
	v_cmp_nlt_f32_e64 s[2:3], s2, v13
	v_cndmask_b32_e64 v2, v8, v2, s[2:3]
	v_fma_f32 v0, -v6, v2, v0
	v_bfe_u32 v2, v0, 16, 1
	s_movk_i32 s2, 0x7fff
	v_add3_u32 v2, v0, v2, s2
	v_lshrrev_b32_e32 v2, 16, v2
	v_mov_b32_e32 v6, 0x7fc0
	v_cmp_o_f32_e64 s[2:3], v0, v0
	v_cndmask_b32_e64 v0, v6, v2, s[2:3]
	global_store_short v[4:5], v0, off offset:128
	s_or_b64 exec, exec, s[4:5]
	v_cmp_ne_u32_e64 s[2:3], 1, v11
	s_and_b64 exec, exec, s[2:3]
	s_cbranch_execz .LBB338_12
.LBB338_15:
	s_and_saveexec_b64 s[2:3], s[0:1]
	s_cbranch_execz .LBB338_17
; %bb.16:
	s_waitcnt vmcnt(0)
	v_mul_f32_e32 v0, 0x3fb8aa3b, v12
	s_mov_b32 s0, 0x3fb8aa3b
	v_rndne_f32_e32 v2, v0
	v_sub_f32_e32 v6, v0, v2
	v_fma_f32 v0, v12, s0, -v0
	v_fmac_f32_e32 v0, 0x32a5705f, v12
	v_add_f32_e32 v0, v6, v0
	v_exp_f32_e32 v0, v0
	v_cvt_i32_f32_e32 v2, v2
	s_mov_b32 s0, 0xc2ce8ed0
	v_cmp_ngt_f32_e64 s[0:1], s0, v12
	v_ldexp_f32 v0, v0, v2
	v_cndmask_b32_e64 v0, 0, v0, s[0:1]
	s_mov_b32 s0, 0x42b17218
	v_mov_b32_e32 v2, 0x7f800000
	v_cmp_nlt_f32_e64 s[0:1], s0, v12
	v_cndmask_b32_e64 v0, v2, v0, s[0:1]
	v_fma_f32 v0, -v7, v0, v3
	v_bfe_u32 v2, v0, 16, 1
	s_movk_i32 s0, 0x7fff
	v_add3_u32 v2, v0, v2, s0
	v_lshrrev_b32_e32 v2, 16, v2
	v_mov_b32_e32 v3, 0x7fc0
	v_cmp_o_f32_e64 s[0:1], v0, v0
	v_cndmask_b32_e64 v0, v3, v2, s[0:1]
	s_lshl_b64 s[0:1], s[10:11], 1
	v_mov_b32_e32 v3, s1
	v_add_co_u32_e64 v2, s[0:1], s0, v4
	v_addc_co_u32_e64 v3, s[0:1], v5, v3, s[0:1]
	global_store_short v[2:3], v0, off
.LBB338_17:
	s_or_b64 exec, exec, s[2:3]
	s_and_b64 exec, exec, vcc
	s_cbranch_execz .LBB338_12
; %bb.18:
	s_waitcnt vmcnt(0)
	v_mul_f32_e32 v0, 0x3fb8aa3b, v10
	s_mov_b32 s0, 0x3fb8aa3b
	v_rndne_f32_e32 v2, v0
	v_sub_f32_e32 v3, v0, v2
	v_fma_f32 v0, v10, s0, -v0
	v_fmac_f32_e32 v0, 0x32a5705f, v10
	v_add_f32_e32 v0, v3, v0
	v_exp_f32_e32 v0, v0
	v_cvt_i32_f32_e32 v2, v2
	s_mov_b32 s0, 0xc2ce8ed0
	v_cmp_ngt_f32_e32 vcc, s0, v10
	s_mov_b32 s0, 0x42b17218
	v_ldexp_f32 v0, v0, v2
	v_cndmask_b32_e32 v0, 0, v0, vcc
	v_mov_b32_e32 v2, 0x7f800000
	v_cmp_nlt_f32_e32 vcc, s0, v10
	v_cndmask_b32_e32 v0, v2, v0, vcc
	v_fma_f32 v0, -v7, v0, v1
	v_bfe_u32 v1, v0, 16, 1
	s_movk_i32 s0, 0x7fff
	v_add3_u32 v1, v0, v1, s0
	s_ashr_i32 s11, s10, 31
	v_lshrrev_b32_e32 v1, 16, v1
	v_mov_b32_e32 v2, 0x7fc0
	v_cmp_o_f32_e32 vcc, v0, v0
	s_lshl_b64 s[0:1], s[10:11], 1
	v_cndmask_b32_e32 v2, v2, v1, vcc
	v_mov_b32_e32 v1, s1
	v_add_co_u32_e32 v0, vcc, s0, v4
	v_addc_co_u32_e32 v1, vcc, v5, v1, vcc
	global_store_short v[0:1], v2, off offset:128
	s_endpgm
	.section	.rodata,"a",@progbits
	.p2align	6, 0x0
	.amdhsa_kernel _ZN12_GLOBAL__N_121softmax_warp_backwardIfN3c108BFloat16EfLi7ELb1ELb0ELi64EEEvPT0_PKT_S7_iiiPKb
		.amdhsa_group_segment_fixed_size 0
		.amdhsa_private_segment_fixed_size 0
		.amdhsa_kernarg_size 304
		.amdhsa_user_sgpr_count 6
		.amdhsa_user_sgpr_private_segment_buffer 1
		.amdhsa_user_sgpr_dispatch_ptr 0
		.amdhsa_user_sgpr_queue_ptr 0
		.amdhsa_user_sgpr_kernarg_segment_ptr 1
		.amdhsa_user_sgpr_dispatch_id 0
		.amdhsa_user_sgpr_flat_scratch_init 0
		.amdhsa_user_sgpr_kernarg_preload_length 0
		.amdhsa_user_sgpr_kernarg_preload_offset 0
		.amdhsa_user_sgpr_private_segment_size 0
		.amdhsa_uses_dynamic_stack 0
		.amdhsa_system_sgpr_private_segment_wavefront_offset 0
		.amdhsa_system_sgpr_workgroup_id_x 1
		.amdhsa_system_sgpr_workgroup_id_y 0
		.amdhsa_system_sgpr_workgroup_id_z 0
		.amdhsa_system_sgpr_workgroup_info 0
		.amdhsa_system_vgpr_workitem_id 1
		.amdhsa_next_free_vgpr 18
		.amdhsa_next_free_sgpr 16
		.amdhsa_accum_offset 20
		.amdhsa_reserve_vcc 1
		.amdhsa_reserve_flat_scratch 0
		.amdhsa_float_round_mode_32 0
		.amdhsa_float_round_mode_16_64 0
		.amdhsa_float_denorm_mode_32 3
		.amdhsa_float_denorm_mode_16_64 3
		.amdhsa_dx10_clamp 1
		.amdhsa_ieee_mode 1
		.amdhsa_fp16_overflow 0
		.amdhsa_tg_split 0
		.amdhsa_exception_fp_ieee_invalid_op 0
		.amdhsa_exception_fp_denorm_src 0
		.amdhsa_exception_fp_ieee_div_zero 0
		.amdhsa_exception_fp_ieee_overflow 0
		.amdhsa_exception_fp_ieee_underflow 0
		.amdhsa_exception_fp_ieee_inexact 0
		.amdhsa_exception_int_div_zero 0
	.end_amdhsa_kernel
	.section	.text._ZN12_GLOBAL__N_121softmax_warp_backwardIfN3c108BFloat16EfLi7ELb1ELb0ELi64EEEvPT0_PKT_S7_iiiPKb,"axG",@progbits,_ZN12_GLOBAL__N_121softmax_warp_backwardIfN3c108BFloat16EfLi7ELb1ELb0ELi64EEEvPT0_PKT_S7_iiiPKb,comdat
.Lfunc_end338:
	.size	_ZN12_GLOBAL__N_121softmax_warp_backwardIfN3c108BFloat16EfLi7ELb1ELb0ELi64EEEvPT0_PKT_S7_iiiPKb, .Lfunc_end338-_ZN12_GLOBAL__N_121softmax_warp_backwardIfN3c108BFloat16EfLi7ELb1ELb0ELi64EEEvPT0_PKT_S7_iiiPKb
                                        ; -- End function
	.section	.AMDGPU.csdata,"",@progbits
; Kernel info:
; codeLenInByte = 1636
; NumSgprs: 20
; NumVgprs: 18
; NumAgprs: 0
; TotalNumVgprs: 18
; ScratchSize: 0
; MemoryBound: 0
; FloatMode: 240
; IeeeMode: 1
; LDSByteSize: 0 bytes/workgroup (compile time only)
; SGPRBlocks: 2
; VGPRBlocks: 2
; NumSGPRsForWavesPerEU: 20
; NumVGPRsForWavesPerEU: 18
; AccumOffset: 20
; Occupancy: 8
; WaveLimiterHint : 0
; COMPUTE_PGM_RSRC2:SCRATCH_EN: 0
; COMPUTE_PGM_RSRC2:USER_SGPR: 6
; COMPUTE_PGM_RSRC2:TRAP_HANDLER: 0
; COMPUTE_PGM_RSRC2:TGID_X_EN: 1
; COMPUTE_PGM_RSRC2:TGID_Y_EN: 0
; COMPUTE_PGM_RSRC2:TGID_Z_EN: 0
; COMPUTE_PGM_RSRC2:TIDIG_COMP_CNT: 1
; COMPUTE_PGM_RSRC3_GFX90A:ACCUM_OFFSET: 4
; COMPUTE_PGM_RSRC3_GFX90A:TG_SPLIT: 0
	.section	.text._ZN12_GLOBAL__N_121softmax_warp_backwardIfN3c108BFloat16EfLi7ELb1ELb0ELi32EEEvPT0_PKT_S7_iiiPKb,"axG",@progbits,_ZN12_GLOBAL__N_121softmax_warp_backwardIfN3c108BFloat16EfLi7ELb1ELb0ELi32EEEvPT0_PKT_S7_iiiPKb,comdat
	.globl	_ZN12_GLOBAL__N_121softmax_warp_backwardIfN3c108BFloat16EfLi7ELb1ELb0ELi32EEEvPT0_PKT_S7_iiiPKb ; -- Begin function _ZN12_GLOBAL__N_121softmax_warp_backwardIfN3c108BFloat16EfLi7ELb1ELb0ELi32EEEvPT0_PKT_S7_iiiPKb
	.p2align	8
	.type	_ZN12_GLOBAL__N_121softmax_warp_backwardIfN3c108BFloat16EfLi7ELb1ELb0ELi32EEEvPT0_PKT_S7_iiiPKb,@function
_ZN12_GLOBAL__N_121softmax_warp_backwardIfN3c108BFloat16EfLi7ELb1ELb0ELi32EEEvPT0_PKT_S7_iiiPKb: ; @_ZN12_GLOBAL__N_121softmax_warp_backwardIfN3c108BFloat16EfLi7ELb1ELb0ELi32EEEvPT0_PKT_S7_iiiPKb
; %bb.0:
	s_load_dword s2, s[4:5], 0x3c
	s_load_dwordx4 s[12:15], s[4:5], 0x18
	s_load_dwordx4 s[16:19], s[4:5], 0x0
	s_load_dwordx2 s[0:1], s[4:5], 0x10
	v_bfe_u32 v1, v0, 10, 10
	s_waitcnt lgkmcnt(0)
	s_lshr_b32 s2, s2, 16
	s_mul_i32 s6, s6, s2
	v_add_lshl_u32 v1, s6, v1, 1
	v_and_b32_e32 v14, 31, v0
	v_mad_u64_u32 v[8:9], s[2:3], v1, s13, v[14:15]
	v_ashrrev_i32_e32 v9, 31, v8
	v_sub_u32_e32 v16, s12, v1
	v_lshlrev_b64 v[0:1], 2, v[8:9]
	v_mov_b32_e32 v2, s19
	v_add_co_u32_e32 v10, vcc, s18, v0
	v_addc_co_u32_e32 v11, vcc, v2, v1, vcc
	v_mov_b32_e32 v2, s1
	v_add_co_u32_e32 v12, vcc, s0, v0
	v_cmp_lt_i32_e64 s[6:7], 0, v16
	v_cmp_gt_i32_e64 s[4:5], s14, v14
	v_addc_co_u32_e32 v13, vcc, v2, v1, vcc
	s_and_b64 s[2:3], s[6:7], s[4:5]
	v_mov_b32_e32 v2, 0
	v_mov_b32_e32 v6, 0
	;; [unrolled: 1-line block ×3, first 2 shown]
	s_and_saveexec_b64 s[0:1], s[2:3]
	s_cbranch_execz .LBB339_2
; %bb.1:
	global_load_dword v6, v[10:11], off
	global_load_dword v24, v[12:13], off
.LBB339_2:
	s_or_b64 exec, exec, s[0:1]
	v_or_b32_e32 v0, 32, v14
	v_cmp_gt_i32_e64 s[2:3], s14, v0
	s_and_b64 s[8:9], s[6:7], s[2:3]
	v_mov_b32_e32 v23, 0
	s_and_saveexec_b64 s[0:1], s[8:9]
	s_cbranch_execz .LBB339_4
; %bb.3:
	global_load_dword v2, v[10:11], off offset:128
	global_load_dword v23, v[12:13], off offset:128
.LBB339_4:
	s_or_b64 exec, exec, s[0:1]
	v_or_b32_e32 v0, 64, v14
	v_cmp_gt_i32_e64 s[0:1], s14, v0
	s_and_b64 s[10:11], s[6:7], s[0:1]
	v_mov_b32_e32 v0, 0
	v_mov_b32_e32 v4, 0
	;; [unrolled: 1-line block ×3, first 2 shown]
	s_and_saveexec_b64 s[8:9], s[10:11]
	s_cbranch_execz .LBB339_6
; %bb.5:
	global_load_dword v4, v[10:11], off offset:256
	global_load_dword v22, v[12:13], off offset:256
.LBB339_6:
	s_or_b64 exec, exec, s[8:9]
	v_or_b32_e32 v1, 0x60, v14
	v_cmp_gt_i32_e32 vcc, s14, v1
	s_and_b64 s[10:11], s[6:7], vcc
	v_mov_b32_e32 v21, 0
	s_and_saveexec_b64 s[8:9], s[10:11]
	s_cbranch_execz .LBB339_8
; %bb.7:
	global_load_dword v0, v[10:11], off offset:384
	global_load_dword v21, v[12:13], off offset:384
.LBB339_8:
	s_or_b64 exec, exec, s[8:9]
	v_cmp_lt_i32_e64 s[8:9], 1, v16
	s_and_b64 s[10:11], s[8:9], s[4:5]
	s_mov_b32 s15, 0
	v_mov_b32_e32 v3, 0
	v_mov_b32_e32 v7, 0
	;; [unrolled: 1-line block ×3, first 2 shown]
	s_and_saveexec_b64 s[12:13], s[10:11]
	s_cbranch_execz .LBB339_10
; %bb.9:
	s_lshl_b64 s[18:19], s[14:15], 2
	v_mov_b32_e32 v1, s19
	v_add_co_u32_e64 v14, s[10:11], s18, v10
	v_addc_co_u32_e64 v15, s[10:11], v11, v1, s[10:11]
	global_load_dword v7, v[14:15], off
	v_add_co_u32_e64 v14, s[10:11], s18, v12
	v_addc_co_u32_e64 v15, s[10:11], v13, v1, s[10:11]
	global_load_dword v20, v[14:15], off
.LBB339_10:
	s_or_b64 exec, exec, s[12:13]
	s_and_b64 s[10:11], s[8:9], s[2:3]
	v_mov_b32_e32 v19, 0
	s_and_saveexec_b64 s[12:13], s[10:11]
	s_cbranch_execz .LBB339_12
; %bb.11:
	s_lshl_b64 s[18:19], s[14:15], 2
	v_mov_b32_e32 v1, s19
	v_add_co_u32_e64 v14, s[10:11], s18, v10
	v_addc_co_u32_e64 v15, s[10:11], v11, v1, s[10:11]
	global_load_dword v3, v[14:15], off offset:128
	v_add_co_u32_e64 v14, s[10:11], s18, v12
	v_addc_co_u32_e64 v15, s[10:11], v13, v1, s[10:11]
	global_load_dword v19, v[14:15], off offset:128
.LBB339_12:
	s_or_b64 exec, exec, s[12:13]
	s_and_b64 s[10:11], s[8:9], s[0:1]
	v_mov_b32_e32 v1, 0
	v_mov_b32_e32 v5, 0
	;; [unrolled: 1-line block ×3, first 2 shown]
	s_and_saveexec_b64 s[12:13], s[10:11]
	s_cbranch_execz .LBB339_14
; %bb.13:
	s_lshl_b64 s[18:19], s[14:15], 2
	v_mov_b32_e32 v17, s19
	v_add_co_u32_e64 v14, s[10:11], s18, v10
	v_addc_co_u32_e64 v15, s[10:11], v11, v17, s[10:11]
	global_load_dword v5, v[14:15], off offset:256
	v_add_co_u32_e64 v14, s[10:11], s18, v12
	v_addc_co_u32_e64 v15, s[10:11], v13, v17, s[10:11]
	global_load_dword v18, v[14:15], off offset:256
.LBB339_14:
	s_or_b64 exec, exec, s[12:13]
	s_and_b64 s[8:9], s[8:9], vcc
	v_mov_b32_e32 v17, 0
	s_and_saveexec_b64 s[10:11], s[8:9]
	s_cbranch_execz .LBB339_16
; %bb.15:
	s_lshl_b64 s[12:13], s[14:15], 2
	v_mov_b32_e32 v14, s13
	v_add_co_u32_e64 v10, s[8:9], s12, v10
	v_addc_co_u32_e64 v11, s[8:9], v11, v14, s[8:9]
	global_load_dword v1, v[10:11], off offset:384
	v_add_co_u32_e64 v10, s[8:9], s12, v12
	v_addc_co_u32_e64 v11, s[8:9], v13, v14, s[8:9]
	global_load_dword v17, v[10:11], off offset:384
.LBB339_16:
	s_or_b64 exec, exec, s[10:11]
	v_mbcnt_lo_u32_b32 v12, -1, 0
	v_mbcnt_hi_u32_b32 v14, -1, v12
	v_and_b32_e32 v12, 0x60, v14
	s_waitcnt vmcnt(1)
	v_pk_add_f32 v[10:11], v[6:7], 0 op_sel_hi:[1,0]
	v_add_u32_e32 v15, 32, v12
	v_xor_b32_e32 v12, 16, v14
	v_cmp_lt_i32_e64 s[8:9], v12, v15
	v_pk_add_f32 v[10:11], v[10:11], v[2:3]
	v_cndmask_b32_e64 v12, v14, v12, s[8:9]
	v_pk_add_f32 v[10:11], v[10:11], v[4:5]
	v_lshlrev_b32_e32 v13, 2, v12
	v_pk_add_f32 v[10:11], v[10:11], v[0:1]
	ds_bpermute_b32 v12, v13, v10
	ds_bpermute_b32 v13, v13, v11
	v_xor_b32_e32 v25, 8, v14
	v_cmp_lt_i32_e64 s[8:9], v25, v15
	v_cndmask_b32_e64 v25, v14, v25, s[8:9]
	v_lshlrev_b32_e32 v25, 2, v25
	s_waitcnt lgkmcnt(0)
	v_pk_add_f32 v[10:11], v[10:11], v[12:13]
	ds_bpermute_b32 v12, v25, v10
	ds_bpermute_b32 v13, v25, v11
	v_xor_b32_e32 v25, 4, v14
	v_cmp_lt_i32_e64 s[8:9], v25, v15
	v_cndmask_b32_e64 v25, v14, v25, s[8:9]
	v_lshlrev_b32_e32 v25, 2, v25
	s_waitcnt lgkmcnt(0)
	;; [unrolled: 8-line block ×4, first 2 shown]
	v_pk_add_f32 v[12:13], v[10:11], v[12:13]
	ds_bpermute_b32 v14, v15, v12
	ds_bpermute_b32 v15, v15, v13
	s_and_saveexec_b64 s[8:9], s[6:7]
	s_cbranch_execz .LBB339_22
; %bb.17:
	v_lshlrev_b64 v[8:9], 1, v[8:9]
	v_mov_b32_e32 v11, s17
	v_add_co_u32_e64 v10, s[6:7], s16, v8
	v_addc_co_u32_e64 v11, s[6:7], v11, v9, s[6:7]
	s_waitcnt lgkmcnt(0)
	v_pk_add_f32 v[8:9], v[12:13], v[14:15]
	s_and_saveexec_b64 s[8:9], s[4:5]
	s_cbranch_execnz .LBB339_23
; %bb.18:
	s_or_b64 exec, exec, s[8:9]
	s_and_saveexec_b64 s[8:9], s[2:3]
	s_cbranch_execnz .LBB339_24
.LBB339_19:
	s_or_b64 exec, exec, s[8:9]
	s_and_saveexec_b64 s[8:9], s[0:1]
	s_cbranch_execnz .LBB339_25
.LBB339_20:
	s_or_b64 exec, exec, s[8:9]
	s_and_saveexec_b64 s[8:9], vcc
	s_cbranch_execnz .LBB339_26
.LBB339_21:
	s_or_b64 exec, exec, s[8:9]
	v_cmp_ne_u32_e64 s[6:7], 1, v16
	s_and_b64 exec, exec, s[6:7]
	s_cbranch_execnz .LBB339_27
.LBB339_22:
	s_endpgm
.LBB339_23:
	s_waitcnt vmcnt(0)
	v_mul_f32_e32 v12, 0x3fb8aa3b, v24
	s_mov_b32 s6, 0x3fb8aa3b
	v_rndne_f32_e32 v13, v12
	v_sub_f32_e32 v14, v12, v13
	v_fma_f32 v12, v24, s6, -v12
	v_fmac_f32_e32 v12, 0x32a5705f, v24
	v_add_f32_e32 v12, v14, v12
	v_exp_f32_e32 v12, v12
	v_cvt_i32_f32_e32 v13, v13
	s_mov_b32 s6, 0xc2ce8ed0
	v_cmp_ngt_f32_e64 s[6:7], s6, v24
	v_ldexp_f32 v12, v12, v13
	v_cndmask_b32_e64 v12, 0, v12, s[6:7]
	s_mov_b32 s6, 0x42b17218
	v_mov_b32_e32 v13, 0x7f800000
	v_cmp_nlt_f32_e64 s[6:7], s6, v24
	v_cndmask_b32_e64 v12, v13, v12, s[6:7]
	v_fma_f32 v6, -v8, v12, v6
	v_bfe_u32 v12, v6, 16, 1
	s_movk_i32 s6, 0x7fff
	v_add3_u32 v12, v6, v12, s6
	v_lshrrev_b32_e32 v12, 16, v12
	v_mov_b32_e32 v13, 0x7fc0
	v_cmp_o_f32_e64 s[6:7], v6, v6
	v_cndmask_b32_e64 v6, v13, v12, s[6:7]
	global_store_short v[10:11], v6, off
	s_or_b64 exec, exec, s[8:9]
	s_and_saveexec_b64 s[8:9], s[2:3]
	s_cbranch_execz .LBB339_19
.LBB339_24:
	s_waitcnt vmcnt(0)
	v_mul_f32_e32 v6, 0x3fb8aa3b, v23
	s_mov_b32 s6, 0x3fb8aa3b
	v_rndne_f32_e32 v12, v6
	v_sub_f32_e32 v13, v6, v12
	v_fma_f32 v6, v23, s6, -v6
	v_fmac_f32_e32 v6, 0x32a5705f, v23
	v_add_f32_e32 v6, v13, v6
	v_exp_f32_e32 v6, v6
	v_cvt_i32_f32_e32 v12, v12
	s_mov_b32 s6, 0xc2ce8ed0
	v_cmp_ngt_f32_e64 s[6:7], s6, v23
	v_ldexp_f32 v6, v6, v12
	v_cndmask_b32_e64 v6, 0, v6, s[6:7]
	s_mov_b32 s6, 0x42b17218
	v_mov_b32_e32 v12, 0x7f800000
	v_cmp_nlt_f32_e64 s[6:7], s6, v23
	v_cndmask_b32_e64 v6, v12, v6, s[6:7]
	v_fma_f32 v2, -v8, v6, v2
	v_bfe_u32 v6, v2, 16, 1
	s_movk_i32 s6, 0x7fff
	v_add3_u32 v6, v2, v6, s6
	v_lshrrev_b32_e32 v6, 16, v6
	v_mov_b32_e32 v12, 0x7fc0
	v_cmp_o_f32_e64 s[6:7], v2, v2
	v_cndmask_b32_e64 v2, v12, v6, s[6:7]
	global_store_short v[10:11], v2, off offset:64
	s_or_b64 exec, exec, s[8:9]
	s_and_saveexec_b64 s[8:9], s[0:1]
	s_cbranch_execz .LBB339_20
.LBB339_25:
	s_waitcnt vmcnt(0)
	v_mul_f32_e32 v2, 0x3fb8aa3b, v22
	s_mov_b32 s6, 0x3fb8aa3b
	v_rndne_f32_e32 v6, v2
	v_sub_f32_e32 v12, v2, v6
	v_fma_f32 v2, v22, s6, -v2
	v_fmac_f32_e32 v2, 0x32a5705f, v22
	v_add_f32_e32 v2, v12, v2
	v_exp_f32_e32 v2, v2
	v_cvt_i32_f32_e32 v6, v6
	s_mov_b32 s6, 0xc2ce8ed0
	v_cmp_ngt_f32_e64 s[6:7], s6, v22
	v_ldexp_f32 v2, v2, v6
	v_cndmask_b32_e64 v2, 0, v2, s[6:7]
	s_mov_b32 s6, 0x42b17218
	v_mov_b32_e32 v6, 0x7f800000
	v_cmp_nlt_f32_e64 s[6:7], s6, v22
	v_cndmask_b32_e64 v2, v6, v2, s[6:7]
	v_fma_f32 v2, -v8, v2, v4
	v_bfe_u32 v4, v2, 16, 1
	s_movk_i32 s6, 0x7fff
	v_add3_u32 v4, v2, v4, s6
	v_lshrrev_b32_e32 v4, 16, v4
	v_mov_b32_e32 v6, 0x7fc0
	v_cmp_o_f32_e64 s[6:7], v2, v2
	v_cndmask_b32_e64 v2, v6, v4, s[6:7]
	global_store_short v[10:11], v2, off offset:128
	s_or_b64 exec, exec, s[8:9]
	s_and_saveexec_b64 s[8:9], vcc
	s_cbranch_execz .LBB339_21
.LBB339_26:
	s_waitcnt vmcnt(0)
	v_mul_f32_e32 v2, 0x3fb8aa3b, v21
	s_mov_b32 s6, 0x3fb8aa3b
	v_rndne_f32_e32 v4, v2
	v_sub_f32_e32 v6, v2, v4
	v_fma_f32 v2, v21, s6, -v2
	v_fmac_f32_e32 v2, 0x32a5705f, v21
	v_add_f32_e32 v2, v6, v2
	v_exp_f32_e32 v2, v2
	v_cvt_i32_f32_e32 v4, v4
	s_mov_b32 s6, 0xc2ce8ed0
	v_cmp_ngt_f32_e64 s[6:7], s6, v21
	v_ldexp_f32 v2, v2, v4
	v_cndmask_b32_e64 v2, 0, v2, s[6:7]
	s_mov_b32 s6, 0x42b17218
	v_mov_b32_e32 v4, 0x7f800000
	v_cmp_nlt_f32_e64 s[6:7], s6, v21
	v_cndmask_b32_e64 v2, v4, v2, s[6:7]
	v_fma_f32 v0, -v8, v2, v0
	v_bfe_u32 v2, v0, 16, 1
	s_movk_i32 s6, 0x7fff
	v_add3_u32 v2, v0, v2, s6
	v_lshrrev_b32_e32 v2, 16, v2
	v_mov_b32_e32 v4, 0x7fc0
	v_cmp_o_f32_e64 s[6:7], v0, v0
	v_cndmask_b32_e64 v0, v4, v2, s[6:7]
	global_store_short v[10:11], v0, off offset:192
	s_or_b64 exec, exec, s[8:9]
	v_cmp_ne_u32_e64 s[6:7], 1, v16
	s_and_b64 exec, exec, s[6:7]
	s_cbranch_execz .LBB339_22
.LBB339_27:
	s_ashr_i32 s15, s14, 31
	s_lshl_b64 s[6:7], s[14:15], 1
	v_mov_b32_e32 v0, s7
	v_add_co_u32_e64 v10, s[6:7], s6, v10
	v_addc_co_u32_e64 v11, s[6:7], v11, v0, s[6:7]
	s_and_saveexec_b64 s[6:7], s[4:5]
	s_cbranch_execnz .LBB339_31
; %bb.28:
	s_or_b64 exec, exec, s[6:7]
	s_and_saveexec_b64 s[4:5], s[2:3]
	s_cbranch_execnz .LBB339_32
.LBB339_29:
	s_or_b64 exec, exec, s[4:5]
	s_and_saveexec_b64 s[2:3], s[0:1]
	s_cbranch_execnz .LBB339_33
.LBB339_30:
	s_or_b64 exec, exec, s[2:3]
	s_and_b64 exec, exec, vcc
	s_cbranch_execz .LBB339_22
	s_branch .LBB339_34
.LBB339_31:
	s_waitcnt vmcnt(0)
	v_mul_f32_e32 v0, 0x3fb8aa3b, v20
	s_mov_b32 s4, 0x3fb8aa3b
	v_rndne_f32_e32 v2, v0
	v_sub_f32_e32 v4, v0, v2
	v_fma_f32 v0, v20, s4, -v0
	v_fmac_f32_e32 v0, 0x32a5705f, v20
	v_add_f32_e32 v0, v4, v0
	v_exp_f32_e32 v0, v0
	v_cvt_i32_f32_e32 v2, v2
	s_mov_b32 s4, 0xc2ce8ed0
	v_cmp_ngt_f32_e64 s[4:5], s4, v20
	v_mov_b32_e32 v4, 0x7fc0
	v_ldexp_f32 v0, v0, v2
	v_cndmask_b32_e64 v0, 0, v0, s[4:5]
	s_mov_b32 s4, 0x42b17218
	v_mov_b32_e32 v2, 0x7f800000
	v_cmp_nlt_f32_e64 s[4:5], s4, v20
	v_cndmask_b32_e64 v0, v2, v0, s[4:5]
	v_fma_f32 v0, -v9, v0, v7
	v_bfe_u32 v2, v0, 16, 1
	s_movk_i32 s4, 0x7fff
	v_add3_u32 v2, v0, v2, s4
	v_lshrrev_b32_e32 v2, 16, v2
	v_cmp_o_f32_e64 s[4:5], v0, v0
	v_cndmask_b32_e64 v0, v4, v2, s[4:5]
	global_store_short v[10:11], v0, off
	s_or_b64 exec, exec, s[6:7]
	s_and_saveexec_b64 s[4:5], s[2:3]
	s_cbranch_execz .LBB339_29
.LBB339_32:
	s_waitcnt vmcnt(0)
	v_mul_f32_e32 v0, 0x3fb8aa3b, v19
	s_mov_b32 s2, 0x3fb8aa3b
	v_rndne_f32_e32 v2, v0
	v_sub_f32_e32 v4, v0, v2
	v_fma_f32 v0, v19, s2, -v0
	v_fmac_f32_e32 v0, 0x32a5705f, v19
	v_add_f32_e32 v0, v4, v0
	v_exp_f32_e32 v0, v0
	v_cvt_i32_f32_e32 v2, v2
	s_mov_b32 s2, 0xc2ce8ed0
	v_cmp_ngt_f32_e64 s[2:3], s2, v19
	v_ldexp_f32 v0, v0, v2
	v_cndmask_b32_e64 v0, 0, v0, s[2:3]
	s_mov_b32 s2, 0x42b17218
	v_mov_b32_e32 v2, 0x7f800000
	v_cmp_nlt_f32_e64 s[2:3], s2, v19
	v_cndmask_b32_e64 v0, v2, v0, s[2:3]
	v_fma_f32 v0, -v9, v0, v3
	v_bfe_u32 v2, v0, 16, 1
	s_movk_i32 s2, 0x7fff
	v_add3_u32 v2, v0, v2, s2
	v_lshrrev_b32_e32 v2, 16, v2
	v_mov_b32_e32 v3, 0x7fc0
	v_cmp_o_f32_e64 s[2:3], v0, v0
	v_cndmask_b32_e64 v0, v3, v2, s[2:3]
	global_store_short v[10:11], v0, off offset:64
	s_or_b64 exec, exec, s[4:5]
	s_and_saveexec_b64 s[2:3], s[0:1]
	s_cbranch_execz .LBB339_30
.LBB339_33:
	s_waitcnt vmcnt(0)
	v_mul_f32_e32 v0, 0x3fb8aa3b, v18
	s_mov_b32 s0, 0x3fb8aa3b
	v_rndne_f32_e32 v2, v0
	v_sub_f32_e32 v3, v0, v2
	v_fma_f32 v0, v18, s0, -v0
	v_fmac_f32_e32 v0, 0x32a5705f, v18
	v_add_f32_e32 v0, v3, v0
	v_exp_f32_e32 v0, v0
	v_cvt_i32_f32_e32 v2, v2
	s_mov_b32 s0, 0xc2ce8ed0
	v_cmp_ngt_f32_e64 s[0:1], s0, v18
	v_mov_b32_e32 v3, 0x7fc0
	v_ldexp_f32 v0, v0, v2
	v_cndmask_b32_e64 v0, 0, v0, s[0:1]
	s_mov_b32 s0, 0x42b17218
	v_mov_b32_e32 v2, 0x7f800000
	v_cmp_nlt_f32_e64 s[0:1], s0, v18
	v_cndmask_b32_e64 v0, v2, v0, s[0:1]
	v_fma_f32 v0, -v9, v0, v5
	v_bfe_u32 v2, v0, 16, 1
	s_movk_i32 s0, 0x7fff
	v_add3_u32 v2, v0, v2, s0
	v_lshrrev_b32_e32 v2, 16, v2
	v_cmp_o_f32_e64 s[0:1], v0, v0
	v_cndmask_b32_e64 v0, v3, v2, s[0:1]
	global_store_short v[10:11], v0, off offset:128
	s_or_b64 exec, exec, s[2:3]
	s_and_b64 exec, exec, vcc
	s_cbranch_execz .LBB339_22
.LBB339_34:
	s_waitcnt vmcnt(0)
	v_mul_f32_e32 v0, 0x3fb8aa3b, v17
	s_mov_b32 s0, 0x3fb8aa3b
	v_rndne_f32_e32 v2, v0
	v_sub_f32_e32 v3, v0, v2
	v_fma_f32 v0, v17, s0, -v0
	v_fmac_f32_e32 v0, 0x32a5705f, v17
	v_add_f32_e32 v0, v3, v0
	v_exp_f32_e32 v0, v0
	v_cvt_i32_f32_e32 v2, v2
	s_mov_b32 s0, 0xc2ce8ed0
	v_cmp_ngt_f32_e32 vcc, s0, v17
	s_mov_b32 s0, 0x42b17218
	v_ldexp_f32 v0, v0, v2
	v_cndmask_b32_e32 v0, 0, v0, vcc
	v_mov_b32_e32 v2, 0x7f800000
	v_cmp_nlt_f32_e32 vcc, s0, v17
	v_cndmask_b32_e32 v0, v2, v0, vcc
	v_fma_f32 v0, -v9, v0, v1
	v_bfe_u32 v1, v0, 16, 1
	s_movk_i32 s0, 0x7fff
	v_add3_u32 v1, v0, v1, s0
	v_lshrrev_b32_e32 v1, 16, v1
	v_mov_b32_e32 v2, 0x7fc0
	v_cmp_o_f32_e32 vcc, v0, v0
	v_cndmask_b32_e32 v0, v2, v1, vcc
	global_store_short v[10:11], v0, off offset:192
	s_endpgm
	.section	.rodata,"a",@progbits
	.p2align	6, 0x0
	.amdhsa_kernel _ZN12_GLOBAL__N_121softmax_warp_backwardIfN3c108BFloat16EfLi7ELb1ELb0ELi32EEEvPT0_PKT_S7_iiiPKb
		.amdhsa_group_segment_fixed_size 0
		.amdhsa_private_segment_fixed_size 0
		.amdhsa_kernarg_size 304
		.amdhsa_user_sgpr_count 6
		.amdhsa_user_sgpr_private_segment_buffer 1
		.amdhsa_user_sgpr_dispatch_ptr 0
		.amdhsa_user_sgpr_queue_ptr 0
		.amdhsa_user_sgpr_kernarg_segment_ptr 1
		.amdhsa_user_sgpr_dispatch_id 0
		.amdhsa_user_sgpr_flat_scratch_init 0
		.amdhsa_user_sgpr_kernarg_preload_length 0
		.amdhsa_user_sgpr_kernarg_preload_offset 0
		.amdhsa_user_sgpr_private_segment_size 0
		.amdhsa_uses_dynamic_stack 0
		.amdhsa_system_sgpr_private_segment_wavefront_offset 0
		.amdhsa_system_sgpr_workgroup_id_x 1
		.amdhsa_system_sgpr_workgroup_id_y 0
		.amdhsa_system_sgpr_workgroup_id_z 0
		.amdhsa_system_sgpr_workgroup_info 0
		.amdhsa_system_vgpr_workitem_id 1
		.amdhsa_next_free_vgpr 26
		.amdhsa_next_free_sgpr 20
		.amdhsa_accum_offset 28
		.amdhsa_reserve_vcc 1
		.amdhsa_reserve_flat_scratch 0
		.amdhsa_float_round_mode_32 0
		.amdhsa_float_round_mode_16_64 0
		.amdhsa_float_denorm_mode_32 3
		.amdhsa_float_denorm_mode_16_64 3
		.amdhsa_dx10_clamp 1
		.amdhsa_ieee_mode 1
		.amdhsa_fp16_overflow 0
		.amdhsa_tg_split 0
		.amdhsa_exception_fp_ieee_invalid_op 0
		.amdhsa_exception_fp_denorm_src 0
		.amdhsa_exception_fp_ieee_div_zero 0
		.amdhsa_exception_fp_ieee_overflow 0
		.amdhsa_exception_fp_ieee_underflow 0
		.amdhsa_exception_fp_ieee_inexact 0
		.amdhsa_exception_int_div_zero 0
	.end_amdhsa_kernel
	.section	.text._ZN12_GLOBAL__N_121softmax_warp_backwardIfN3c108BFloat16EfLi7ELb1ELb0ELi32EEEvPT0_PKT_S7_iiiPKb,"axG",@progbits,_ZN12_GLOBAL__N_121softmax_warp_backwardIfN3c108BFloat16EfLi7ELb1ELb0ELi32EEEvPT0_PKT_S7_iiiPKb,comdat
.Lfunc_end339:
	.size	_ZN12_GLOBAL__N_121softmax_warp_backwardIfN3c108BFloat16EfLi7ELb1ELb0ELi32EEEvPT0_PKT_S7_iiiPKb, .Lfunc_end339-_ZN12_GLOBAL__N_121softmax_warp_backwardIfN3c108BFloat16EfLi7ELb1ELb0ELi32EEEvPT0_PKT_S7_iiiPKb
                                        ; -- End function
	.section	.AMDGPU.csdata,"",@progbits
; Kernel info:
; codeLenInByte = 2704
; NumSgprs: 24
; NumVgprs: 26
; NumAgprs: 0
; TotalNumVgprs: 26
; ScratchSize: 0
; MemoryBound: 0
; FloatMode: 240
; IeeeMode: 1
; LDSByteSize: 0 bytes/workgroup (compile time only)
; SGPRBlocks: 2
; VGPRBlocks: 3
; NumSGPRsForWavesPerEU: 24
; NumVGPRsForWavesPerEU: 26
; AccumOffset: 28
; Occupancy: 8
; WaveLimiterHint : 0
; COMPUTE_PGM_RSRC2:SCRATCH_EN: 0
; COMPUTE_PGM_RSRC2:USER_SGPR: 6
; COMPUTE_PGM_RSRC2:TRAP_HANDLER: 0
; COMPUTE_PGM_RSRC2:TGID_X_EN: 1
; COMPUTE_PGM_RSRC2:TGID_Y_EN: 0
; COMPUTE_PGM_RSRC2:TGID_Z_EN: 0
; COMPUTE_PGM_RSRC2:TIDIG_COMP_CNT: 1
; COMPUTE_PGM_RSRC3_GFX90A:ACCUM_OFFSET: 6
; COMPUTE_PGM_RSRC3_GFX90A:TG_SPLIT: 0
	.section	.text._ZN12_GLOBAL__N_121softmax_warp_backwardIfN3c108BFloat16EfLi8ELb1ELb0ELi64EEEvPT0_PKT_S7_iiiPKb,"axG",@progbits,_ZN12_GLOBAL__N_121softmax_warp_backwardIfN3c108BFloat16EfLi8ELb1ELb0ELi64EEEvPT0_PKT_S7_iiiPKb,comdat
	.globl	_ZN12_GLOBAL__N_121softmax_warp_backwardIfN3c108BFloat16EfLi8ELb1ELb0ELi64EEEvPT0_PKT_S7_iiiPKb ; -- Begin function _ZN12_GLOBAL__N_121softmax_warp_backwardIfN3c108BFloat16EfLi8ELb1ELb0ELi64EEEvPT0_PKT_S7_iiiPKb
	.p2align	8
	.type	_ZN12_GLOBAL__N_121softmax_warp_backwardIfN3c108BFloat16EfLi8ELb1ELb0ELi64EEEvPT0_PKT_S7_iiiPKb,@function
_ZN12_GLOBAL__N_121softmax_warp_backwardIfN3c108BFloat16EfLi8ELb1ELb0ELi64EEEvPT0_PKT_S7_iiiPKb: ; @_ZN12_GLOBAL__N_121softmax_warp_backwardIfN3c108BFloat16EfLi8ELb1ELb0ELi64EEEvPT0_PKT_S7_iiiPKb
; %bb.0:
	s_load_dword s2, s[4:5], 0x3c
	s_load_dwordx4 s[12:15], s[4:5], 0x18
	s_load_dwordx4 s[8:11], s[4:5], 0x0
	s_load_dwordx2 s[0:1], s[4:5], 0x10
	v_bfe_u32 v1, v0, 10, 10
	s_waitcnt lgkmcnt(0)
	s_lshr_b32 s2, s2, 16
	s_mul_i32 s6, s6, s2
	v_add_u32_e32 v1, s6, v1
	v_and_b32_e32 v4, 63, v0
	v_sub_u32_e32 v14, s12, v1
	v_mad_u64_u32 v[0:1], s[2:3], v1, s13, v[4:5]
	v_ashrrev_i32_e32 v1, 31, v0
	v_lshlrev_b64 v[6:7], 2, v[0:1]
	v_mov_b32_e32 v3, s11
	v_add_co_u32_e32 v2, vcc, s10, v6
	v_addc_co_u32_e32 v3, vcc, v3, v7, vcc
	v_mov_b32_e32 v5, s1
	v_add_co_u32_e32 v6, vcc, s0, v6
	v_cmp_lt_i32_e64 s[6:7], 0, v14
	v_cmp_gt_i32_e64 s[4:5], s14, v4
	v_addc_co_u32_e32 v7, vcc, v5, v7, vcc
	s_and_b64 s[2:3], s[6:7], s[4:5]
	v_mov_b32_e32 v8, 0
	v_mov_b32_e32 v12, 0
	;; [unrolled: 1-line block ×3, first 2 shown]
	s_and_saveexec_b64 s[0:1], s[2:3]
	s_cbranch_execz .LBB340_2
; %bb.1:
	global_load_dword v12, v[2:3], off
	global_load_dword v13, v[6:7], off
.LBB340_2:
	s_or_b64 exec, exec, s[0:1]
	v_or_b32_e32 v5, 64, v4
	v_cmp_gt_i32_e64 s[2:3], s14, v5
	s_and_b64 s[10:11], s[6:7], s[2:3]
	v_mov_b32_e32 v11, 0
	s_and_saveexec_b64 s[0:1], s[10:11]
	s_cbranch_execz .LBB340_4
; %bb.3:
	global_load_dword v8, v[2:3], off offset:256
	global_load_dword v11, v[6:7], off offset:256
.LBB340_4:
	s_or_b64 exec, exec, s[0:1]
	v_or_b32_e32 v5, 0x80, v4
	v_cmp_gt_i32_e64 s[0:1], s14, v5
	s_and_b64 s[12:13], s[6:7], s[0:1]
	v_mov_b32_e32 v5, 0
	v_mov_b32_e32 v9, 0
	;; [unrolled: 1-line block ×3, first 2 shown]
	s_and_saveexec_b64 s[10:11], s[12:13]
	s_cbranch_execz .LBB340_6
; %bb.5:
	global_load_dword v9, v[2:3], off offset:512
	global_load_dword v10, v[6:7], off offset:512
.LBB340_6:
	s_or_b64 exec, exec, s[10:11]
	v_or_b32_e32 v4, 0xc0, v4
	v_cmp_gt_i32_e32 vcc, s14, v4
	s_and_b64 s[10:11], s[6:7], vcc
	v_mov_b32_e32 v4, 0
	s_and_saveexec_b64 s[6:7], s[10:11]
	s_cbranch_execz .LBB340_8
; %bb.7:
	global_load_dword v5, v[2:3], off offset:768
	global_load_dword v4, v[6:7], off offset:768
.LBB340_8:
	s_or_b64 exec, exec, s[6:7]
	v_mbcnt_lo_u32_b32 v3, -1, 0
	v_mbcnt_hi_u32_b32 v3, -1, v3
	v_and_b32_e32 v6, 64, v3
	s_waitcnt vmcnt(1)
	v_add_f32_e32 v2, 0, v12
	v_add_u32_e32 v6, 64, v6
	v_xor_b32_e32 v7, 32, v3
	v_add_f32_e32 v2, v2, v8
	v_cmp_lt_i32_e64 s[6:7], v7, v6
	v_add_f32_e32 v2, v2, v9
	v_cndmask_b32_e64 v7, v3, v7, s[6:7]
	v_add_f32_e32 v2, v2, v5
	v_lshlrev_b32_e32 v7, 2, v7
	ds_bpermute_b32 v7, v7, v2
	s_waitcnt lgkmcnt(0)
	v_add_f32_e32 v2, v2, v7
	v_xor_b32_e32 v7, 16, v3
	v_cmp_lt_i32_e64 s[6:7], v7, v6
	v_cndmask_b32_e64 v7, v3, v7, s[6:7]
	v_lshlrev_b32_e32 v7, 2, v7
	ds_bpermute_b32 v7, v7, v2
	s_waitcnt lgkmcnt(0)
	v_add_f32_e32 v2, v2, v7
	v_xor_b32_e32 v7, 8, v3
	v_cmp_lt_i32_e64 s[6:7], v7, v6
	v_cndmask_b32_e64 v7, v3, v7, s[6:7]
	v_lshlrev_b32_e32 v7, 2, v7
	ds_bpermute_b32 v7, v7, v2
	s_waitcnt lgkmcnt(0)
	v_add_f32_e32 v2, v2, v7
	v_xor_b32_e32 v7, 4, v3
	v_cmp_lt_i32_e64 s[6:7], v7, v6
	v_cndmask_b32_e64 v7, v3, v7, s[6:7]
	v_lshlrev_b32_e32 v7, 2, v7
	ds_bpermute_b32 v7, v7, v2
	s_waitcnt lgkmcnt(0)
	v_add_f32_e32 v2, v2, v7
	v_xor_b32_e32 v7, 2, v3
	v_cmp_lt_i32_e64 s[6:7], v7, v6
	v_cndmask_b32_e64 v7, v3, v7, s[6:7]
	v_lshlrev_b32_e32 v7, 2, v7
	ds_bpermute_b32 v7, v7, v2
	s_waitcnt lgkmcnt(0)
	v_add_f32_e32 v2, v2, v7
	v_xor_b32_e32 v7, 1, v3
	v_cmp_lt_i32_e64 s[6:7], v7, v6
	v_cndmask_b32_e64 v3, v3, v7, s[6:7]
	v_lshlrev_b32_e32 v3, 2, v3
	ds_bpermute_b32 v3, v3, v2
	v_cmp_lt_i32_e64 s[6:7], 0, v14
	s_and_saveexec_b64 s[10:11], s[6:7]
	s_cbranch_execz .LBB340_14
; %bb.9:
	v_lshlrev_b64 v[0:1], 1, v[0:1]
	v_mov_b32_e32 v6, s9
	v_add_co_u32_e64 v0, s[6:7], s8, v0
	v_addc_co_u32_e64 v1, s[6:7], v6, v1, s[6:7]
	s_waitcnt lgkmcnt(0)
	v_add_f32_e32 v2, v2, v3
	s_and_saveexec_b64 s[6:7], s[4:5]
	s_cbranch_execnz .LBB340_15
; %bb.10:
	s_or_b64 exec, exec, s[6:7]
	s_and_saveexec_b64 s[4:5], s[2:3]
	s_cbranch_execnz .LBB340_16
.LBB340_11:
	s_or_b64 exec, exec, s[4:5]
	s_and_saveexec_b64 s[2:3], s[0:1]
	s_cbranch_execnz .LBB340_17
.LBB340_12:
	s_or_b64 exec, exec, s[2:3]
	s_and_b64 exec, exec, vcc
	s_cbranch_execz .LBB340_14
.LBB340_13:
	s_waitcnt vmcnt(0)
	v_mul_f32_e32 v3, 0x3fb8aa3b, v4
	s_mov_b32 s0, 0x3fb8aa3b
	v_rndne_f32_e32 v6, v3
	v_sub_f32_e32 v7, v3, v6
	v_fma_f32 v3, v4, s0, -v3
	v_fmac_f32_e32 v3, 0x32a5705f, v4
	v_add_f32_e32 v3, v7, v3
	v_exp_f32_e32 v3, v3
	v_cvt_i32_f32_e32 v6, v6
	s_mov_b32 s0, 0xc2ce8ed0
	v_cmp_ngt_f32_e32 vcc, s0, v4
	s_mov_b32 s0, 0x42b17218
	v_ldexp_f32 v3, v3, v6
	v_cndmask_b32_e32 v3, 0, v3, vcc
	v_mov_b32_e32 v6, 0x7f800000
	v_cmp_nlt_f32_e32 vcc, s0, v4
	v_cndmask_b32_e32 v3, v6, v3, vcc
	v_fma_f32 v2, -v2, v3, v5
	v_bfe_u32 v3, v2, 16, 1
	s_movk_i32 s0, 0x7fff
	v_add3_u32 v3, v2, v3, s0
	v_lshrrev_b32_e32 v3, 16, v3
	v_mov_b32_e32 v4, 0x7fc0
	v_cmp_o_f32_e32 vcc, v2, v2
	v_cndmask_b32_e32 v2, v4, v3, vcc
	global_store_short v[0:1], v2, off offset:384
.LBB340_14:
	s_endpgm
.LBB340_15:
	s_waitcnt vmcnt(0)
	v_mul_f32_e32 v3, 0x3fb8aa3b, v13
	s_mov_b32 s4, 0x3fb8aa3b
	v_rndne_f32_e32 v6, v3
	v_sub_f32_e32 v7, v3, v6
	v_fma_f32 v3, v13, s4, -v3
	v_fmac_f32_e32 v3, 0x32a5705f, v13
	v_add_f32_e32 v3, v7, v3
	v_exp_f32_e32 v3, v3
	v_cvt_i32_f32_e32 v6, v6
	s_mov_b32 s4, 0xc2ce8ed0
	v_cmp_ngt_f32_e64 s[4:5], s4, v13
	v_mov_b32_e32 v7, 0x7fc0
	v_ldexp_f32 v3, v3, v6
	v_cndmask_b32_e64 v3, 0, v3, s[4:5]
	s_mov_b32 s4, 0x42b17218
	v_mov_b32_e32 v6, 0x7f800000
	v_cmp_nlt_f32_e64 s[4:5], s4, v13
	v_cndmask_b32_e64 v3, v6, v3, s[4:5]
	v_fma_f32 v3, -v2, v3, v12
	v_bfe_u32 v6, v3, 16, 1
	s_movk_i32 s4, 0x7fff
	v_add3_u32 v6, v3, v6, s4
	v_lshrrev_b32_e32 v6, 16, v6
	v_cmp_o_f32_e64 s[4:5], v3, v3
	v_cndmask_b32_e64 v3, v7, v6, s[4:5]
	global_store_short v[0:1], v3, off
	s_or_b64 exec, exec, s[6:7]
	s_and_saveexec_b64 s[4:5], s[2:3]
	s_cbranch_execz .LBB340_11
.LBB340_16:
	s_waitcnt vmcnt(0)
	v_mul_f32_e32 v3, 0x3fb8aa3b, v11
	s_mov_b32 s2, 0x3fb8aa3b
	v_rndne_f32_e32 v6, v3
	v_sub_f32_e32 v7, v3, v6
	v_fma_f32 v3, v11, s2, -v3
	v_fmac_f32_e32 v3, 0x32a5705f, v11
	v_add_f32_e32 v3, v7, v3
	v_exp_f32_e32 v3, v3
	v_cvt_i32_f32_e32 v6, v6
	s_mov_b32 s2, 0xc2ce8ed0
	v_cmp_ngt_f32_e64 s[2:3], s2, v11
	v_mov_b32_e32 v7, 0x7fc0
	v_ldexp_f32 v3, v3, v6
	v_cndmask_b32_e64 v3, 0, v3, s[2:3]
	s_mov_b32 s2, 0x42b17218
	v_mov_b32_e32 v6, 0x7f800000
	v_cmp_nlt_f32_e64 s[2:3], s2, v11
	v_cndmask_b32_e64 v3, v6, v3, s[2:3]
	v_fma_f32 v3, -v2, v3, v8
	v_bfe_u32 v6, v3, 16, 1
	s_movk_i32 s2, 0x7fff
	v_add3_u32 v6, v3, v6, s2
	v_lshrrev_b32_e32 v6, 16, v6
	v_cmp_o_f32_e64 s[2:3], v3, v3
	v_cndmask_b32_e64 v3, v7, v6, s[2:3]
	global_store_short v[0:1], v3, off offset:128
	s_or_b64 exec, exec, s[4:5]
	s_and_saveexec_b64 s[2:3], s[0:1]
	s_cbranch_execz .LBB340_12
.LBB340_17:
	s_waitcnt vmcnt(0)
	v_mul_f32_e32 v3, 0x3fb8aa3b, v10
	s_mov_b32 s0, 0x3fb8aa3b
	v_rndne_f32_e32 v6, v3
	v_sub_f32_e32 v7, v3, v6
	v_fma_f32 v3, v10, s0, -v3
	v_fmac_f32_e32 v3, 0x32a5705f, v10
	v_add_f32_e32 v3, v7, v3
	v_exp_f32_e32 v3, v3
	v_cvt_i32_f32_e32 v6, v6
	s_mov_b32 s0, 0xc2ce8ed0
	v_cmp_ngt_f32_e64 s[0:1], s0, v10
	v_mov_b32_e32 v7, 0x7fc0
	v_ldexp_f32 v3, v3, v6
	v_cndmask_b32_e64 v3, 0, v3, s[0:1]
	s_mov_b32 s0, 0x42b17218
	v_mov_b32_e32 v6, 0x7f800000
	v_cmp_nlt_f32_e64 s[0:1], s0, v10
	v_cndmask_b32_e64 v3, v6, v3, s[0:1]
	v_fma_f32 v3, -v2, v3, v9
	v_bfe_u32 v6, v3, 16, 1
	s_movk_i32 s0, 0x7fff
	v_add3_u32 v6, v3, v6, s0
	v_lshrrev_b32_e32 v6, 16, v6
	v_cmp_o_f32_e64 s[0:1], v3, v3
	v_cndmask_b32_e64 v3, v7, v6, s[0:1]
	global_store_short v[0:1], v3, off offset:256
	s_or_b64 exec, exec, s[2:3]
	s_and_b64 exec, exec, vcc
	s_cbranch_execnz .LBB340_13
	s_branch .LBB340_14
	.section	.rodata,"a",@progbits
	.p2align	6, 0x0
	.amdhsa_kernel _ZN12_GLOBAL__N_121softmax_warp_backwardIfN3c108BFloat16EfLi8ELb1ELb0ELi64EEEvPT0_PKT_S7_iiiPKb
		.amdhsa_group_segment_fixed_size 0
		.amdhsa_private_segment_fixed_size 0
		.amdhsa_kernarg_size 304
		.amdhsa_user_sgpr_count 6
		.amdhsa_user_sgpr_private_segment_buffer 1
		.amdhsa_user_sgpr_dispatch_ptr 0
		.amdhsa_user_sgpr_queue_ptr 0
		.amdhsa_user_sgpr_kernarg_segment_ptr 1
		.amdhsa_user_sgpr_dispatch_id 0
		.amdhsa_user_sgpr_flat_scratch_init 0
		.amdhsa_user_sgpr_kernarg_preload_length 0
		.amdhsa_user_sgpr_kernarg_preload_offset 0
		.amdhsa_user_sgpr_private_segment_size 0
		.amdhsa_uses_dynamic_stack 0
		.amdhsa_system_sgpr_private_segment_wavefront_offset 0
		.amdhsa_system_sgpr_workgroup_id_x 1
		.amdhsa_system_sgpr_workgroup_id_y 0
		.amdhsa_system_sgpr_workgroup_id_z 0
		.amdhsa_system_sgpr_workgroup_info 0
		.amdhsa_system_vgpr_workitem_id 1
		.amdhsa_next_free_vgpr 15
		.amdhsa_next_free_sgpr 16
		.amdhsa_accum_offset 16
		.amdhsa_reserve_vcc 1
		.amdhsa_reserve_flat_scratch 0
		.amdhsa_float_round_mode_32 0
		.amdhsa_float_round_mode_16_64 0
		.amdhsa_float_denorm_mode_32 3
		.amdhsa_float_denorm_mode_16_64 3
		.amdhsa_dx10_clamp 1
		.amdhsa_ieee_mode 1
		.amdhsa_fp16_overflow 0
		.amdhsa_tg_split 0
		.amdhsa_exception_fp_ieee_invalid_op 0
		.amdhsa_exception_fp_denorm_src 0
		.amdhsa_exception_fp_ieee_div_zero 0
		.amdhsa_exception_fp_ieee_overflow 0
		.amdhsa_exception_fp_ieee_underflow 0
		.amdhsa_exception_fp_ieee_inexact 0
		.amdhsa_exception_int_div_zero 0
	.end_amdhsa_kernel
	.section	.text._ZN12_GLOBAL__N_121softmax_warp_backwardIfN3c108BFloat16EfLi8ELb1ELb0ELi64EEEvPT0_PKT_S7_iiiPKb,"axG",@progbits,_ZN12_GLOBAL__N_121softmax_warp_backwardIfN3c108BFloat16EfLi8ELb1ELb0ELi64EEEvPT0_PKT_S7_iiiPKb,comdat
.Lfunc_end340:
	.size	_ZN12_GLOBAL__N_121softmax_warp_backwardIfN3c108BFloat16EfLi8ELb1ELb0ELi64EEEvPT0_PKT_S7_iiiPKb, .Lfunc_end340-_ZN12_GLOBAL__N_121softmax_warp_backwardIfN3c108BFloat16EfLi8ELb1ELb0ELi64EEEvPT0_PKT_S7_iiiPKb
                                        ; -- End function
	.section	.AMDGPU.csdata,"",@progbits
; Kernel info:
; codeLenInByte = 1452
; NumSgprs: 20
; NumVgprs: 15
; NumAgprs: 0
; TotalNumVgprs: 15
; ScratchSize: 0
; MemoryBound: 0
; FloatMode: 240
; IeeeMode: 1
; LDSByteSize: 0 bytes/workgroup (compile time only)
; SGPRBlocks: 2
; VGPRBlocks: 1
; NumSGPRsForWavesPerEU: 20
; NumVGPRsForWavesPerEU: 15
; AccumOffset: 16
; Occupancy: 8
; WaveLimiterHint : 0
; COMPUTE_PGM_RSRC2:SCRATCH_EN: 0
; COMPUTE_PGM_RSRC2:USER_SGPR: 6
; COMPUTE_PGM_RSRC2:TRAP_HANDLER: 0
; COMPUTE_PGM_RSRC2:TGID_X_EN: 1
; COMPUTE_PGM_RSRC2:TGID_Y_EN: 0
; COMPUTE_PGM_RSRC2:TGID_Z_EN: 0
; COMPUTE_PGM_RSRC2:TIDIG_COMP_CNT: 1
; COMPUTE_PGM_RSRC3_GFX90A:ACCUM_OFFSET: 3
; COMPUTE_PGM_RSRC3_GFX90A:TG_SPLIT: 0
	.section	.text._ZN12_GLOBAL__N_121softmax_warp_backwardIfN3c108BFloat16EfLi8ELb1ELb0ELi32EEEvPT0_PKT_S7_iiiPKb,"axG",@progbits,_ZN12_GLOBAL__N_121softmax_warp_backwardIfN3c108BFloat16EfLi8ELb1ELb0ELi32EEEvPT0_PKT_S7_iiiPKb,comdat
	.globl	_ZN12_GLOBAL__N_121softmax_warp_backwardIfN3c108BFloat16EfLi8ELb1ELb0ELi32EEEvPT0_PKT_S7_iiiPKb ; -- Begin function _ZN12_GLOBAL__N_121softmax_warp_backwardIfN3c108BFloat16EfLi8ELb1ELb0ELi32EEEvPT0_PKT_S7_iiiPKb
	.p2align	8
	.type	_ZN12_GLOBAL__N_121softmax_warp_backwardIfN3c108BFloat16EfLi8ELb1ELb0ELi32EEEvPT0_PKT_S7_iiiPKb,@function
_ZN12_GLOBAL__N_121softmax_warp_backwardIfN3c108BFloat16EfLi8ELb1ELb0ELi32EEEvPT0_PKT_S7_iiiPKb: ; @_ZN12_GLOBAL__N_121softmax_warp_backwardIfN3c108BFloat16EfLi8ELb1ELb0ELi32EEEvPT0_PKT_S7_iiiPKb
; %bb.0:
	s_load_dword s2, s[4:5], 0x3c
	s_load_dwordx4 s[20:23], s[4:5], 0x18
	s_load_dwordx4 s[16:19], s[4:5], 0x0
	s_load_dwordx2 s[0:1], s[4:5], 0x10
	v_bfe_u32 v1, v0, 10, 10
	s_waitcnt lgkmcnt(0)
	s_lshr_b32 s2, s2, 16
	s_mul_i32 s6, s6, s2
	v_add_u32_e32 v1, s6, v1
	v_and_b32_e32 v4, 31, v0
	v_sub_u32_e32 v22, s20, v1
	v_mad_u64_u32 v[0:1], s[2:3], v1, s21, v[4:5]
	v_ashrrev_i32_e32 v1, 31, v0
	v_lshlrev_b64 v[6:7], 2, v[0:1]
	v_mov_b32_e32 v3, s19
	v_add_co_u32_e32 v2, vcc, s18, v6
	v_addc_co_u32_e32 v3, vcc, v3, v7, vcc
	v_mov_b32_e32 v5, s1
	v_add_co_u32_e32 v6, vcc, s0, v6
	v_cmp_lt_i32_e64 s[14:15], 0, v22
	v_cmp_gt_i32_e64 s[12:13], s22, v4
	v_addc_co_u32_e32 v7, vcc, v5, v7, vcc
	s_and_b64 s[2:3], s[14:15], s[12:13]
	v_mov_b32_e32 v16, 0
	v_mov_b32_e32 v20, 0
	;; [unrolled: 1-line block ×3, first 2 shown]
	s_and_saveexec_b64 s[0:1], s[2:3]
	s_cbranch_execz .LBB341_2
; %bb.1:
	global_load_dword v20, v[2:3], off
	global_load_dword v21, v[6:7], off
.LBB341_2:
	s_or_b64 exec, exec, s[0:1]
	v_or_b32_e32 v5, 32, v4
	v_cmp_gt_i32_e64 s[10:11], s22, v5
	s_and_b64 s[2:3], s[14:15], s[10:11]
	v_mov_b32_e32 v19, 0
	s_and_saveexec_b64 s[0:1], s[2:3]
	s_cbranch_execz .LBB341_4
; %bb.3:
	global_load_dword v16, v[2:3], off offset:128
	global_load_dword v19, v[6:7], off offset:128
.LBB341_4:
	s_or_b64 exec, exec, s[0:1]
	v_or_b32_e32 v5, 64, v4
	v_cmp_gt_i32_e64 s[8:9], s22, v5
	s_and_b64 s[2:3], s[14:15], s[8:9]
	v_mov_b32_e32 v12, 0
	v_mov_b32_e32 v17, 0
	v_mov_b32_e32 v18, 0
	s_and_saveexec_b64 s[0:1], s[2:3]
	s_cbranch_execz .LBB341_6
; %bb.5:
	global_load_dword v17, v[2:3], off offset:256
	global_load_dword v18, v[6:7], off offset:256
.LBB341_6:
	s_or_b64 exec, exec, s[0:1]
	v_or_b32_e32 v5, 0x60, v4
	v_cmp_gt_i32_e64 s[6:7], s22, v5
	s_and_b64 s[2:3], s[14:15], s[6:7]
	v_mov_b32_e32 v15, 0
	s_and_saveexec_b64 s[0:1], s[2:3]
	s_cbranch_execz .LBB341_8
; %bb.7:
	global_load_dword v12, v[2:3], off offset:384
	global_load_dword v15, v[6:7], off offset:384
.LBB341_8:
	s_or_b64 exec, exec, s[0:1]
	v_or_b32_e32 v5, 0x80, v4
	v_cmp_gt_i32_e64 s[4:5], s22, v5
	s_and_b64 s[2:3], s[14:15], s[4:5]
	v_mov_b32_e32 v8, 0
	v_mov_b32_e32 v13, 0
	v_mov_b32_e32 v14, 0
	s_and_saveexec_b64 s[0:1], s[2:3]
	s_cbranch_execz .LBB341_10
; %bb.9:
	global_load_dword v13, v[2:3], off offset:512
	global_load_dword v14, v[6:7], off offset:512
.LBB341_10:
	;; [unrolled: 24-line block ×3, first 2 shown]
	s_or_b64 exec, exec, s[18:19]
	v_or_b32_e32 v4, 0xe0, v4
	v_cmp_gt_i32_e32 vcc, s22, v4
	s_and_b64 s[18:19], s[14:15], vcc
	v_mov_b32_e32 v4, 0
	s_and_saveexec_b64 s[14:15], s[18:19]
	s_cbranch_execz .LBB341_16
; %bb.15:
	global_load_dword v5, v[2:3], off offset:896
	global_load_dword v4, v[6:7], off offset:896
.LBB341_16:
	s_or_b64 exec, exec, s[14:15]
	s_waitcnt vmcnt(1)
	v_add_f32_e32 v2, 0, v20
	v_add_f32_e32 v2, v2, v16
	v_mbcnt_lo_u32_b32 v3, -1, 0
	v_add_f32_e32 v2, v2, v17
	v_mbcnt_hi_u32_b32 v3, -1, v3
	v_add_f32_e32 v2, v2, v12
	v_and_b32_e32 v6, 0x60, v3
	v_add_f32_e32 v2, v2, v13
	v_add_u32_e32 v6, 32, v6
	v_xor_b32_e32 v7, 16, v3
	v_add_f32_e32 v2, v2, v8
	v_cmp_lt_i32_e64 s[14:15], v7, v6
	v_add_f32_e32 v2, v2, v9
	v_cndmask_b32_e64 v7, v3, v7, s[14:15]
	v_add_f32_e32 v2, v2, v5
	v_lshlrev_b32_e32 v7, 2, v7
	ds_bpermute_b32 v7, v7, v2
	s_waitcnt lgkmcnt(0)
	v_add_f32_e32 v2, v2, v7
	v_xor_b32_e32 v7, 8, v3
	v_cmp_lt_i32_e64 s[14:15], v7, v6
	v_cndmask_b32_e64 v7, v3, v7, s[14:15]
	v_lshlrev_b32_e32 v7, 2, v7
	ds_bpermute_b32 v7, v7, v2
	s_waitcnt lgkmcnt(0)
	v_add_f32_e32 v2, v2, v7
	v_xor_b32_e32 v7, 4, v3
	v_cmp_lt_i32_e64 s[14:15], v7, v6
	v_cndmask_b32_e64 v7, v3, v7, s[14:15]
	;; [unrolled: 7-line block ×4, first 2 shown]
	v_lshlrev_b32_e32 v3, 2, v3
	ds_bpermute_b32 v3, v3, v2
	v_cmp_lt_i32_e64 s[14:15], 0, v22
	s_and_saveexec_b64 s[18:19], s[14:15]
	s_cbranch_execz .LBB341_26
; %bb.17:
	v_lshlrev_b64 v[0:1], 1, v[0:1]
	v_mov_b32_e32 v6, s17
	v_add_co_u32_e64 v0, s[14:15], s16, v0
	v_addc_co_u32_e64 v1, s[14:15], v6, v1, s[14:15]
	s_waitcnt lgkmcnt(0)
	v_add_f32_e32 v2, v2, v3
	s_and_saveexec_b64 s[14:15], s[12:13]
	s_cbranch_execnz .LBB341_27
; %bb.18:
	s_or_b64 exec, exec, s[14:15]
	s_and_saveexec_b64 s[12:13], s[10:11]
	s_cbranch_execnz .LBB341_28
.LBB341_19:
	s_or_b64 exec, exec, s[12:13]
	s_and_saveexec_b64 s[10:11], s[8:9]
	s_cbranch_execnz .LBB341_29
.LBB341_20:
	s_or_b64 exec, exec, s[10:11]
	s_and_saveexec_b64 s[8:9], s[6:7]
	s_cbranch_execnz .LBB341_30
.LBB341_21:
	s_or_b64 exec, exec, s[8:9]
	s_and_saveexec_b64 s[6:7], s[4:5]
	s_cbranch_execnz .LBB341_31
.LBB341_22:
	s_or_b64 exec, exec, s[6:7]
	s_and_saveexec_b64 s[4:5], s[2:3]
	s_cbranch_execnz .LBB341_32
.LBB341_23:
	s_or_b64 exec, exec, s[4:5]
	s_and_saveexec_b64 s[2:3], s[0:1]
	s_cbranch_execnz .LBB341_33
.LBB341_24:
	s_or_b64 exec, exec, s[2:3]
	s_and_b64 exec, exec, vcc
	s_cbranch_execz .LBB341_26
.LBB341_25:
	s_waitcnt vmcnt(0)
	v_mul_f32_e32 v3, 0x3fb8aa3b, v4
	s_mov_b32 s0, 0x3fb8aa3b
	v_rndne_f32_e32 v6, v3
	v_sub_f32_e32 v7, v3, v6
	v_fma_f32 v3, v4, s0, -v3
	v_fmac_f32_e32 v3, 0x32a5705f, v4
	v_add_f32_e32 v3, v7, v3
	v_exp_f32_e32 v3, v3
	v_cvt_i32_f32_e32 v6, v6
	s_mov_b32 s0, 0xc2ce8ed0
	v_cmp_ngt_f32_e32 vcc, s0, v4
	s_mov_b32 s0, 0x42b17218
	v_ldexp_f32 v3, v3, v6
	v_cndmask_b32_e32 v3, 0, v3, vcc
	v_mov_b32_e32 v6, 0x7f800000
	v_cmp_nlt_f32_e32 vcc, s0, v4
	v_cndmask_b32_e32 v3, v6, v3, vcc
	v_fma_f32 v2, -v2, v3, v5
	v_bfe_u32 v3, v2, 16, 1
	s_movk_i32 s0, 0x7fff
	v_add3_u32 v3, v2, v3, s0
	v_lshrrev_b32_e32 v3, 16, v3
	v_mov_b32_e32 v4, 0x7fc0
	v_cmp_o_f32_e32 vcc, v2, v2
	v_cndmask_b32_e32 v2, v4, v3, vcc
	global_store_short v[0:1], v2, off offset:448
.LBB341_26:
	s_endpgm
.LBB341_27:
	s_waitcnt vmcnt(0)
	v_mul_f32_e32 v3, 0x3fb8aa3b, v21
	s_mov_b32 s12, 0x3fb8aa3b
	v_rndne_f32_e32 v6, v3
	v_sub_f32_e32 v7, v3, v6
	v_fma_f32 v3, v21, s12, -v3
	v_fmac_f32_e32 v3, 0x32a5705f, v21
	v_add_f32_e32 v3, v7, v3
	v_exp_f32_e32 v3, v3
	v_cvt_i32_f32_e32 v6, v6
	s_mov_b32 s12, 0xc2ce8ed0
	v_cmp_ngt_f32_e64 s[12:13], s12, v21
	v_mov_b32_e32 v7, 0x7fc0
	v_ldexp_f32 v3, v3, v6
	v_cndmask_b32_e64 v3, 0, v3, s[12:13]
	s_mov_b32 s12, 0x42b17218
	v_mov_b32_e32 v6, 0x7f800000
	v_cmp_nlt_f32_e64 s[12:13], s12, v21
	v_cndmask_b32_e64 v3, v6, v3, s[12:13]
	v_fma_f32 v3, -v2, v3, v20
	v_bfe_u32 v6, v3, 16, 1
	s_movk_i32 s12, 0x7fff
	v_add3_u32 v6, v3, v6, s12
	v_lshrrev_b32_e32 v6, 16, v6
	v_cmp_o_f32_e64 s[12:13], v3, v3
	v_cndmask_b32_e64 v3, v7, v6, s[12:13]
	global_store_short v[0:1], v3, off
	s_or_b64 exec, exec, s[14:15]
	s_and_saveexec_b64 s[12:13], s[10:11]
	s_cbranch_execz .LBB341_19
.LBB341_28:
	s_waitcnt vmcnt(0)
	v_mul_f32_e32 v3, 0x3fb8aa3b, v19
	s_mov_b32 s10, 0x3fb8aa3b
	v_rndne_f32_e32 v6, v3
	v_sub_f32_e32 v7, v3, v6
	v_fma_f32 v3, v19, s10, -v3
	v_fmac_f32_e32 v3, 0x32a5705f, v19
	v_add_f32_e32 v3, v7, v3
	v_exp_f32_e32 v3, v3
	v_cvt_i32_f32_e32 v6, v6
	s_mov_b32 s10, 0xc2ce8ed0
	v_cmp_ngt_f32_e64 s[10:11], s10, v19
	v_mov_b32_e32 v7, 0x7fc0
	v_ldexp_f32 v3, v3, v6
	v_cndmask_b32_e64 v3, 0, v3, s[10:11]
	s_mov_b32 s10, 0x42b17218
	v_mov_b32_e32 v6, 0x7f800000
	v_cmp_nlt_f32_e64 s[10:11], s10, v19
	v_cndmask_b32_e64 v3, v6, v3, s[10:11]
	v_fma_f32 v3, -v2, v3, v16
	v_bfe_u32 v6, v3, 16, 1
	s_movk_i32 s10, 0x7fff
	v_add3_u32 v6, v3, v6, s10
	v_lshrrev_b32_e32 v6, 16, v6
	v_cmp_o_f32_e64 s[10:11], v3, v3
	v_cndmask_b32_e64 v3, v7, v6, s[10:11]
	global_store_short v[0:1], v3, off offset:64
	s_or_b64 exec, exec, s[12:13]
	s_and_saveexec_b64 s[10:11], s[8:9]
	s_cbranch_execz .LBB341_20
.LBB341_29:
	s_waitcnt vmcnt(0)
	v_mul_f32_e32 v3, 0x3fb8aa3b, v18
	s_mov_b32 s8, 0x3fb8aa3b
	v_rndne_f32_e32 v6, v3
	v_sub_f32_e32 v7, v3, v6
	v_fma_f32 v3, v18, s8, -v3
	v_fmac_f32_e32 v3, 0x32a5705f, v18
	v_add_f32_e32 v3, v7, v3
	v_exp_f32_e32 v3, v3
	v_cvt_i32_f32_e32 v6, v6
	s_mov_b32 s8, 0xc2ce8ed0
	v_cmp_ngt_f32_e64 s[8:9], s8, v18
	v_mov_b32_e32 v7, 0x7fc0
	v_ldexp_f32 v3, v3, v6
	v_cndmask_b32_e64 v3, 0, v3, s[8:9]
	s_mov_b32 s8, 0x42b17218
	v_mov_b32_e32 v6, 0x7f800000
	v_cmp_nlt_f32_e64 s[8:9], s8, v18
	v_cndmask_b32_e64 v3, v6, v3, s[8:9]
	v_fma_f32 v3, -v2, v3, v17
	v_bfe_u32 v6, v3, 16, 1
	s_movk_i32 s8, 0x7fff
	v_add3_u32 v6, v3, v6, s8
	v_lshrrev_b32_e32 v6, 16, v6
	v_cmp_o_f32_e64 s[8:9], v3, v3
	v_cndmask_b32_e64 v3, v7, v6, s[8:9]
	global_store_short v[0:1], v3, off offset:128
	s_or_b64 exec, exec, s[10:11]
	s_and_saveexec_b64 s[8:9], s[6:7]
	s_cbranch_execz .LBB341_21
.LBB341_30:
	s_waitcnt vmcnt(0)
	v_mul_f32_e32 v3, 0x3fb8aa3b, v15
	s_mov_b32 s6, 0x3fb8aa3b
	v_rndne_f32_e32 v6, v3
	v_sub_f32_e32 v7, v3, v6
	v_fma_f32 v3, v15, s6, -v3
	v_fmac_f32_e32 v3, 0x32a5705f, v15
	v_add_f32_e32 v3, v7, v3
	v_exp_f32_e32 v3, v3
	v_cvt_i32_f32_e32 v6, v6
	s_mov_b32 s6, 0xc2ce8ed0
	v_cmp_ngt_f32_e64 s[6:7], s6, v15
	v_mov_b32_e32 v7, 0x7fc0
	v_ldexp_f32 v3, v3, v6
	v_cndmask_b32_e64 v3, 0, v3, s[6:7]
	s_mov_b32 s6, 0x42b17218
	v_mov_b32_e32 v6, 0x7f800000
	v_cmp_nlt_f32_e64 s[6:7], s6, v15
	v_cndmask_b32_e64 v3, v6, v3, s[6:7]
	v_fma_f32 v3, -v2, v3, v12
	v_bfe_u32 v6, v3, 16, 1
	s_movk_i32 s6, 0x7fff
	v_add3_u32 v6, v3, v6, s6
	v_lshrrev_b32_e32 v6, 16, v6
	v_cmp_o_f32_e64 s[6:7], v3, v3
	v_cndmask_b32_e64 v3, v7, v6, s[6:7]
	global_store_short v[0:1], v3, off offset:192
	s_or_b64 exec, exec, s[8:9]
	s_and_saveexec_b64 s[6:7], s[4:5]
	s_cbranch_execz .LBB341_22
.LBB341_31:
	s_waitcnt vmcnt(0)
	v_mul_f32_e32 v3, 0x3fb8aa3b, v14
	s_mov_b32 s4, 0x3fb8aa3b
	v_rndne_f32_e32 v6, v3
	v_sub_f32_e32 v7, v3, v6
	v_fma_f32 v3, v14, s4, -v3
	v_fmac_f32_e32 v3, 0x32a5705f, v14
	v_add_f32_e32 v3, v7, v3
	v_exp_f32_e32 v3, v3
	v_cvt_i32_f32_e32 v6, v6
	s_mov_b32 s4, 0xc2ce8ed0
	v_cmp_ngt_f32_e64 s[4:5], s4, v14
	v_mov_b32_e32 v7, 0x7fc0
	v_ldexp_f32 v3, v3, v6
	v_cndmask_b32_e64 v3, 0, v3, s[4:5]
	s_mov_b32 s4, 0x42b17218
	v_mov_b32_e32 v6, 0x7f800000
	v_cmp_nlt_f32_e64 s[4:5], s4, v14
	v_cndmask_b32_e64 v3, v6, v3, s[4:5]
	v_fma_f32 v3, -v2, v3, v13
	v_bfe_u32 v6, v3, 16, 1
	s_movk_i32 s4, 0x7fff
	v_add3_u32 v6, v3, v6, s4
	v_lshrrev_b32_e32 v6, 16, v6
	v_cmp_o_f32_e64 s[4:5], v3, v3
	v_cndmask_b32_e64 v3, v7, v6, s[4:5]
	global_store_short v[0:1], v3, off offset:256
	s_or_b64 exec, exec, s[6:7]
	s_and_saveexec_b64 s[4:5], s[2:3]
	s_cbranch_execz .LBB341_23
.LBB341_32:
	s_waitcnt vmcnt(0)
	v_mul_f32_e32 v3, 0x3fb8aa3b, v11
	s_mov_b32 s2, 0x3fb8aa3b
	v_rndne_f32_e32 v6, v3
	v_sub_f32_e32 v7, v3, v6
	v_fma_f32 v3, v11, s2, -v3
	v_fmac_f32_e32 v3, 0x32a5705f, v11
	v_add_f32_e32 v3, v7, v3
	v_exp_f32_e32 v3, v3
	v_cvt_i32_f32_e32 v6, v6
	s_mov_b32 s2, 0xc2ce8ed0
	v_cmp_ngt_f32_e64 s[2:3], s2, v11
	v_mov_b32_e32 v7, 0x7fc0
	v_ldexp_f32 v3, v3, v6
	v_cndmask_b32_e64 v3, 0, v3, s[2:3]
	s_mov_b32 s2, 0x42b17218
	v_mov_b32_e32 v6, 0x7f800000
	v_cmp_nlt_f32_e64 s[2:3], s2, v11
	v_cndmask_b32_e64 v3, v6, v3, s[2:3]
	v_fma_f32 v3, -v2, v3, v8
	v_bfe_u32 v6, v3, 16, 1
	s_movk_i32 s2, 0x7fff
	v_add3_u32 v6, v3, v6, s2
	v_lshrrev_b32_e32 v6, 16, v6
	v_cmp_o_f32_e64 s[2:3], v3, v3
	v_cndmask_b32_e64 v3, v7, v6, s[2:3]
	global_store_short v[0:1], v3, off offset:320
	s_or_b64 exec, exec, s[4:5]
	s_and_saveexec_b64 s[2:3], s[0:1]
	s_cbranch_execz .LBB341_24
.LBB341_33:
	s_waitcnt vmcnt(0)
	v_mul_f32_e32 v3, 0x3fb8aa3b, v10
	s_mov_b32 s0, 0x3fb8aa3b
	v_rndne_f32_e32 v6, v3
	v_sub_f32_e32 v7, v3, v6
	v_fma_f32 v3, v10, s0, -v3
	v_fmac_f32_e32 v3, 0x32a5705f, v10
	v_add_f32_e32 v3, v7, v3
	v_exp_f32_e32 v3, v3
	v_cvt_i32_f32_e32 v6, v6
	s_mov_b32 s0, 0xc2ce8ed0
	v_cmp_ngt_f32_e64 s[0:1], s0, v10
	v_mov_b32_e32 v7, 0x7fc0
	v_ldexp_f32 v3, v3, v6
	v_cndmask_b32_e64 v3, 0, v3, s[0:1]
	s_mov_b32 s0, 0x42b17218
	v_mov_b32_e32 v6, 0x7f800000
	v_cmp_nlt_f32_e64 s[0:1], s0, v10
	v_cndmask_b32_e64 v3, v6, v3, s[0:1]
	v_fma_f32 v3, -v2, v3, v9
	v_bfe_u32 v6, v3, 16, 1
	s_movk_i32 s0, 0x7fff
	v_add3_u32 v6, v3, v6, s0
	v_lshrrev_b32_e32 v6, 16, v6
	v_cmp_o_f32_e64 s[0:1], v3, v3
	v_cndmask_b32_e64 v3, v7, v6, s[0:1]
	global_store_short v[0:1], v3, off offset:384
	s_or_b64 exec, exec, s[2:3]
	s_and_b64 exec, exec, vcc
	s_cbranch_execnz .LBB341_25
	s_branch .LBB341_26
	.section	.rodata,"a",@progbits
	.p2align	6, 0x0
	.amdhsa_kernel _ZN12_GLOBAL__N_121softmax_warp_backwardIfN3c108BFloat16EfLi8ELb1ELb0ELi32EEEvPT0_PKT_S7_iiiPKb
		.amdhsa_group_segment_fixed_size 0
		.amdhsa_private_segment_fixed_size 0
		.amdhsa_kernarg_size 304
		.amdhsa_user_sgpr_count 6
		.amdhsa_user_sgpr_private_segment_buffer 1
		.amdhsa_user_sgpr_dispatch_ptr 0
		.amdhsa_user_sgpr_queue_ptr 0
		.amdhsa_user_sgpr_kernarg_segment_ptr 1
		.amdhsa_user_sgpr_dispatch_id 0
		.amdhsa_user_sgpr_flat_scratch_init 0
		.amdhsa_user_sgpr_kernarg_preload_length 0
		.amdhsa_user_sgpr_kernarg_preload_offset 0
		.amdhsa_user_sgpr_private_segment_size 0
		.amdhsa_uses_dynamic_stack 0
		.amdhsa_system_sgpr_private_segment_wavefront_offset 0
		.amdhsa_system_sgpr_workgroup_id_x 1
		.amdhsa_system_sgpr_workgroup_id_y 0
		.amdhsa_system_sgpr_workgroup_id_z 0
		.amdhsa_system_sgpr_workgroup_info 0
		.amdhsa_system_vgpr_workitem_id 1
		.amdhsa_next_free_vgpr 23
		.amdhsa_next_free_sgpr 24
		.amdhsa_accum_offset 24
		.amdhsa_reserve_vcc 1
		.amdhsa_reserve_flat_scratch 0
		.amdhsa_float_round_mode_32 0
		.amdhsa_float_round_mode_16_64 0
		.amdhsa_float_denorm_mode_32 3
		.amdhsa_float_denorm_mode_16_64 3
		.amdhsa_dx10_clamp 1
		.amdhsa_ieee_mode 1
		.amdhsa_fp16_overflow 0
		.amdhsa_tg_split 0
		.amdhsa_exception_fp_ieee_invalid_op 0
		.amdhsa_exception_fp_denorm_src 0
		.amdhsa_exception_fp_ieee_div_zero 0
		.amdhsa_exception_fp_ieee_overflow 0
		.amdhsa_exception_fp_ieee_underflow 0
		.amdhsa_exception_fp_ieee_inexact 0
		.amdhsa_exception_int_div_zero 0
	.end_amdhsa_kernel
	.section	.text._ZN12_GLOBAL__N_121softmax_warp_backwardIfN3c108BFloat16EfLi8ELb1ELb0ELi32EEEvPT0_PKT_S7_iiiPKb,"axG",@progbits,_ZN12_GLOBAL__N_121softmax_warp_backwardIfN3c108BFloat16EfLi8ELb1ELb0ELi32EEEvPT0_PKT_S7_iiiPKb,comdat
.Lfunc_end341:
	.size	_ZN12_GLOBAL__N_121softmax_warp_backwardIfN3c108BFloat16EfLi8ELb1ELb0ELi32EEEvPT0_PKT_S7_iiiPKb, .Lfunc_end341-_ZN12_GLOBAL__N_121softmax_warp_backwardIfN3c108BFloat16EfLi8ELb1ELb0ELi32EEEvPT0_PKT_S7_iiiPKb
                                        ; -- End function
	.section	.AMDGPU.csdata,"",@progbits
; Kernel info:
; codeLenInByte = 2484
; NumSgprs: 28
; NumVgprs: 23
; NumAgprs: 0
; TotalNumVgprs: 23
; ScratchSize: 0
; MemoryBound: 0
; FloatMode: 240
; IeeeMode: 1
; LDSByteSize: 0 bytes/workgroup (compile time only)
; SGPRBlocks: 3
; VGPRBlocks: 2
; NumSGPRsForWavesPerEU: 28
; NumVGPRsForWavesPerEU: 23
; AccumOffset: 24
; Occupancy: 8
; WaveLimiterHint : 0
; COMPUTE_PGM_RSRC2:SCRATCH_EN: 0
; COMPUTE_PGM_RSRC2:USER_SGPR: 6
; COMPUTE_PGM_RSRC2:TRAP_HANDLER: 0
; COMPUTE_PGM_RSRC2:TGID_X_EN: 1
; COMPUTE_PGM_RSRC2:TGID_Y_EN: 0
; COMPUTE_PGM_RSRC2:TGID_Z_EN: 0
; COMPUTE_PGM_RSRC2:TIDIG_COMP_CNT: 1
; COMPUTE_PGM_RSRC3_GFX90A:ACCUM_OFFSET: 5
; COMPUTE_PGM_RSRC3_GFX90A:TG_SPLIT: 0
	.section	.text._ZN12_GLOBAL__N_121softmax_warp_backwardIfN3c108BFloat16EfLi9ELb1ELb0ELi64EEEvPT0_PKT_S7_iiiPKb,"axG",@progbits,_ZN12_GLOBAL__N_121softmax_warp_backwardIfN3c108BFloat16EfLi9ELb1ELb0ELi64EEEvPT0_PKT_S7_iiiPKb,comdat
	.globl	_ZN12_GLOBAL__N_121softmax_warp_backwardIfN3c108BFloat16EfLi9ELb1ELb0ELi64EEEvPT0_PKT_S7_iiiPKb ; -- Begin function _ZN12_GLOBAL__N_121softmax_warp_backwardIfN3c108BFloat16EfLi9ELb1ELb0ELi64EEEvPT0_PKT_S7_iiiPKb
	.p2align	8
	.type	_ZN12_GLOBAL__N_121softmax_warp_backwardIfN3c108BFloat16EfLi9ELb1ELb0ELi64EEEvPT0_PKT_S7_iiiPKb,@function
_ZN12_GLOBAL__N_121softmax_warp_backwardIfN3c108BFloat16EfLi9ELb1ELb0ELi64EEEvPT0_PKT_S7_iiiPKb: ; @_ZN12_GLOBAL__N_121softmax_warp_backwardIfN3c108BFloat16EfLi9ELb1ELb0ELi64EEEvPT0_PKT_S7_iiiPKb
; %bb.0:
	s_load_dword s2, s[4:5], 0x3c
	s_load_dwordx4 s[20:23], s[4:5], 0x18
	s_load_dwordx4 s[16:19], s[4:5], 0x0
	s_load_dwordx2 s[0:1], s[4:5], 0x10
	v_bfe_u32 v1, v0, 10, 10
	s_waitcnt lgkmcnt(0)
	s_lshr_b32 s2, s2, 16
	s_mul_i32 s6, s6, s2
	v_add_u32_e32 v1, s6, v1
	v_and_b32_e32 v4, 63, v0
	v_sub_u32_e32 v22, s20, v1
	v_mad_u64_u32 v[0:1], s[2:3], v1, s21, v[4:5]
	v_ashrrev_i32_e32 v1, 31, v0
	v_lshlrev_b64 v[6:7], 2, v[0:1]
	v_mov_b32_e32 v3, s19
	v_add_co_u32_e32 v2, vcc, s18, v6
	v_addc_co_u32_e32 v3, vcc, v3, v7, vcc
	v_mov_b32_e32 v5, s1
	v_add_co_u32_e32 v6, vcc, s0, v6
	v_cmp_lt_i32_e64 s[14:15], 0, v22
	v_cmp_gt_i32_e64 s[12:13], s22, v4
	v_addc_co_u32_e32 v7, vcc, v5, v7, vcc
	s_and_b64 s[2:3], s[14:15], s[12:13]
	v_mov_b32_e32 v16, 0
	v_mov_b32_e32 v20, 0
	v_mov_b32_e32 v21, 0
	s_and_saveexec_b64 s[0:1], s[2:3]
	s_cbranch_execz .LBB342_2
; %bb.1:
	global_load_dword v20, v[2:3], off
	global_load_dword v21, v[6:7], off
.LBB342_2:
	s_or_b64 exec, exec, s[0:1]
	v_or_b32_e32 v5, 64, v4
	v_cmp_gt_i32_e64 s[10:11], s22, v5
	s_and_b64 s[2:3], s[14:15], s[10:11]
	v_mov_b32_e32 v19, 0
	s_and_saveexec_b64 s[0:1], s[2:3]
	s_cbranch_execz .LBB342_4
; %bb.3:
	global_load_dword v16, v[2:3], off offset:256
	global_load_dword v19, v[6:7], off offset:256
.LBB342_4:
	s_or_b64 exec, exec, s[0:1]
	v_or_b32_e32 v5, 0x80, v4
	v_cmp_gt_i32_e64 s[8:9], s22, v5
	s_and_b64 s[2:3], s[14:15], s[8:9]
	v_mov_b32_e32 v12, 0
	v_mov_b32_e32 v17, 0
	v_mov_b32_e32 v18, 0
	s_and_saveexec_b64 s[0:1], s[2:3]
	s_cbranch_execz .LBB342_6
; %bb.5:
	global_load_dword v17, v[2:3], off offset:512
	global_load_dword v18, v[6:7], off offset:512
.LBB342_6:
	s_or_b64 exec, exec, s[0:1]
	v_or_b32_e32 v5, 0xc0, v4
	v_cmp_gt_i32_e64 s[6:7], s22, v5
	s_and_b64 s[2:3], s[14:15], s[6:7]
	v_mov_b32_e32 v15, 0
	s_and_saveexec_b64 s[0:1], s[2:3]
	s_cbranch_execz .LBB342_8
; %bb.7:
	global_load_dword v12, v[2:3], off offset:768
	global_load_dword v15, v[6:7], off offset:768
.LBB342_8:
	s_or_b64 exec, exec, s[0:1]
	v_or_b32_e32 v5, 0x100, v4
	v_cmp_gt_i32_e64 s[4:5], s22, v5
	s_and_b64 s[2:3], s[14:15], s[4:5]
	v_mov_b32_e32 v8, 0
	v_mov_b32_e32 v13, 0
	v_mov_b32_e32 v14, 0
	s_and_saveexec_b64 s[0:1], s[2:3]
	s_cbranch_execz .LBB342_10
; %bb.9:
	global_load_dword v13, v[2:3], off offset:1024
	global_load_dword v14, v[6:7], off offset:1024
.LBB342_10:
	;; [unrolled: 24-line block ×3, first 2 shown]
	s_or_b64 exec, exec, s[18:19]
	v_or_b32_e32 v4, 0x1c0, v4
	v_cmp_gt_i32_e32 vcc, s22, v4
	s_and_b64 s[18:19], s[14:15], vcc
	v_mov_b32_e32 v4, 0
	s_and_saveexec_b64 s[14:15], s[18:19]
	s_cbranch_execz .LBB342_16
; %bb.15:
	global_load_dword v5, v[2:3], off offset:1792
	global_load_dword v4, v[6:7], off offset:1792
.LBB342_16:
	s_or_b64 exec, exec, s[14:15]
	s_waitcnt vmcnt(1)
	v_add_f32_e32 v2, 0, v20
	v_add_f32_e32 v2, v2, v16
	v_mbcnt_lo_u32_b32 v3, -1, 0
	v_add_f32_e32 v2, v2, v17
	v_mbcnt_hi_u32_b32 v3, -1, v3
	v_add_f32_e32 v2, v2, v12
	v_and_b32_e32 v6, 64, v3
	v_add_f32_e32 v2, v2, v13
	v_add_u32_e32 v6, 64, v6
	v_xor_b32_e32 v7, 32, v3
	v_add_f32_e32 v2, v2, v8
	v_cmp_lt_i32_e64 s[14:15], v7, v6
	v_add_f32_e32 v2, v2, v9
	v_cndmask_b32_e64 v7, v3, v7, s[14:15]
	v_add_f32_e32 v2, v2, v5
	v_lshlrev_b32_e32 v7, 2, v7
	ds_bpermute_b32 v7, v7, v2
	s_waitcnt lgkmcnt(0)
	v_add_f32_e32 v2, v2, v7
	v_xor_b32_e32 v7, 16, v3
	v_cmp_lt_i32_e64 s[14:15], v7, v6
	v_cndmask_b32_e64 v7, v3, v7, s[14:15]
	v_lshlrev_b32_e32 v7, 2, v7
	ds_bpermute_b32 v7, v7, v2
	s_waitcnt lgkmcnt(0)
	v_add_f32_e32 v2, v2, v7
	v_xor_b32_e32 v7, 8, v3
	v_cmp_lt_i32_e64 s[14:15], v7, v6
	v_cndmask_b32_e64 v7, v3, v7, s[14:15]
	;; [unrolled: 7-line block ×5, first 2 shown]
	v_lshlrev_b32_e32 v3, 2, v3
	ds_bpermute_b32 v3, v3, v2
	v_cmp_lt_i32_e64 s[14:15], 0, v22
	s_and_saveexec_b64 s[18:19], s[14:15]
	s_cbranch_execz .LBB342_26
; %bb.17:
	v_lshlrev_b64 v[0:1], 1, v[0:1]
	v_mov_b32_e32 v6, s17
	v_add_co_u32_e64 v0, s[14:15], s16, v0
	v_addc_co_u32_e64 v1, s[14:15], v6, v1, s[14:15]
	s_waitcnt lgkmcnt(0)
	v_add_f32_e32 v2, v2, v3
	s_and_saveexec_b64 s[14:15], s[12:13]
	s_cbranch_execnz .LBB342_27
; %bb.18:
	s_or_b64 exec, exec, s[14:15]
	s_and_saveexec_b64 s[12:13], s[10:11]
	s_cbranch_execnz .LBB342_28
.LBB342_19:
	s_or_b64 exec, exec, s[12:13]
	s_and_saveexec_b64 s[10:11], s[8:9]
	s_cbranch_execnz .LBB342_29
.LBB342_20:
	s_or_b64 exec, exec, s[10:11]
	s_and_saveexec_b64 s[8:9], s[6:7]
	s_cbranch_execnz .LBB342_30
.LBB342_21:
	s_or_b64 exec, exec, s[8:9]
	s_and_saveexec_b64 s[6:7], s[4:5]
	s_cbranch_execnz .LBB342_31
.LBB342_22:
	s_or_b64 exec, exec, s[6:7]
	s_and_saveexec_b64 s[4:5], s[2:3]
	s_cbranch_execnz .LBB342_32
.LBB342_23:
	s_or_b64 exec, exec, s[4:5]
	s_and_saveexec_b64 s[2:3], s[0:1]
	s_cbranch_execnz .LBB342_33
.LBB342_24:
	s_or_b64 exec, exec, s[2:3]
	s_and_b64 exec, exec, vcc
	s_cbranch_execz .LBB342_26
.LBB342_25:
	s_waitcnt vmcnt(0)
	v_mul_f32_e32 v3, 0x3fb8aa3b, v4
	s_mov_b32 s0, 0x3fb8aa3b
	v_rndne_f32_e32 v6, v3
	v_sub_f32_e32 v7, v3, v6
	v_fma_f32 v3, v4, s0, -v3
	v_fmac_f32_e32 v3, 0x32a5705f, v4
	v_add_f32_e32 v3, v7, v3
	v_exp_f32_e32 v3, v3
	v_cvt_i32_f32_e32 v6, v6
	s_mov_b32 s0, 0xc2ce8ed0
	v_cmp_ngt_f32_e32 vcc, s0, v4
	s_mov_b32 s0, 0x42b17218
	v_ldexp_f32 v3, v3, v6
	v_cndmask_b32_e32 v3, 0, v3, vcc
	v_mov_b32_e32 v6, 0x7f800000
	v_cmp_nlt_f32_e32 vcc, s0, v4
	v_cndmask_b32_e32 v3, v6, v3, vcc
	v_fma_f32 v2, -v2, v3, v5
	v_bfe_u32 v3, v2, 16, 1
	s_movk_i32 s0, 0x7fff
	v_add3_u32 v3, v2, v3, s0
	v_lshrrev_b32_e32 v3, 16, v3
	v_mov_b32_e32 v4, 0x7fc0
	v_cmp_o_f32_e32 vcc, v2, v2
	v_cndmask_b32_e32 v2, v4, v3, vcc
	global_store_short v[0:1], v2, off offset:896
.LBB342_26:
	s_endpgm
.LBB342_27:
	s_waitcnt vmcnt(0)
	v_mul_f32_e32 v3, 0x3fb8aa3b, v21
	s_mov_b32 s12, 0x3fb8aa3b
	v_rndne_f32_e32 v6, v3
	v_sub_f32_e32 v7, v3, v6
	v_fma_f32 v3, v21, s12, -v3
	v_fmac_f32_e32 v3, 0x32a5705f, v21
	v_add_f32_e32 v3, v7, v3
	v_exp_f32_e32 v3, v3
	v_cvt_i32_f32_e32 v6, v6
	s_mov_b32 s12, 0xc2ce8ed0
	v_cmp_ngt_f32_e64 s[12:13], s12, v21
	v_mov_b32_e32 v7, 0x7fc0
	v_ldexp_f32 v3, v3, v6
	v_cndmask_b32_e64 v3, 0, v3, s[12:13]
	s_mov_b32 s12, 0x42b17218
	v_mov_b32_e32 v6, 0x7f800000
	v_cmp_nlt_f32_e64 s[12:13], s12, v21
	v_cndmask_b32_e64 v3, v6, v3, s[12:13]
	v_fma_f32 v3, -v2, v3, v20
	v_bfe_u32 v6, v3, 16, 1
	s_movk_i32 s12, 0x7fff
	v_add3_u32 v6, v3, v6, s12
	v_lshrrev_b32_e32 v6, 16, v6
	v_cmp_o_f32_e64 s[12:13], v3, v3
	v_cndmask_b32_e64 v3, v7, v6, s[12:13]
	global_store_short v[0:1], v3, off
	s_or_b64 exec, exec, s[14:15]
	s_and_saveexec_b64 s[12:13], s[10:11]
	s_cbranch_execz .LBB342_19
.LBB342_28:
	s_waitcnt vmcnt(0)
	v_mul_f32_e32 v3, 0x3fb8aa3b, v19
	s_mov_b32 s10, 0x3fb8aa3b
	v_rndne_f32_e32 v6, v3
	v_sub_f32_e32 v7, v3, v6
	v_fma_f32 v3, v19, s10, -v3
	v_fmac_f32_e32 v3, 0x32a5705f, v19
	v_add_f32_e32 v3, v7, v3
	v_exp_f32_e32 v3, v3
	v_cvt_i32_f32_e32 v6, v6
	s_mov_b32 s10, 0xc2ce8ed0
	v_cmp_ngt_f32_e64 s[10:11], s10, v19
	v_mov_b32_e32 v7, 0x7fc0
	v_ldexp_f32 v3, v3, v6
	v_cndmask_b32_e64 v3, 0, v3, s[10:11]
	s_mov_b32 s10, 0x42b17218
	v_mov_b32_e32 v6, 0x7f800000
	v_cmp_nlt_f32_e64 s[10:11], s10, v19
	v_cndmask_b32_e64 v3, v6, v3, s[10:11]
	v_fma_f32 v3, -v2, v3, v16
	v_bfe_u32 v6, v3, 16, 1
	s_movk_i32 s10, 0x7fff
	v_add3_u32 v6, v3, v6, s10
	v_lshrrev_b32_e32 v6, 16, v6
	v_cmp_o_f32_e64 s[10:11], v3, v3
	v_cndmask_b32_e64 v3, v7, v6, s[10:11]
	global_store_short v[0:1], v3, off offset:128
	s_or_b64 exec, exec, s[12:13]
	s_and_saveexec_b64 s[10:11], s[8:9]
	s_cbranch_execz .LBB342_20
.LBB342_29:
	s_waitcnt vmcnt(0)
	v_mul_f32_e32 v3, 0x3fb8aa3b, v18
	s_mov_b32 s8, 0x3fb8aa3b
	v_rndne_f32_e32 v6, v3
	v_sub_f32_e32 v7, v3, v6
	v_fma_f32 v3, v18, s8, -v3
	v_fmac_f32_e32 v3, 0x32a5705f, v18
	v_add_f32_e32 v3, v7, v3
	v_exp_f32_e32 v3, v3
	v_cvt_i32_f32_e32 v6, v6
	s_mov_b32 s8, 0xc2ce8ed0
	v_cmp_ngt_f32_e64 s[8:9], s8, v18
	v_mov_b32_e32 v7, 0x7fc0
	v_ldexp_f32 v3, v3, v6
	v_cndmask_b32_e64 v3, 0, v3, s[8:9]
	s_mov_b32 s8, 0x42b17218
	v_mov_b32_e32 v6, 0x7f800000
	v_cmp_nlt_f32_e64 s[8:9], s8, v18
	v_cndmask_b32_e64 v3, v6, v3, s[8:9]
	v_fma_f32 v3, -v2, v3, v17
	v_bfe_u32 v6, v3, 16, 1
	s_movk_i32 s8, 0x7fff
	v_add3_u32 v6, v3, v6, s8
	v_lshrrev_b32_e32 v6, 16, v6
	v_cmp_o_f32_e64 s[8:9], v3, v3
	v_cndmask_b32_e64 v3, v7, v6, s[8:9]
	global_store_short v[0:1], v3, off offset:256
	s_or_b64 exec, exec, s[10:11]
	s_and_saveexec_b64 s[8:9], s[6:7]
	s_cbranch_execz .LBB342_21
.LBB342_30:
	s_waitcnt vmcnt(0)
	v_mul_f32_e32 v3, 0x3fb8aa3b, v15
	s_mov_b32 s6, 0x3fb8aa3b
	v_rndne_f32_e32 v6, v3
	v_sub_f32_e32 v7, v3, v6
	v_fma_f32 v3, v15, s6, -v3
	v_fmac_f32_e32 v3, 0x32a5705f, v15
	v_add_f32_e32 v3, v7, v3
	v_exp_f32_e32 v3, v3
	v_cvt_i32_f32_e32 v6, v6
	s_mov_b32 s6, 0xc2ce8ed0
	v_cmp_ngt_f32_e64 s[6:7], s6, v15
	v_mov_b32_e32 v7, 0x7fc0
	v_ldexp_f32 v3, v3, v6
	v_cndmask_b32_e64 v3, 0, v3, s[6:7]
	s_mov_b32 s6, 0x42b17218
	v_mov_b32_e32 v6, 0x7f800000
	v_cmp_nlt_f32_e64 s[6:7], s6, v15
	v_cndmask_b32_e64 v3, v6, v3, s[6:7]
	v_fma_f32 v3, -v2, v3, v12
	v_bfe_u32 v6, v3, 16, 1
	s_movk_i32 s6, 0x7fff
	v_add3_u32 v6, v3, v6, s6
	v_lshrrev_b32_e32 v6, 16, v6
	v_cmp_o_f32_e64 s[6:7], v3, v3
	v_cndmask_b32_e64 v3, v7, v6, s[6:7]
	global_store_short v[0:1], v3, off offset:384
	s_or_b64 exec, exec, s[8:9]
	s_and_saveexec_b64 s[6:7], s[4:5]
	s_cbranch_execz .LBB342_22
.LBB342_31:
	s_waitcnt vmcnt(0)
	v_mul_f32_e32 v3, 0x3fb8aa3b, v14
	s_mov_b32 s4, 0x3fb8aa3b
	v_rndne_f32_e32 v6, v3
	v_sub_f32_e32 v7, v3, v6
	v_fma_f32 v3, v14, s4, -v3
	v_fmac_f32_e32 v3, 0x32a5705f, v14
	v_add_f32_e32 v3, v7, v3
	v_exp_f32_e32 v3, v3
	v_cvt_i32_f32_e32 v6, v6
	s_mov_b32 s4, 0xc2ce8ed0
	v_cmp_ngt_f32_e64 s[4:5], s4, v14
	v_mov_b32_e32 v7, 0x7fc0
	v_ldexp_f32 v3, v3, v6
	v_cndmask_b32_e64 v3, 0, v3, s[4:5]
	s_mov_b32 s4, 0x42b17218
	v_mov_b32_e32 v6, 0x7f800000
	v_cmp_nlt_f32_e64 s[4:5], s4, v14
	v_cndmask_b32_e64 v3, v6, v3, s[4:5]
	v_fma_f32 v3, -v2, v3, v13
	v_bfe_u32 v6, v3, 16, 1
	s_movk_i32 s4, 0x7fff
	v_add3_u32 v6, v3, v6, s4
	v_lshrrev_b32_e32 v6, 16, v6
	v_cmp_o_f32_e64 s[4:5], v3, v3
	v_cndmask_b32_e64 v3, v7, v6, s[4:5]
	global_store_short v[0:1], v3, off offset:512
	s_or_b64 exec, exec, s[6:7]
	s_and_saveexec_b64 s[4:5], s[2:3]
	s_cbranch_execz .LBB342_23
.LBB342_32:
	s_waitcnt vmcnt(0)
	v_mul_f32_e32 v3, 0x3fb8aa3b, v11
	s_mov_b32 s2, 0x3fb8aa3b
	v_rndne_f32_e32 v6, v3
	v_sub_f32_e32 v7, v3, v6
	v_fma_f32 v3, v11, s2, -v3
	v_fmac_f32_e32 v3, 0x32a5705f, v11
	v_add_f32_e32 v3, v7, v3
	v_exp_f32_e32 v3, v3
	v_cvt_i32_f32_e32 v6, v6
	s_mov_b32 s2, 0xc2ce8ed0
	v_cmp_ngt_f32_e64 s[2:3], s2, v11
	v_mov_b32_e32 v7, 0x7fc0
	v_ldexp_f32 v3, v3, v6
	v_cndmask_b32_e64 v3, 0, v3, s[2:3]
	s_mov_b32 s2, 0x42b17218
	v_mov_b32_e32 v6, 0x7f800000
	v_cmp_nlt_f32_e64 s[2:3], s2, v11
	v_cndmask_b32_e64 v3, v6, v3, s[2:3]
	v_fma_f32 v3, -v2, v3, v8
	v_bfe_u32 v6, v3, 16, 1
	s_movk_i32 s2, 0x7fff
	v_add3_u32 v6, v3, v6, s2
	v_lshrrev_b32_e32 v6, 16, v6
	v_cmp_o_f32_e64 s[2:3], v3, v3
	v_cndmask_b32_e64 v3, v7, v6, s[2:3]
	global_store_short v[0:1], v3, off offset:640
	s_or_b64 exec, exec, s[4:5]
	s_and_saveexec_b64 s[2:3], s[0:1]
	s_cbranch_execz .LBB342_24
.LBB342_33:
	s_waitcnt vmcnt(0)
	v_mul_f32_e32 v3, 0x3fb8aa3b, v10
	s_mov_b32 s0, 0x3fb8aa3b
	v_rndne_f32_e32 v6, v3
	v_sub_f32_e32 v7, v3, v6
	v_fma_f32 v3, v10, s0, -v3
	v_fmac_f32_e32 v3, 0x32a5705f, v10
	v_add_f32_e32 v3, v7, v3
	v_exp_f32_e32 v3, v3
	v_cvt_i32_f32_e32 v6, v6
	s_mov_b32 s0, 0xc2ce8ed0
	v_cmp_ngt_f32_e64 s[0:1], s0, v10
	v_mov_b32_e32 v7, 0x7fc0
	v_ldexp_f32 v3, v3, v6
	v_cndmask_b32_e64 v3, 0, v3, s[0:1]
	s_mov_b32 s0, 0x42b17218
	v_mov_b32_e32 v6, 0x7f800000
	v_cmp_nlt_f32_e64 s[0:1], s0, v10
	v_cndmask_b32_e64 v3, v6, v3, s[0:1]
	v_fma_f32 v3, -v2, v3, v9
	v_bfe_u32 v6, v3, 16, 1
	s_movk_i32 s0, 0x7fff
	v_add3_u32 v6, v3, v6, s0
	v_lshrrev_b32_e32 v6, 16, v6
	v_cmp_o_f32_e64 s[0:1], v3, v3
	v_cndmask_b32_e64 v3, v7, v6, s[0:1]
	global_store_short v[0:1], v3, off offset:768
	s_or_b64 exec, exec, s[2:3]
	s_and_b64 exec, exec, vcc
	s_cbranch_execnz .LBB342_25
	s_branch .LBB342_26
	.section	.rodata,"a",@progbits
	.p2align	6, 0x0
	.amdhsa_kernel _ZN12_GLOBAL__N_121softmax_warp_backwardIfN3c108BFloat16EfLi9ELb1ELb0ELi64EEEvPT0_PKT_S7_iiiPKb
		.amdhsa_group_segment_fixed_size 0
		.amdhsa_private_segment_fixed_size 0
		.amdhsa_kernarg_size 304
		.amdhsa_user_sgpr_count 6
		.amdhsa_user_sgpr_private_segment_buffer 1
		.amdhsa_user_sgpr_dispatch_ptr 0
		.amdhsa_user_sgpr_queue_ptr 0
		.amdhsa_user_sgpr_kernarg_segment_ptr 1
		.amdhsa_user_sgpr_dispatch_id 0
		.amdhsa_user_sgpr_flat_scratch_init 0
		.amdhsa_user_sgpr_kernarg_preload_length 0
		.amdhsa_user_sgpr_kernarg_preload_offset 0
		.amdhsa_user_sgpr_private_segment_size 0
		.amdhsa_uses_dynamic_stack 0
		.amdhsa_system_sgpr_private_segment_wavefront_offset 0
		.amdhsa_system_sgpr_workgroup_id_x 1
		.amdhsa_system_sgpr_workgroup_id_y 0
		.amdhsa_system_sgpr_workgroup_id_z 0
		.amdhsa_system_sgpr_workgroup_info 0
		.amdhsa_system_vgpr_workitem_id 1
		.amdhsa_next_free_vgpr 23
		.amdhsa_next_free_sgpr 24
		.amdhsa_accum_offset 24
		.amdhsa_reserve_vcc 1
		.amdhsa_reserve_flat_scratch 0
		.amdhsa_float_round_mode_32 0
		.amdhsa_float_round_mode_16_64 0
		.amdhsa_float_denorm_mode_32 3
		.amdhsa_float_denorm_mode_16_64 3
		.amdhsa_dx10_clamp 1
		.amdhsa_ieee_mode 1
		.amdhsa_fp16_overflow 0
		.amdhsa_tg_split 0
		.amdhsa_exception_fp_ieee_invalid_op 0
		.amdhsa_exception_fp_denorm_src 0
		.amdhsa_exception_fp_ieee_div_zero 0
		.amdhsa_exception_fp_ieee_overflow 0
		.amdhsa_exception_fp_ieee_underflow 0
		.amdhsa_exception_fp_ieee_inexact 0
		.amdhsa_exception_int_div_zero 0
	.end_amdhsa_kernel
	.section	.text._ZN12_GLOBAL__N_121softmax_warp_backwardIfN3c108BFloat16EfLi9ELb1ELb0ELi64EEEvPT0_PKT_S7_iiiPKb,"axG",@progbits,_ZN12_GLOBAL__N_121softmax_warp_backwardIfN3c108BFloat16EfLi9ELb1ELb0ELi64EEEvPT0_PKT_S7_iiiPKb,comdat
.Lfunc_end342:
	.size	_ZN12_GLOBAL__N_121softmax_warp_backwardIfN3c108BFloat16EfLi9ELb1ELb0ELi64EEEvPT0_PKT_S7_iiiPKb, .Lfunc_end342-_ZN12_GLOBAL__N_121softmax_warp_backwardIfN3c108BFloat16EfLi9ELb1ELb0ELi64EEEvPT0_PKT_S7_iiiPKb
                                        ; -- End function
	.section	.AMDGPU.csdata,"",@progbits
; Kernel info:
; codeLenInByte = 2524
; NumSgprs: 28
; NumVgprs: 23
; NumAgprs: 0
; TotalNumVgprs: 23
; ScratchSize: 0
; MemoryBound: 0
; FloatMode: 240
; IeeeMode: 1
; LDSByteSize: 0 bytes/workgroup (compile time only)
; SGPRBlocks: 3
; VGPRBlocks: 2
; NumSGPRsForWavesPerEU: 28
; NumVGPRsForWavesPerEU: 23
; AccumOffset: 24
; Occupancy: 8
; WaveLimiterHint : 0
; COMPUTE_PGM_RSRC2:SCRATCH_EN: 0
; COMPUTE_PGM_RSRC2:USER_SGPR: 6
; COMPUTE_PGM_RSRC2:TRAP_HANDLER: 0
; COMPUTE_PGM_RSRC2:TGID_X_EN: 1
; COMPUTE_PGM_RSRC2:TGID_Y_EN: 0
; COMPUTE_PGM_RSRC2:TGID_Z_EN: 0
; COMPUTE_PGM_RSRC2:TIDIG_COMP_CNT: 1
; COMPUTE_PGM_RSRC3_GFX90A:ACCUM_OFFSET: 5
; COMPUTE_PGM_RSRC3_GFX90A:TG_SPLIT: 0
	.section	.text._ZN12_GLOBAL__N_121softmax_warp_backwardIfN3c108BFloat16EfLi9ELb1ELb0ELi32EEEvPT0_PKT_S7_iiiPKb,"axG",@progbits,_ZN12_GLOBAL__N_121softmax_warp_backwardIfN3c108BFloat16EfLi9ELb1ELb0ELi32EEEvPT0_PKT_S7_iiiPKb,comdat
	.globl	_ZN12_GLOBAL__N_121softmax_warp_backwardIfN3c108BFloat16EfLi9ELb1ELb0ELi32EEEvPT0_PKT_S7_iiiPKb ; -- Begin function _ZN12_GLOBAL__N_121softmax_warp_backwardIfN3c108BFloat16EfLi9ELb1ELb0ELi32EEEvPT0_PKT_S7_iiiPKb
	.p2align	8
	.type	_ZN12_GLOBAL__N_121softmax_warp_backwardIfN3c108BFloat16EfLi9ELb1ELb0ELi32EEEvPT0_PKT_S7_iiiPKb,@function
_ZN12_GLOBAL__N_121softmax_warp_backwardIfN3c108BFloat16EfLi9ELb1ELb0ELi32EEEvPT0_PKT_S7_iiiPKb: ; @_ZN12_GLOBAL__N_121softmax_warp_backwardIfN3c108BFloat16EfLi9ELb1ELb0ELi32EEEvPT0_PKT_S7_iiiPKb
; %bb.0:
	s_load_dword s2, s[4:5], 0x3c
	s_load_dwordx4 s[40:43], s[4:5], 0x18
	s_load_dwordx4 s[36:39], s[4:5], 0x0
	s_load_dwordx2 s[0:1], s[4:5], 0x10
	v_bfe_u32 v1, v0, 10, 10
	s_waitcnt lgkmcnt(0)
	s_lshr_b32 s2, s2, 16
	s_mul_i32 s6, s6, s2
	v_add_u32_e32 v1, s6, v1
	v_and_b32_e32 v4, 31, v0
	v_sub_u32_e32 v38, s40, v1
	v_mad_u64_u32 v[0:1], s[2:3], v1, s41, v[4:5]
	v_ashrrev_i32_e32 v1, 31, v0
	v_lshlrev_b64 v[6:7], 2, v[0:1]
	v_mov_b32_e32 v3, s39
	v_add_co_u32_e32 v2, vcc, s38, v6
	v_addc_co_u32_e32 v3, vcc, v3, v7, vcc
	v_mov_b32_e32 v5, s1
	v_add_co_u32_e32 v6, vcc, s0, v6
	v_cmp_lt_i32_e64 s[30:31], 0, v38
	v_cmp_gt_i32_e64 s[28:29], s42, v4
	v_addc_co_u32_e32 v7, vcc, v5, v7, vcc
	s_and_b64 s[2:3], s[30:31], s[28:29]
	v_mov_b32_e32 v32, 0
	v_mov_b32_e32 v36, 0
	;; [unrolled: 1-line block ×3, first 2 shown]
	s_and_saveexec_b64 s[0:1], s[2:3]
	s_cbranch_execz .LBB343_2
; %bb.1:
	global_load_dword v36, v[2:3], off
	global_load_dword v37, v[6:7], off
.LBB343_2:
	s_or_b64 exec, exec, s[0:1]
	v_or_b32_e32 v5, 32, v4
	v_cmp_gt_i32_e64 s[26:27], s42, v5
	s_and_b64 s[2:3], s[30:31], s[26:27]
	v_mov_b32_e32 v35, 0
	s_and_saveexec_b64 s[0:1], s[2:3]
	s_cbranch_execz .LBB343_4
; %bb.3:
	global_load_dword v32, v[2:3], off offset:128
	global_load_dword v35, v[6:7], off offset:128
.LBB343_4:
	s_or_b64 exec, exec, s[0:1]
	v_or_b32_e32 v5, 64, v4
	v_cmp_gt_i32_e64 s[24:25], s42, v5
	s_and_b64 s[2:3], s[30:31], s[24:25]
	v_mov_b32_e32 v28, 0
	v_mov_b32_e32 v33, 0
	v_mov_b32_e32 v34, 0
	s_and_saveexec_b64 s[0:1], s[2:3]
	s_cbranch_execz .LBB343_6
; %bb.5:
	global_load_dword v33, v[2:3], off offset:256
	global_load_dword v34, v[6:7], off offset:256
.LBB343_6:
	s_or_b64 exec, exec, s[0:1]
	v_or_b32_e32 v5, 0x60, v4
	v_cmp_gt_i32_e64 s[22:23], s42, v5
	s_and_b64 s[2:3], s[30:31], s[22:23]
	v_mov_b32_e32 v31, 0
	s_and_saveexec_b64 s[0:1], s[2:3]
	s_cbranch_execz .LBB343_8
; %bb.7:
	global_load_dword v28, v[2:3], off offset:384
	global_load_dword v31, v[6:7], off offset:384
.LBB343_8:
	s_or_b64 exec, exec, s[0:1]
	v_or_b32_e32 v5, 0x80, v4
	v_cmp_gt_i32_e64 s[20:21], s42, v5
	s_and_b64 s[2:3], s[30:31], s[20:21]
	v_mov_b32_e32 v24, 0
	v_mov_b32_e32 v29, 0
	v_mov_b32_e32 v30, 0
	s_and_saveexec_b64 s[0:1], s[2:3]
	s_cbranch_execz .LBB343_10
; %bb.9:
	global_load_dword v29, v[2:3], off offset:512
	global_load_dword v30, v[6:7], off offset:512
.LBB343_10:
	;; [unrolled: 24-line block ×7, first 2 shown]
	s_or_b64 exec, exec, s[34:35]
	v_or_b32_e32 v4, 0x1e0, v4
	v_cmp_gt_i32_e32 vcc, s42, v4
	s_and_b64 s[34:35], s[30:31], vcc
	v_mov_b32_e32 v4, 0
	s_and_saveexec_b64 s[30:31], s[34:35]
	s_cbranch_execz .LBB343_32
; %bb.31:
	global_load_dword v5, v[2:3], off offset:1920
	global_load_dword v4, v[6:7], off offset:1920
.LBB343_32:
	s_or_b64 exec, exec, s[30:31]
	s_waitcnt vmcnt(1)
	v_add_f32_e32 v2, 0, v36
	v_add_f32_e32 v2, v2, v32
	;; [unrolled: 1-line block ×10, first 2 shown]
	v_mbcnt_lo_u32_b32 v3, -1, 0
	v_add_f32_e32 v2, v2, v17
	v_mbcnt_hi_u32_b32 v3, -1, v3
	v_add_f32_e32 v2, v2, v12
	v_and_b32_e32 v6, 0x60, v3
	v_add_f32_e32 v2, v2, v13
	v_add_u32_e32 v6, 32, v6
	v_xor_b32_e32 v7, 16, v3
	v_add_f32_e32 v2, v2, v8
	v_cmp_lt_i32_e64 s[30:31], v7, v6
	v_add_f32_e32 v2, v2, v9
	v_cndmask_b32_e64 v7, v3, v7, s[30:31]
	v_add_f32_e32 v2, v2, v5
	v_lshlrev_b32_e32 v7, 2, v7
	ds_bpermute_b32 v7, v7, v2
	s_waitcnt lgkmcnt(0)
	v_add_f32_e32 v2, v2, v7
	v_xor_b32_e32 v7, 8, v3
	v_cmp_lt_i32_e64 s[30:31], v7, v6
	v_cndmask_b32_e64 v7, v3, v7, s[30:31]
	v_lshlrev_b32_e32 v7, 2, v7
	ds_bpermute_b32 v7, v7, v2
	s_waitcnt lgkmcnt(0)
	v_add_f32_e32 v2, v2, v7
	v_xor_b32_e32 v7, 4, v3
	v_cmp_lt_i32_e64 s[30:31], v7, v6
	v_cndmask_b32_e64 v7, v3, v7, s[30:31]
	;; [unrolled: 7-line block ×4, first 2 shown]
	v_lshlrev_b32_e32 v3, 2, v3
	ds_bpermute_b32 v3, v3, v2
	v_cmp_lt_i32_e64 s[30:31], 0, v38
	s_and_saveexec_b64 s[34:35], s[30:31]
	s_cbranch_execz .LBB343_50
; %bb.33:
	v_lshlrev_b64 v[0:1], 1, v[0:1]
	v_mov_b32_e32 v6, s37
	v_add_co_u32_e64 v0, s[30:31], s36, v0
	v_addc_co_u32_e64 v1, s[30:31], v6, v1, s[30:31]
	s_waitcnt lgkmcnt(0)
	v_add_f32_e32 v2, v2, v3
	s_and_saveexec_b64 s[30:31], s[28:29]
	s_cbranch_execnz .LBB343_51
; %bb.34:
	s_or_b64 exec, exec, s[30:31]
	s_and_saveexec_b64 s[28:29], s[26:27]
	s_cbranch_execnz .LBB343_52
.LBB343_35:
	s_or_b64 exec, exec, s[28:29]
	s_and_saveexec_b64 s[26:27], s[24:25]
	s_cbranch_execnz .LBB343_53
.LBB343_36:
	s_or_b64 exec, exec, s[26:27]
	s_and_saveexec_b64 s[24:25], s[22:23]
	s_cbranch_execnz .LBB343_54
.LBB343_37:
	s_or_b64 exec, exec, s[24:25]
	s_and_saveexec_b64 s[22:23], s[20:21]
	s_cbranch_execnz .LBB343_55
.LBB343_38:
	s_or_b64 exec, exec, s[22:23]
	s_and_saveexec_b64 s[20:21], s[18:19]
	s_cbranch_execnz .LBB343_56
.LBB343_39:
	s_or_b64 exec, exec, s[20:21]
	s_and_saveexec_b64 s[18:19], s[16:17]
	s_cbranch_execnz .LBB343_57
.LBB343_40:
	s_or_b64 exec, exec, s[18:19]
	s_and_saveexec_b64 s[16:17], s[14:15]
	s_cbranch_execnz .LBB343_58
.LBB343_41:
	s_or_b64 exec, exec, s[16:17]
	s_and_saveexec_b64 s[14:15], s[12:13]
	s_cbranch_execnz .LBB343_59
.LBB343_42:
	s_or_b64 exec, exec, s[14:15]
	s_and_saveexec_b64 s[12:13], s[10:11]
	s_cbranch_execnz .LBB343_60
.LBB343_43:
	s_or_b64 exec, exec, s[12:13]
	s_and_saveexec_b64 s[10:11], s[8:9]
	s_cbranch_execnz .LBB343_61
.LBB343_44:
	s_or_b64 exec, exec, s[10:11]
	s_and_saveexec_b64 s[8:9], s[6:7]
	s_cbranch_execnz .LBB343_62
.LBB343_45:
	s_or_b64 exec, exec, s[8:9]
	s_and_saveexec_b64 s[6:7], s[4:5]
	s_cbranch_execnz .LBB343_63
.LBB343_46:
	s_or_b64 exec, exec, s[6:7]
	s_and_saveexec_b64 s[4:5], s[2:3]
	s_cbranch_execnz .LBB343_64
.LBB343_47:
	s_or_b64 exec, exec, s[4:5]
	s_and_saveexec_b64 s[2:3], s[0:1]
	s_cbranch_execnz .LBB343_65
.LBB343_48:
	s_or_b64 exec, exec, s[2:3]
	s_and_b64 exec, exec, vcc
	s_cbranch_execz .LBB343_50
.LBB343_49:
	s_waitcnt vmcnt(0)
	v_mul_f32_e32 v3, 0x3fb8aa3b, v4
	s_mov_b32 s0, 0x3fb8aa3b
	v_rndne_f32_e32 v6, v3
	v_sub_f32_e32 v7, v3, v6
	v_fma_f32 v3, v4, s0, -v3
	v_fmac_f32_e32 v3, 0x32a5705f, v4
	v_add_f32_e32 v3, v7, v3
	v_exp_f32_e32 v3, v3
	v_cvt_i32_f32_e32 v6, v6
	s_mov_b32 s0, 0xc2ce8ed0
	v_cmp_ngt_f32_e32 vcc, s0, v4
	s_mov_b32 s0, 0x42b17218
	v_ldexp_f32 v3, v3, v6
	v_cndmask_b32_e32 v3, 0, v3, vcc
	v_mov_b32_e32 v6, 0x7f800000
	v_cmp_nlt_f32_e32 vcc, s0, v4
	v_cndmask_b32_e32 v3, v6, v3, vcc
	v_fma_f32 v2, -v2, v3, v5
	v_bfe_u32 v3, v2, 16, 1
	s_movk_i32 s0, 0x7fff
	v_add3_u32 v3, v2, v3, s0
	v_lshrrev_b32_e32 v3, 16, v3
	v_mov_b32_e32 v4, 0x7fc0
	v_cmp_o_f32_e32 vcc, v2, v2
	v_cndmask_b32_e32 v2, v4, v3, vcc
	global_store_short v[0:1], v2, off offset:960
.LBB343_50:
	s_endpgm
.LBB343_51:
	s_waitcnt vmcnt(0)
	v_mul_f32_e32 v3, 0x3fb8aa3b, v37
	s_mov_b32 s28, 0x3fb8aa3b
	v_rndne_f32_e32 v6, v3
	v_sub_f32_e32 v7, v3, v6
	v_fma_f32 v3, v37, s28, -v3
	v_fmac_f32_e32 v3, 0x32a5705f, v37
	v_add_f32_e32 v3, v7, v3
	v_exp_f32_e32 v3, v3
	v_cvt_i32_f32_e32 v6, v6
	s_mov_b32 s28, 0xc2ce8ed0
	v_cmp_ngt_f32_e64 s[28:29], s28, v37
	v_mov_b32_e32 v7, 0x7fc0
	v_ldexp_f32 v3, v3, v6
	v_cndmask_b32_e64 v3, 0, v3, s[28:29]
	s_mov_b32 s28, 0x42b17218
	v_mov_b32_e32 v6, 0x7f800000
	v_cmp_nlt_f32_e64 s[28:29], s28, v37
	v_cndmask_b32_e64 v3, v6, v3, s[28:29]
	v_fma_f32 v3, -v2, v3, v36
	v_bfe_u32 v6, v3, 16, 1
	s_movk_i32 s28, 0x7fff
	v_add3_u32 v6, v3, v6, s28
	v_lshrrev_b32_e32 v6, 16, v6
	v_cmp_o_f32_e64 s[28:29], v3, v3
	v_cndmask_b32_e64 v3, v7, v6, s[28:29]
	global_store_short v[0:1], v3, off
	s_or_b64 exec, exec, s[30:31]
	s_and_saveexec_b64 s[28:29], s[26:27]
	s_cbranch_execz .LBB343_35
.LBB343_52:
	s_waitcnt vmcnt(0)
	v_mul_f32_e32 v3, 0x3fb8aa3b, v35
	s_mov_b32 s26, 0x3fb8aa3b
	v_rndne_f32_e32 v6, v3
	v_sub_f32_e32 v7, v3, v6
	v_fma_f32 v3, v35, s26, -v3
	v_fmac_f32_e32 v3, 0x32a5705f, v35
	v_add_f32_e32 v3, v7, v3
	v_exp_f32_e32 v3, v3
	v_cvt_i32_f32_e32 v6, v6
	s_mov_b32 s26, 0xc2ce8ed0
	v_cmp_ngt_f32_e64 s[26:27], s26, v35
	v_mov_b32_e32 v7, 0x7fc0
	v_ldexp_f32 v3, v3, v6
	v_cndmask_b32_e64 v3, 0, v3, s[26:27]
	s_mov_b32 s26, 0x42b17218
	v_mov_b32_e32 v6, 0x7f800000
	v_cmp_nlt_f32_e64 s[26:27], s26, v35
	v_cndmask_b32_e64 v3, v6, v3, s[26:27]
	v_fma_f32 v3, -v2, v3, v32
	v_bfe_u32 v6, v3, 16, 1
	s_movk_i32 s26, 0x7fff
	v_add3_u32 v6, v3, v6, s26
	v_lshrrev_b32_e32 v6, 16, v6
	v_cmp_o_f32_e64 s[26:27], v3, v3
	v_cndmask_b32_e64 v3, v7, v6, s[26:27]
	global_store_short v[0:1], v3, off offset:64
	s_or_b64 exec, exec, s[28:29]
	s_and_saveexec_b64 s[26:27], s[24:25]
	s_cbranch_execz .LBB343_36
.LBB343_53:
	s_waitcnt vmcnt(0)
	v_mul_f32_e32 v3, 0x3fb8aa3b, v34
	s_mov_b32 s24, 0x3fb8aa3b
	v_rndne_f32_e32 v6, v3
	v_sub_f32_e32 v7, v3, v6
	v_fma_f32 v3, v34, s24, -v3
	v_fmac_f32_e32 v3, 0x32a5705f, v34
	v_add_f32_e32 v3, v7, v3
	v_exp_f32_e32 v3, v3
	v_cvt_i32_f32_e32 v6, v6
	s_mov_b32 s24, 0xc2ce8ed0
	v_cmp_ngt_f32_e64 s[24:25], s24, v34
	v_mov_b32_e32 v7, 0x7fc0
	v_ldexp_f32 v3, v3, v6
	v_cndmask_b32_e64 v3, 0, v3, s[24:25]
	s_mov_b32 s24, 0x42b17218
	v_mov_b32_e32 v6, 0x7f800000
	v_cmp_nlt_f32_e64 s[24:25], s24, v34
	v_cndmask_b32_e64 v3, v6, v3, s[24:25]
	v_fma_f32 v3, -v2, v3, v33
	v_bfe_u32 v6, v3, 16, 1
	s_movk_i32 s24, 0x7fff
	v_add3_u32 v6, v3, v6, s24
	v_lshrrev_b32_e32 v6, 16, v6
	v_cmp_o_f32_e64 s[24:25], v3, v3
	v_cndmask_b32_e64 v3, v7, v6, s[24:25]
	global_store_short v[0:1], v3, off offset:128
	s_or_b64 exec, exec, s[26:27]
	s_and_saveexec_b64 s[24:25], s[22:23]
	s_cbranch_execz .LBB343_37
.LBB343_54:
	s_waitcnt vmcnt(0)
	v_mul_f32_e32 v3, 0x3fb8aa3b, v31
	s_mov_b32 s22, 0x3fb8aa3b
	v_rndne_f32_e32 v6, v3
	v_sub_f32_e32 v7, v3, v6
	v_fma_f32 v3, v31, s22, -v3
	v_fmac_f32_e32 v3, 0x32a5705f, v31
	v_add_f32_e32 v3, v7, v3
	v_exp_f32_e32 v3, v3
	v_cvt_i32_f32_e32 v6, v6
	s_mov_b32 s22, 0xc2ce8ed0
	v_cmp_ngt_f32_e64 s[22:23], s22, v31
	v_mov_b32_e32 v7, 0x7fc0
	v_ldexp_f32 v3, v3, v6
	v_cndmask_b32_e64 v3, 0, v3, s[22:23]
	s_mov_b32 s22, 0x42b17218
	v_mov_b32_e32 v6, 0x7f800000
	v_cmp_nlt_f32_e64 s[22:23], s22, v31
	v_cndmask_b32_e64 v3, v6, v3, s[22:23]
	v_fma_f32 v3, -v2, v3, v28
	v_bfe_u32 v6, v3, 16, 1
	s_movk_i32 s22, 0x7fff
	v_add3_u32 v6, v3, v6, s22
	v_lshrrev_b32_e32 v6, 16, v6
	v_cmp_o_f32_e64 s[22:23], v3, v3
	v_cndmask_b32_e64 v3, v7, v6, s[22:23]
	global_store_short v[0:1], v3, off offset:192
	s_or_b64 exec, exec, s[24:25]
	s_and_saveexec_b64 s[22:23], s[20:21]
	s_cbranch_execz .LBB343_38
.LBB343_55:
	s_waitcnt vmcnt(0)
	v_mul_f32_e32 v3, 0x3fb8aa3b, v30
	s_mov_b32 s20, 0x3fb8aa3b
	v_rndne_f32_e32 v6, v3
	v_sub_f32_e32 v7, v3, v6
	v_fma_f32 v3, v30, s20, -v3
	v_fmac_f32_e32 v3, 0x32a5705f, v30
	v_add_f32_e32 v3, v7, v3
	v_exp_f32_e32 v3, v3
	v_cvt_i32_f32_e32 v6, v6
	s_mov_b32 s20, 0xc2ce8ed0
	v_cmp_ngt_f32_e64 s[20:21], s20, v30
	v_mov_b32_e32 v7, 0x7fc0
	v_ldexp_f32 v3, v3, v6
	v_cndmask_b32_e64 v3, 0, v3, s[20:21]
	s_mov_b32 s20, 0x42b17218
	v_mov_b32_e32 v6, 0x7f800000
	v_cmp_nlt_f32_e64 s[20:21], s20, v30
	v_cndmask_b32_e64 v3, v6, v3, s[20:21]
	v_fma_f32 v3, -v2, v3, v29
	v_bfe_u32 v6, v3, 16, 1
	s_movk_i32 s20, 0x7fff
	v_add3_u32 v6, v3, v6, s20
	v_lshrrev_b32_e32 v6, 16, v6
	v_cmp_o_f32_e64 s[20:21], v3, v3
	v_cndmask_b32_e64 v3, v7, v6, s[20:21]
	global_store_short v[0:1], v3, off offset:256
	s_or_b64 exec, exec, s[22:23]
	s_and_saveexec_b64 s[20:21], s[18:19]
	s_cbranch_execz .LBB343_39
.LBB343_56:
	s_waitcnt vmcnt(0)
	v_mul_f32_e32 v3, 0x3fb8aa3b, v27
	s_mov_b32 s18, 0x3fb8aa3b
	v_rndne_f32_e32 v6, v3
	v_sub_f32_e32 v7, v3, v6
	v_fma_f32 v3, v27, s18, -v3
	v_fmac_f32_e32 v3, 0x32a5705f, v27
	v_add_f32_e32 v3, v7, v3
	v_exp_f32_e32 v3, v3
	v_cvt_i32_f32_e32 v6, v6
	s_mov_b32 s18, 0xc2ce8ed0
	v_cmp_ngt_f32_e64 s[18:19], s18, v27
	v_mov_b32_e32 v7, 0x7fc0
	v_ldexp_f32 v3, v3, v6
	v_cndmask_b32_e64 v3, 0, v3, s[18:19]
	s_mov_b32 s18, 0x42b17218
	v_mov_b32_e32 v6, 0x7f800000
	v_cmp_nlt_f32_e64 s[18:19], s18, v27
	v_cndmask_b32_e64 v3, v6, v3, s[18:19]
	v_fma_f32 v3, -v2, v3, v24
	v_bfe_u32 v6, v3, 16, 1
	s_movk_i32 s18, 0x7fff
	v_add3_u32 v6, v3, v6, s18
	v_lshrrev_b32_e32 v6, 16, v6
	v_cmp_o_f32_e64 s[18:19], v3, v3
	v_cndmask_b32_e64 v3, v7, v6, s[18:19]
	global_store_short v[0:1], v3, off offset:320
	s_or_b64 exec, exec, s[20:21]
	s_and_saveexec_b64 s[18:19], s[16:17]
	s_cbranch_execz .LBB343_40
.LBB343_57:
	s_waitcnt vmcnt(0)
	v_mul_f32_e32 v3, 0x3fb8aa3b, v26
	s_mov_b32 s16, 0x3fb8aa3b
	v_rndne_f32_e32 v6, v3
	v_sub_f32_e32 v7, v3, v6
	v_fma_f32 v3, v26, s16, -v3
	v_fmac_f32_e32 v3, 0x32a5705f, v26
	v_add_f32_e32 v3, v7, v3
	v_exp_f32_e32 v3, v3
	v_cvt_i32_f32_e32 v6, v6
	s_mov_b32 s16, 0xc2ce8ed0
	v_cmp_ngt_f32_e64 s[16:17], s16, v26
	v_mov_b32_e32 v7, 0x7fc0
	v_ldexp_f32 v3, v3, v6
	v_cndmask_b32_e64 v3, 0, v3, s[16:17]
	s_mov_b32 s16, 0x42b17218
	v_mov_b32_e32 v6, 0x7f800000
	v_cmp_nlt_f32_e64 s[16:17], s16, v26
	v_cndmask_b32_e64 v3, v6, v3, s[16:17]
	v_fma_f32 v3, -v2, v3, v25
	v_bfe_u32 v6, v3, 16, 1
	s_movk_i32 s16, 0x7fff
	v_add3_u32 v6, v3, v6, s16
	v_lshrrev_b32_e32 v6, 16, v6
	v_cmp_o_f32_e64 s[16:17], v3, v3
	v_cndmask_b32_e64 v3, v7, v6, s[16:17]
	global_store_short v[0:1], v3, off offset:384
	s_or_b64 exec, exec, s[18:19]
	s_and_saveexec_b64 s[16:17], s[14:15]
	s_cbranch_execz .LBB343_41
.LBB343_58:
	s_waitcnt vmcnt(0)
	v_mul_f32_e32 v3, 0x3fb8aa3b, v23
	s_mov_b32 s14, 0x3fb8aa3b
	v_rndne_f32_e32 v6, v3
	v_sub_f32_e32 v7, v3, v6
	v_fma_f32 v3, v23, s14, -v3
	v_fmac_f32_e32 v3, 0x32a5705f, v23
	v_add_f32_e32 v3, v7, v3
	v_exp_f32_e32 v3, v3
	v_cvt_i32_f32_e32 v6, v6
	s_mov_b32 s14, 0xc2ce8ed0
	v_cmp_ngt_f32_e64 s[14:15], s14, v23
	v_mov_b32_e32 v7, 0x7fc0
	v_ldexp_f32 v3, v3, v6
	v_cndmask_b32_e64 v3, 0, v3, s[14:15]
	s_mov_b32 s14, 0x42b17218
	v_mov_b32_e32 v6, 0x7f800000
	v_cmp_nlt_f32_e64 s[14:15], s14, v23
	v_cndmask_b32_e64 v3, v6, v3, s[14:15]
	v_fma_f32 v3, -v2, v3, v20
	v_bfe_u32 v6, v3, 16, 1
	s_movk_i32 s14, 0x7fff
	v_add3_u32 v6, v3, v6, s14
	v_lshrrev_b32_e32 v6, 16, v6
	v_cmp_o_f32_e64 s[14:15], v3, v3
	v_cndmask_b32_e64 v3, v7, v6, s[14:15]
	global_store_short v[0:1], v3, off offset:448
	s_or_b64 exec, exec, s[16:17]
	s_and_saveexec_b64 s[14:15], s[12:13]
	s_cbranch_execz .LBB343_42
.LBB343_59:
	s_waitcnt vmcnt(0)
	v_mul_f32_e32 v3, 0x3fb8aa3b, v22
	s_mov_b32 s12, 0x3fb8aa3b
	v_rndne_f32_e32 v6, v3
	v_sub_f32_e32 v7, v3, v6
	v_fma_f32 v3, v22, s12, -v3
	v_fmac_f32_e32 v3, 0x32a5705f, v22
	v_add_f32_e32 v3, v7, v3
	v_exp_f32_e32 v3, v3
	v_cvt_i32_f32_e32 v6, v6
	s_mov_b32 s12, 0xc2ce8ed0
	v_cmp_ngt_f32_e64 s[12:13], s12, v22
	v_mov_b32_e32 v7, 0x7fc0
	v_ldexp_f32 v3, v3, v6
	v_cndmask_b32_e64 v3, 0, v3, s[12:13]
	s_mov_b32 s12, 0x42b17218
	v_mov_b32_e32 v6, 0x7f800000
	v_cmp_nlt_f32_e64 s[12:13], s12, v22
	v_cndmask_b32_e64 v3, v6, v3, s[12:13]
	v_fma_f32 v3, -v2, v3, v21
	v_bfe_u32 v6, v3, 16, 1
	s_movk_i32 s12, 0x7fff
	v_add3_u32 v6, v3, v6, s12
	v_lshrrev_b32_e32 v6, 16, v6
	v_cmp_o_f32_e64 s[12:13], v3, v3
	v_cndmask_b32_e64 v3, v7, v6, s[12:13]
	global_store_short v[0:1], v3, off offset:512
	s_or_b64 exec, exec, s[14:15]
	s_and_saveexec_b64 s[12:13], s[10:11]
	s_cbranch_execz .LBB343_43
.LBB343_60:
	s_waitcnt vmcnt(0)
	v_mul_f32_e32 v3, 0x3fb8aa3b, v19
	s_mov_b32 s10, 0x3fb8aa3b
	v_rndne_f32_e32 v6, v3
	v_sub_f32_e32 v7, v3, v6
	v_fma_f32 v3, v19, s10, -v3
	v_fmac_f32_e32 v3, 0x32a5705f, v19
	v_add_f32_e32 v3, v7, v3
	v_exp_f32_e32 v3, v3
	v_cvt_i32_f32_e32 v6, v6
	s_mov_b32 s10, 0xc2ce8ed0
	v_cmp_ngt_f32_e64 s[10:11], s10, v19
	v_mov_b32_e32 v7, 0x7fc0
	v_ldexp_f32 v3, v3, v6
	v_cndmask_b32_e64 v3, 0, v3, s[10:11]
	s_mov_b32 s10, 0x42b17218
	v_mov_b32_e32 v6, 0x7f800000
	v_cmp_nlt_f32_e64 s[10:11], s10, v19
	v_cndmask_b32_e64 v3, v6, v3, s[10:11]
	v_fma_f32 v3, -v2, v3, v16
	v_bfe_u32 v6, v3, 16, 1
	s_movk_i32 s10, 0x7fff
	v_add3_u32 v6, v3, v6, s10
	v_lshrrev_b32_e32 v6, 16, v6
	v_cmp_o_f32_e64 s[10:11], v3, v3
	v_cndmask_b32_e64 v3, v7, v6, s[10:11]
	global_store_short v[0:1], v3, off offset:576
	s_or_b64 exec, exec, s[12:13]
	s_and_saveexec_b64 s[10:11], s[8:9]
	s_cbranch_execz .LBB343_44
.LBB343_61:
	s_waitcnt vmcnt(0)
	v_mul_f32_e32 v3, 0x3fb8aa3b, v18
	s_mov_b32 s8, 0x3fb8aa3b
	v_rndne_f32_e32 v6, v3
	v_sub_f32_e32 v7, v3, v6
	v_fma_f32 v3, v18, s8, -v3
	v_fmac_f32_e32 v3, 0x32a5705f, v18
	v_add_f32_e32 v3, v7, v3
	v_exp_f32_e32 v3, v3
	v_cvt_i32_f32_e32 v6, v6
	s_mov_b32 s8, 0xc2ce8ed0
	v_cmp_ngt_f32_e64 s[8:9], s8, v18
	v_mov_b32_e32 v7, 0x7fc0
	v_ldexp_f32 v3, v3, v6
	v_cndmask_b32_e64 v3, 0, v3, s[8:9]
	s_mov_b32 s8, 0x42b17218
	v_mov_b32_e32 v6, 0x7f800000
	v_cmp_nlt_f32_e64 s[8:9], s8, v18
	v_cndmask_b32_e64 v3, v6, v3, s[8:9]
	v_fma_f32 v3, -v2, v3, v17
	v_bfe_u32 v6, v3, 16, 1
	s_movk_i32 s8, 0x7fff
	v_add3_u32 v6, v3, v6, s8
	v_lshrrev_b32_e32 v6, 16, v6
	v_cmp_o_f32_e64 s[8:9], v3, v3
	v_cndmask_b32_e64 v3, v7, v6, s[8:9]
	global_store_short v[0:1], v3, off offset:640
	s_or_b64 exec, exec, s[10:11]
	s_and_saveexec_b64 s[8:9], s[6:7]
	s_cbranch_execz .LBB343_45
.LBB343_62:
	s_waitcnt vmcnt(0)
	v_mul_f32_e32 v3, 0x3fb8aa3b, v15
	s_mov_b32 s6, 0x3fb8aa3b
	v_rndne_f32_e32 v6, v3
	v_sub_f32_e32 v7, v3, v6
	v_fma_f32 v3, v15, s6, -v3
	v_fmac_f32_e32 v3, 0x32a5705f, v15
	v_add_f32_e32 v3, v7, v3
	v_exp_f32_e32 v3, v3
	v_cvt_i32_f32_e32 v6, v6
	s_mov_b32 s6, 0xc2ce8ed0
	v_cmp_ngt_f32_e64 s[6:7], s6, v15
	v_mov_b32_e32 v7, 0x7fc0
	v_ldexp_f32 v3, v3, v6
	v_cndmask_b32_e64 v3, 0, v3, s[6:7]
	s_mov_b32 s6, 0x42b17218
	v_mov_b32_e32 v6, 0x7f800000
	v_cmp_nlt_f32_e64 s[6:7], s6, v15
	v_cndmask_b32_e64 v3, v6, v3, s[6:7]
	v_fma_f32 v3, -v2, v3, v12
	v_bfe_u32 v6, v3, 16, 1
	s_movk_i32 s6, 0x7fff
	v_add3_u32 v6, v3, v6, s6
	v_lshrrev_b32_e32 v6, 16, v6
	v_cmp_o_f32_e64 s[6:7], v3, v3
	v_cndmask_b32_e64 v3, v7, v6, s[6:7]
	global_store_short v[0:1], v3, off offset:704
	s_or_b64 exec, exec, s[8:9]
	s_and_saveexec_b64 s[6:7], s[4:5]
	s_cbranch_execz .LBB343_46
.LBB343_63:
	s_waitcnt vmcnt(0)
	v_mul_f32_e32 v3, 0x3fb8aa3b, v14
	s_mov_b32 s4, 0x3fb8aa3b
	v_rndne_f32_e32 v6, v3
	v_sub_f32_e32 v7, v3, v6
	v_fma_f32 v3, v14, s4, -v3
	v_fmac_f32_e32 v3, 0x32a5705f, v14
	v_add_f32_e32 v3, v7, v3
	v_exp_f32_e32 v3, v3
	v_cvt_i32_f32_e32 v6, v6
	s_mov_b32 s4, 0xc2ce8ed0
	v_cmp_ngt_f32_e64 s[4:5], s4, v14
	v_mov_b32_e32 v7, 0x7fc0
	v_ldexp_f32 v3, v3, v6
	v_cndmask_b32_e64 v3, 0, v3, s[4:5]
	s_mov_b32 s4, 0x42b17218
	v_mov_b32_e32 v6, 0x7f800000
	v_cmp_nlt_f32_e64 s[4:5], s4, v14
	v_cndmask_b32_e64 v3, v6, v3, s[4:5]
	v_fma_f32 v3, -v2, v3, v13
	v_bfe_u32 v6, v3, 16, 1
	s_movk_i32 s4, 0x7fff
	v_add3_u32 v6, v3, v6, s4
	v_lshrrev_b32_e32 v6, 16, v6
	v_cmp_o_f32_e64 s[4:5], v3, v3
	v_cndmask_b32_e64 v3, v7, v6, s[4:5]
	global_store_short v[0:1], v3, off offset:768
	s_or_b64 exec, exec, s[6:7]
	s_and_saveexec_b64 s[4:5], s[2:3]
	s_cbranch_execz .LBB343_47
.LBB343_64:
	s_waitcnt vmcnt(0)
	v_mul_f32_e32 v3, 0x3fb8aa3b, v11
	s_mov_b32 s2, 0x3fb8aa3b
	v_rndne_f32_e32 v6, v3
	v_sub_f32_e32 v7, v3, v6
	v_fma_f32 v3, v11, s2, -v3
	v_fmac_f32_e32 v3, 0x32a5705f, v11
	v_add_f32_e32 v3, v7, v3
	v_exp_f32_e32 v3, v3
	v_cvt_i32_f32_e32 v6, v6
	s_mov_b32 s2, 0xc2ce8ed0
	v_cmp_ngt_f32_e64 s[2:3], s2, v11
	v_mov_b32_e32 v7, 0x7fc0
	v_ldexp_f32 v3, v3, v6
	v_cndmask_b32_e64 v3, 0, v3, s[2:3]
	s_mov_b32 s2, 0x42b17218
	v_mov_b32_e32 v6, 0x7f800000
	v_cmp_nlt_f32_e64 s[2:3], s2, v11
	v_cndmask_b32_e64 v3, v6, v3, s[2:3]
	v_fma_f32 v3, -v2, v3, v8
	v_bfe_u32 v6, v3, 16, 1
	s_movk_i32 s2, 0x7fff
	v_add3_u32 v6, v3, v6, s2
	v_lshrrev_b32_e32 v6, 16, v6
	v_cmp_o_f32_e64 s[2:3], v3, v3
	v_cndmask_b32_e64 v3, v7, v6, s[2:3]
	global_store_short v[0:1], v3, off offset:832
	s_or_b64 exec, exec, s[4:5]
	s_and_saveexec_b64 s[2:3], s[0:1]
	s_cbranch_execz .LBB343_48
.LBB343_65:
	s_waitcnt vmcnt(0)
	v_mul_f32_e32 v3, 0x3fb8aa3b, v10
	s_mov_b32 s0, 0x3fb8aa3b
	v_rndne_f32_e32 v6, v3
	v_sub_f32_e32 v7, v3, v6
	v_fma_f32 v3, v10, s0, -v3
	v_fmac_f32_e32 v3, 0x32a5705f, v10
	v_add_f32_e32 v3, v7, v3
	v_exp_f32_e32 v3, v3
	v_cvt_i32_f32_e32 v6, v6
	s_mov_b32 s0, 0xc2ce8ed0
	v_cmp_ngt_f32_e64 s[0:1], s0, v10
	v_mov_b32_e32 v7, 0x7fc0
	v_ldexp_f32 v3, v3, v6
	v_cndmask_b32_e64 v3, 0, v3, s[0:1]
	s_mov_b32 s0, 0x42b17218
	v_mov_b32_e32 v6, 0x7f800000
	v_cmp_nlt_f32_e64 s[0:1], s0, v10
	v_cndmask_b32_e64 v3, v6, v3, s[0:1]
	v_fma_f32 v3, -v2, v3, v9
	v_bfe_u32 v6, v3, 16, 1
	s_movk_i32 s0, 0x7fff
	v_add3_u32 v6, v3, v6, s0
	v_lshrrev_b32_e32 v6, 16, v6
	v_cmp_o_f32_e64 s[0:1], v3, v3
	v_cndmask_b32_e64 v3, v7, v6, s[0:1]
	global_store_short v[0:1], v3, off offset:896
	s_or_b64 exec, exec, s[2:3]
	s_and_b64 exec, exec, vcc
	s_cbranch_execnz .LBB343_49
	s_branch .LBB343_50
	.section	.rodata,"a",@progbits
	.p2align	6, 0x0
	.amdhsa_kernel _ZN12_GLOBAL__N_121softmax_warp_backwardIfN3c108BFloat16EfLi9ELb1ELb0ELi32EEEvPT0_PKT_S7_iiiPKb
		.amdhsa_group_segment_fixed_size 0
		.amdhsa_private_segment_fixed_size 0
		.amdhsa_kernarg_size 304
		.amdhsa_user_sgpr_count 6
		.amdhsa_user_sgpr_private_segment_buffer 1
		.amdhsa_user_sgpr_dispatch_ptr 0
		.amdhsa_user_sgpr_queue_ptr 0
		.amdhsa_user_sgpr_kernarg_segment_ptr 1
		.amdhsa_user_sgpr_dispatch_id 0
		.amdhsa_user_sgpr_flat_scratch_init 0
		.amdhsa_user_sgpr_kernarg_preload_length 0
		.amdhsa_user_sgpr_kernarg_preload_offset 0
		.amdhsa_user_sgpr_private_segment_size 0
		.amdhsa_uses_dynamic_stack 0
		.amdhsa_system_sgpr_private_segment_wavefront_offset 0
		.amdhsa_system_sgpr_workgroup_id_x 1
		.amdhsa_system_sgpr_workgroup_id_y 0
		.amdhsa_system_sgpr_workgroup_id_z 0
		.amdhsa_system_sgpr_workgroup_info 0
		.amdhsa_system_vgpr_workitem_id 1
		.amdhsa_next_free_vgpr 39
		.amdhsa_next_free_sgpr 44
		.amdhsa_accum_offset 40
		.amdhsa_reserve_vcc 1
		.amdhsa_reserve_flat_scratch 0
		.amdhsa_float_round_mode_32 0
		.amdhsa_float_round_mode_16_64 0
		.amdhsa_float_denorm_mode_32 3
		.amdhsa_float_denorm_mode_16_64 3
		.amdhsa_dx10_clamp 1
		.amdhsa_ieee_mode 1
		.amdhsa_fp16_overflow 0
		.amdhsa_tg_split 0
		.amdhsa_exception_fp_ieee_invalid_op 0
		.amdhsa_exception_fp_denorm_src 0
		.amdhsa_exception_fp_ieee_div_zero 0
		.amdhsa_exception_fp_ieee_overflow 0
		.amdhsa_exception_fp_ieee_underflow 0
		.amdhsa_exception_fp_ieee_inexact 0
		.amdhsa_exception_int_div_zero 0
	.end_amdhsa_kernel
	.section	.text._ZN12_GLOBAL__N_121softmax_warp_backwardIfN3c108BFloat16EfLi9ELb1ELb0ELi32EEEvPT0_PKT_S7_iiiPKb,"axG",@progbits,_ZN12_GLOBAL__N_121softmax_warp_backwardIfN3c108BFloat16EfLi9ELb1ELb0ELi32EEEvPT0_PKT_S7_iiiPKb,comdat
.Lfunc_end343:
	.size	_ZN12_GLOBAL__N_121softmax_warp_backwardIfN3c108BFloat16EfLi9ELb1ELb0ELi32EEEvPT0_PKT_S7_iiiPKb, .Lfunc_end343-_ZN12_GLOBAL__N_121softmax_warp_backwardIfN3c108BFloat16EfLi9ELb1ELb0ELi32EEEvPT0_PKT_S7_iiiPKb
                                        ; -- End function
	.section	.AMDGPU.csdata,"",@progbits
; Kernel info:
; codeLenInByte = 4628
; NumSgprs: 48
; NumVgprs: 39
; NumAgprs: 0
; TotalNumVgprs: 39
; ScratchSize: 0
; MemoryBound: 0
; FloatMode: 240
; IeeeMode: 1
; LDSByteSize: 0 bytes/workgroup (compile time only)
; SGPRBlocks: 5
; VGPRBlocks: 4
; NumSGPRsForWavesPerEU: 48
; NumVGPRsForWavesPerEU: 39
; AccumOffset: 40
; Occupancy: 8
; WaveLimiterHint : 0
; COMPUTE_PGM_RSRC2:SCRATCH_EN: 0
; COMPUTE_PGM_RSRC2:USER_SGPR: 6
; COMPUTE_PGM_RSRC2:TRAP_HANDLER: 0
; COMPUTE_PGM_RSRC2:TGID_X_EN: 1
; COMPUTE_PGM_RSRC2:TGID_Y_EN: 0
; COMPUTE_PGM_RSRC2:TGID_Z_EN: 0
; COMPUTE_PGM_RSRC2:TIDIG_COMP_CNT: 1
; COMPUTE_PGM_RSRC3_GFX90A:ACCUM_OFFSET: 9
; COMPUTE_PGM_RSRC3_GFX90A:TG_SPLIT: 0
	.section	.text._ZN12_GLOBAL__N_121softmax_warp_backwardIfN3c108BFloat16EfLi10ELb1ELb0ELi64EEEvPT0_PKT_S7_iiiPKb,"axG",@progbits,_ZN12_GLOBAL__N_121softmax_warp_backwardIfN3c108BFloat16EfLi10ELb1ELb0ELi64EEEvPT0_PKT_S7_iiiPKb,comdat
	.globl	_ZN12_GLOBAL__N_121softmax_warp_backwardIfN3c108BFloat16EfLi10ELb1ELb0ELi64EEEvPT0_PKT_S7_iiiPKb ; -- Begin function _ZN12_GLOBAL__N_121softmax_warp_backwardIfN3c108BFloat16EfLi10ELb1ELb0ELi64EEEvPT0_PKT_S7_iiiPKb
	.p2align	8
	.type	_ZN12_GLOBAL__N_121softmax_warp_backwardIfN3c108BFloat16EfLi10ELb1ELb0ELi64EEEvPT0_PKT_S7_iiiPKb,@function
_ZN12_GLOBAL__N_121softmax_warp_backwardIfN3c108BFloat16EfLi10ELb1ELb0ELi64EEEvPT0_PKT_S7_iiiPKb: ; @_ZN12_GLOBAL__N_121softmax_warp_backwardIfN3c108BFloat16EfLi10ELb1ELb0ELi64EEEvPT0_PKT_S7_iiiPKb
; %bb.0:
	s_load_dword s2, s[4:5], 0x3c
	s_load_dwordx4 s[40:43], s[4:5], 0x18
	s_load_dwordx4 s[36:39], s[4:5], 0x0
	s_load_dwordx2 s[0:1], s[4:5], 0x10
	v_bfe_u32 v1, v0, 10, 10
	s_waitcnt lgkmcnt(0)
	s_lshr_b32 s2, s2, 16
	s_mul_i32 s6, s6, s2
	v_and_b32_e32 v7, 0x3ff, v0
	v_add_u32_e32 v1, s6, v1
	v_and_b32_e32 v6, 63, v7
	v_sub_u32_e32 v38, s40, v1
	v_mad_u64_u32 v[0:1], s[2:3], v1, s41, v[6:7]
	v_ashrrev_i32_e32 v1, 31, v0
	v_lshlrev_b64 v[4:5], 2, v[0:1]
	v_mov_b32_e32 v3, s39
	v_add_co_u32_e32 v2, vcc, s38, v4
	v_addc_co_u32_e32 v3, vcc, v3, v5, vcc
	v_mov_b32_e32 v8, s1
	v_add_co_u32_e32 v4, vcc, s0, v4
	v_cmp_lt_i32_e64 s[30:31], 0, v38
	v_cmp_gt_i32_e64 s[28:29], s42, v6
	v_addc_co_u32_e32 v5, vcc, v8, v5, vcc
	s_and_b64 s[2:3], s[30:31], s[28:29]
	v_mov_b32_e32 v32, 0
	v_mov_b32_e32 v36, 0
	;; [unrolled: 1-line block ×3, first 2 shown]
	s_and_saveexec_b64 s[0:1], s[2:3]
	s_cbranch_execz .LBB344_2
; %bb.1:
	global_load_dword v36, v[2:3], off
	global_load_dword v37, v[4:5], off
.LBB344_2:
	s_or_b64 exec, exec, s[0:1]
	v_or_b32_e32 v8, 64, v6
	v_cmp_gt_i32_e64 s[26:27], s42, v8
	s_and_b64 s[2:3], s[30:31], s[26:27]
	v_mov_b32_e32 v35, 0
	s_and_saveexec_b64 s[0:1], s[2:3]
	s_cbranch_execz .LBB344_4
; %bb.3:
	global_load_dword v32, v[2:3], off offset:256
	global_load_dword v35, v[4:5], off offset:256
.LBB344_4:
	s_or_b64 exec, exec, s[0:1]
	v_or_b32_e32 v8, 0x80, v6
	v_cmp_gt_i32_e64 s[24:25], s42, v8
	s_and_b64 s[2:3], s[30:31], s[24:25]
	v_mov_b32_e32 v28, 0
	v_mov_b32_e32 v33, 0
	v_mov_b32_e32 v34, 0
	s_and_saveexec_b64 s[0:1], s[2:3]
	s_cbranch_execz .LBB344_6
; %bb.5:
	global_load_dword v33, v[2:3], off offset:512
	global_load_dword v34, v[4:5], off offset:512
.LBB344_6:
	s_or_b64 exec, exec, s[0:1]
	v_or_b32_e32 v8, 0xc0, v6
	v_cmp_gt_i32_e64 s[22:23], s42, v8
	s_and_b64 s[2:3], s[30:31], s[22:23]
	v_mov_b32_e32 v31, 0
	s_and_saveexec_b64 s[0:1], s[2:3]
	s_cbranch_execz .LBB344_8
; %bb.7:
	global_load_dword v28, v[2:3], off offset:768
	global_load_dword v31, v[4:5], off offset:768
.LBB344_8:
	s_or_b64 exec, exec, s[0:1]
	v_or_b32_e32 v8, 0x100, v6
	v_cmp_gt_i32_e64 s[20:21], s42, v8
	s_and_b64 s[2:3], s[30:31], s[20:21]
	v_mov_b32_e32 v24, 0
	v_mov_b32_e32 v29, 0
	v_mov_b32_e32 v30, 0
	s_and_saveexec_b64 s[0:1], s[2:3]
	s_cbranch_execz .LBB344_10
; %bb.9:
	global_load_dword v29, v[2:3], off offset:1024
	global_load_dword v30, v[4:5], off offset:1024
.LBB344_10:
	;; [unrolled: 24-line block ×7, first 2 shown]
	s_or_b64 exec, exec, s[34:35]
	v_or_b32_e32 v7, 0x3c0, v7
	v_cmp_gt_i32_e32 vcc, s42, v7
	s_and_b64 s[34:35], s[30:31], vcc
	v_mov_b32_e32 v7, 0
	s_and_saveexec_b64 s[30:31], s[34:35]
	s_cbranch_execz .LBB344_32
; %bb.31:
	global_load_dword v6, v[2:3], off offset:3840
	global_load_dword v7, v[4:5], off offset:3840
.LBB344_32:
	s_or_b64 exec, exec, s[30:31]
	s_waitcnt vmcnt(1)
	v_add_f32_e32 v2, 0, v36
	v_add_f32_e32 v2, v2, v32
	;; [unrolled: 1-line block ×10, first 2 shown]
	v_mbcnt_lo_u32_b32 v3, -1, 0
	v_add_f32_e32 v2, v2, v17
	v_mbcnt_hi_u32_b32 v3, -1, v3
	v_add_f32_e32 v2, v2, v12
	v_and_b32_e32 v4, 64, v3
	v_add_f32_e32 v2, v2, v13
	v_add_u32_e32 v4, 64, v4
	v_xor_b32_e32 v5, 32, v3
	v_add_f32_e32 v2, v2, v8
	v_cmp_lt_i32_e64 s[30:31], v5, v4
	v_add_f32_e32 v2, v2, v9
	v_cndmask_b32_e64 v5, v3, v5, s[30:31]
	v_add_f32_e32 v2, v2, v6
	v_lshlrev_b32_e32 v5, 2, v5
	ds_bpermute_b32 v5, v5, v2
	s_waitcnt lgkmcnt(0)
	v_add_f32_e32 v2, v2, v5
	v_xor_b32_e32 v5, 16, v3
	v_cmp_lt_i32_e64 s[30:31], v5, v4
	v_cndmask_b32_e64 v5, v3, v5, s[30:31]
	v_lshlrev_b32_e32 v5, 2, v5
	ds_bpermute_b32 v5, v5, v2
	s_waitcnt lgkmcnt(0)
	v_add_f32_e32 v2, v2, v5
	v_xor_b32_e32 v5, 8, v3
	v_cmp_lt_i32_e64 s[30:31], v5, v4
	v_cndmask_b32_e64 v5, v3, v5, s[30:31]
	;; [unrolled: 7-line block ×5, first 2 shown]
	v_lshlrev_b32_e32 v3, 2, v3
	ds_bpermute_b32 v3, v3, v2
	v_cmp_lt_i32_e64 s[30:31], 0, v38
	s_and_saveexec_b64 s[34:35], s[30:31]
	s_cbranch_execz .LBB344_50
; %bb.33:
	v_lshlrev_b64 v[0:1], 1, v[0:1]
	v_mov_b32_e32 v4, s37
	v_add_co_u32_e64 v0, s[30:31], s36, v0
	v_addc_co_u32_e64 v1, s[30:31], v4, v1, s[30:31]
	s_waitcnt lgkmcnt(0)
	v_add_f32_e32 v2, v2, v3
	s_and_saveexec_b64 s[30:31], s[28:29]
	s_cbranch_execnz .LBB344_51
; %bb.34:
	s_or_b64 exec, exec, s[30:31]
	s_and_saveexec_b64 s[28:29], s[26:27]
	s_cbranch_execnz .LBB344_52
.LBB344_35:
	s_or_b64 exec, exec, s[28:29]
	s_and_saveexec_b64 s[26:27], s[24:25]
	s_cbranch_execnz .LBB344_53
.LBB344_36:
	s_or_b64 exec, exec, s[26:27]
	s_and_saveexec_b64 s[24:25], s[22:23]
	s_cbranch_execnz .LBB344_54
.LBB344_37:
	s_or_b64 exec, exec, s[24:25]
	s_and_saveexec_b64 s[22:23], s[20:21]
	s_cbranch_execnz .LBB344_55
.LBB344_38:
	s_or_b64 exec, exec, s[22:23]
	s_and_saveexec_b64 s[20:21], s[18:19]
	s_cbranch_execnz .LBB344_56
.LBB344_39:
	s_or_b64 exec, exec, s[20:21]
	s_and_saveexec_b64 s[18:19], s[16:17]
	s_cbranch_execnz .LBB344_57
.LBB344_40:
	s_or_b64 exec, exec, s[18:19]
	s_and_saveexec_b64 s[16:17], s[14:15]
	s_cbranch_execnz .LBB344_58
.LBB344_41:
	s_or_b64 exec, exec, s[16:17]
	s_and_saveexec_b64 s[14:15], s[12:13]
	s_cbranch_execnz .LBB344_59
.LBB344_42:
	s_or_b64 exec, exec, s[14:15]
	s_and_saveexec_b64 s[12:13], s[10:11]
	s_cbranch_execnz .LBB344_60
.LBB344_43:
	s_or_b64 exec, exec, s[12:13]
	s_and_saveexec_b64 s[10:11], s[8:9]
	s_cbranch_execnz .LBB344_61
.LBB344_44:
	s_or_b64 exec, exec, s[10:11]
	s_and_saveexec_b64 s[8:9], s[6:7]
	s_cbranch_execnz .LBB344_62
.LBB344_45:
	s_or_b64 exec, exec, s[8:9]
	s_and_saveexec_b64 s[6:7], s[4:5]
	s_cbranch_execnz .LBB344_63
.LBB344_46:
	s_or_b64 exec, exec, s[6:7]
	s_and_saveexec_b64 s[4:5], s[2:3]
	s_cbranch_execnz .LBB344_64
.LBB344_47:
	s_or_b64 exec, exec, s[4:5]
	s_and_saveexec_b64 s[2:3], s[0:1]
	s_cbranch_execnz .LBB344_65
.LBB344_48:
	s_or_b64 exec, exec, s[2:3]
	s_and_b64 exec, exec, vcc
	s_cbranch_execz .LBB344_50
.LBB344_49:
	s_waitcnt vmcnt(0)
	v_mul_f32_e32 v3, 0x3fb8aa3b, v7
	s_mov_b32 s0, 0x3fb8aa3b
	v_rndne_f32_e32 v4, v3
	v_sub_f32_e32 v5, v3, v4
	v_fma_f32 v3, v7, s0, -v3
	v_fmac_f32_e32 v3, 0x32a5705f, v7
	v_add_f32_e32 v3, v5, v3
	v_exp_f32_e32 v3, v3
	v_cvt_i32_f32_e32 v4, v4
	s_mov_b32 s0, 0xc2ce8ed0
	v_cmp_ngt_f32_e32 vcc, s0, v7
	s_mov_b32 s0, 0x42b17218
	v_ldexp_f32 v3, v3, v4
	v_cndmask_b32_e32 v3, 0, v3, vcc
	v_mov_b32_e32 v4, 0x7f800000
	v_cmp_nlt_f32_e32 vcc, s0, v7
	v_cndmask_b32_e32 v3, v4, v3, vcc
	v_fma_f32 v2, -v2, v3, v6
	v_bfe_u32 v3, v2, 16, 1
	s_movk_i32 s0, 0x7fff
	v_add3_u32 v3, v2, v3, s0
	v_lshrrev_b32_e32 v3, 16, v3
	v_mov_b32_e32 v4, 0x7fc0
	v_cmp_o_f32_e32 vcc, v2, v2
	v_cndmask_b32_e32 v2, v4, v3, vcc
	global_store_short v[0:1], v2, off offset:1920
.LBB344_50:
	s_endpgm
.LBB344_51:
	s_waitcnt vmcnt(0)
	v_mul_f32_e32 v3, 0x3fb8aa3b, v37
	s_mov_b32 s28, 0x3fb8aa3b
	v_rndne_f32_e32 v4, v3
	v_sub_f32_e32 v5, v3, v4
	v_fma_f32 v3, v37, s28, -v3
	v_fmac_f32_e32 v3, 0x32a5705f, v37
	v_add_f32_e32 v3, v5, v3
	v_exp_f32_e32 v3, v3
	v_cvt_i32_f32_e32 v4, v4
	s_mov_b32 s28, 0xc2ce8ed0
	v_cmp_ngt_f32_e64 s[28:29], s28, v37
	v_mov_b32_e32 v5, 0x7fc0
	v_ldexp_f32 v3, v3, v4
	v_cndmask_b32_e64 v3, 0, v3, s[28:29]
	s_mov_b32 s28, 0x42b17218
	v_mov_b32_e32 v4, 0x7f800000
	v_cmp_nlt_f32_e64 s[28:29], s28, v37
	v_cndmask_b32_e64 v3, v4, v3, s[28:29]
	v_fma_f32 v3, -v2, v3, v36
	v_bfe_u32 v4, v3, 16, 1
	s_movk_i32 s28, 0x7fff
	v_add3_u32 v4, v3, v4, s28
	v_lshrrev_b32_e32 v4, 16, v4
	v_cmp_o_f32_e64 s[28:29], v3, v3
	v_cndmask_b32_e64 v3, v5, v4, s[28:29]
	global_store_short v[0:1], v3, off
	s_or_b64 exec, exec, s[30:31]
	s_and_saveexec_b64 s[28:29], s[26:27]
	s_cbranch_execz .LBB344_35
.LBB344_52:
	s_waitcnt vmcnt(0)
	v_mul_f32_e32 v3, 0x3fb8aa3b, v35
	s_mov_b32 s26, 0x3fb8aa3b
	v_rndne_f32_e32 v4, v3
	v_sub_f32_e32 v5, v3, v4
	v_fma_f32 v3, v35, s26, -v3
	v_fmac_f32_e32 v3, 0x32a5705f, v35
	v_add_f32_e32 v3, v5, v3
	v_exp_f32_e32 v3, v3
	v_cvt_i32_f32_e32 v4, v4
	s_mov_b32 s26, 0xc2ce8ed0
	v_cmp_ngt_f32_e64 s[26:27], s26, v35
	v_mov_b32_e32 v5, 0x7fc0
	v_ldexp_f32 v3, v3, v4
	v_cndmask_b32_e64 v3, 0, v3, s[26:27]
	s_mov_b32 s26, 0x42b17218
	v_mov_b32_e32 v4, 0x7f800000
	v_cmp_nlt_f32_e64 s[26:27], s26, v35
	v_cndmask_b32_e64 v3, v4, v3, s[26:27]
	v_fma_f32 v3, -v2, v3, v32
	v_bfe_u32 v4, v3, 16, 1
	s_movk_i32 s26, 0x7fff
	v_add3_u32 v4, v3, v4, s26
	v_lshrrev_b32_e32 v4, 16, v4
	v_cmp_o_f32_e64 s[26:27], v3, v3
	v_cndmask_b32_e64 v3, v5, v4, s[26:27]
	global_store_short v[0:1], v3, off offset:128
	s_or_b64 exec, exec, s[28:29]
	s_and_saveexec_b64 s[26:27], s[24:25]
	s_cbranch_execz .LBB344_36
.LBB344_53:
	s_waitcnt vmcnt(0)
	v_mul_f32_e32 v3, 0x3fb8aa3b, v34
	s_mov_b32 s24, 0x3fb8aa3b
	v_rndne_f32_e32 v4, v3
	v_sub_f32_e32 v5, v3, v4
	v_fma_f32 v3, v34, s24, -v3
	v_fmac_f32_e32 v3, 0x32a5705f, v34
	v_add_f32_e32 v3, v5, v3
	v_exp_f32_e32 v3, v3
	v_cvt_i32_f32_e32 v4, v4
	s_mov_b32 s24, 0xc2ce8ed0
	v_cmp_ngt_f32_e64 s[24:25], s24, v34
	v_mov_b32_e32 v5, 0x7fc0
	v_ldexp_f32 v3, v3, v4
	v_cndmask_b32_e64 v3, 0, v3, s[24:25]
	s_mov_b32 s24, 0x42b17218
	v_mov_b32_e32 v4, 0x7f800000
	v_cmp_nlt_f32_e64 s[24:25], s24, v34
	v_cndmask_b32_e64 v3, v4, v3, s[24:25]
	v_fma_f32 v3, -v2, v3, v33
	v_bfe_u32 v4, v3, 16, 1
	s_movk_i32 s24, 0x7fff
	v_add3_u32 v4, v3, v4, s24
	v_lshrrev_b32_e32 v4, 16, v4
	v_cmp_o_f32_e64 s[24:25], v3, v3
	v_cndmask_b32_e64 v3, v5, v4, s[24:25]
	global_store_short v[0:1], v3, off offset:256
	s_or_b64 exec, exec, s[26:27]
	s_and_saveexec_b64 s[24:25], s[22:23]
	s_cbranch_execz .LBB344_37
.LBB344_54:
	s_waitcnt vmcnt(0)
	v_mul_f32_e32 v3, 0x3fb8aa3b, v31
	s_mov_b32 s22, 0x3fb8aa3b
	v_rndne_f32_e32 v4, v3
	v_sub_f32_e32 v5, v3, v4
	v_fma_f32 v3, v31, s22, -v3
	v_fmac_f32_e32 v3, 0x32a5705f, v31
	v_add_f32_e32 v3, v5, v3
	v_exp_f32_e32 v3, v3
	v_cvt_i32_f32_e32 v4, v4
	s_mov_b32 s22, 0xc2ce8ed0
	v_cmp_ngt_f32_e64 s[22:23], s22, v31
	v_mov_b32_e32 v5, 0x7fc0
	v_ldexp_f32 v3, v3, v4
	v_cndmask_b32_e64 v3, 0, v3, s[22:23]
	s_mov_b32 s22, 0x42b17218
	v_mov_b32_e32 v4, 0x7f800000
	v_cmp_nlt_f32_e64 s[22:23], s22, v31
	v_cndmask_b32_e64 v3, v4, v3, s[22:23]
	v_fma_f32 v3, -v2, v3, v28
	v_bfe_u32 v4, v3, 16, 1
	s_movk_i32 s22, 0x7fff
	v_add3_u32 v4, v3, v4, s22
	v_lshrrev_b32_e32 v4, 16, v4
	v_cmp_o_f32_e64 s[22:23], v3, v3
	v_cndmask_b32_e64 v3, v5, v4, s[22:23]
	global_store_short v[0:1], v3, off offset:384
	s_or_b64 exec, exec, s[24:25]
	s_and_saveexec_b64 s[22:23], s[20:21]
	s_cbranch_execz .LBB344_38
.LBB344_55:
	s_waitcnt vmcnt(0)
	v_mul_f32_e32 v3, 0x3fb8aa3b, v30
	s_mov_b32 s20, 0x3fb8aa3b
	v_rndne_f32_e32 v4, v3
	v_sub_f32_e32 v5, v3, v4
	v_fma_f32 v3, v30, s20, -v3
	v_fmac_f32_e32 v3, 0x32a5705f, v30
	v_add_f32_e32 v3, v5, v3
	v_exp_f32_e32 v3, v3
	v_cvt_i32_f32_e32 v4, v4
	s_mov_b32 s20, 0xc2ce8ed0
	v_cmp_ngt_f32_e64 s[20:21], s20, v30
	v_mov_b32_e32 v5, 0x7fc0
	v_ldexp_f32 v3, v3, v4
	v_cndmask_b32_e64 v3, 0, v3, s[20:21]
	s_mov_b32 s20, 0x42b17218
	v_mov_b32_e32 v4, 0x7f800000
	v_cmp_nlt_f32_e64 s[20:21], s20, v30
	v_cndmask_b32_e64 v3, v4, v3, s[20:21]
	v_fma_f32 v3, -v2, v3, v29
	v_bfe_u32 v4, v3, 16, 1
	s_movk_i32 s20, 0x7fff
	v_add3_u32 v4, v3, v4, s20
	v_lshrrev_b32_e32 v4, 16, v4
	v_cmp_o_f32_e64 s[20:21], v3, v3
	v_cndmask_b32_e64 v3, v5, v4, s[20:21]
	global_store_short v[0:1], v3, off offset:512
	s_or_b64 exec, exec, s[22:23]
	s_and_saveexec_b64 s[20:21], s[18:19]
	s_cbranch_execz .LBB344_39
.LBB344_56:
	s_waitcnt vmcnt(0)
	v_mul_f32_e32 v3, 0x3fb8aa3b, v27
	s_mov_b32 s18, 0x3fb8aa3b
	v_rndne_f32_e32 v4, v3
	v_sub_f32_e32 v5, v3, v4
	v_fma_f32 v3, v27, s18, -v3
	v_fmac_f32_e32 v3, 0x32a5705f, v27
	v_add_f32_e32 v3, v5, v3
	v_exp_f32_e32 v3, v3
	v_cvt_i32_f32_e32 v4, v4
	s_mov_b32 s18, 0xc2ce8ed0
	v_cmp_ngt_f32_e64 s[18:19], s18, v27
	v_mov_b32_e32 v5, 0x7fc0
	v_ldexp_f32 v3, v3, v4
	v_cndmask_b32_e64 v3, 0, v3, s[18:19]
	s_mov_b32 s18, 0x42b17218
	v_mov_b32_e32 v4, 0x7f800000
	v_cmp_nlt_f32_e64 s[18:19], s18, v27
	v_cndmask_b32_e64 v3, v4, v3, s[18:19]
	v_fma_f32 v3, -v2, v3, v24
	v_bfe_u32 v4, v3, 16, 1
	s_movk_i32 s18, 0x7fff
	v_add3_u32 v4, v3, v4, s18
	v_lshrrev_b32_e32 v4, 16, v4
	v_cmp_o_f32_e64 s[18:19], v3, v3
	v_cndmask_b32_e64 v3, v5, v4, s[18:19]
	global_store_short v[0:1], v3, off offset:640
	s_or_b64 exec, exec, s[20:21]
	s_and_saveexec_b64 s[18:19], s[16:17]
	s_cbranch_execz .LBB344_40
.LBB344_57:
	s_waitcnt vmcnt(0)
	v_mul_f32_e32 v3, 0x3fb8aa3b, v26
	s_mov_b32 s16, 0x3fb8aa3b
	v_rndne_f32_e32 v4, v3
	v_sub_f32_e32 v5, v3, v4
	v_fma_f32 v3, v26, s16, -v3
	v_fmac_f32_e32 v3, 0x32a5705f, v26
	v_add_f32_e32 v3, v5, v3
	v_exp_f32_e32 v3, v3
	v_cvt_i32_f32_e32 v4, v4
	s_mov_b32 s16, 0xc2ce8ed0
	v_cmp_ngt_f32_e64 s[16:17], s16, v26
	v_mov_b32_e32 v5, 0x7fc0
	v_ldexp_f32 v3, v3, v4
	v_cndmask_b32_e64 v3, 0, v3, s[16:17]
	s_mov_b32 s16, 0x42b17218
	v_mov_b32_e32 v4, 0x7f800000
	v_cmp_nlt_f32_e64 s[16:17], s16, v26
	v_cndmask_b32_e64 v3, v4, v3, s[16:17]
	v_fma_f32 v3, -v2, v3, v25
	v_bfe_u32 v4, v3, 16, 1
	s_movk_i32 s16, 0x7fff
	v_add3_u32 v4, v3, v4, s16
	v_lshrrev_b32_e32 v4, 16, v4
	v_cmp_o_f32_e64 s[16:17], v3, v3
	v_cndmask_b32_e64 v3, v5, v4, s[16:17]
	global_store_short v[0:1], v3, off offset:768
	s_or_b64 exec, exec, s[18:19]
	s_and_saveexec_b64 s[16:17], s[14:15]
	s_cbranch_execz .LBB344_41
.LBB344_58:
	s_waitcnt vmcnt(0)
	v_mul_f32_e32 v3, 0x3fb8aa3b, v23
	s_mov_b32 s14, 0x3fb8aa3b
	v_rndne_f32_e32 v4, v3
	v_sub_f32_e32 v5, v3, v4
	v_fma_f32 v3, v23, s14, -v3
	v_fmac_f32_e32 v3, 0x32a5705f, v23
	v_add_f32_e32 v3, v5, v3
	v_exp_f32_e32 v3, v3
	v_cvt_i32_f32_e32 v4, v4
	s_mov_b32 s14, 0xc2ce8ed0
	v_cmp_ngt_f32_e64 s[14:15], s14, v23
	v_mov_b32_e32 v5, 0x7fc0
	v_ldexp_f32 v3, v3, v4
	v_cndmask_b32_e64 v3, 0, v3, s[14:15]
	s_mov_b32 s14, 0x42b17218
	v_mov_b32_e32 v4, 0x7f800000
	v_cmp_nlt_f32_e64 s[14:15], s14, v23
	v_cndmask_b32_e64 v3, v4, v3, s[14:15]
	v_fma_f32 v3, -v2, v3, v20
	v_bfe_u32 v4, v3, 16, 1
	s_movk_i32 s14, 0x7fff
	v_add3_u32 v4, v3, v4, s14
	v_lshrrev_b32_e32 v4, 16, v4
	v_cmp_o_f32_e64 s[14:15], v3, v3
	v_cndmask_b32_e64 v3, v5, v4, s[14:15]
	global_store_short v[0:1], v3, off offset:896
	s_or_b64 exec, exec, s[16:17]
	s_and_saveexec_b64 s[14:15], s[12:13]
	s_cbranch_execz .LBB344_42
.LBB344_59:
	s_waitcnt vmcnt(0)
	v_mul_f32_e32 v3, 0x3fb8aa3b, v22
	s_mov_b32 s12, 0x3fb8aa3b
	v_rndne_f32_e32 v4, v3
	v_sub_f32_e32 v5, v3, v4
	v_fma_f32 v3, v22, s12, -v3
	v_fmac_f32_e32 v3, 0x32a5705f, v22
	v_add_f32_e32 v3, v5, v3
	v_exp_f32_e32 v3, v3
	v_cvt_i32_f32_e32 v4, v4
	s_mov_b32 s12, 0xc2ce8ed0
	v_cmp_ngt_f32_e64 s[12:13], s12, v22
	v_mov_b32_e32 v5, 0x7fc0
	v_ldexp_f32 v3, v3, v4
	v_cndmask_b32_e64 v3, 0, v3, s[12:13]
	s_mov_b32 s12, 0x42b17218
	v_mov_b32_e32 v4, 0x7f800000
	v_cmp_nlt_f32_e64 s[12:13], s12, v22
	v_cndmask_b32_e64 v3, v4, v3, s[12:13]
	v_fma_f32 v3, -v2, v3, v21
	v_bfe_u32 v4, v3, 16, 1
	s_movk_i32 s12, 0x7fff
	v_add3_u32 v4, v3, v4, s12
	v_lshrrev_b32_e32 v4, 16, v4
	v_cmp_o_f32_e64 s[12:13], v3, v3
	v_cndmask_b32_e64 v3, v5, v4, s[12:13]
	global_store_short v[0:1], v3, off offset:1024
	s_or_b64 exec, exec, s[14:15]
	s_and_saveexec_b64 s[12:13], s[10:11]
	s_cbranch_execz .LBB344_43
.LBB344_60:
	s_waitcnt vmcnt(0)
	v_mul_f32_e32 v3, 0x3fb8aa3b, v19
	s_mov_b32 s10, 0x3fb8aa3b
	v_rndne_f32_e32 v4, v3
	v_sub_f32_e32 v5, v3, v4
	v_fma_f32 v3, v19, s10, -v3
	v_fmac_f32_e32 v3, 0x32a5705f, v19
	v_add_f32_e32 v3, v5, v3
	v_exp_f32_e32 v3, v3
	v_cvt_i32_f32_e32 v4, v4
	s_mov_b32 s10, 0xc2ce8ed0
	v_cmp_ngt_f32_e64 s[10:11], s10, v19
	v_mov_b32_e32 v5, 0x7fc0
	v_ldexp_f32 v3, v3, v4
	v_cndmask_b32_e64 v3, 0, v3, s[10:11]
	s_mov_b32 s10, 0x42b17218
	v_mov_b32_e32 v4, 0x7f800000
	v_cmp_nlt_f32_e64 s[10:11], s10, v19
	v_cndmask_b32_e64 v3, v4, v3, s[10:11]
	v_fma_f32 v3, -v2, v3, v16
	v_bfe_u32 v4, v3, 16, 1
	s_movk_i32 s10, 0x7fff
	v_add3_u32 v4, v3, v4, s10
	v_lshrrev_b32_e32 v4, 16, v4
	v_cmp_o_f32_e64 s[10:11], v3, v3
	v_cndmask_b32_e64 v3, v5, v4, s[10:11]
	global_store_short v[0:1], v3, off offset:1152
	s_or_b64 exec, exec, s[12:13]
	s_and_saveexec_b64 s[10:11], s[8:9]
	s_cbranch_execz .LBB344_44
.LBB344_61:
	s_waitcnt vmcnt(0)
	v_mul_f32_e32 v3, 0x3fb8aa3b, v18
	s_mov_b32 s8, 0x3fb8aa3b
	v_rndne_f32_e32 v4, v3
	v_sub_f32_e32 v5, v3, v4
	v_fma_f32 v3, v18, s8, -v3
	v_fmac_f32_e32 v3, 0x32a5705f, v18
	v_add_f32_e32 v3, v5, v3
	v_exp_f32_e32 v3, v3
	v_cvt_i32_f32_e32 v4, v4
	s_mov_b32 s8, 0xc2ce8ed0
	v_cmp_ngt_f32_e64 s[8:9], s8, v18
	v_mov_b32_e32 v5, 0x7fc0
	v_ldexp_f32 v3, v3, v4
	v_cndmask_b32_e64 v3, 0, v3, s[8:9]
	s_mov_b32 s8, 0x42b17218
	v_mov_b32_e32 v4, 0x7f800000
	v_cmp_nlt_f32_e64 s[8:9], s8, v18
	v_cndmask_b32_e64 v3, v4, v3, s[8:9]
	v_fma_f32 v3, -v2, v3, v17
	v_bfe_u32 v4, v3, 16, 1
	s_movk_i32 s8, 0x7fff
	v_add3_u32 v4, v3, v4, s8
	v_lshrrev_b32_e32 v4, 16, v4
	v_cmp_o_f32_e64 s[8:9], v3, v3
	v_cndmask_b32_e64 v3, v5, v4, s[8:9]
	global_store_short v[0:1], v3, off offset:1280
	s_or_b64 exec, exec, s[10:11]
	s_and_saveexec_b64 s[8:9], s[6:7]
	s_cbranch_execz .LBB344_45
.LBB344_62:
	s_waitcnt vmcnt(0)
	v_mul_f32_e32 v3, 0x3fb8aa3b, v15
	s_mov_b32 s6, 0x3fb8aa3b
	v_rndne_f32_e32 v4, v3
	v_sub_f32_e32 v5, v3, v4
	v_fma_f32 v3, v15, s6, -v3
	v_fmac_f32_e32 v3, 0x32a5705f, v15
	v_add_f32_e32 v3, v5, v3
	v_exp_f32_e32 v3, v3
	v_cvt_i32_f32_e32 v4, v4
	s_mov_b32 s6, 0xc2ce8ed0
	v_cmp_ngt_f32_e64 s[6:7], s6, v15
	v_mov_b32_e32 v5, 0x7fc0
	v_ldexp_f32 v3, v3, v4
	v_cndmask_b32_e64 v3, 0, v3, s[6:7]
	s_mov_b32 s6, 0x42b17218
	v_mov_b32_e32 v4, 0x7f800000
	v_cmp_nlt_f32_e64 s[6:7], s6, v15
	v_cndmask_b32_e64 v3, v4, v3, s[6:7]
	v_fma_f32 v3, -v2, v3, v12
	v_bfe_u32 v4, v3, 16, 1
	s_movk_i32 s6, 0x7fff
	v_add3_u32 v4, v3, v4, s6
	v_lshrrev_b32_e32 v4, 16, v4
	v_cmp_o_f32_e64 s[6:7], v3, v3
	v_cndmask_b32_e64 v3, v5, v4, s[6:7]
	global_store_short v[0:1], v3, off offset:1408
	s_or_b64 exec, exec, s[8:9]
	s_and_saveexec_b64 s[6:7], s[4:5]
	s_cbranch_execz .LBB344_46
.LBB344_63:
	s_waitcnt vmcnt(0)
	v_mul_f32_e32 v3, 0x3fb8aa3b, v14
	s_mov_b32 s4, 0x3fb8aa3b
	v_rndne_f32_e32 v4, v3
	v_sub_f32_e32 v5, v3, v4
	v_fma_f32 v3, v14, s4, -v3
	v_fmac_f32_e32 v3, 0x32a5705f, v14
	v_add_f32_e32 v3, v5, v3
	v_exp_f32_e32 v3, v3
	v_cvt_i32_f32_e32 v4, v4
	s_mov_b32 s4, 0xc2ce8ed0
	v_cmp_ngt_f32_e64 s[4:5], s4, v14
	v_mov_b32_e32 v5, 0x7fc0
	v_ldexp_f32 v3, v3, v4
	v_cndmask_b32_e64 v3, 0, v3, s[4:5]
	s_mov_b32 s4, 0x42b17218
	v_mov_b32_e32 v4, 0x7f800000
	v_cmp_nlt_f32_e64 s[4:5], s4, v14
	v_cndmask_b32_e64 v3, v4, v3, s[4:5]
	v_fma_f32 v3, -v2, v3, v13
	v_bfe_u32 v4, v3, 16, 1
	s_movk_i32 s4, 0x7fff
	v_add3_u32 v4, v3, v4, s4
	v_lshrrev_b32_e32 v4, 16, v4
	v_cmp_o_f32_e64 s[4:5], v3, v3
	v_cndmask_b32_e64 v3, v5, v4, s[4:5]
	global_store_short v[0:1], v3, off offset:1536
	s_or_b64 exec, exec, s[6:7]
	s_and_saveexec_b64 s[4:5], s[2:3]
	s_cbranch_execz .LBB344_47
.LBB344_64:
	s_waitcnt vmcnt(0)
	v_mul_f32_e32 v3, 0x3fb8aa3b, v11
	s_mov_b32 s2, 0x3fb8aa3b
	v_rndne_f32_e32 v4, v3
	v_sub_f32_e32 v5, v3, v4
	v_fma_f32 v3, v11, s2, -v3
	v_fmac_f32_e32 v3, 0x32a5705f, v11
	v_add_f32_e32 v3, v5, v3
	v_exp_f32_e32 v3, v3
	v_cvt_i32_f32_e32 v4, v4
	s_mov_b32 s2, 0xc2ce8ed0
	v_cmp_ngt_f32_e64 s[2:3], s2, v11
	v_mov_b32_e32 v5, 0x7fc0
	v_ldexp_f32 v3, v3, v4
	v_cndmask_b32_e64 v3, 0, v3, s[2:3]
	s_mov_b32 s2, 0x42b17218
	v_mov_b32_e32 v4, 0x7f800000
	v_cmp_nlt_f32_e64 s[2:3], s2, v11
	v_cndmask_b32_e64 v3, v4, v3, s[2:3]
	v_fma_f32 v3, -v2, v3, v8
	v_bfe_u32 v4, v3, 16, 1
	s_movk_i32 s2, 0x7fff
	v_add3_u32 v4, v3, v4, s2
	v_lshrrev_b32_e32 v4, 16, v4
	v_cmp_o_f32_e64 s[2:3], v3, v3
	v_cndmask_b32_e64 v3, v5, v4, s[2:3]
	global_store_short v[0:1], v3, off offset:1664
	s_or_b64 exec, exec, s[4:5]
	s_and_saveexec_b64 s[2:3], s[0:1]
	s_cbranch_execz .LBB344_48
.LBB344_65:
	s_waitcnt vmcnt(0)
	v_mul_f32_e32 v3, 0x3fb8aa3b, v10
	s_mov_b32 s0, 0x3fb8aa3b
	v_rndne_f32_e32 v4, v3
	v_sub_f32_e32 v5, v3, v4
	v_fma_f32 v3, v10, s0, -v3
	v_fmac_f32_e32 v3, 0x32a5705f, v10
	v_add_f32_e32 v3, v5, v3
	v_exp_f32_e32 v3, v3
	v_cvt_i32_f32_e32 v4, v4
	s_mov_b32 s0, 0xc2ce8ed0
	v_cmp_ngt_f32_e64 s[0:1], s0, v10
	v_mov_b32_e32 v5, 0x7fc0
	v_ldexp_f32 v3, v3, v4
	v_cndmask_b32_e64 v3, 0, v3, s[0:1]
	s_mov_b32 s0, 0x42b17218
	v_mov_b32_e32 v4, 0x7f800000
	v_cmp_nlt_f32_e64 s[0:1], s0, v10
	v_cndmask_b32_e64 v3, v4, v3, s[0:1]
	v_fma_f32 v3, -v2, v3, v9
	v_bfe_u32 v4, v3, 16, 1
	s_movk_i32 s0, 0x7fff
	v_add3_u32 v4, v3, v4, s0
	v_lshrrev_b32_e32 v4, 16, v4
	v_cmp_o_f32_e64 s[0:1], v3, v3
	v_cndmask_b32_e64 v3, v5, v4, s[0:1]
	global_store_short v[0:1], v3, off offset:1792
	s_or_b64 exec, exec, s[2:3]
	s_and_b64 exec, exec, vcc
	s_cbranch_execnz .LBB344_49
	s_branch .LBB344_50
	.section	.rodata,"a",@progbits
	.p2align	6, 0x0
	.amdhsa_kernel _ZN12_GLOBAL__N_121softmax_warp_backwardIfN3c108BFloat16EfLi10ELb1ELb0ELi64EEEvPT0_PKT_S7_iiiPKb
		.amdhsa_group_segment_fixed_size 0
		.amdhsa_private_segment_fixed_size 0
		.amdhsa_kernarg_size 304
		.amdhsa_user_sgpr_count 6
		.amdhsa_user_sgpr_private_segment_buffer 1
		.amdhsa_user_sgpr_dispatch_ptr 0
		.amdhsa_user_sgpr_queue_ptr 0
		.amdhsa_user_sgpr_kernarg_segment_ptr 1
		.amdhsa_user_sgpr_dispatch_id 0
		.amdhsa_user_sgpr_flat_scratch_init 0
		.amdhsa_user_sgpr_kernarg_preload_length 0
		.amdhsa_user_sgpr_kernarg_preload_offset 0
		.amdhsa_user_sgpr_private_segment_size 0
		.amdhsa_uses_dynamic_stack 0
		.amdhsa_system_sgpr_private_segment_wavefront_offset 0
		.amdhsa_system_sgpr_workgroup_id_x 1
		.amdhsa_system_sgpr_workgroup_id_y 0
		.amdhsa_system_sgpr_workgroup_id_z 0
		.amdhsa_system_sgpr_workgroup_info 0
		.amdhsa_system_vgpr_workitem_id 1
		.amdhsa_next_free_vgpr 39
		.amdhsa_next_free_sgpr 44
		.amdhsa_accum_offset 40
		.amdhsa_reserve_vcc 1
		.amdhsa_reserve_flat_scratch 0
		.amdhsa_float_round_mode_32 0
		.amdhsa_float_round_mode_16_64 0
		.amdhsa_float_denorm_mode_32 3
		.amdhsa_float_denorm_mode_16_64 3
		.amdhsa_dx10_clamp 1
		.amdhsa_ieee_mode 1
		.amdhsa_fp16_overflow 0
		.amdhsa_tg_split 0
		.amdhsa_exception_fp_ieee_invalid_op 0
		.amdhsa_exception_fp_denorm_src 0
		.amdhsa_exception_fp_ieee_div_zero 0
		.amdhsa_exception_fp_ieee_overflow 0
		.amdhsa_exception_fp_ieee_underflow 0
		.amdhsa_exception_fp_ieee_inexact 0
		.amdhsa_exception_int_div_zero 0
	.end_amdhsa_kernel
	.section	.text._ZN12_GLOBAL__N_121softmax_warp_backwardIfN3c108BFloat16EfLi10ELb1ELb0ELi64EEEvPT0_PKT_S7_iiiPKb,"axG",@progbits,_ZN12_GLOBAL__N_121softmax_warp_backwardIfN3c108BFloat16EfLi10ELb1ELb0ELi64EEEvPT0_PKT_S7_iiiPKb,comdat
.Lfunc_end344:
	.size	_ZN12_GLOBAL__N_121softmax_warp_backwardIfN3c108BFloat16EfLi10ELb1ELb0ELi64EEEvPT0_PKT_S7_iiiPKb, .Lfunc_end344-_ZN12_GLOBAL__N_121softmax_warp_backwardIfN3c108BFloat16EfLi10ELb1ELb0ELi64EEEvPT0_PKT_S7_iiiPKb
                                        ; -- End function
	.section	.AMDGPU.csdata,"",@progbits
; Kernel info:
; codeLenInByte = 4676
; NumSgprs: 48
; NumVgprs: 39
; NumAgprs: 0
; TotalNumVgprs: 39
; ScratchSize: 0
; MemoryBound: 0
; FloatMode: 240
; IeeeMode: 1
; LDSByteSize: 0 bytes/workgroup (compile time only)
; SGPRBlocks: 5
; VGPRBlocks: 4
; NumSGPRsForWavesPerEU: 48
; NumVGPRsForWavesPerEU: 39
; AccumOffset: 40
; Occupancy: 8
; WaveLimiterHint : 0
; COMPUTE_PGM_RSRC2:SCRATCH_EN: 0
; COMPUTE_PGM_RSRC2:USER_SGPR: 6
; COMPUTE_PGM_RSRC2:TRAP_HANDLER: 0
; COMPUTE_PGM_RSRC2:TGID_X_EN: 1
; COMPUTE_PGM_RSRC2:TGID_Y_EN: 0
; COMPUTE_PGM_RSRC2:TGID_Z_EN: 0
; COMPUTE_PGM_RSRC2:TIDIG_COMP_CNT: 1
; COMPUTE_PGM_RSRC3_GFX90A:ACCUM_OFFSET: 9
; COMPUTE_PGM_RSRC3_GFX90A:TG_SPLIT: 0
	.section	.text._ZN12_GLOBAL__N_121softmax_warp_backwardIfN3c108BFloat16EfLi10ELb1ELb0ELi32EEEvPT0_PKT_S7_iiiPKb,"axG",@progbits,_ZN12_GLOBAL__N_121softmax_warp_backwardIfN3c108BFloat16EfLi10ELb1ELb0ELi32EEEvPT0_PKT_S7_iiiPKb,comdat
	.globl	_ZN12_GLOBAL__N_121softmax_warp_backwardIfN3c108BFloat16EfLi10ELb1ELb0ELi32EEEvPT0_PKT_S7_iiiPKb ; -- Begin function _ZN12_GLOBAL__N_121softmax_warp_backwardIfN3c108BFloat16EfLi10ELb1ELb0ELi32EEEvPT0_PKT_S7_iiiPKb
	.p2align	8
	.type	_ZN12_GLOBAL__N_121softmax_warp_backwardIfN3c108BFloat16EfLi10ELb1ELb0ELi32EEEvPT0_PKT_S7_iiiPKb,@function
_ZN12_GLOBAL__N_121softmax_warp_backwardIfN3c108BFloat16EfLi10ELb1ELb0ELi32EEEvPT0_PKT_S7_iiiPKb: ; @_ZN12_GLOBAL__N_121softmax_warp_backwardIfN3c108BFloat16EfLi10ELb1ELb0ELi32EEEvPT0_PKT_S7_iiiPKb
; %bb.0:
	s_load_dword s2, s[4:5], 0x3c
	s_load_dwordx4 s[64:67], s[4:5], 0x18
	s_load_dwordx4 s[68:71], s[4:5], 0x0
	s_load_dwordx2 s[0:1], s[4:5], 0x10
	v_bfe_u32 v1, v0, 10, 10
	s_waitcnt lgkmcnt(0)
	s_lshr_b32 s2, s2, 16
	s_mul_i32 s6, s6, s2
	v_and_b32_e32 v7, 0x3ff, v0
	v_add_u32_e32 v1, s6, v1
	v_and_b32_e32 v6, 31, v7
	v_sub_u32_e32 v70, s64, v1
	v_mad_u64_u32 v[0:1], s[2:3], v1, s65, v[6:7]
	v_ashrrev_i32_e32 v1, 31, v0
	v_lshlrev_b64 v[4:5], 2, v[0:1]
	v_mov_b32_e32 v3, s71
	v_add_co_u32_e32 v2, vcc, s70, v4
	v_addc_co_u32_e32 v3, vcc, v3, v5, vcc
	v_mov_b32_e32 v8, s1
	v_add_co_u32_e32 v4, vcc, s0, v4
	v_cmp_lt_i32_e64 s[64:65], 0, v70
	v_cmp_gt_i32_e64 s[62:63], s66, v6
	v_addc_co_u32_e32 v5, vcc, v8, v5, vcc
	s_and_b64 s[2:3], s[64:65], s[62:63]
	v_mov_b32_e32 v64, 0
	v_mov_b32_e32 v68, 0
	;; [unrolled: 1-line block ×3, first 2 shown]
	s_and_saveexec_b64 s[0:1], s[2:3]
	s_cbranch_execz .LBB345_2
; %bb.1:
	global_load_dword v68, v[2:3], off
	global_load_dword v69, v[4:5], off
.LBB345_2:
	s_or_b64 exec, exec, s[0:1]
	v_or_b32_e32 v8, 32, v6
	v_cmp_gt_i32_e64 s[60:61], s66, v8
	s_and_b64 s[2:3], s[64:65], s[60:61]
	v_mov_b32_e32 v67, 0
	s_and_saveexec_b64 s[0:1], s[2:3]
	s_cbranch_execz .LBB345_4
; %bb.3:
	global_load_dword v64, v[2:3], off offset:128
	global_load_dword v67, v[4:5], off offset:128
.LBB345_4:
	s_or_b64 exec, exec, s[0:1]
	v_or_b32_e32 v8, 64, v6
	v_cmp_gt_i32_e64 s[58:59], s66, v8
	s_and_b64 s[2:3], s[64:65], s[58:59]
	v_mov_b32_e32 v60, 0
	v_mov_b32_e32 v65, 0
	v_mov_b32_e32 v66, 0
	s_and_saveexec_b64 s[0:1], s[2:3]
	s_cbranch_execz .LBB345_6
; %bb.5:
	global_load_dword v65, v[2:3], off offset:256
	global_load_dword v66, v[4:5], off offset:256
.LBB345_6:
	s_or_b64 exec, exec, s[0:1]
	v_or_b32_e32 v8, 0x60, v6
	v_cmp_gt_i32_e64 s[56:57], s66, v8
	s_and_b64 s[2:3], s[64:65], s[56:57]
	v_mov_b32_e32 v63, 0
	s_and_saveexec_b64 s[0:1], s[2:3]
	s_cbranch_execz .LBB345_8
; %bb.7:
	global_load_dword v60, v[2:3], off offset:384
	global_load_dword v63, v[4:5], off offset:384
.LBB345_8:
	s_or_b64 exec, exec, s[0:1]
	v_or_b32_e32 v8, 0x80, v6
	v_cmp_gt_i32_e64 s[54:55], s66, v8
	s_and_b64 s[2:3], s[64:65], s[54:55]
	v_mov_b32_e32 v56, 0
	v_mov_b32_e32 v61, 0
	v_mov_b32_e32 v62, 0
	s_and_saveexec_b64 s[0:1], s[2:3]
	s_cbranch_execz .LBB345_10
; %bb.9:
	global_load_dword v61, v[2:3], off offset:512
	global_load_dword v62, v[4:5], off offset:512
.LBB345_10:
	;; [unrolled: 24-line block ×15, first 2 shown]
	s_or_b64 exec, exec, s[70:71]
	v_or_b32_e32 v7, 0x3e0, v7
	v_cmp_gt_i32_e32 vcc, s66, v7
	s_and_b64 s[66:67], s[64:65], vcc
	v_mov_b32_e32 v7, 0
	s_and_saveexec_b64 s[64:65], s[66:67]
	s_cbranch_execz .LBB345_64
; %bb.63:
	global_load_dword v6, v[2:3], off offset:3968
	global_load_dword v7, v[4:5], off offset:3968
.LBB345_64:
	s_or_b64 exec, exec, s[64:65]
	s_waitcnt vmcnt(1)
	v_add_f32_e32 v2, 0, v68
	v_add_f32_e32 v2, v2, v64
	;; [unrolled: 1-line block ×26, first 2 shown]
	v_mbcnt_lo_u32_b32 v3, -1, 0
	v_add_f32_e32 v2, v2, v17
	v_mbcnt_hi_u32_b32 v3, -1, v3
	v_add_f32_e32 v2, v2, v12
	v_and_b32_e32 v4, 0x60, v3
	v_add_f32_e32 v2, v2, v13
	v_add_u32_e32 v4, 32, v4
	v_xor_b32_e32 v5, 16, v3
	v_add_f32_e32 v2, v2, v8
	v_cmp_lt_i32_e64 s[64:65], v5, v4
	v_add_f32_e32 v2, v2, v9
	v_cndmask_b32_e64 v5, v3, v5, s[64:65]
	v_add_f32_e32 v2, v2, v6
	v_lshlrev_b32_e32 v5, 2, v5
	ds_bpermute_b32 v5, v5, v2
	s_waitcnt lgkmcnt(0)
	v_add_f32_e32 v2, v2, v5
	v_xor_b32_e32 v5, 8, v3
	v_cmp_lt_i32_e64 s[64:65], v5, v4
	v_cndmask_b32_e64 v5, v3, v5, s[64:65]
	v_lshlrev_b32_e32 v5, 2, v5
	ds_bpermute_b32 v5, v5, v2
	s_waitcnt lgkmcnt(0)
	v_add_f32_e32 v2, v2, v5
	v_xor_b32_e32 v5, 4, v3
	v_cmp_lt_i32_e64 s[64:65], v5, v4
	v_cndmask_b32_e64 v5, v3, v5, s[64:65]
	;; [unrolled: 7-line block ×4, first 2 shown]
	v_lshlrev_b32_e32 v3, 2, v3
	ds_bpermute_b32 v3, v3, v2
	v_cmp_lt_i32_e64 s[64:65], 0, v70
	s_and_saveexec_b64 s[66:67], s[64:65]
	s_cbranch_execz .LBB345_98
; %bb.65:
	v_lshlrev_b64 v[0:1], 1, v[0:1]
	v_mov_b32_e32 v4, s69
	v_add_co_u32_e64 v0, s[64:65], s68, v0
	v_addc_co_u32_e64 v1, s[64:65], v4, v1, s[64:65]
	s_waitcnt lgkmcnt(0)
	v_add_f32_e32 v2, v2, v3
	s_and_saveexec_b64 s[64:65], s[62:63]
	s_cbranch_execnz .LBB345_99
; %bb.66:
	s_or_b64 exec, exec, s[64:65]
	s_and_saveexec_b64 s[62:63], s[60:61]
	s_cbranch_execnz .LBB345_100
.LBB345_67:
	s_or_b64 exec, exec, s[62:63]
	s_and_saveexec_b64 s[60:61], s[58:59]
	s_cbranch_execnz .LBB345_101
.LBB345_68:
	s_or_b64 exec, exec, s[60:61]
	s_and_saveexec_b64 s[58:59], s[56:57]
	s_cbranch_execnz .LBB345_102
.LBB345_69:
	s_or_b64 exec, exec, s[58:59]
	s_and_saveexec_b64 s[56:57], s[54:55]
	s_cbranch_execnz .LBB345_103
.LBB345_70:
	s_or_b64 exec, exec, s[56:57]
	s_and_saveexec_b64 s[54:55], s[52:53]
	s_cbranch_execnz .LBB345_104
.LBB345_71:
	s_or_b64 exec, exec, s[54:55]
	s_and_saveexec_b64 s[52:53], s[50:51]
	s_cbranch_execnz .LBB345_105
.LBB345_72:
	s_or_b64 exec, exec, s[52:53]
	s_and_saveexec_b64 s[50:51], s[48:49]
	s_cbranch_execnz .LBB345_106
.LBB345_73:
	s_or_b64 exec, exec, s[50:51]
	s_and_saveexec_b64 s[48:49], s[46:47]
	s_cbranch_execnz .LBB345_107
.LBB345_74:
	s_or_b64 exec, exec, s[48:49]
	s_and_saveexec_b64 s[46:47], s[44:45]
	s_cbranch_execnz .LBB345_108
.LBB345_75:
	s_or_b64 exec, exec, s[46:47]
	s_and_saveexec_b64 s[44:45], s[42:43]
	s_cbranch_execnz .LBB345_109
.LBB345_76:
	s_or_b64 exec, exec, s[44:45]
	s_and_saveexec_b64 s[42:43], s[40:41]
	s_cbranch_execnz .LBB345_110
.LBB345_77:
	s_or_b64 exec, exec, s[42:43]
	s_and_saveexec_b64 s[40:41], s[38:39]
	s_cbranch_execnz .LBB345_111
.LBB345_78:
	s_or_b64 exec, exec, s[40:41]
	s_and_saveexec_b64 s[38:39], s[36:37]
	s_cbranch_execnz .LBB345_112
.LBB345_79:
	s_or_b64 exec, exec, s[38:39]
	s_and_saveexec_b64 s[36:37], s[34:35]
	s_cbranch_execnz .LBB345_113
.LBB345_80:
	s_or_b64 exec, exec, s[36:37]
	s_and_saveexec_b64 s[34:35], s[30:31]
	s_cbranch_execnz .LBB345_114
.LBB345_81:
	s_or_b64 exec, exec, s[34:35]
	s_and_saveexec_b64 s[30:31], s[28:29]
	s_cbranch_execnz .LBB345_115
.LBB345_82:
	s_or_b64 exec, exec, s[30:31]
	s_and_saveexec_b64 s[28:29], s[26:27]
	s_cbranch_execnz .LBB345_116
.LBB345_83:
	s_or_b64 exec, exec, s[28:29]
	s_and_saveexec_b64 s[26:27], s[24:25]
	s_cbranch_execnz .LBB345_117
.LBB345_84:
	s_or_b64 exec, exec, s[26:27]
	s_and_saveexec_b64 s[24:25], s[22:23]
	s_cbranch_execnz .LBB345_118
.LBB345_85:
	s_or_b64 exec, exec, s[24:25]
	s_and_saveexec_b64 s[22:23], s[20:21]
	s_cbranch_execnz .LBB345_119
.LBB345_86:
	s_or_b64 exec, exec, s[22:23]
	s_and_saveexec_b64 s[20:21], s[18:19]
	s_cbranch_execnz .LBB345_120
.LBB345_87:
	s_or_b64 exec, exec, s[20:21]
	s_and_saveexec_b64 s[18:19], s[16:17]
	s_cbranch_execnz .LBB345_121
.LBB345_88:
	s_or_b64 exec, exec, s[18:19]
	s_and_saveexec_b64 s[16:17], s[14:15]
	s_cbranch_execnz .LBB345_122
.LBB345_89:
	s_or_b64 exec, exec, s[16:17]
	s_and_saveexec_b64 s[14:15], s[12:13]
	s_cbranch_execnz .LBB345_123
.LBB345_90:
	s_or_b64 exec, exec, s[14:15]
	s_and_saveexec_b64 s[12:13], s[10:11]
	s_cbranch_execnz .LBB345_124
.LBB345_91:
	s_or_b64 exec, exec, s[12:13]
	s_and_saveexec_b64 s[10:11], s[8:9]
	s_cbranch_execnz .LBB345_125
.LBB345_92:
	s_or_b64 exec, exec, s[10:11]
	s_and_saveexec_b64 s[8:9], s[6:7]
	s_cbranch_execnz .LBB345_126
.LBB345_93:
	s_or_b64 exec, exec, s[8:9]
	s_and_saveexec_b64 s[6:7], s[4:5]
	s_cbranch_execnz .LBB345_127
.LBB345_94:
	s_or_b64 exec, exec, s[6:7]
	s_and_saveexec_b64 s[4:5], s[2:3]
	s_cbranch_execnz .LBB345_128
.LBB345_95:
	s_or_b64 exec, exec, s[4:5]
	s_and_saveexec_b64 s[2:3], s[0:1]
	s_cbranch_execnz .LBB345_129
.LBB345_96:
	s_or_b64 exec, exec, s[2:3]
	s_and_b64 exec, exec, vcc
	s_cbranch_execz .LBB345_98
.LBB345_97:
	s_waitcnt vmcnt(0)
	v_mul_f32_e32 v3, 0x3fb8aa3b, v7
	s_mov_b32 s0, 0x3fb8aa3b
	v_rndne_f32_e32 v4, v3
	v_sub_f32_e32 v5, v3, v4
	v_fma_f32 v3, v7, s0, -v3
	v_fmac_f32_e32 v3, 0x32a5705f, v7
	v_add_f32_e32 v3, v5, v3
	v_exp_f32_e32 v3, v3
	v_cvt_i32_f32_e32 v4, v4
	s_mov_b32 s0, 0xc2ce8ed0
	v_cmp_ngt_f32_e32 vcc, s0, v7
	s_mov_b32 s0, 0x42b17218
	v_ldexp_f32 v3, v3, v4
	v_cndmask_b32_e32 v3, 0, v3, vcc
	v_mov_b32_e32 v4, 0x7f800000
	v_cmp_nlt_f32_e32 vcc, s0, v7
	v_cndmask_b32_e32 v3, v4, v3, vcc
	v_fma_f32 v2, -v2, v3, v6
	v_bfe_u32 v3, v2, 16, 1
	s_movk_i32 s0, 0x7fff
	v_add3_u32 v3, v2, v3, s0
	v_lshrrev_b32_e32 v3, 16, v3
	v_mov_b32_e32 v4, 0x7fc0
	v_cmp_o_f32_e32 vcc, v2, v2
	v_cndmask_b32_e32 v2, v4, v3, vcc
	global_store_short v[0:1], v2, off offset:1984
.LBB345_98:
	s_endpgm
.LBB345_99:
	s_waitcnt vmcnt(0)
	v_mul_f32_e32 v3, 0x3fb8aa3b, v69
	s_mov_b32 s33, 0x3fb8aa3b
	v_rndne_f32_e32 v4, v3
	v_sub_f32_e32 v5, v3, v4
	v_fma_f32 v3, v69, s33, -v3
	v_fmac_f32_e32 v3, 0x32a5705f, v69
	v_add_f32_e32 v3, v5, v3
	v_exp_f32_e32 v3, v3
	v_cvt_i32_f32_e32 v4, v4
	s_mov_b32 s33, 0xc2ce8ed0
	v_cmp_ngt_f32_e64 s[62:63], s33, v69
	s_mov_b32 s33, 0x42b17218
	v_ldexp_f32 v3, v3, v4
	v_cndmask_b32_e64 v3, 0, v3, s[62:63]
	v_mov_b32_e32 v4, 0x7f800000
	v_cmp_nlt_f32_e64 s[62:63], s33, v69
	v_cndmask_b32_e64 v3, v4, v3, s[62:63]
	v_fma_f32 v3, -v2, v3, v68
	v_bfe_u32 v4, v3, 16, 1
	s_movk_i32 s33, 0x7fff
	v_add3_u32 v4, v3, v4, s33
	v_lshrrev_b32_e32 v4, 16, v4
	v_mov_b32_e32 v5, 0x7fc0
	v_cmp_o_f32_e64 s[62:63], v3, v3
	v_cndmask_b32_e64 v3, v5, v4, s[62:63]
	global_store_short v[0:1], v3, off
	s_or_b64 exec, exec, s[64:65]
	s_and_saveexec_b64 s[62:63], s[60:61]
	s_cbranch_execz .LBB345_67
.LBB345_100:
	s_waitcnt vmcnt(0)
	v_mul_f32_e32 v3, 0x3fb8aa3b, v67
	s_mov_b32 s33, 0x3fb8aa3b
	v_rndne_f32_e32 v4, v3
	v_sub_f32_e32 v5, v3, v4
	v_fma_f32 v3, v67, s33, -v3
	v_fmac_f32_e32 v3, 0x32a5705f, v67
	v_add_f32_e32 v3, v5, v3
	v_exp_f32_e32 v3, v3
	v_cvt_i32_f32_e32 v4, v4
	s_mov_b32 s33, 0xc2ce8ed0
	v_cmp_ngt_f32_e64 s[60:61], s33, v67
	s_mov_b32 s33, 0x42b17218
	v_ldexp_f32 v3, v3, v4
	v_cndmask_b32_e64 v3, 0, v3, s[60:61]
	v_mov_b32_e32 v4, 0x7f800000
	v_cmp_nlt_f32_e64 s[60:61], s33, v67
	v_cndmask_b32_e64 v3, v4, v3, s[60:61]
	v_fma_f32 v3, -v2, v3, v64
	v_bfe_u32 v4, v3, 16, 1
	s_movk_i32 s33, 0x7fff
	v_add3_u32 v4, v3, v4, s33
	v_lshrrev_b32_e32 v4, 16, v4
	v_mov_b32_e32 v5, 0x7fc0
	v_cmp_o_f32_e64 s[60:61], v3, v3
	v_cndmask_b32_e64 v3, v5, v4, s[60:61]
	global_store_short v[0:1], v3, off offset:64
	s_or_b64 exec, exec, s[62:63]
	s_and_saveexec_b64 s[60:61], s[58:59]
	s_cbranch_execz .LBB345_68
.LBB345_101:
	s_waitcnt vmcnt(0)
	v_mul_f32_e32 v3, 0x3fb8aa3b, v66
	s_mov_b32 s33, 0x3fb8aa3b
	v_rndne_f32_e32 v4, v3
	v_sub_f32_e32 v5, v3, v4
	v_fma_f32 v3, v66, s33, -v3
	v_fmac_f32_e32 v3, 0x32a5705f, v66
	v_add_f32_e32 v3, v5, v3
	v_exp_f32_e32 v3, v3
	v_cvt_i32_f32_e32 v4, v4
	s_mov_b32 s33, 0xc2ce8ed0
	v_cmp_ngt_f32_e64 s[58:59], s33, v66
	s_mov_b32 s33, 0x42b17218
	v_ldexp_f32 v3, v3, v4
	v_cndmask_b32_e64 v3, 0, v3, s[58:59]
	v_mov_b32_e32 v4, 0x7f800000
	v_cmp_nlt_f32_e64 s[58:59], s33, v66
	v_cndmask_b32_e64 v3, v4, v3, s[58:59]
	v_fma_f32 v3, -v2, v3, v65
	v_bfe_u32 v4, v3, 16, 1
	s_movk_i32 s33, 0x7fff
	v_add3_u32 v4, v3, v4, s33
	v_lshrrev_b32_e32 v4, 16, v4
	v_mov_b32_e32 v5, 0x7fc0
	v_cmp_o_f32_e64 s[58:59], v3, v3
	v_cndmask_b32_e64 v3, v5, v4, s[58:59]
	global_store_short v[0:1], v3, off offset:128
	s_or_b64 exec, exec, s[60:61]
	s_and_saveexec_b64 s[58:59], s[56:57]
	s_cbranch_execz .LBB345_69
.LBB345_102:
	s_waitcnt vmcnt(0)
	v_mul_f32_e32 v3, 0x3fb8aa3b, v63
	s_mov_b32 s33, 0x3fb8aa3b
	v_rndne_f32_e32 v4, v3
	v_sub_f32_e32 v5, v3, v4
	v_fma_f32 v3, v63, s33, -v3
	v_fmac_f32_e32 v3, 0x32a5705f, v63
	v_add_f32_e32 v3, v5, v3
	v_exp_f32_e32 v3, v3
	v_cvt_i32_f32_e32 v4, v4
	s_mov_b32 s33, 0xc2ce8ed0
	v_cmp_ngt_f32_e64 s[56:57], s33, v63
	s_mov_b32 s33, 0x42b17218
	v_ldexp_f32 v3, v3, v4
	v_cndmask_b32_e64 v3, 0, v3, s[56:57]
	v_mov_b32_e32 v4, 0x7f800000
	v_cmp_nlt_f32_e64 s[56:57], s33, v63
	v_cndmask_b32_e64 v3, v4, v3, s[56:57]
	v_fma_f32 v3, -v2, v3, v60
	v_bfe_u32 v4, v3, 16, 1
	s_movk_i32 s33, 0x7fff
	v_add3_u32 v4, v3, v4, s33
	v_lshrrev_b32_e32 v4, 16, v4
	v_mov_b32_e32 v5, 0x7fc0
	v_cmp_o_f32_e64 s[56:57], v3, v3
	v_cndmask_b32_e64 v3, v5, v4, s[56:57]
	global_store_short v[0:1], v3, off offset:192
	s_or_b64 exec, exec, s[58:59]
	s_and_saveexec_b64 s[56:57], s[54:55]
	s_cbranch_execz .LBB345_70
.LBB345_103:
	s_waitcnt vmcnt(0)
	v_mul_f32_e32 v3, 0x3fb8aa3b, v62
	s_mov_b32 s33, 0x3fb8aa3b
	v_rndne_f32_e32 v4, v3
	v_sub_f32_e32 v5, v3, v4
	v_fma_f32 v3, v62, s33, -v3
	v_fmac_f32_e32 v3, 0x32a5705f, v62
	v_add_f32_e32 v3, v5, v3
	v_exp_f32_e32 v3, v3
	v_cvt_i32_f32_e32 v4, v4
	s_mov_b32 s33, 0xc2ce8ed0
	v_cmp_ngt_f32_e64 s[54:55], s33, v62
	s_mov_b32 s33, 0x42b17218
	v_ldexp_f32 v3, v3, v4
	v_cndmask_b32_e64 v3, 0, v3, s[54:55]
	v_mov_b32_e32 v4, 0x7f800000
	v_cmp_nlt_f32_e64 s[54:55], s33, v62
	v_cndmask_b32_e64 v3, v4, v3, s[54:55]
	v_fma_f32 v3, -v2, v3, v61
	v_bfe_u32 v4, v3, 16, 1
	s_movk_i32 s33, 0x7fff
	v_add3_u32 v4, v3, v4, s33
	v_lshrrev_b32_e32 v4, 16, v4
	v_mov_b32_e32 v5, 0x7fc0
	v_cmp_o_f32_e64 s[54:55], v3, v3
	v_cndmask_b32_e64 v3, v5, v4, s[54:55]
	global_store_short v[0:1], v3, off offset:256
	s_or_b64 exec, exec, s[56:57]
	s_and_saveexec_b64 s[54:55], s[52:53]
	s_cbranch_execz .LBB345_71
.LBB345_104:
	s_waitcnt vmcnt(0)
	v_mul_f32_e32 v3, 0x3fb8aa3b, v59
	s_mov_b32 s33, 0x3fb8aa3b
	v_rndne_f32_e32 v4, v3
	v_sub_f32_e32 v5, v3, v4
	v_fma_f32 v3, v59, s33, -v3
	v_fmac_f32_e32 v3, 0x32a5705f, v59
	v_add_f32_e32 v3, v5, v3
	v_exp_f32_e32 v3, v3
	v_cvt_i32_f32_e32 v4, v4
	s_mov_b32 s33, 0xc2ce8ed0
	v_cmp_ngt_f32_e64 s[52:53], s33, v59
	s_mov_b32 s33, 0x42b17218
	v_ldexp_f32 v3, v3, v4
	v_cndmask_b32_e64 v3, 0, v3, s[52:53]
	v_mov_b32_e32 v4, 0x7f800000
	v_cmp_nlt_f32_e64 s[52:53], s33, v59
	v_cndmask_b32_e64 v3, v4, v3, s[52:53]
	v_fma_f32 v3, -v2, v3, v56
	v_bfe_u32 v4, v3, 16, 1
	s_movk_i32 s33, 0x7fff
	v_add3_u32 v4, v3, v4, s33
	v_lshrrev_b32_e32 v4, 16, v4
	v_mov_b32_e32 v5, 0x7fc0
	v_cmp_o_f32_e64 s[52:53], v3, v3
	v_cndmask_b32_e64 v3, v5, v4, s[52:53]
	global_store_short v[0:1], v3, off offset:320
	s_or_b64 exec, exec, s[54:55]
	s_and_saveexec_b64 s[52:53], s[50:51]
	s_cbranch_execz .LBB345_72
.LBB345_105:
	s_waitcnt vmcnt(0)
	v_mul_f32_e32 v3, 0x3fb8aa3b, v58
	s_mov_b32 s33, 0x3fb8aa3b
	v_rndne_f32_e32 v4, v3
	v_sub_f32_e32 v5, v3, v4
	v_fma_f32 v3, v58, s33, -v3
	v_fmac_f32_e32 v3, 0x32a5705f, v58
	v_add_f32_e32 v3, v5, v3
	v_exp_f32_e32 v3, v3
	v_cvt_i32_f32_e32 v4, v4
	s_mov_b32 s33, 0xc2ce8ed0
	v_cmp_ngt_f32_e64 s[50:51], s33, v58
	s_mov_b32 s33, 0x42b17218
	v_ldexp_f32 v3, v3, v4
	v_cndmask_b32_e64 v3, 0, v3, s[50:51]
	v_mov_b32_e32 v4, 0x7f800000
	v_cmp_nlt_f32_e64 s[50:51], s33, v58
	v_cndmask_b32_e64 v3, v4, v3, s[50:51]
	v_fma_f32 v3, -v2, v3, v57
	v_bfe_u32 v4, v3, 16, 1
	s_movk_i32 s33, 0x7fff
	v_add3_u32 v4, v3, v4, s33
	v_lshrrev_b32_e32 v4, 16, v4
	v_mov_b32_e32 v5, 0x7fc0
	v_cmp_o_f32_e64 s[50:51], v3, v3
	v_cndmask_b32_e64 v3, v5, v4, s[50:51]
	global_store_short v[0:1], v3, off offset:384
	s_or_b64 exec, exec, s[52:53]
	s_and_saveexec_b64 s[50:51], s[48:49]
	s_cbranch_execz .LBB345_73
.LBB345_106:
	s_waitcnt vmcnt(0)
	v_mul_f32_e32 v3, 0x3fb8aa3b, v55
	s_mov_b32 s33, 0x3fb8aa3b
	v_rndne_f32_e32 v4, v3
	v_sub_f32_e32 v5, v3, v4
	v_fma_f32 v3, v55, s33, -v3
	v_fmac_f32_e32 v3, 0x32a5705f, v55
	v_add_f32_e32 v3, v5, v3
	v_exp_f32_e32 v3, v3
	v_cvt_i32_f32_e32 v4, v4
	s_mov_b32 s33, 0xc2ce8ed0
	v_cmp_ngt_f32_e64 s[48:49], s33, v55
	s_mov_b32 s33, 0x42b17218
	v_ldexp_f32 v3, v3, v4
	v_cndmask_b32_e64 v3, 0, v3, s[48:49]
	v_mov_b32_e32 v4, 0x7f800000
	v_cmp_nlt_f32_e64 s[48:49], s33, v55
	v_cndmask_b32_e64 v3, v4, v3, s[48:49]
	v_fma_f32 v3, -v2, v3, v52
	v_bfe_u32 v4, v3, 16, 1
	s_movk_i32 s33, 0x7fff
	v_add3_u32 v4, v3, v4, s33
	v_lshrrev_b32_e32 v4, 16, v4
	v_mov_b32_e32 v5, 0x7fc0
	v_cmp_o_f32_e64 s[48:49], v3, v3
	v_cndmask_b32_e64 v3, v5, v4, s[48:49]
	global_store_short v[0:1], v3, off offset:448
	s_or_b64 exec, exec, s[50:51]
	s_and_saveexec_b64 s[48:49], s[46:47]
	s_cbranch_execz .LBB345_74
.LBB345_107:
	s_waitcnt vmcnt(0)
	v_mul_f32_e32 v3, 0x3fb8aa3b, v54
	s_mov_b32 s33, 0x3fb8aa3b
	v_rndne_f32_e32 v4, v3
	v_sub_f32_e32 v5, v3, v4
	v_fma_f32 v3, v54, s33, -v3
	v_fmac_f32_e32 v3, 0x32a5705f, v54
	v_add_f32_e32 v3, v5, v3
	v_exp_f32_e32 v3, v3
	v_cvt_i32_f32_e32 v4, v4
	s_mov_b32 s33, 0xc2ce8ed0
	v_cmp_ngt_f32_e64 s[46:47], s33, v54
	s_mov_b32 s33, 0x42b17218
	v_ldexp_f32 v3, v3, v4
	v_cndmask_b32_e64 v3, 0, v3, s[46:47]
	v_mov_b32_e32 v4, 0x7f800000
	v_cmp_nlt_f32_e64 s[46:47], s33, v54
	v_cndmask_b32_e64 v3, v4, v3, s[46:47]
	v_fma_f32 v3, -v2, v3, v53
	v_bfe_u32 v4, v3, 16, 1
	s_movk_i32 s33, 0x7fff
	v_add3_u32 v4, v3, v4, s33
	v_lshrrev_b32_e32 v4, 16, v4
	v_mov_b32_e32 v5, 0x7fc0
	v_cmp_o_f32_e64 s[46:47], v3, v3
	v_cndmask_b32_e64 v3, v5, v4, s[46:47]
	global_store_short v[0:1], v3, off offset:512
	s_or_b64 exec, exec, s[48:49]
	s_and_saveexec_b64 s[46:47], s[44:45]
	s_cbranch_execz .LBB345_75
.LBB345_108:
	s_waitcnt vmcnt(0)
	v_mul_f32_e32 v3, 0x3fb8aa3b, v51
	s_mov_b32 s33, 0x3fb8aa3b
	v_rndne_f32_e32 v4, v3
	v_sub_f32_e32 v5, v3, v4
	v_fma_f32 v3, v51, s33, -v3
	v_fmac_f32_e32 v3, 0x32a5705f, v51
	v_add_f32_e32 v3, v5, v3
	v_exp_f32_e32 v3, v3
	v_cvt_i32_f32_e32 v4, v4
	s_mov_b32 s33, 0xc2ce8ed0
	v_cmp_ngt_f32_e64 s[44:45], s33, v51
	s_mov_b32 s33, 0x42b17218
	v_ldexp_f32 v3, v3, v4
	v_cndmask_b32_e64 v3, 0, v3, s[44:45]
	v_mov_b32_e32 v4, 0x7f800000
	v_cmp_nlt_f32_e64 s[44:45], s33, v51
	v_cndmask_b32_e64 v3, v4, v3, s[44:45]
	v_fma_f32 v3, -v2, v3, v48
	v_bfe_u32 v4, v3, 16, 1
	s_movk_i32 s33, 0x7fff
	v_add3_u32 v4, v3, v4, s33
	v_lshrrev_b32_e32 v4, 16, v4
	v_mov_b32_e32 v5, 0x7fc0
	v_cmp_o_f32_e64 s[44:45], v3, v3
	v_cndmask_b32_e64 v3, v5, v4, s[44:45]
	global_store_short v[0:1], v3, off offset:576
	s_or_b64 exec, exec, s[46:47]
	s_and_saveexec_b64 s[44:45], s[42:43]
	s_cbranch_execz .LBB345_76
.LBB345_109:
	s_waitcnt vmcnt(0)
	v_mul_f32_e32 v3, 0x3fb8aa3b, v50
	s_mov_b32 s33, 0x3fb8aa3b
	v_rndne_f32_e32 v4, v3
	v_sub_f32_e32 v5, v3, v4
	v_fma_f32 v3, v50, s33, -v3
	v_fmac_f32_e32 v3, 0x32a5705f, v50
	v_add_f32_e32 v3, v5, v3
	v_exp_f32_e32 v3, v3
	v_cvt_i32_f32_e32 v4, v4
	s_mov_b32 s33, 0xc2ce8ed0
	v_cmp_ngt_f32_e64 s[42:43], s33, v50
	s_mov_b32 s33, 0x42b17218
	v_ldexp_f32 v3, v3, v4
	v_cndmask_b32_e64 v3, 0, v3, s[42:43]
	v_mov_b32_e32 v4, 0x7f800000
	v_cmp_nlt_f32_e64 s[42:43], s33, v50
	v_cndmask_b32_e64 v3, v4, v3, s[42:43]
	v_fma_f32 v3, -v2, v3, v49
	v_bfe_u32 v4, v3, 16, 1
	s_movk_i32 s33, 0x7fff
	v_add3_u32 v4, v3, v4, s33
	v_lshrrev_b32_e32 v4, 16, v4
	v_mov_b32_e32 v5, 0x7fc0
	v_cmp_o_f32_e64 s[42:43], v3, v3
	v_cndmask_b32_e64 v3, v5, v4, s[42:43]
	global_store_short v[0:1], v3, off offset:640
	s_or_b64 exec, exec, s[44:45]
	s_and_saveexec_b64 s[42:43], s[40:41]
	s_cbranch_execz .LBB345_77
.LBB345_110:
	s_waitcnt vmcnt(0)
	v_mul_f32_e32 v3, 0x3fb8aa3b, v47
	s_mov_b32 s33, 0x3fb8aa3b
	v_rndne_f32_e32 v4, v3
	v_sub_f32_e32 v5, v3, v4
	v_fma_f32 v3, v47, s33, -v3
	v_fmac_f32_e32 v3, 0x32a5705f, v47
	v_add_f32_e32 v3, v5, v3
	v_exp_f32_e32 v3, v3
	v_cvt_i32_f32_e32 v4, v4
	s_mov_b32 s33, 0xc2ce8ed0
	v_cmp_ngt_f32_e64 s[40:41], s33, v47
	s_mov_b32 s33, 0x42b17218
	v_ldexp_f32 v3, v3, v4
	v_cndmask_b32_e64 v3, 0, v3, s[40:41]
	v_mov_b32_e32 v4, 0x7f800000
	v_cmp_nlt_f32_e64 s[40:41], s33, v47
	v_cndmask_b32_e64 v3, v4, v3, s[40:41]
	v_fma_f32 v3, -v2, v3, v44
	v_bfe_u32 v4, v3, 16, 1
	s_movk_i32 s33, 0x7fff
	v_add3_u32 v4, v3, v4, s33
	v_lshrrev_b32_e32 v4, 16, v4
	v_mov_b32_e32 v5, 0x7fc0
	v_cmp_o_f32_e64 s[40:41], v3, v3
	v_cndmask_b32_e64 v3, v5, v4, s[40:41]
	global_store_short v[0:1], v3, off offset:704
	s_or_b64 exec, exec, s[42:43]
	s_and_saveexec_b64 s[40:41], s[38:39]
	s_cbranch_execz .LBB345_78
.LBB345_111:
	s_waitcnt vmcnt(0)
	v_mul_f32_e32 v3, 0x3fb8aa3b, v46
	s_mov_b32 s33, 0x3fb8aa3b
	v_rndne_f32_e32 v4, v3
	v_sub_f32_e32 v5, v3, v4
	v_fma_f32 v3, v46, s33, -v3
	v_fmac_f32_e32 v3, 0x32a5705f, v46
	v_add_f32_e32 v3, v5, v3
	v_exp_f32_e32 v3, v3
	v_cvt_i32_f32_e32 v4, v4
	s_mov_b32 s33, 0xc2ce8ed0
	v_cmp_ngt_f32_e64 s[38:39], s33, v46
	s_mov_b32 s33, 0x42b17218
	v_ldexp_f32 v3, v3, v4
	v_cndmask_b32_e64 v3, 0, v3, s[38:39]
	v_mov_b32_e32 v4, 0x7f800000
	v_cmp_nlt_f32_e64 s[38:39], s33, v46
	v_cndmask_b32_e64 v3, v4, v3, s[38:39]
	v_fma_f32 v3, -v2, v3, v45
	v_bfe_u32 v4, v3, 16, 1
	s_movk_i32 s33, 0x7fff
	v_add3_u32 v4, v3, v4, s33
	v_lshrrev_b32_e32 v4, 16, v4
	v_mov_b32_e32 v5, 0x7fc0
	v_cmp_o_f32_e64 s[38:39], v3, v3
	v_cndmask_b32_e64 v3, v5, v4, s[38:39]
	global_store_short v[0:1], v3, off offset:768
	s_or_b64 exec, exec, s[40:41]
	s_and_saveexec_b64 s[38:39], s[36:37]
	s_cbranch_execz .LBB345_79
.LBB345_112:
	s_waitcnt vmcnt(0)
	v_mul_f32_e32 v3, 0x3fb8aa3b, v43
	s_mov_b32 s33, 0x3fb8aa3b
	v_rndne_f32_e32 v4, v3
	v_sub_f32_e32 v5, v3, v4
	v_fma_f32 v3, v43, s33, -v3
	v_fmac_f32_e32 v3, 0x32a5705f, v43
	v_add_f32_e32 v3, v5, v3
	v_exp_f32_e32 v3, v3
	v_cvt_i32_f32_e32 v4, v4
	s_mov_b32 s33, 0xc2ce8ed0
	v_cmp_ngt_f32_e64 s[36:37], s33, v43
	s_mov_b32 s33, 0x42b17218
	v_ldexp_f32 v3, v3, v4
	v_cndmask_b32_e64 v3, 0, v3, s[36:37]
	v_mov_b32_e32 v4, 0x7f800000
	v_cmp_nlt_f32_e64 s[36:37], s33, v43
	v_cndmask_b32_e64 v3, v4, v3, s[36:37]
	v_fma_f32 v3, -v2, v3, v40
	v_bfe_u32 v4, v3, 16, 1
	s_movk_i32 s33, 0x7fff
	v_add3_u32 v4, v3, v4, s33
	v_lshrrev_b32_e32 v4, 16, v4
	v_mov_b32_e32 v5, 0x7fc0
	v_cmp_o_f32_e64 s[36:37], v3, v3
	v_cndmask_b32_e64 v3, v5, v4, s[36:37]
	global_store_short v[0:1], v3, off offset:832
	s_or_b64 exec, exec, s[38:39]
	s_and_saveexec_b64 s[36:37], s[34:35]
	s_cbranch_execz .LBB345_80
.LBB345_113:
	s_waitcnt vmcnt(0)
	v_mul_f32_e32 v3, 0x3fb8aa3b, v42
	s_mov_b32 s33, 0x3fb8aa3b
	v_rndne_f32_e32 v4, v3
	v_sub_f32_e32 v5, v3, v4
	v_fma_f32 v3, v42, s33, -v3
	v_fmac_f32_e32 v3, 0x32a5705f, v42
	v_add_f32_e32 v3, v5, v3
	v_exp_f32_e32 v3, v3
	v_cvt_i32_f32_e32 v4, v4
	s_mov_b32 s33, 0xc2ce8ed0
	v_cmp_ngt_f32_e64 s[34:35], s33, v42
	s_mov_b32 s33, 0x42b17218
	v_ldexp_f32 v3, v3, v4
	v_cndmask_b32_e64 v3, 0, v3, s[34:35]
	v_mov_b32_e32 v4, 0x7f800000
	v_cmp_nlt_f32_e64 s[34:35], s33, v42
	v_cndmask_b32_e64 v3, v4, v3, s[34:35]
	v_fma_f32 v3, -v2, v3, v41
	v_bfe_u32 v4, v3, 16, 1
	s_movk_i32 s33, 0x7fff
	v_add3_u32 v4, v3, v4, s33
	v_lshrrev_b32_e32 v4, 16, v4
	v_mov_b32_e32 v5, 0x7fc0
	v_cmp_o_f32_e64 s[34:35], v3, v3
	v_cndmask_b32_e64 v3, v5, v4, s[34:35]
	global_store_short v[0:1], v3, off offset:896
	s_or_b64 exec, exec, s[36:37]
	s_and_saveexec_b64 s[34:35], s[30:31]
	s_cbranch_execz .LBB345_81
.LBB345_114:
	s_waitcnt vmcnt(0)
	v_mul_f32_e32 v3, 0x3fb8aa3b, v39
	s_mov_b32 s30, 0x3fb8aa3b
	v_rndne_f32_e32 v4, v3
	v_sub_f32_e32 v5, v3, v4
	v_fma_f32 v3, v39, s30, -v3
	v_fmac_f32_e32 v3, 0x32a5705f, v39
	v_add_f32_e32 v3, v5, v3
	v_exp_f32_e32 v3, v3
	v_cvt_i32_f32_e32 v4, v4
	s_mov_b32 s30, 0xc2ce8ed0
	v_cmp_ngt_f32_e64 s[30:31], s30, v39
	v_mov_b32_e32 v5, 0x7fc0
	v_ldexp_f32 v3, v3, v4
	v_cndmask_b32_e64 v3, 0, v3, s[30:31]
	s_mov_b32 s30, 0x42b17218
	v_mov_b32_e32 v4, 0x7f800000
	v_cmp_nlt_f32_e64 s[30:31], s30, v39
	v_cndmask_b32_e64 v3, v4, v3, s[30:31]
	v_fma_f32 v3, -v2, v3, v36
	v_bfe_u32 v4, v3, 16, 1
	s_movk_i32 s30, 0x7fff
	v_add3_u32 v4, v3, v4, s30
	v_lshrrev_b32_e32 v4, 16, v4
	v_cmp_o_f32_e64 s[30:31], v3, v3
	v_cndmask_b32_e64 v3, v5, v4, s[30:31]
	global_store_short v[0:1], v3, off offset:960
	s_or_b64 exec, exec, s[34:35]
	s_and_saveexec_b64 s[30:31], s[28:29]
	s_cbranch_execz .LBB345_82
.LBB345_115:
	s_waitcnt vmcnt(0)
	v_mul_f32_e32 v3, 0x3fb8aa3b, v38
	s_mov_b32 s28, 0x3fb8aa3b
	v_rndne_f32_e32 v4, v3
	v_sub_f32_e32 v5, v3, v4
	v_fma_f32 v3, v38, s28, -v3
	v_fmac_f32_e32 v3, 0x32a5705f, v38
	v_add_f32_e32 v3, v5, v3
	v_exp_f32_e32 v3, v3
	v_cvt_i32_f32_e32 v4, v4
	s_mov_b32 s28, 0xc2ce8ed0
	v_cmp_ngt_f32_e64 s[28:29], s28, v38
	v_mov_b32_e32 v5, 0x7fc0
	v_ldexp_f32 v3, v3, v4
	v_cndmask_b32_e64 v3, 0, v3, s[28:29]
	s_mov_b32 s28, 0x42b17218
	v_mov_b32_e32 v4, 0x7f800000
	v_cmp_nlt_f32_e64 s[28:29], s28, v38
	v_cndmask_b32_e64 v3, v4, v3, s[28:29]
	v_fma_f32 v3, -v2, v3, v37
	v_bfe_u32 v4, v3, 16, 1
	s_movk_i32 s28, 0x7fff
	v_add3_u32 v4, v3, v4, s28
	v_lshrrev_b32_e32 v4, 16, v4
	v_cmp_o_f32_e64 s[28:29], v3, v3
	v_cndmask_b32_e64 v3, v5, v4, s[28:29]
	global_store_short v[0:1], v3, off offset:1024
	s_or_b64 exec, exec, s[30:31]
	s_and_saveexec_b64 s[28:29], s[26:27]
	s_cbranch_execz .LBB345_83
.LBB345_116:
	s_waitcnt vmcnt(0)
	v_mul_f32_e32 v3, 0x3fb8aa3b, v35
	s_mov_b32 s26, 0x3fb8aa3b
	v_rndne_f32_e32 v4, v3
	v_sub_f32_e32 v5, v3, v4
	v_fma_f32 v3, v35, s26, -v3
	v_fmac_f32_e32 v3, 0x32a5705f, v35
	v_add_f32_e32 v3, v5, v3
	v_exp_f32_e32 v3, v3
	v_cvt_i32_f32_e32 v4, v4
	s_mov_b32 s26, 0xc2ce8ed0
	v_cmp_ngt_f32_e64 s[26:27], s26, v35
	v_mov_b32_e32 v5, 0x7fc0
	v_ldexp_f32 v3, v3, v4
	v_cndmask_b32_e64 v3, 0, v3, s[26:27]
	s_mov_b32 s26, 0x42b17218
	v_mov_b32_e32 v4, 0x7f800000
	v_cmp_nlt_f32_e64 s[26:27], s26, v35
	v_cndmask_b32_e64 v3, v4, v3, s[26:27]
	v_fma_f32 v3, -v2, v3, v32
	v_bfe_u32 v4, v3, 16, 1
	s_movk_i32 s26, 0x7fff
	v_add3_u32 v4, v3, v4, s26
	v_lshrrev_b32_e32 v4, 16, v4
	v_cmp_o_f32_e64 s[26:27], v3, v3
	v_cndmask_b32_e64 v3, v5, v4, s[26:27]
	global_store_short v[0:1], v3, off offset:1088
	s_or_b64 exec, exec, s[28:29]
	s_and_saveexec_b64 s[26:27], s[24:25]
	s_cbranch_execz .LBB345_84
.LBB345_117:
	s_waitcnt vmcnt(0)
	v_mul_f32_e32 v3, 0x3fb8aa3b, v34
	s_mov_b32 s24, 0x3fb8aa3b
	v_rndne_f32_e32 v4, v3
	v_sub_f32_e32 v5, v3, v4
	v_fma_f32 v3, v34, s24, -v3
	v_fmac_f32_e32 v3, 0x32a5705f, v34
	v_add_f32_e32 v3, v5, v3
	v_exp_f32_e32 v3, v3
	v_cvt_i32_f32_e32 v4, v4
	s_mov_b32 s24, 0xc2ce8ed0
	v_cmp_ngt_f32_e64 s[24:25], s24, v34
	v_mov_b32_e32 v5, 0x7fc0
	v_ldexp_f32 v3, v3, v4
	v_cndmask_b32_e64 v3, 0, v3, s[24:25]
	s_mov_b32 s24, 0x42b17218
	v_mov_b32_e32 v4, 0x7f800000
	v_cmp_nlt_f32_e64 s[24:25], s24, v34
	v_cndmask_b32_e64 v3, v4, v3, s[24:25]
	v_fma_f32 v3, -v2, v3, v33
	v_bfe_u32 v4, v3, 16, 1
	s_movk_i32 s24, 0x7fff
	v_add3_u32 v4, v3, v4, s24
	v_lshrrev_b32_e32 v4, 16, v4
	v_cmp_o_f32_e64 s[24:25], v3, v3
	v_cndmask_b32_e64 v3, v5, v4, s[24:25]
	global_store_short v[0:1], v3, off offset:1152
	s_or_b64 exec, exec, s[26:27]
	s_and_saveexec_b64 s[24:25], s[22:23]
	s_cbranch_execz .LBB345_85
.LBB345_118:
	s_waitcnt vmcnt(0)
	v_mul_f32_e32 v3, 0x3fb8aa3b, v31
	s_mov_b32 s22, 0x3fb8aa3b
	v_rndne_f32_e32 v4, v3
	v_sub_f32_e32 v5, v3, v4
	v_fma_f32 v3, v31, s22, -v3
	v_fmac_f32_e32 v3, 0x32a5705f, v31
	v_add_f32_e32 v3, v5, v3
	v_exp_f32_e32 v3, v3
	v_cvt_i32_f32_e32 v4, v4
	s_mov_b32 s22, 0xc2ce8ed0
	v_cmp_ngt_f32_e64 s[22:23], s22, v31
	v_mov_b32_e32 v5, 0x7fc0
	v_ldexp_f32 v3, v3, v4
	v_cndmask_b32_e64 v3, 0, v3, s[22:23]
	s_mov_b32 s22, 0x42b17218
	v_mov_b32_e32 v4, 0x7f800000
	v_cmp_nlt_f32_e64 s[22:23], s22, v31
	v_cndmask_b32_e64 v3, v4, v3, s[22:23]
	v_fma_f32 v3, -v2, v3, v28
	v_bfe_u32 v4, v3, 16, 1
	s_movk_i32 s22, 0x7fff
	v_add3_u32 v4, v3, v4, s22
	v_lshrrev_b32_e32 v4, 16, v4
	v_cmp_o_f32_e64 s[22:23], v3, v3
	v_cndmask_b32_e64 v3, v5, v4, s[22:23]
	global_store_short v[0:1], v3, off offset:1216
	s_or_b64 exec, exec, s[24:25]
	s_and_saveexec_b64 s[22:23], s[20:21]
	s_cbranch_execz .LBB345_86
.LBB345_119:
	s_waitcnt vmcnt(0)
	v_mul_f32_e32 v3, 0x3fb8aa3b, v30
	s_mov_b32 s20, 0x3fb8aa3b
	v_rndne_f32_e32 v4, v3
	v_sub_f32_e32 v5, v3, v4
	v_fma_f32 v3, v30, s20, -v3
	v_fmac_f32_e32 v3, 0x32a5705f, v30
	v_add_f32_e32 v3, v5, v3
	v_exp_f32_e32 v3, v3
	v_cvt_i32_f32_e32 v4, v4
	s_mov_b32 s20, 0xc2ce8ed0
	v_cmp_ngt_f32_e64 s[20:21], s20, v30
	v_mov_b32_e32 v5, 0x7fc0
	v_ldexp_f32 v3, v3, v4
	v_cndmask_b32_e64 v3, 0, v3, s[20:21]
	s_mov_b32 s20, 0x42b17218
	v_mov_b32_e32 v4, 0x7f800000
	v_cmp_nlt_f32_e64 s[20:21], s20, v30
	v_cndmask_b32_e64 v3, v4, v3, s[20:21]
	v_fma_f32 v3, -v2, v3, v29
	v_bfe_u32 v4, v3, 16, 1
	s_movk_i32 s20, 0x7fff
	v_add3_u32 v4, v3, v4, s20
	v_lshrrev_b32_e32 v4, 16, v4
	v_cmp_o_f32_e64 s[20:21], v3, v3
	v_cndmask_b32_e64 v3, v5, v4, s[20:21]
	global_store_short v[0:1], v3, off offset:1280
	s_or_b64 exec, exec, s[22:23]
	s_and_saveexec_b64 s[20:21], s[18:19]
	s_cbranch_execz .LBB345_87
.LBB345_120:
	s_waitcnt vmcnt(0)
	v_mul_f32_e32 v3, 0x3fb8aa3b, v27
	s_mov_b32 s18, 0x3fb8aa3b
	v_rndne_f32_e32 v4, v3
	v_sub_f32_e32 v5, v3, v4
	v_fma_f32 v3, v27, s18, -v3
	v_fmac_f32_e32 v3, 0x32a5705f, v27
	v_add_f32_e32 v3, v5, v3
	v_exp_f32_e32 v3, v3
	v_cvt_i32_f32_e32 v4, v4
	s_mov_b32 s18, 0xc2ce8ed0
	v_cmp_ngt_f32_e64 s[18:19], s18, v27
	v_mov_b32_e32 v5, 0x7fc0
	v_ldexp_f32 v3, v3, v4
	v_cndmask_b32_e64 v3, 0, v3, s[18:19]
	s_mov_b32 s18, 0x42b17218
	v_mov_b32_e32 v4, 0x7f800000
	v_cmp_nlt_f32_e64 s[18:19], s18, v27
	v_cndmask_b32_e64 v3, v4, v3, s[18:19]
	v_fma_f32 v3, -v2, v3, v24
	v_bfe_u32 v4, v3, 16, 1
	s_movk_i32 s18, 0x7fff
	v_add3_u32 v4, v3, v4, s18
	v_lshrrev_b32_e32 v4, 16, v4
	v_cmp_o_f32_e64 s[18:19], v3, v3
	v_cndmask_b32_e64 v3, v5, v4, s[18:19]
	global_store_short v[0:1], v3, off offset:1344
	s_or_b64 exec, exec, s[20:21]
	s_and_saveexec_b64 s[18:19], s[16:17]
	s_cbranch_execz .LBB345_88
.LBB345_121:
	s_waitcnt vmcnt(0)
	v_mul_f32_e32 v3, 0x3fb8aa3b, v26
	s_mov_b32 s16, 0x3fb8aa3b
	v_rndne_f32_e32 v4, v3
	v_sub_f32_e32 v5, v3, v4
	v_fma_f32 v3, v26, s16, -v3
	v_fmac_f32_e32 v3, 0x32a5705f, v26
	v_add_f32_e32 v3, v5, v3
	v_exp_f32_e32 v3, v3
	v_cvt_i32_f32_e32 v4, v4
	s_mov_b32 s16, 0xc2ce8ed0
	v_cmp_ngt_f32_e64 s[16:17], s16, v26
	v_mov_b32_e32 v5, 0x7fc0
	v_ldexp_f32 v3, v3, v4
	v_cndmask_b32_e64 v3, 0, v3, s[16:17]
	s_mov_b32 s16, 0x42b17218
	v_mov_b32_e32 v4, 0x7f800000
	v_cmp_nlt_f32_e64 s[16:17], s16, v26
	v_cndmask_b32_e64 v3, v4, v3, s[16:17]
	v_fma_f32 v3, -v2, v3, v25
	v_bfe_u32 v4, v3, 16, 1
	s_movk_i32 s16, 0x7fff
	v_add3_u32 v4, v3, v4, s16
	v_lshrrev_b32_e32 v4, 16, v4
	v_cmp_o_f32_e64 s[16:17], v3, v3
	v_cndmask_b32_e64 v3, v5, v4, s[16:17]
	global_store_short v[0:1], v3, off offset:1408
	s_or_b64 exec, exec, s[18:19]
	s_and_saveexec_b64 s[16:17], s[14:15]
	s_cbranch_execz .LBB345_89
.LBB345_122:
	s_waitcnt vmcnt(0)
	v_mul_f32_e32 v3, 0x3fb8aa3b, v23
	s_mov_b32 s14, 0x3fb8aa3b
	v_rndne_f32_e32 v4, v3
	v_sub_f32_e32 v5, v3, v4
	v_fma_f32 v3, v23, s14, -v3
	v_fmac_f32_e32 v3, 0x32a5705f, v23
	v_add_f32_e32 v3, v5, v3
	v_exp_f32_e32 v3, v3
	v_cvt_i32_f32_e32 v4, v4
	s_mov_b32 s14, 0xc2ce8ed0
	v_cmp_ngt_f32_e64 s[14:15], s14, v23
	v_mov_b32_e32 v5, 0x7fc0
	v_ldexp_f32 v3, v3, v4
	v_cndmask_b32_e64 v3, 0, v3, s[14:15]
	s_mov_b32 s14, 0x42b17218
	v_mov_b32_e32 v4, 0x7f800000
	v_cmp_nlt_f32_e64 s[14:15], s14, v23
	v_cndmask_b32_e64 v3, v4, v3, s[14:15]
	v_fma_f32 v3, -v2, v3, v20
	v_bfe_u32 v4, v3, 16, 1
	s_movk_i32 s14, 0x7fff
	v_add3_u32 v4, v3, v4, s14
	v_lshrrev_b32_e32 v4, 16, v4
	v_cmp_o_f32_e64 s[14:15], v3, v3
	v_cndmask_b32_e64 v3, v5, v4, s[14:15]
	global_store_short v[0:1], v3, off offset:1472
	s_or_b64 exec, exec, s[16:17]
	s_and_saveexec_b64 s[14:15], s[12:13]
	s_cbranch_execz .LBB345_90
.LBB345_123:
	s_waitcnt vmcnt(0)
	v_mul_f32_e32 v3, 0x3fb8aa3b, v22
	s_mov_b32 s12, 0x3fb8aa3b
	v_rndne_f32_e32 v4, v3
	v_sub_f32_e32 v5, v3, v4
	v_fma_f32 v3, v22, s12, -v3
	v_fmac_f32_e32 v3, 0x32a5705f, v22
	v_add_f32_e32 v3, v5, v3
	v_exp_f32_e32 v3, v3
	v_cvt_i32_f32_e32 v4, v4
	s_mov_b32 s12, 0xc2ce8ed0
	v_cmp_ngt_f32_e64 s[12:13], s12, v22
	v_mov_b32_e32 v5, 0x7fc0
	v_ldexp_f32 v3, v3, v4
	v_cndmask_b32_e64 v3, 0, v3, s[12:13]
	s_mov_b32 s12, 0x42b17218
	v_mov_b32_e32 v4, 0x7f800000
	v_cmp_nlt_f32_e64 s[12:13], s12, v22
	v_cndmask_b32_e64 v3, v4, v3, s[12:13]
	v_fma_f32 v3, -v2, v3, v21
	v_bfe_u32 v4, v3, 16, 1
	s_movk_i32 s12, 0x7fff
	v_add3_u32 v4, v3, v4, s12
	v_lshrrev_b32_e32 v4, 16, v4
	v_cmp_o_f32_e64 s[12:13], v3, v3
	v_cndmask_b32_e64 v3, v5, v4, s[12:13]
	global_store_short v[0:1], v3, off offset:1536
	s_or_b64 exec, exec, s[14:15]
	s_and_saveexec_b64 s[12:13], s[10:11]
	s_cbranch_execz .LBB345_91
.LBB345_124:
	s_waitcnt vmcnt(0)
	v_mul_f32_e32 v3, 0x3fb8aa3b, v19
	s_mov_b32 s10, 0x3fb8aa3b
	v_rndne_f32_e32 v4, v3
	v_sub_f32_e32 v5, v3, v4
	v_fma_f32 v3, v19, s10, -v3
	v_fmac_f32_e32 v3, 0x32a5705f, v19
	v_add_f32_e32 v3, v5, v3
	v_exp_f32_e32 v3, v3
	v_cvt_i32_f32_e32 v4, v4
	s_mov_b32 s10, 0xc2ce8ed0
	v_cmp_ngt_f32_e64 s[10:11], s10, v19
	v_mov_b32_e32 v5, 0x7fc0
	v_ldexp_f32 v3, v3, v4
	v_cndmask_b32_e64 v3, 0, v3, s[10:11]
	s_mov_b32 s10, 0x42b17218
	v_mov_b32_e32 v4, 0x7f800000
	v_cmp_nlt_f32_e64 s[10:11], s10, v19
	v_cndmask_b32_e64 v3, v4, v3, s[10:11]
	v_fma_f32 v3, -v2, v3, v16
	v_bfe_u32 v4, v3, 16, 1
	s_movk_i32 s10, 0x7fff
	v_add3_u32 v4, v3, v4, s10
	v_lshrrev_b32_e32 v4, 16, v4
	v_cmp_o_f32_e64 s[10:11], v3, v3
	v_cndmask_b32_e64 v3, v5, v4, s[10:11]
	global_store_short v[0:1], v3, off offset:1600
	s_or_b64 exec, exec, s[12:13]
	s_and_saveexec_b64 s[10:11], s[8:9]
	s_cbranch_execz .LBB345_92
.LBB345_125:
	s_waitcnt vmcnt(0)
	v_mul_f32_e32 v3, 0x3fb8aa3b, v18
	s_mov_b32 s8, 0x3fb8aa3b
	v_rndne_f32_e32 v4, v3
	v_sub_f32_e32 v5, v3, v4
	v_fma_f32 v3, v18, s8, -v3
	v_fmac_f32_e32 v3, 0x32a5705f, v18
	v_add_f32_e32 v3, v5, v3
	v_exp_f32_e32 v3, v3
	v_cvt_i32_f32_e32 v4, v4
	s_mov_b32 s8, 0xc2ce8ed0
	v_cmp_ngt_f32_e64 s[8:9], s8, v18
	v_mov_b32_e32 v5, 0x7fc0
	v_ldexp_f32 v3, v3, v4
	v_cndmask_b32_e64 v3, 0, v3, s[8:9]
	s_mov_b32 s8, 0x42b17218
	v_mov_b32_e32 v4, 0x7f800000
	v_cmp_nlt_f32_e64 s[8:9], s8, v18
	v_cndmask_b32_e64 v3, v4, v3, s[8:9]
	v_fma_f32 v3, -v2, v3, v17
	v_bfe_u32 v4, v3, 16, 1
	s_movk_i32 s8, 0x7fff
	v_add3_u32 v4, v3, v4, s8
	v_lshrrev_b32_e32 v4, 16, v4
	v_cmp_o_f32_e64 s[8:9], v3, v3
	v_cndmask_b32_e64 v3, v5, v4, s[8:9]
	global_store_short v[0:1], v3, off offset:1664
	s_or_b64 exec, exec, s[10:11]
	s_and_saveexec_b64 s[8:9], s[6:7]
	s_cbranch_execz .LBB345_93
.LBB345_126:
	s_waitcnt vmcnt(0)
	v_mul_f32_e32 v3, 0x3fb8aa3b, v15
	s_mov_b32 s6, 0x3fb8aa3b
	v_rndne_f32_e32 v4, v3
	v_sub_f32_e32 v5, v3, v4
	v_fma_f32 v3, v15, s6, -v3
	v_fmac_f32_e32 v3, 0x32a5705f, v15
	v_add_f32_e32 v3, v5, v3
	v_exp_f32_e32 v3, v3
	v_cvt_i32_f32_e32 v4, v4
	s_mov_b32 s6, 0xc2ce8ed0
	v_cmp_ngt_f32_e64 s[6:7], s6, v15
	v_mov_b32_e32 v5, 0x7fc0
	v_ldexp_f32 v3, v3, v4
	v_cndmask_b32_e64 v3, 0, v3, s[6:7]
	s_mov_b32 s6, 0x42b17218
	v_mov_b32_e32 v4, 0x7f800000
	v_cmp_nlt_f32_e64 s[6:7], s6, v15
	v_cndmask_b32_e64 v3, v4, v3, s[6:7]
	v_fma_f32 v3, -v2, v3, v12
	v_bfe_u32 v4, v3, 16, 1
	s_movk_i32 s6, 0x7fff
	v_add3_u32 v4, v3, v4, s6
	v_lshrrev_b32_e32 v4, 16, v4
	v_cmp_o_f32_e64 s[6:7], v3, v3
	v_cndmask_b32_e64 v3, v5, v4, s[6:7]
	global_store_short v[0:1], v3, off offset:1728
	s_or_b64 exec, exec, s[8:9]
	s_and_saveexec_b64 s[6:7], s[4:5]
	s_cbranch_execz .LBB345_94
.LBB345_127:
	s_waitcnt vmcnt(0)
	v_mul_f32_e32 v3, 0x3fb8aa3b, v14
	s_mov_b32 s4, 0x3fb8aa3b
	v_rndne_f32_e32 v4, v3
	v_sub_f32_e32 v5, v3, v4
	v_fma_f32 v3, v14, s4, -v3
	v_fmac_f32_e32 v3, 0x32a5705f, v14
	v_add_f32_e32 v3, v5, v3
	v_exp_f32_e32 v3, v3
	v_cvt_i32_f32_e32 v4, v4
	s_mov_b32 s4, 0xc2ce8ed0
	v_cmp_ngt_f32_e64 s[4:5], s4, v14
	v_mov_b32_e32 v5, 0x7fc0
	v_ldexp_f32 v3, v3, v4
	v_cndmask_b32_e64 v3, 0, v3, s[4:5]
	s_mov_b32 s4, 0x42b17218
	v_mov_b32_e32 v4, 0x7f800000
	v_cmp_nlt_f32_e64 s[4:5], s4, v14
	v_cndmask_b32_e64 v3, v4, v3, s[4:5]
	v_fma_f32 v3, -v2, v3, v13
	v_bfe_u32 v4, v3, 16, 1
	s_movk_i32 s4, 0x7fff
	v_add3_u32 v4, v3, v4, s4
	v_lshrrev_b32_e32 v4, 16, v4
	v_cmp_o_f32_e64 s[4:5], v3, v3
	v_cndmask_b32_e64 v3, v5, v4, s[4:5]
	global_store_short v[0:1], v3, off offset:1792
	s_or_b64 exec, exec, s[6:7]
	s_and_saveexec_b64 s[4:5], s[2:3]
	s_cbranch_execz .LBB345_95
.LBB345_128:
	s_waitcnt vmcnt(0)
	v_mul_f32_e32 v3, 0x3fb8aa3b, v11
	s_mov_b32 s2, 0x3fb8aa3b
	v_rndne_f32_e32 v4, v3
	v_sub_f32_e32 v5, v3, v4
	v_fma_f32 v3, v11, s2, -v3
	v_fmac_f32_e32 v3, 0x32a5705f, v11
	v_add_f32_e32 v3, v5, v3
	v_exp_f32_e32 v3, v3
	v_cvt_i32_f32_e32 v4, v4
	s_mov_b32 s2, 0xc2ce8ed0
	v_cmp_ngt_f32_e64 s[2:3], s2, v11
	v_mov_b32_e32 v5, 0x7fc0
	v_ldexp_f32 v3, v3, v4
	v_cndmask_b32_e64 v3, 0, v3, s[2:3]
	s_mov_b32 s2, 0x42b17218
	v_mov_b32_e32 v4, 0x7f800000
	v_cmp_nlt_f32_e64 s[2:3], s2, v11
	v_cndmask_b32_e64 v3, v4, v3, s[2:3]
	v_fma_f32 v3, -v2, v3, v8
	v_bfe_u32 v4, v3, 16, 1
	s_movk_i32 s2, 0x7fff
	v_add3_u32 v4, v3, v4, s2
	v_lshrrev_b32_e32 v4, 16, v4
	v_cmp_o_f32_e64 s[2:3], v3, v3
	v_cndmask_b32_e64 v3, v5, v4, s[2:3]
	global_store_short v[0:1], v3, off offset:1856
	s_or_b64 exec, exec, s[4:5]
	s_and_saveexec_b64 s[2:3], s[0:1]
	s_cbranch_execz .LBB345_96
.LBB345_129:
	s_waitcnt vmcnt(0)
	v_mul_f32_e32 v3, 0x3fb8aa3b, v10
	s_mov_b32 s0, 0x3fb8aa3b
	v_rndne_f32_e32 v4, v3
	v_sub_f32_e32 v5, v3, v4
	v_fma_f32 v3, v10, s0, -v3
	v_fmac_f32_e32 v3, 0x32a5705f, v10
	v_add_f32_e32 v3, v5, v3
	v_exp_f32_e32 v3, v3
	v_cvt_i32_f32_e32 v4, v4
	s_mov_b32 s0, 0xc2ce8ed0
	v_cmp_ngt_f32_e64 s[0:1], s0, v10
	v_mov_b32_e32 v5, 0x7fc0
	v_ldexp_f32 v3, v3, v4
	v_cndmask_b32_e64 v3, 0, v3, s[0:1]
	s_mov_b32 s0, 0x42b17218
	v_mov_b32_e32 v4, 0x7f800000
	v_cmp_nlt_f32_e64 s[0:1], s0, v10
	v_cndmask_b32_e64 v3, v4, v3, s[0:1]
	v_fma_f32 v3, -v2, v3, v9
	v_bfe_u32 v4, v3, 16, 1
	s_movk_i32 s0, 0x7fff
	v_add3_u32 v4, v3, v4, s0
	v_lshrrev_b32_e32 v4, 16, v4
	v_cmp_o_f32_e64 s[0:1], v3, v3
	v_cndmask_b32_e64 v3, v5, v4, s[0:1]
	global_store_short v[0:1], v3, off offset:1920
	s_or_b64 exec, exec, s[2:3]
	s_and_b64 exec, exec, vcc
	s_cbranch_execnz .LBB345_97
	s_branch .LBB345_98
	.section	.rodata,"a",@progbits
	.p2align	6, 0x0
	.amdhsa_kernel _ZN12_GLOBAL__N_121softmax_warp_backwardIfN3c108BFloat16EfLi10ELb1ELb0ELi32EEEvPT0_PKT_S7_iiiPKb
		.amdhsa_group_segment_fixed_size 0
		.amdhsa_private_segment_fixed_size 0
		.amdhsa_kernarg_size 304
		.amdhsa_user_sgpr_count 6
		.amdhsa_user_sgpr_private_segment_buffer 1
		.amdhsa_user_sgpr_dispatch_ptr 0
		.amdhsa_user_sgpr_queue_ptr 0
		.amdhsa_user_sgpr_kernarg_segment_ptr 1
		.amdhsa_user_sgpr_dispatch_id 0
		.amdhsa_user_sgpr_flat_scratch_init 0
		.amdhsa_user_sgpr_kernarg_preload_length 0
		.amdhsa_user_sgpr_kernarg_preload_offset 0
		.amdhsa_user_sgpr_private_segment_size 0
		.amdhsa_uses_dynamic_stack 0
		.amdhsa_system_sgpr_private_segment_wavefront_offset 0
		.amdhsa_system_sgpr_workgroup_id_x 1
		.amdhsa_system_sgpr_workgroup_id_y 0
		.amdhsa_system_sgpr_workgroup_id_z 0
		.amdhsa_system_sgpr_workgroup_info 0
		.amdhsa_system_vgpr_workitem_id 1
		.amdhsa_next_free_vgpr 71
		.amdhsa_next_free_sgpr 74
		.amdhsa_accum_offset 72
		.amdhsa_reserve_vcc 1
		.amdhsa_reserve_flat_scratch 0
		.amdhsa_float_round_mode_32 0
		.amdhsa_float_round_mode_16_64 0
		.amdhsa_float_denorm_mode_32 3
		.amdhsa_float_denorm_mode_16_64 3
		.amdhsa_dx10_clamp 1
		.amdhsa_ieee_mode 1
		.amdhsa_fp16_overflow 0
		.amdhsa_tg_split 0
		.amdhsa_exception_fp_ieee_invalid_op 0
		.amdhsa_exception_fp_denorm_src 0
		.amdhsa_exception_fp_ieee_div_zero 0
		.amdhsa_exception_fp_ieee_overflow 0
		.amdhsa_exception_fp_ieee_underflow 0
		.amdhsa_exception_fp_ieee_inexact 0
		.amdhsa_exception_int_div_zero 0
	.end_amdhsa_kernel
	.section	.text._ZN12_GLOBAL__N_121softmax_warp_backwardIfN3c108BFloat16EfLi10ELb1ELb0ELi32EEEvPT0_PKT_S7_iiiPKb,"axG",@progbits,_ZN12_GLOBAL__N_121softmax_warp_backwardIfN3c108BFloat16EfLi10ELb1ELb0ELi32EEEvPT0_PKT_S7_iiiPKb,comdat
.Lfunc_end345:
	.size	_ZN12_GLOBAL__N_121softmax_warp_backwardIfN3c108BFloat16EfLi10ELb1ELb0ELi32EEEvPT0_PKT_S7_iiiPKb, .Lfunc_end345-_ZN12_GLOBAL__N_121softmax_warp_backwardIfN3c108BFloat16EfLi10ELb1ELb0ELi32EEEvPT0_PKT_S7_iiiPKb
                                        ; -- End function
	.section	.AMDGPU.csdata,"",@progbits
; Kernel info:
; codeLenInByte = 8924
; NumSgprs: 78
; NumVgprs: 71
; NumAgprs: 0
; TotalNumVgprs: 71
; ScratchSize: 0
; MemoryBound: 0
; FloatMode: 240
; IeeeMode: 1
; LDSByteSize: 0 bytes/workgroup (compile time only)
; SGPRBlocks: 9
; VGPRBlocks: 8
; NumSGPRsForWavesPerEU: 78
; NumVGPRsForWavesPerEU: 71
; AccumOffset: 72
; Occupancy: 7
; WaveLimiterHint : 0
; COMPUTE_PGM_RSRC2:SCRATCH_EN: 0
; COMPUTE_PGM_RSRC2:USER_SGPR: 6
; COMPUTE_PGM_RSRC2:TRAP_HANDLER: 0
; COMPUTE_PGM_RSRC2:TGID_X_EN: 1
; COMPUTE_PGM_RSRC2:TGID_Y_EN: 0
; COMPUTE_PGM_RSRC2:TGID_Z_EN: 0
; COMPUTE_PGM_RSRC2:TIDIG_COMP_CNT: 1
; COMPUTE_PGM_RSRC3_GFX90A:ACCUM_OFFSET: 17
; COMPUTE_PGM_RSRC3_GFX90A:TG_SPLIT: 0
	.section	.text._ZN2at6native12_GLOBAL__N_124cunn_SoftMaxBackwardSmemILi4EN3c108BFloat16EffNS1_26LogSoftMaxBackwardEpilogueEEEvPT0_PKT2_SA_l,"axG",@progbits,_ZN2at6native12_GLOBAL__N_124cunn_SoftMaxBackwardSmemILi4EN3c108BFloat16EffNS1_26LogSoftMaxBackwardEpilogueEEEvPT0_PKT2_SA_l,comdat
	.globl	_ZN2at6native12_GLOBAL__N_124cunn_SoftMaxBackwardSmemILi4EN3c108BFloat16EffNS1_26LogSoftMaxBackwardEpilogueEEEvPT0_PKT2_SA_l ; -- Begin function _ZN2at6native12_GLOBAL__N_124cunn_SoftMaxBackwardSmemILi4EN3c108BFloat16EffNS1_26LogSoftMaxBackwardEpilogueEEEvPT0_PKT2_SA_l
	.p2align	8
	.type	_ZN2at6native12_GLOBAL__N_124cunn_SoftMaxBackwardSmemILi4EN3c108BFloat16EffNS1_26LogSoftMaxBackwardEpilogueEEEvPT0_PKT2_SA_l,@function
_ZN2at6native12_GLOBAL__N_124cunn_SoftMaxBackwardSmemILi4EN3c108BFloat16EffNS1_26LogSoftMaxBackwardEpilogueEEEvPT0_PKT2_SA_l: ; @_ZN2at6native12_GLOBAL__N_124cunn_SoftMaxBackwardSmemILi4EN3c108BFloat16EffNS1_26LogSoftMaxBackwardEpilogueEEEvPT0_PKT2_SA_l
; %bb.0:
	s_load_dwordx8 s[8:15], s[4:5], 0x0
	v_lshlrev_b32_e32 v2, 2, v0
	v_mov_b32_e32 v3, 0
	v_lshl_add_u32 v12, v0, 4, 0
	s_waitcnt lgkmcnt(0)
	s_mul_i32 s0, s6, s15
	s_mul_hi_u32 s1, s6, s14
	s_mul_i32 s2, s6, s14
	s_add_i32 s3, s1, s0
	v_cmp_gt_i64_e32 vcc, s[14:15], v[2:3]
	s_and_saveexec_b64 s[6:7], vcc
	s_cbranch_execz .LBB346_4
; %bb.1:
	s_load_dword s17, s[4:5], 0x2c
	s_lshl_b64 s[0:1], s[2:3], 2
	s_add_u32 s16, s12, s0
	s_addc_u32 s0, s13, s1
	v_lshl_add_u32 v1, v0, 4, 0
	s_waitcnt lgkmcnt(0)
	s_and_b32 s17, s17, 0xffff
	v_add_lshl_u32 v4, v0, s17, 2
	s_lshl_b32 s18, s17, 2
	s_lshl_b32 s19, s17, 4
	s_mov_b64 s[12:13], 0
	v_mov_b32_e32 v3, 0
	v_mov_b32_e32 v2, s0
	;; [unrolled: 1-line block ×3, first 2 shown]
.LBB346_2:                              ; =>This Inner Loop Header: Depth=1
	v_ashrrev_i32_e32 v7, 31, v6
	v_lshlrev_b64 v[8:9], 4, v[6:7]
	v_add_co_u32_e64 v8, s[0:1], s16, v8
	v_addc_co_u32_e64 v9, s[0:1], v2, v9, s[0:1]
	global_load_dwordx4 v[8:11], v[8:9], off
	v_ashrrev_i32_e32 v5, 31, v4
	v_cmp_le_i64_e64 s[0:1], s[14:15], v[4:5]
	v_add_u32_e32 v6, s17, v6
	v_add_u32_e32 v4, s18, v4
	s_or_b64 s[12:13], s[0:1], s[12:13]
	s_waitcnt vmcnt(0)
	v_add_f32_e32 v3, v3, v8
	v_add_f32_e32 v3, v3, v9
	;; [unrolled: 1-line block ×3, first 2 shown]
	ds_write_b128 v1, v[8:11]
	v_add_u32_e32 v1, s19, v1
	v_add_f32_e32 v3, v3, v11
	s_andn2_b64 exec, exec, s[12:13]
	s_cbranch_execnz .LBB346_2
; %bb.3:
	s_or_b64 exec, exec, s[12:13]
.LBB346_4:
	s_or_b64 exec, exec, s[6:7]
	v_mbcnt_lo_u32_b32 v1, -1, 0
	v_mbcnt_hi_u32_b32 v6, -1, v1
	v_and_b32_e32 v9, 63, v6
	v_cmp_gt_u32_e64 s[0:1], 32, v9
	v_cndmask_b32_e64 v1, 0, 1, s[0:1]
	v_lshlrev_b32_e32 v1, 5, v1
	v_add_lshl_u32 v1, v1, v6, 2
	ds_bpermute_b32 v2, v1, v3
	v_cmp_gt_u32_e64 s[0:1], 48, v9
	v_cndmask_b32_e64 v4, 0, 1, s[0:1]
	v_lshlrev_b32_e32 v4, 4, v4
	v_cmp_gt_u32_e64 s[0:1], 56, v9
	s_waitcnt lgkmcnt(0)
	v_add_f32_e32 v3, v3, v2
	v_add_lshl_u32 v2, v4, v6, 2
	ds_bpermute_b32 v4, v2, v3
	v_cndmask_b32_e64 v5, 0, 1, s[0:1]
	v_lshlrev_b32_e32 v5, 3, v5
	v_cmp_gt_u32_e64 s[0:1], 60, v9
	v_cndmask_b32_e64 v7, 0, 1, s[0:1]
	s_waitcnt lgkmcnt(0)
	v_add_f32_e32 v4, v3, v4
	v_add_lshl_u32 v3, v5, v6, 2
	ds_bpermute_b32 v5, v3, v4
	v_lshlrev_b32_e32 v7, 2, v7
	v_cmp_gt_u32_e64 s[0:1], 62, v9
	v_cndmask_b32_e64 v8, 0, 1, s[0:1]
	v_lshlrev_b32_e32 v8, 1, v8
	s_waitcnt lgkmcnt(0)
	v_add_f32_e32 v5, v4, v5
	v_add_lshl_u32 v4, v7, v6, 2
	ds_bpermute_b32 v7, v4, v5
	s_lshl_b32 s0, s14, 2
	s_add_i32 s13, s0, 0
	v_cmp_ne_u32_e64 s[0:1], 63, v9
	s_waitcnt lgkmcnt(0)
	v_add_f32_e32 v10, v5, v7
	v_add_lshl_u32 v5, v8, v6, 2
	ds_bpermute_b32 v8, v5, v10
	v_addc_co_u32_e64 v6, s[0:1], 0, v6, s[0:1]
	v_lshlrev_b32_e32 v6, 2, v6
	v_and_b32_e32 v7, 63, v0
	s_waitcnt lgkmcnt(0)
	v_add_f32_e32 v8, v10, v8
	ds_bpermute_b32 v9, v6, v8
	v_cmp_eq_u32_e64 s[0:1], 0, v7
	s_barrier
	s_waitcnt lgkmcnt(0)
	s_and_saveexec_b64 s[6:7], s[0:1]
	s_cbranch_execz .LBB346_6
; %bb.5:
	v_lshrrev_b32_e32 v10, 4, v0
	v_add_u32_e32 v10, s13, v10
	v_add_f32_e32 v8, v8, v9
	ds_write_b32 v10, v8
.LBB346_6:
	s_or_b64 exec, exec, s[6:7]
	s_waitcnt lgkmcnt(0)
	s_barrier
	s_load_dword s6, s[4:5], 0x2c
	v_mov_b32_e32 v8, 0
	s_waitcnt lgkmcnt(0)
	s_bfe_u32 s0, s6, 0xa0006
	v_cmp_gt_u32_e64 s[0:1], s0, v0
	s_and_saveexec_b64 s[4:5], s[0:1]
	s_cbranch_execnz .LBB346_14
; %bb.7:
	s_or_b64 exec, exec, s[4:5]
	v_cmp_gt_u32_e64 s[0:1], 64, v0
	s_and_saveexec_b64 s[4:5], s[0:1]
	s_cbranch_execnz .LBB346_15
.LBB346_8:
	s_or_b64 exec, exec, s[4:5]
	v_cmp_eq_u32_e64 s[0:1], 0, v0
	s_and_saveexec_b64 s[4:5], s[0:1]
	s_cbranch_execz .LBB346_10
.LBB346_9:
	v_mov_b32_e32 v1, s13
	s_waitcnt lgkmcnt(0)
	ds_write_b32 v1, v8
.LBB346_10:
	s_or_b64 exec, exec, s[4:5]
	s_waitcnt lgkmcnt(0)
	s_barrier
	s_and_saveexec_b64 s[0:1], vcc
	s_cbranch_execz .LBB346_13
; %bb.11:
	s_and_b32 s12, s6, 0xffff
	v_mov_b32_e32 v1, s13
	s_lshl_b64 s[0:1], s[2:3], 1
	ds_read_b32 v13, v1
	s_add_u32 s8, s8, s0
	s_addc_u32 s4, s9, s1
	s_lshl_b64 s[0:1], s[2:3], 2
	s_add_u32 s9, s10, s0
	s_addc_u32 s0, s11, s1
	v_add_lshl_u32 v10, v0, s12, 2
	s_lshl_b32 s10, s12, 2
	s_lshl_b32 s11, s12, 4
	s_mov_b64 s[6:7], 0
	v_mov_b32_e32 v14, s0
	s_mov_b32 s13, 0x3fb8aa3b
	s_mov_b32 s16, 0xc2ce8ed0
	;; [unrolled: 1-line block ×3, first 2 shown]
	v_mov_b32_e32 v15, 0x7f800000
	s_movk_i32 s18, 0x7fff
	v_mov_b32_e32 v16, s4
	v_mov_b32_e32 v17, 0x7fc00000
	;; [unrolled: 1-line block ×3, first 2 shown]
.LBB346_12:                             ; =>This Inner Loop Header: Depth=1
	v_ashrrev_i32_e32 v1, 31, v0
	v_lshlrev_b64 v[2:3], 4, v[0:1]
	v_add_co_u32_e32 v2, vcc, s9, v2
	v_addc_co_u32_e32 v3, vcc, v14, v3, vcc
	global_load_dwordx4 v[6:9], v[2:3], off
	v_ashrrev_i32_e32 v11, 31, v10
	v_lshlrev_b64 v[20:21], 3, v[0:1]
	v_cmp_le_i64_e32 vcc, s[14:15], v[10:11]
	ds_read_b128 v[2:5], v12
	v_add_co_u32_e64 v20, s[0:1], s8, v20
	v_addc_co_u32_e64 v21, s[0:1], v16, v21, s[0:1]
	s_or_b64 s[6:7], vcc, s[6:7]
	v_add_u32_e32 v12, s11, v12
	v_add_u32_e32 v0, s12, v0
	v_add_u32_e32 v10, s10, v10
	s_waitcnt vmcnt(0)
	v_mul_f32_e32 v1, 0x3fb8aa3b, v6
	v_mul_f32_e32 v11, 0x3fb8aa3b, v7
	;; [unrolled: 1-line block ×4, first 2 shown]
	v_fma_f32 v23, v6, s13, -v1
	v_rndne_f32_e32 v24, v1
	v_fma_f32 v25, v7, s13, -v11
	v_rndne_f32_e32 v26, v11
	;; [unrolled: 2-line block ×4, first 2 shown]
	v_fmac_f32_e32 v23, 0x32a5705f, v6
	v_sub_f32_e32 v1, v1, v24
	v_fmac_f32_e32 v25, 0x32a5705f, v7
	v_sub_f32_e32 v11, v11, v26
	;; [unrolled: 2-line block ×4, first 2 shown]
	v_add_f32_e32 v1, v1, v23
	v_add_f32_e32 v11, v11, v25
	;; [unrolled: 1-line block ×4, first 2 shown]
	v_cvt_i32_f32_e32 v24, v24
	v_cvt_i32_f32_e32 v26, v26
	;; [unrolled: 1-line block ×4, first 2 shown]
	v_exp_f32_e32 v1, v1
	v_exp_f32_e32 v11, v11
	;; [unrolled: 1-line block ×4, first 2 shown]
	v_ldexp_f32 v1, v1, v24
	v_ldexp_f32 v11, v11, v26
	v_cmp_ngt_f32_e32 vcc, s16, v7
	v_ldexp_f32 v19, v19, v28
	v_cmp_ngt_f32_e64 s[0:1], s16, v8
	v_ldexp_f32 v22, v22, v30
	v_cmp_ngt_f32_e64 s[2:3], s16, v9
	v_cmp_ngt_f32_e64 s[4:5], s16, v6
	v_cndmask_b32_e64 v1, 0, v1, s[4:5]
	v_cndmask_b32_e32 v11, 0, v11, vcc
	v_cmp_nlt_f32_e32 vcc, s17, v7
	v_cndmask_b32_e64 v7, 0, v19, s[0:1]
	v_cmp_nlt_f32_e64 s[0:1], s17, v8
	v_cndmask_b32_e64 v8, 0, v22, s[2:3]
	v_cmp_nlt_f32_e64 s[2:3], s17, v9
	v_cmp_nlt_f32_e64 s[4:5], s17, v6
	v_cndmask_b32_e64 v1, v15, v1, s[4:5]
	v_cndmask_b32_e32 v6, v15, v11, vcc
	v_cndmask_b32_e64 v7, v15, v7, s[0:1]
	v_cndmask_b32_e64 v8, v15, v8, s[2:3]
	s_waitcnt lgkmcnt(0)
	v_fma_f32 v1, -v13, v1, v2
	v_fma_f32 v2, -v13, v6, v3
	;; [unrolled: 1-line block ×4, first 2 shown]
	v_bfe_u32 v7, v3, 16, 1
	v_bfe_u32 v8, v4, 16, 1
	;; [unrolled: 1-line block ×4, first 2 shown]
	v_add3_u32 v7, v3, v7, s18
	v_add3_u32 v8, v4, v8, s18
	;; [unrolled: 1-line block ×4, first 2 shown]
	v_lshrrev_b32_e32 v7, 16, v7
	v_and_b32_e32 v8, 0xffff0000, v8
	v_cmp_o_f32_e32 vcc, v3, v3
	v_cmp_o_f32_e64 s[4:5], v4, v4
	v_lshrrev_b32_e32 v5, 16, v5
	v_and_b32_e32 v6, 0xffff0000, v6
	v_cmp_o_f32_e64 s[0:1], v2, v2
	v_cmp_o_f32_e64 s[2:3], v1, v1
	v_cndmask_b32_e64 v1, v17, v8, s[4:5]
	v_cndmask_b32_e32 v2, v18, v7, vcc
	v_cndmask_b32_e64 v3, v17, v6, s[0:1]
	v_cndmask_b32_e64 v4, v18, v5, s[2:3]
	v_or_b32_e32 v1, v1, v2
	v_or3_b32 v2, 0, v3, v4
	v_or3_b32 v3, v1, 0, 0
	global_store_dwordx2 v[20:21], v[2:3], off
	s_andn2_b64 exec, exec, s[6:7]
	s_cbranch_execnz .LBB346_12
.LBB346_13:
	s_endpgm
.LBB346_14:
	v_lshl_add_u32 v7, v7, 2, s13
	ds_read_b32 v8, v7
	s_or_b64 exec, exec, s[4:5]
	v_cmp_gt_u32_e64 s[0:1], 64, v0
	s_and_saveexec_b64 s[4:5], s[0:1]
	s_cbranch_execz .LBB346_8
.LBB346_15:
	s_waitcnt lgkmcnt(0)
	ds_bpermute_b32 v1, v1, v8
	s_waitcnt lgkmcnt(0)
	v_add_f32_e32 v1, v8, v1
	ds_bpermute_b32 v2, v2, v1
	s_waitcnt lgkmcnt(0)
	v_add_f32_e32 v1, v1, v2
	;; [unrolled: 3-line block ×6, first 2 shown]
	s_or_b64 exec, exec, s[4:5]
	v_cmp_eq_u32_e64 s[0:1], 0, v0
	s_and_saveexec_b64 s[4:5], s[0:1]
	s_cbranch_execnz .LBB346_9
	s_branch .LBB346_10
	.section	.rodata,"a",@progbits
	.p2align	6, 0x0
	.amdhsa_kernel _ZN2at6native12_GLOBAL__N_124cunn_SoftMaxBackwardSmemILi4EN3c108BFloat16EffNS1_26LogSoftMaxBackwardEpilogueEEEvPT0_PKT2_SA_l
		.amdhsa_group_segment_fixed_size 0
		.amdhsa_private_segment_fixed_size 0
		.amdhsa_kernarg_size 288
		.amdhsa_user_sgpr_count 6
		.amdhsa_user_sgpr_private_segment_buffer 1
		.amdhsa_user_sgpr_dispatch_ptr 0
		.amdhsa_user_sgpr_queue_ptr 0
		.amdhsa_user_sgpr_kernarg_segment_ptr 1
		.amdhsa_user_sgpr_dispatch_id 0
		.amdhsa_user_sgpr_flat_scratch_init 0
		.amdhsa_user_sgpr_kernarg_preload_length 0
		.amdhsa_user_sgpr_kernarg_preload_offset 0
		.amdhsa_user_sgpr_private_segment_size 0
		.amdhsa_uses_dynamic_stack 0
		.amdhsa_system_sgpr_private_segment_wavefront_offset 0
		.amdhsa_system_sgpr_workgroup_id_x 1
		.amdhsa_system_sgpr_workgroup_id_y 0
		.amdhsa_system_sgpr_workgroup_id_z 0
		.amdhsa_system_sgpr_workgroup_info 0
		.amdhsa_system_vgpr_workitem_id 0
		.amdhsa_next_free_vgpr 31
		.amdhsa_next_free_sgpr 20
		.amdhsa_accum_offset 32
		.amdhsa_reserve_vcc 1
		.amdhsa_reserve_flat_scratch 0
		.amdhsa_float_round_mode_32 0
		.amdhsa_float_round_mode_16_64 0
		.amdhsa_float_denorm_mode_32 3
		.amdhsa_float_denorm_mode_16_64 3
		.amdhsa_dx10_clamp 1
		.amdhsa_ieee_mode 1
		.amdhsa_fp16_overflow 0
		.amdhsa_tg_split 0
		.amdhsa_exception_fp_ieee_invalid_op 0
		.amdhsa_exception_fp_denorm_src 0
		.amdhsa_exception_fp_ieee_div_zero 0
		.amdhsa_exception_fp_ieee_overflow 0
		.amdhsa_exception_fp_ieee_underflow 0
		.amdhsa_exception_fp_ieee_inexact 0
		.amdhsa_exception_int_div_zero 0
	.end_amdhsa_kernel
	.section	.text._ZN2at6native12_GLOBAL__N_124cunn_SoftMaxBackwardSmemILi4EN3c108BFloat16EffNS1_26LogSoftMaxBackwardEpilogueEEEvPT0_PKT2_SA_l,"axG",@progbits,_ZN2at6native12_GLOBAL__N_124cunn_SoftMaxBackwardSmemILi4EN3c108BFloat16EffNS1_26LogSoftMaxBackwardEpilogueEEEvPT0_PKT2_SA_l,comdat
.Lfunc_end346:
	.size	_ZN2at6native12_GLOBAL__N_124cunn_SoftMaxBackwardSmemILi4EN3c108BFloat16EffNS1_26LogSoftMaxBackwardEpilogueEEEvPT0_PKT2_SA_l, .Lfunc_end346-_ZN2at6native12_GLOBAL__N_124cunn_SoftMaxBackwardSmemILi4EN3c108BFloat16EffNS1_26LogSoftMaxBackwardEpilogueEEEvPT0_PKT2_SA_l
                                        ; -- End function
	.section	.AMDGPU.csdata,"",@progbits
; Kernel info:
; codeLenInByte = 1600
; NumSgprs: 24
; NumVgprs: 31
; NumAgprs: 0
; TotalNumVgprs: 31
; ScratchSize: 0
; MemoryBound: 0
; FloatMode: 240
; IeeeMode: 1
; LDSByteSize: 0 bytes/workgroup (compile time only)
; SGPRBlocks: 2
; VGPRBlocks: 3
; NumSGPRsForWavesPerEU: 24
; NumVGPRsForWavesPerEU: 31
; AccumOffset: 32
; Occupancy: 8
; WaveLimiterHint : 0
; COMPUTE_PGM_RSRC2:SCRATCH_EN: 0
; COMPUTE_PGM_RSRC2:USER_SGPR: 6
; COMPUTE_PGM_RSRC2:TRAP_HANDLER: 0
; COMPUTE_PGM_RSRC2:TGID_X_EN: 1
; COMPUTE_PGM_RSRC2:TGID_Y_EN: 0
; COMPUTE_PGM_RSRC2:TGID_Z_EN: 0
; COMPUTE_PGM_RSRC2:TIDIG_COMP_CNT: 0
; COMPUTE_PGM_RSRC3_GFX90A:ACCUM_OFFSET: 7
; COMPUTE_PGM_RSRC3_GFX90A:TG_SPLIT: 0
	.section	.text._ZN2at6native12_GLOBAL__N_120cunn_SoftMaxBackwardILi4EN3c108BFloat16EffNS1_26LogSoftMaxBackwardEpilogueEEEvPT0_PKT2_SA_l,"axG",@progbits,_ZN2at6native12_GLOBAL__N_120cunn_SoftMaxBackwardILi4EN3c108BFloat16EffNS1_26LogSoftMaxBackwardEpilogueEEEvPT0_PKT2_SA_l,comdat
	.globl	_ZN2at6native12_GLOBAL__N_120cunn_SoftMaxBackwardILi4EN3c108BFloat16EffNS1_26LogSoftMaxBackwardEpilogueEEEvPT0_PKT2_SA_l ; -- Begin function _ZN2at6native12_GLOBAL__N_120cunn_SoftMaxBackwardILi4EN3c108BFloat16EffNS1_26LogSoftMaxBackwardEpilogueEEEvPT0_PKT2_SA_l
	.p2align	8
	.type	_ZN2at6native12_GLOBAL__N_120cunn_SoftMaxBackwardILi4EN3c108BFloat16EffNS1_26LogSoftMaxBackwardEpilogueEEEvPT0_PKT2_SA_l,@function
_ZN2at6native12_GLOBAL__N_120cunn_SoftMaxBackwardILi4EN3c108BFloat16EffNS1_26LogSoftMaxBackwardEpilogueEEEvPT0_PKT2_SA_l: ; @_ZN2at6native12_GLOBAL__N_120cunn_SoftMaxBackwardILi4EN3c108BFloat16EffNS1_26LogSoftMaxBackwardEpilogueEEEvPT0_PKT2_SA_l
; %bb.0:
	s_load_dwordx8 s[20:27], s[4:5], 0x0
	v_mov_b32_e32 v2, 0x7ffffffe
	v_mov_b32_e32 v3, 0
	s_mov_b32 s11, 0
	s_waitcnt lgkmcnt(0)
	s_mul_i32 s0, s6, s27
	s_mul_hi_u32 s1, s6, s26
	s_mul_i32 s8, s6, s26
	s_add_i32 s9, s1, s0
	s_lshl_b64 s[40:41], s[8:9], 2
	s_add_u32 s18, s24, s40
	s_addc_u32 s19, s25, s41
	s_bfe_u32 s10, s18, 0x20002
	v_cmp_gt_i64_e64 s[0:1], s[26:27], v[2:3]
	s_cmp_lg_u32 s10, 0
	s_cselect_b64 s[2:3], -1, 0
	s_and_b64 vcc, exec, s[0:1]
	s_cbranch_vccz .LBB347_16
; %bb.1:
	v_mov_b32_e32 v1, 0
	s_and_b64 vcc, exec, s[2:3]
	s_cbranch_vccz .LBB347_39
; %bb.2:
	s_lshl_b32 s7, s10, 2
	s_sub_u32 s14, s18, s7
	s_subb_u32 s15, s19, 0
	v_cmp_le_u64_e32 vcc, s[10:11], v[0:1]
	v_mov_b32_e32 v8, v1
	s_and_saveexec_b64 s[12:13], vcc
	s_cbranch_execz .LBB347_4
; %bb.3:
	v_lshlrev_b32_e32 v2, 2, v0
	global_load_dword v2, v2, s[14:15]
	s_waitcnt vmcnt(0)
	v_add_f32_e32 v8, 0, v2
.LBB347_4:
	s_or_b64 exec, exec, s[12:13]
	s_load_dword s7, s[4:5], 0x2c
	s_add_u32 s12, s10, s26
	s_addc_u32 s13, 0, s27
	s_add_u32 s16, s4, 32
	s_addc_u32 s17, s5, 0
	s_waitcnt lgkmcnt(0)
	s_and_b32 s7, s7, 0xffff
	s_sub_u32 s12, s12, s7
	s_subb_u32 s13, s13, 0
	s_lshl_b32 s7, s7, 2
	s_add_u32 s14, s14, s7
	s_addc_u32 s15, s15, 0
	s_branch .LBB347_6
.LBB347_5:
	s_add_u32 s16, s4, 32
	s_addc_u32 s17, s5, 0
	v_mov_b32_e32 v8, 0
	s_mov_b64 s[12:13], s[26:27]
	s_mov_b64 s[14:15], s[18:19]
.LBB347_6:
	s_load_dword s7, s[16:17], 0x0
	v_mov_b32_e32 v2, 0
	s_waitcnt lgkmcnt(0)
	s_cmp_lt_u32 s6, s7
	s_cselect_b32 s7, 12, 18
	s_add_u32 s16, s16, s7
	s_addc_u32 s17, s17, 0
	global_load_ushort v2, v2, s[16:17]
	s_mov_b32 s16, 0
	s_mov_b32 s17, s13
	s_waitcnt vmcnt(0)
	v_readfirstlane_b32 s7, v2
	s_and_b32 s7, 0xffff, s7
	s_lshl_b32 s7, s7, 2
	s_cmp_lg_u64 s[16:17], 0
	v_and_b32_e32 v9, 0xffff, v2
	s_cbranch_scc0 .LBB347_40
; %bb.7:
	v_cvt_f32_u32_e32 v2, s7
	v_mov_b32_e32 v3, 0x4f800000
	s_sub_u32 s28, 0, s7
	s_subb_u32 s29, 0, 0
	v_mac_f32_e32 v2, 0, v3
	v_rcp_f32_e32 v2, v2
	v_mul_f32_e32 v2, 0x5f7ffffc, v2
	v_mul_f32_e32 v3, 0x2f800000, v2
	v_trunc_f32_e32 v3, v3
	v_madmk_f32 v2, v3, 0xcf800000, v2
	v_cvt_u32_f32_e32 v3, v3
	v_cvt_u32_f32_e32 v2, v2
	v_readfirstlane_b32 s30, v3
	v_readfirstlane_b32 s31, v2
	s_mul_i32 s33, s28, s30
	s_mul_hi_u32 s35, s28, s31
	s_mul_i32 s34, s29, s31
	s_add_i32 s33, s35, s33
	s_add_i32 s33, s33, s34
	s_mul_i32 s36, s28, s31
	s_mul_hi_u32 s34, s31, s33
	s_mul_i32 s35, s31, s33
	s_mul_hi_u32 s31, s31, s36
	s_add_u32 s31, s31, s35
	s_addc_u32 s34, 0, s34
	s_mul_hi_u32 s37, s30, s36
	s_mul_i32 s36, s30, s36
	s_add_u32 s31, s31, s36
	s_mul_hi_u32 s35, s30, s33
	s_addc_u32 s31, s34, s37
	s_addc_u32 s34, s35, 0
	s_mul_i32 s33, s30, s33
	s_add_u32 s31, s31, s33
	s_addc_u32 s33, 0, s34
	v_add_co_u32_e32 v2, vcc, s31, v2
	s_cmp_lg_u64 vcc, 0
	s_addc_u32 s30, s30, s33
	v_readfirstlane_b32 s33, v2
	s_mul_i32 s31, s28, s30
	s_mul_hi_u32 s34, s28, s33
	s_add_i32 s31, s34, s31
	s_mul_i32 s29, s29, s33
	s_add_i32 s31, s31, s29
	s_mul_i32 s28, s28, s33
	s_mul_hi_u32 s34, s30, s28
	s_mul_i32 s35, s30, s28
	s_mul_i32 s37, s33, s31
	s_mul_hi_u32 s28, s33, s28
	s_mul_hi_u32 s36, s33, s31
	s_add_u32 s28, s28, s37
	s_addc_u32 s33, 0, s36
	s_add_u32 s28, s28, s35
	s_mul_hi_u32 s29, s30, s31
	s_addc_u32 s28, s33, s34
	s_addc_u32 s29, s29, 0
	s_mul_i32 s31, s30, s31
	s_add_u32 s28, s28, s31
	s_addc_u32 s29, 0, s29
	v_add_co_u32_e32 v2, vcc, s28, v2
	s_cmp_lg_u64 vcc, 0
	s_addc_u32 s28, s30, s29
	v_readfirstlane_b32 s31, v2
	s_mul_i32 s30, s12, s28
	s_mul_hi_u32 s33, s12, s31
	s_mul_hi_u32 s29, s12, s28
	s_add_u32 s30, s33, s30
	s_addc_u32 s29, 0, s29
	s_mul_hi_u32 s34, s13, s31
	s_mul_i32 s31, s13, s31
	s_add_u32 s30, s30, s31
	s_mul_hi_u32 s33, s13, s28
	s_addc_u32 s29, s29, s34
	s_addc_u32 s30, s33, 0
	s_mul_i32 s28, s13, s28
	s_add_u32 s28, s29, s28
	s_addc_u32 s29, 0, s30
	s_mul_hi_u32 s30, s7, s28
	s_mul_i32 s28, s7, s28
	s_mul_i32 s29, s7, s29
	v_mov_b32_e32 v2, s28
	s_add_i32 s30, s30, s29
	v_sub_co_u32_e32 v2, vcc, s12, v2
	s_cmp_lg_u64 vcc, 0
	s_subb_u32 s28, s13, s30
	v_subrev_co_u32_e32 v3, vcc, s7, v2
	s_cmp_lg_u64 vcc, 0
	s_subb_u32 s29, s28, 0
	v_subrev_co_u32_e32 v4, vcc, s7, v3
	s_cmp_lg_u64 vcc, 0
	s_subb_u32 s30, s29, 0
	v_cmp_le_u32_e32 vcc, s7, v3
	s_cmp_eq_u32 s29, 0
	v_cndmask_b32_e64 v5, 0, -1, vcc
	s_cselect_b64 vcc, -1, 0
	v_cndmask_b32_e32 v5, -1, v5, vcc
	v_mov_b32_e32 v6, s29
	v_mov_b32_e32 v7, s30
	v_cmp_ne_u32_e32 vcc, 0, v5
	v_cndmask_b32_e32 v5, v6, v7, vcc
	v_cndmask_b32_e32 v4, v3, v4, vcc
	v_cmp_le_u32_e32 vcc, s7, v2
	s_cmp_eq_u32 s28, 0
	v_cndmask_b32_e64 v3, 0, -1, vcc
	s_cselect_b64 vcc, -1, 0
	v_cndmask_b32_e32 v3, -1, v3, vcc
	v_mov_b32_e32 v6, s28
	v_cmp_ne_u32_e32 vcc, 0, v3
	v_cndmask_b32_e32 v3, v6, v5, vcc
	v_cndmask_b32_e32 v2, v2, v4, vcc
	s_cbranch_execnz .LBB347_9
.LBB347_8:
	v_cvt_f32_u32_e32 v2, s7
	s_sub_i32 s16, 0, s7
	v_rcp_iflag_f32_e32 v2, v2
	v_mul_f32_e32 v2, 0x4f7ffffe, v2
	v_cvt_u32_f32_e32 v2, v2
	v_mul_lo_u32 v3, s16, v2
	v_mul_hi_u32 v3, v2, v3
	v_add_u32_e32 v2, v2, v3
	v_mul_hi_u32 v2, s12, v2
	v_mul_lo_u32 v2, v2, s7
	v_sub_u32_e32 v2, s12, v2
	v_subrev_u32_e32 v3, s7, v2
	v_cmp_le_u32_e32 vcc, s7, v2
	v_cndmask_b32_e32 v2, v2, v3, vcc
	v_subrev_u32_e32 v3, s7, v2
	v_cmp_le_u32_e32 vcc, s7, v2
	v_cndmask_b32_e32 v2, v2, v3, vcc
	v_mov_b32_e32 v3, 0
.LBB347_9:
	v_mov_b32_e32 v4, s13
	v_sub_co_u32_e32 v2, vcc, s12, v2
	v_subb_co_u32_e32 v3, vcc, v4, v3, vcc
	v_lshlrev_b32_e32 v4, 4, v0
	v_mov_b32_e32 v5, s15
	v_add_co_u32_e32 v4, vcc, s14, v4
	v_addc_co_u32_e32 v5, vcc, 0, v5, vcc
	v_add_co_u32_e32 v4, vcc, 8, v4
	v_addc_co_u32_e32 v5, vcc, 0, v5, vcc
	v_lshlrev_b32_e32 v10, 4, v9
	s_mov_b64 s[16:17], 0
	v_pk_mov_b32 v[6:7], v[0:1], v[0:1] op_sel:[0,1]
.LBB347_10:                             ; =>This Inner Loop Header: Depth=1
	global_load_dwordx4 v[12:15], v[4:5], off offset:-8
	v_add_co_u32_e32 v6, vcc, v6, v9
	v_addc_co_u32_e32 v7, vcc, 0, v7, vcc
	v_add_co_u32_e32 v4, vcc, v4, v10
	v_addc_co_u32_e32 v5, vcc, 0, v5, vcc
	v_lshlrev_b64 v[16:17], 2, v[6:7]
	v_cmp_ge_i64_e32 vcc, v[16:17], v[2:3]
	s_or_b64 s[16:17], vcc, s[16:17]
	s_waitcnt vmcnt(0)
	v_add_f32_e32 v1, v8, v12
	v_add_f32_e32 v1, v1, v13
	v_add_f32_e32 v1, v1, v14
	v_add_f32_e32 v8, v1, v15
	s_andn2_b64 exec, exec, s[16:17]
	s_cbranch_execnz .LBB347_10
; %bb.11:
	s_or_b64 exec, exec, s[16:17]
	v_add_co_u32_e32 v2, vcc, v2, v0
	v_addc_co_u32_e32 v3, vcc, 0, v3, vcc
	v_cmp_gt_i64_e32 vcc, s[12:13], v[2:3]
	s_and_saveexec_b64 s[16:17], vcc
	s_cbranch_execz .LBB347_15
; %bb.12:
	s_mov_b64 s[28:29], 0
	v_mov_b32_e32 v1, s15
.LBB347_13:                             ; =>This Inner Loop Header: Depth=1
	v_lshlrev_b64 v[4:5], 2, v[2:3]
	v_add_co_u32_e32 v4, vcc, s14, v4
	v_addc_co_u32_e32 v5, vcc, v1, v5, vcc
	global_load_dword v4, v[4:5], off
	v_add_co_u32_e32 v2, vcc, v2, v9
	v_addc_co_u32_e32 v3, vcc, 0, v3, vcc
	v_cmp_le_i64_e32 vcc, s[12:13], v[2:3]
	s_or_b64 s[28:29], vcc, s[28:29]
	s_waitcnt vmcnt(0)
	v_add_f32_e32 v8, v8, v4
	s_andn2_b64 exec, exec, s[28:29]
	s_cbranch_execnz .LBB347_13
; %bb.14:
	s_or_b64 exec, exec, s[28:29]
.LBB347_15:
	s_or_b64 exec, exec, s[16:17]
	s_branch .LBB347_31
.LBB347_16:
                                        ; kill: def $vgpr1 killed $sgpr0 killed $exec
                                        ; implicit-def: $vgpr8
	s_cbranch_execz .LBB347_31
; %bb.17:
	s_and_b64 vcc, exec, s[2:3]
	s_cbranch_vccz .LBB347_41
; %bb.18:
	s_lshl_b64 s[2:3], s[10:11], 2
	s_sub_u32 s14, s18, s2
	s_subb_u32 s15, s19, s3
	s_add_i32 s7, s10, s26
	v_cmp_le_u32_e32 vcc, s10, v0
	v_cmp_gt_i32_e64 s[2:3], s7, v0
	s_and_b64 s[12:13], vcc, s[2:3]
	v_mov_b32_e32 v8, 0
	s_and_saveexec_b64 s[2:3], s[12:13]
	s_cbranch_execz .LBB347_20
; %bb.19:
	v_lshlrev_b32_e32 v1, 2, v0
	global_load_dword v1, v1, s[14:15]
	s_waitcnt vmcnt(0)
	v_add_f32_e32 v8, 0, v1
.LBB347_20:
	s_or_b64 exec, exec, s[2:3]
	s_load_dword s2, s[4:5], 0x2c
	s_add_u32 s12, s4, 32
	s_addc_u32 s13, s5, 0
	s_waitcnt lgkmcnt(0)
	s_and_b32 s2, s2, 0xffff
	v_mov_b32_e32 v1, s2
	s_lshl_b32 s2, s2, 2
	v_sub_u32_e64 v1, s7, v1 clamp
	s_add_u32 s2, s14, s2
	v_readfirstlane_b32 s7, v1
	s_addc_u32 s3, s15, 0
	s_branch .LBB347_22
.LBB347_21:
	s_add_u32 s12, s4, 32
	s_addc_u32 s13, s5, 0
	v_mov_b32_e32 v8, 0
	s_mov_b32 s7, s26
	s_mov_b64 s[2:3], s[18:19]
.LBB347_22:
	s_load_dword s14, s[12:13], 0x0
	v_mov_b32_e32 v1, 0
	s_waitcnt lgkmcnt(0)
	s_cmp_lt_u32 s6, s14
	s_cselect_b32 s14, 12, 18
	s_add_u32 s12, s12, s14
	s_addc_u32 s13, s13, 0
	global_load_ushort v1, v1, s[12:13]
	s_waitcnt vmcnt(0)
	v_readfirstlane_b32 s12, v1
	s_lshl_b32 s12, s12, 2
	v_cvt_f32_u32_e32 v2, s12
	s_sub_i32 s13, 0, s12
	v_rcp_iflag_f32_e32 v2, v2
	v_mul_f32_e32 v2, 0x4f7ffffe, v2
	v_cvt_u32_f32_e32 v2, v2
	v_readfirstlane_b32 s14, v2
	s_mul_i32 s13, s13, s14
	s_mul_hi_u32 s13, s14, s13
	s_add_i32 s14, s14, s13
	s_mul_hi_u32 s13, s7, s14
	s_mul_i32 s13, s13, s12
	s_sub_i32 s13, s7, s13
	s_sub_i32 s14, s13, s12
	s_cmp_ge_u32 s13, s12
	s_cselect_b32 s13, s14, s13
	s_sub_i32 s14, s13, s12
	s_cmp_ge_u32 s13, s12
	s_cselect_b32 s12, s14, s13
	s_sub_i32 s16, s7, s12
	v_lshlrev_b32_e32 v2, 2, v0
	v_cmp_gt_i32_e32 vcc, s16, v2
	s_and_saveexec_b64 s[12:13], vcc
	s_cbranch_execz .LBB347_26
; %bb.23:
	s_mov_b64 s[14:15], 0
	v_mov_b32_e32 v4, s3
	v_mov_b32_e32 v2, v0
.LBB347_24:                             ; =>This Inner Loop Header: Depth=1
	v_ashrrev_i32_e32 v3, 31, v2
	v_lshlrev_b64 v[6:7], 4, v[2:3]
	v_add_co_u32_e32 v6, vcc, s2, v6
	v_addc_co_u32_e32 v7, vcc, v4, v7, vcc
	global_load_dwordx4 v[10:13], v[6:7], off
	v_add_u32_e32 v2, v2, v1
	v_lshlrev_b32_e32 v3, 2, v2
	v_cmp_le_i32_e32 vcc, s16, v3
	s_or_b64 s[14:15], vcc, s[14:15]
	s_waitcnt vmcnt(0)
	v_add_f32_e32 v3, v8, v10
	v_add_f32_e32 v3, v3, v11
	v_add_f32_e32 v3, v3, v12
	v_add_f32_e32 v8, v3, v13
	s_andn2_b64 exec, exec, s[14:15]
	s_cbranch_execnz .LBB347_24
; %bb.25:
	s_or_b64 exec, exec, s[14:15]
.LBB347_26:
	s_or_b64 exec, exec, s[12:13]
	v_add_u32_e32 v2, s16, v0
	v_cmp_gt_i32_e32 vcc, s7, v2
	s_and_saveexec_b64 s[12:13], vcc
	s_cbranch_execz .LBB347_30
; %bb.27:
	s_mov_b64 s[14:15], 0
	v_mov_b32_e32 v4, s3
.LBB347_28:                             ; =>This Inner Loop Header: Depth=1
	v_ashrrev_i32_e32 v3, 31, v2
	v_lshlrev_b64 v[6:7], 2, v[2:3]
	v_add_co_u32_e32 v6, vcc, s2, v6
	v_addc_co_u32_e32 v7, vcc, v4, v7, vcc
	global_load_dword v3, v[6:7], off
	v_add_u32_e32 v2, v2, v1
	v_cmp_le_i32_e32 vcc, s7, v2
	s_or_b64 s[14:15], vcc, s[14:15]
	s_waitcnt vmcnt(0)
	v_add_f32_e32 v8, v8, v3
	s_andn2_b64 exec, exec, s[14:15]
	s_cbranch_execnz .LBB347_28
; %bb.29:
	s_or_b64 exec, exec, s[14:15]
.LBB347_30:
	s_or_b64 exec, exec, s[12:13]
.LBB347_31:
	v_lshl_add_u32 v1, v0, 2, 0
	s_barrier
	ds_write_b32 v1, v8
	s_waitcnt lgkmcnt(0)
	s_barrier
	s_load_dword s7, s[4:5], 0x2c
	s_add_u32 s28, s4, 32
	s_addc_u32 s29, s5, 0
	s_waitcnt lgkmcnt(0)
	s_bfe_u32 s4, s7, 0xa0006
	s_min_u32 s2, s4, 64
	v_cmp_gt_u32_e32 vcc, s2, v0
	s_and_saveexec_b64 s[2:3], vcc
	s_cbranch_execz .LBB347_33
; %bb.32:
	s_movk_i32 s5, 0xfc
	v_mad_u32_u24 v10, v0, s5, v1
	ds_read2_b32 v[2:3], v10 offset1:1
	ds_read2_b32 v[4:5], v10 offset0:2 offset1:3
	ds_read2_b32 v[6:7], v10 offset0:4 offset1:5
	ds_read2_b32 v[8:9], v10 offset0:6 offset1:7
	s_waitcnt lgkmcnt(3)
	v_add_f32_e32 v2, 0, v2
	v_add_f32_e32 v2, v2, v3
	s_waitcnt lgkmcnt(2)
	v_add_f32_e32 v2, v2, v4
	v_add_f32_e32 v2, v2, v5
	s_waitcnt lgkmcnt(1)
	v_add_f32_e32 v2, v2, v6
	v_add_f32_e32 v2, v2, v7
	s_waitcnt lgkmcnt(0)
	v_add_f32_e32 v4, v2, v8
	ds_read2_b32 v[2:3], v10 offset0:8 offset1:9
	v_add_f32_e32 v11, v4, v9
	ds_read2_b32 v[4:5], v10 offset0:10 offset1:11
	ds_read2_b32 v[6:7], v10 offset0:12 offset1:13
	ds_read2_b32 v[8:9], v10 offset0:14 offset1:15
	s_waitcnt lgkmcnt(3)
	v_add_f32_e32 v2, v11, v2
	v_add_f32_e32 v2, v2, v3
	s_waitcnt lgkmcnt(2)
	v_add_f32_e32 v2, v2, v4
	v_add_f32_e32 v2, v2, v5
	s_waitcnt lgkmcnt(1)
	v_add_f32_e32 v2, v2, v6
	v_add_f32_e32 v2, v2, v7
	s_waitcnt lgkmcnt(0)
	v_add_f32_e32 v4, v2, v8
	ds_read2_b32 v[2:3], v10 offset0:16 offset1:17
	v_add_f32_e32 v11, v4, v9
	;; [unrolled: 16-line block ×7, first 2 shown]
	ds_read2_b32 v[4:5], v10 offset0:58 offset1:59
	ds_read2_b32 v[6:7], v10 offset0:60 offset1:61
	;; [unrolled: 1-line block ×3, first 2 shown]
	s_waitcnt lgkmcnt(3)
	v_add_f32_e32 v2, v11, v2
	v_add_f32_e32 v2, v2, v3
	s_waitcnt lgkmcnt(2)
	v_add_f32_e32 v2, v2, v4
	v_add_f32_e32 v2, v2, v5
	;; [unrolled: 3-line block ×4, first 2 shown]
	ds_write_b32 v1, v2
.LBB347_33:
	s_or_b64 exec, exec, s[2:3]
	s_and_b32 s36, s7, 0xffff
	v_cmp_eq_u32_e32 vcc, 0, v0
	s_waitcnt lgkmcnt(0)
	s_barrier
	s_and_saveexec_b64 s[2:3], vcc
	s_cbranch_execz .LBB347_46
; %bb.34:
	s_cmp_lt_u32 s36, 64
	v_mov_b32_e32 v1, 0
	s_cbranch_scc1 .LBB347_45
; %bb.35:
	s_add_i32 s5, s4, -1
	s_cmp_lt_u32 s5, 7
	s_cbranch_scc1 .LBB347_42
; %bb.36:
	s_and_b32 s5, s4, 0x3f8
	s_mov_b32 s7, 0
	s_mov_b32 s12, 0
	v_mov_b32_e32 v1, 0
.LBB347_37:                             ; =>This Inner Loop Header: Depth=1
	v_mov_b32_e32 v8, s12
	ds_read2_b32 v[2:3], v8 offset1:1
	ds_read2_b32 v[4:5], v8 offset0:2 offset1:3
	ds_read2_b32 v[6:7], v8 offset0:4 offset1:5
	;; [unrolled: 1-line block ×3, first 2 shown]
	s_add_i32 s7, s7, 8
	s_waitcnt lgkmcnt(3)
	v_add_f32_e32 v1, v1, v2
	v_add_f32_e32 v1, v1, v3
	s_waitcnt lgkmcnt(2)
	v_add_f32_e32 v1, v1, v4
	v_add_f32_e32 v1, v1, v5
	;; [unrolled: 3-line block ×3, first 2 shown]
	s_add_i32 s12, s12, 32
	s_waitcnt lgkmcnt(0)
	v_add_f32_e32 v1, v1, v8
	s_cmp_eq_u32 s5, s7
	v_add_f32_e32 v1, v1, v9
	s_cbranch_scc0 .LBB347_37
; %bb.38:
	s_and_b32 s4, s4, 7
	s_cmp_eq_u32 s4, 0
	s_cbranch_scc0 .LBB347_43
	s_branch .LBB347_45
.LBB347_39:
                                        ; implicit-def: $sgpr14_sgpr15
                                        ; implicit-def: $sgpr12_sgpr13
                                        ; implicit-def: $vgpr8
                                        ; implicit-def: $sgpr16_sgpr17
	s_cbranch_execnz .LBB347_5
	s_branch .LBB347_6
.LBB347_40:
                                        ; implicit-def: $vgpr2_vgpr3
	s_branch .LBB347_8
.LBB347_41:
                                        ; kill: def $vgpr1 killed $sgpr0 killed $exec
                                        ; implicit-def: $sgpr2_sgpr3
                                        ; implicit-def: $sgpr7
                                        ; implicit-def: $vgpr8
                                        ; implicit-def: $sgpr12_sgpr13
	s_cbranch_execnz .LBB347_21
	s_branch .LBB347_22
.LBB347_42:
	s_mov_b32 s5, 0
	v_mov_b32_e32 v1, 0
	s_and_b32 s4, s4, 7
	s_cmp_eq_u32 s4, 0
	s_cbranch_scc1 .LBB347_45
.LBB347_43:
	s_lshl_b32 s5, s5, 2
	s_add_i32 s5, s5, 0
.LBB347_44:                             ; =>This Inner Loop Header: Depth=1
	v_mov_b32_e32 v2, s5
	ds_read_b32 v2, v2
	s_add_i32 s5, s5, 4
	s_add_i32 s4, s4, -1
	s_cmp_lg_u32 s4, 0
	s_waitcnt lgkmcnt(0)
	v_add_f32_e32 v1, v1, v2
	s_cbranch_scc1 .LBB347_44
.LBB347_45:
	v_mov_b32_e32 v2, 0
	ds_write_b32 v2, v1
.LBB347_46:
	s_or_b64 exec, exec, s[2:3]
	s_lshl_b64 s[44:45], s[8:9], 1
	s_add_u32 s30, s20, s44
	s_addc_u32 s31, s21, s45
	s_add_u32 s34, s22, s40
	s_mov_b32 s39, 0
	s_addc_u32 s35, s23, s41
	s_bfe_u32 s38, s30, 0x30001
	s_bfe_u32 s2, s34, 0x20002
	s_mov_b32 s3, s39
	v_mov_b32_e32 v1, 0
	s_waitcnt lgkmcnt(0)
	s_barrier
	ds_read_b32 v10, v1
	s_cmp_eq_u64 s[38:39], s[2:3]
	s_cselect_b64 s[2:3], -1, 0
	s_cmp_eq_u64 s[38:39], s[10:11]
	s_cselect_b64 s[4:5], -1, 0
	s_and_b64 s[2:3], s[2:3], s[4:5]
	s_andn2_b64 vcc, exec, s[2:3]
	s_mov_b64 s[2:3], -1
	s_cbranch_vccz .LBB347_76
; %bb.47:
	s_and_b64 vcc, exec, s[0:1]
	s_cbranch_vccz .LBB347_67
; %bb.48:
	s_lshl_b32 s7, s36, 2
	v_cvt_f32_u32_e32 v1, s7
	s_sub_i32 s3, 0, s7
	s_mov_b32 s2, 0
	v_rcp_iflag_f32_e32 v1, v1
	v_mul_f32_e32 v1, 0x4f7ffffe, v1
	v_cvt_u32_f32_e32 v2, v1
	v_mov_b32_e32 v1, 0
	v_readfirstlane_b32 s4, v2
	s_mul_i32 s3, s3, s4
	s_mul_hi_u32 s3, s4, s3
	s_add_i32 s4, s4, s3
	s_mul_hi_u32 s3, s26, s4
	s_mul_i32 s3, s3, s7
	s_sub_i32 s3, s26, s3
	s_sub_i32 s4, s3, s7
	s_cmp_ge_u32 s3, s7
	s_cselect_b32 s3, s4, s3
	s_sub_i32 s4, s3, s7
	s_cmp_ge_u32 s3, s7
	s_cselect_b32 s3, s4, s3
	s_bfe_i64 s[42:43], s[26:27], 0x200000
	s_sub_u32 s46, s42, s3
	s_subb_u32 s47, s43, 0
	v_cmp_gt_i64_e32 vcc, s[46:47], v[0:1]
	v_pk_mov_b32 v[2:3], v[0:1], v[0:1] op_sel:[0,1]
	s_and_saveexec_b64 s[48:49], vcc
	s_cbranch_execz .LBB347_52
; %bb.49:
	s_lshl_b32 s33, s36, 1
	s_lshl_b32 s37, s36, 4
	s_lshl_b64 s[4:5], s[8:9], 2
	s_add_u32 s10, s4, s7
	s_addc_u32 s11, s5, 0
	s_add_u32 s56, s22, s10
	s_addc_u32 s57, s23, s11
	s_lshl_b32 s58, s36, 3
	s_add_u32 s13, s4, s58
	s_addc_u32 s14, s5, 0
	s_add_u32 s59, s22, s13
	s_addc_u32 s60, s23, s14
	s_mul_i32 s15, s36, 12
	s_add_u32 s4, s4, s15
	s_addc_u32 s5, s5, 0
	s_add_u32 s61, s22, s4
	s_addc_u32 s62, s23, s5
	;; [unrolled: 2-line block ×5, first 2 shown]
	s_lshl_b64 s[4:5], s[8:9], 1
	s_add_u32 s4, s20, s4
	v_lshlrev_b64 v[2:3], 1, v[0:1]
	s_addc_u32 s5, s21, s5
	v_mov_b32_e32 v7, s5
	v_add_co_u32_e32 v6, vcc, s4, v2
	v_lshlrev_b64 v[4:5], 2, v[0:1]
	v_addc_co_u32_e32 v7, vcc, v7, v3, vcc
	s_mul_i32 s69, s36, 6
	s_mov_b64 s[50:51], 0
	s_mov_b32 s70, 0x3fb8aa3b
	s_mov_b32 s71, 0xc2ce8ed0
	;; [unrolled: 1-line block ×3, first 2 shown]
	v_mov_b32_e32 v11, 0x7f800000
	s_movk_i32 s73, 0x7fff
	v_mov_b32_e32 v30, 0x7fc0
	v_mov_b32_e32 v31, s2
	;; [unrolled: 1-line block ×5, first 2 shown]
	s_mov_b64 s[52:53], s[18:19]
	s_mov_b64 s[54:55], s[34:35]
	v_pk_mov_b32 v[2:3], v[0:1], v[0:1] op_sel:[0,1]
.LBB347_50:                             ; =>This Inner Loop Header: Depth=1
	v_add_co_u32_e64 v8, s[16:17], s33, v6
	v_addc_co_u32_e64 v9, s[16:17], v7, v31, s[16:17]
	v_add_co_u32_e64 v18, s[16:17], s7, v6
	v_addc_co_u32_e64 v19, s[16:17], v7, v32, s[16:17]
	;; [unrolled: 2-line block ×4, first 2 shown]
	v_mov_b32_e32 v1, s55
	v_mov_b32_e32 v13, s53
	v_add_co_u32_e32 v12, vcc, s52, v4
	v_mov_b32_e32 v15, s57
	v_add_co_u32_e64 v14, s[2:3], s56, v4
	v_mov_b32_e32 v17, s64
	v_add_co_u32_e64 v16, s[4:5], s63, v4
	v_add_co_u32_e64 v36, s[16:17], s54, v4
	v_mov_b32_e32 v21, s60
	v_add_co_u32_e64 v20, s[14:15], s59, v4
	v_mov_b32_e32 v23, s66
	;; [unrolled: 2-line block ×4, first 2 shown]
	v_add_co_u32_e64 v26, s[12:13], s67, v4
	v_addc_co_u32_e64 v37, s[16:17], v1, v5, s[16:17]
	v_addc_co_u32_e32 v13, vcc, v13, v5, vcc
	v_addc_co_u32_e64 v15, vcc, v15, v5, s[2:3]
	v_addc_co_u32_e64 v17, vcc, v17, v5, s[4:5]
	;; [unrolled: 1-line block ×6, first 2 shown]
	global_load_dword v1, v[36:37], off
	s_nop 0
	global_load_dword v14, v[14:15], off
	s_nop 0
	;; [unrolled: 2-line block ×6, first 2 shown]
	global_load_dword v16, v[22:23], off
	global_load_dword v17, v[26:27], off
	s_add_u32 s54, s54, s37
	s_addc_u32 s55, s55, 0
	s_add_u32 s56, s56, s37
	s_addc_u32 s57, s57, 0
	s_add_u32 s59, s59, s37
	s_addc_u32 s60, s60, 0
	s_add_u32 s61, s61, s37
	s_addc_u32 s62, s62, 0
	s_add_u32 s52, s52, s37
	s_addc_u32 s53, s53, 0
	s_add_u32 s63, s63, s37
	s_addc_u32 s64, s64, 0
	s_add_u32 s65, s65, s37
	s_addc_u32 s66, s66, 0
	s_add_u32 s67, s67, s37
	v_cmp_le_i64_e32 vcc, s[46:47], v[2:3]
	s_addc_u32 s68, s68, 0
	s_or_b64 s[50:51], vcc, s[50:51]
	s_waitcnt vmcnt(7)
	v_mul_f32_e32 v21, 0x3fb8aa3b, v1
	s_waitcnt vmcnt(6)
	v_mul_f32_e32 v22, 0x3fb8aa3b, v14
	s_waitcnt vmcnt(5)
	v_mul_f32_e32 v23, 0x3fb8aa3b, v15
	s_waitcnt vmcnt(4)
	v_mul_f32_e32 v24, 0x3fb8aa3b, v20
	v_fma_f32 v25, v1, s70, -v21
	v_rndne_f32_e32 v26, v21
	v_fma_f32 v27, v14, s70, -v22
	v_rndne_f32_e32 v35, v22
	;; [unrolled: 2-line block ×4, first 2 shown]
	v_fmac_f32_e32 v25, 0x32a5705f, v1
	v_sub_f32_e32 v21, v21, v26
	v_fmac_f32_e32 v27, 0x32a5705f, v14
	v_sub_f32_e32 v22, v22, v35
	;; [unrolled: 2-line block ×4, first 2 shown]
	v_add_f32_e32 v21, v21, v25
	v_cvt_i32_f32_e32 v26, v26
	v_add_f32_e32 v22, v22, v27
	v_add_f32_e32 v23, v23, v36
	;; [unrolled: 1-line block ×3, first 2 shown]
	v_exp_f32_e32 v21, v21
	v_cvt_i32_f32_e32 v35, v35
	v_cvt_i32_f32_e32 v37, v37
	;; [unrolled: 1-line block ×3, first 2 shown]
	v_exp_f32_e32 v22, v22
	v_exp_f32_e32 v23, v23
	;; [unrolled: 1-line block ×3, first 2 shown]
	v_ldexp_f32 v21, v21, v26
	v_cmp_ngt_f32_e64 s[8:9], s71, v1
	v_ldexp_f32 v22, v22, v35
	v_cmp_ngt_f32_e32 vcc, s71, v14
	v_ldexp_f32 v23, v23, v37
	v_cmp_ngt_f32_e64 s[2:3], s71, v15
	v_ldexp_f32 v24, v24, v39
	v_cmp_ngt_f32_e64 s[4:5], s71, v20
	v_cndmask_b32_e64 v21, 0, v21, s[8:9]
	v_cmp_nlt_f32_e64 s[8:9], s72, v1
	v_cndmask_b32_e32 v22, 0, v22, vcc
	v_cmp_nlt_f32_e32 vcc, s72, v14
	v_cndmask_b32_e64 v14, 0, v23, s[2:3]
	v_cmp_nlt_f32_e64 s[2:3], s72, v15
	v_cndmask_b32_e64 v15, 0, v24, s[4:5]
	v_cmp_nlt_f32_e64 s[4:5], s72, v20
	v_cndmask_b32_e64 v1, v11, v21, s[8:9]
	v_cndmask_b32_e32 v20, v11, v22, vcc
	v_cndmask_b32_e64 v14, v11, v14, s[2:3]
	v_cndmask_b32_e64 v15, v11, v15, s[4:5]
	s_waitcnt vmcnt(3) lgkmcnt(0)
	v_fma_f32 v1, -v10, v1, v12
	s_waitcnt vmcnt(2)
	v_fma_f32 v12, -v10, v20, v13
	s_waitcnt vmcnt(1)
	v_fma_f32 v13, -v10, v14, v16
	s_waitcnt vmcnt(0)
	v_fma_f32 v14, -v10, v15, v17
	v_bfe_u32 v15, v1, 16, 1
	v_bfe_u32 v16, v12, 16, 1
	;; [unrolled: 1-line block ×4, first 2 shown]
	v_add3_u32 v15, v1, v15, s73
	v_add3_u32 v16, v12, v16, s73
	;; [unrolled: 1-line block ×4, first 2 shown]
	v_lshrrev_b32_e32 v15, 16, v15
	v_cmp_o_f32_e64 s[8:9], v1, v1
	v_lshrrev_b32_e32 v16, 16, v16
	v_cmp_o_f32_e32 vcc, v12, v12
	v_lshrrev_b32_e32 v12, 16, v17
	v_cmp_o_f32_e64 s[2:3], v13, v13
	v_lshrrev_b32_e32 v13, 16, v20
	v_cmp_o_f32_e64 s[4:5], v14, v14
	v_cndmask_b32_e64 v1, v30, v15, s[8:9]
	v_cndmask_b32_e32 v14, v30, v16, vcc
	v_cndmask_b32_e64 v12, v30, v12, s[2:3]
	v_cndmask_b32_e64 v13, v30, v13, s[4:5]
	global_store_short v[6:7], v1, off
	global_store_short v[8:9], v14, off
	;; [unrolled: 1-line block ×4, first 2 shown]
	v_add_co_u32_e32 v6, vcc, s58, v6
	v_addc_co_u32_e32 v7, vcc, v7, v34, vcc
	s_andn2_b64 exec, exec, s[50:51]
	s_cbranch_execnz .LBB347_50
; %bb.51:
	s_or_b64 exec, exec, s[50:51]
.LBB347_52:
	s_or_b64 exec, exec, s[48:49]
	v_cmp_gt_i64_e32 vcc, s[42:43], v[2:3]
	s_and_saveexec_b64 s[4:5], vcc
	s_cbranch_execz .LBB347_66
; %bb.53:
	v_add_co_u32_e32 v6, vcc, s36, v2
	v_addc_co_u32_e32 v7, vcc, 0, v3, vcc
	v_mov_b32_e32 v1, s43
	v_cmp_lt_i64_e32 vcc, s[42:43], v[6:7]
	v_cndmask_b32_e32 v5, v1, v7, vcc
	v_mov_b32_e32 v1, s42
	v_cndmask_b32_e32 v1, v1, v6, vcc
	v_cmp_gt_i64_e32 vcc, s[42:43], v[6:7]
	v_cndmask_b32_e64 v4, 0, 1, vcc
	v_add_co_u32_e32 v6, vcc, v6, v4
	v_addc_co_u32_e32 v7, vcc, 0, v7, vcc
	v_sub_co_u32_e32 v1, vcc, v1, v6
	v_subb_co_u32_e32 v7, vcc, v5, v7, vcc
	v_mov_b32_e32 v6, 0
	s_mov_b32 s7, 0
	v_cmp_ne_u64_e32 vcc, 0, v[6:7]
                                        ; implicit-def: $vgpr8_vgpr9
	s_and_saveexec_b64 s[2:3], vcc
	s_xor_b64 s[8:9], exec, s[2:3]
	s_cbranch_execz .LBB347_55
; %bb.54:
	v_cvt_f32_u32_e32 v5, s36
	v_mov_b32_e32 v6, 0x4f800000
	s_sub_u32 s2, 0, s36
	s_subb_u32 s3, 0, 0
	v_mac_f32_e32 v5, 0, v6
	v_rcp_f32_e32 v5, v5
	v_mul_f32_e32 v5, 0x5f7ffffc, v5
	v_mul_f32_e32 v6, 0x2f800000, v5
	v_trunc_f32_e32 v6, v6
	v_madmk_f32 v5, v6, 0xcf800000, v5
	v_cvt_u32_f32_e32 v6, v6
	v_cvt_u32_f32_e32 v5, v5
	v_mul_lo_u32 v8, s2, v6
	v_mul_hi_u32 v11, s2, v5
	v_mul_lo_u32 v9, s3, v5
	v_add_u32_e32 v8, v11, v8
	v_mul_lo_u32 v12, s2, v5
	v_add_u32_e32 v8, v8, v9
	v_mul_hi_u32 v11, v5, v12
	v_mul_lo_u32 v13, v5, v8
	v_mul_hi_u32 v9, v5, v8
	v_add_co_u32_e32 v11, vcc, v11, v13
	v_addc_co_u32_e32 v9, vcc, 0, v9, vcc
	v_mul_hi_u32 v14, v6, v12
	v_mul_lo_u32 v12, v6, v12
	v_add_co_u32_e32 v11, vcc, v11, v12
	v_mul_hi_u32 v13, v6, v8
	v_addc_co_u32_e32 v9, vcc, v9, v14, vcc
	v_addc_co_u32_e32 v11, vcc, 0, v13, vcc
	v_mul_lo_u32 v8, v6, v8
	v_add_co_u32_e32 v8, vcc, v9, v8
	v_addc_co_u32_e32 v9, vcc, 0, v11, vcc
	v_add_co_u32_e32 v5, vcc, v5, v8
	v_addc_co_u32_e32 v6, vcc, v6, v9, vcc
	v_mul_lo_u32 v8, s2, v6
	v_mul_hi_u32 v9, s2, v5
	v_add_u32_e32 v8, v9, v8
	v_mul_lo_u32 v9, s3, v5
	v_add_u32_e32 v8, v8, v9
	v_mul_lo_u32 v11, s2, v5
	v_mul_hi_u32 v12, v6, v11
	v_mul_lo_u32 v13, v6, v11
	v_mul_lo_u32 v15, v5, v8
	v_mul_hi_u32 v11, v5, v11
	v_mul_hi_u32 v14, v5, v8
	v_add_co_u32_e32 v11, vcc, v11, v15
	v_addc_co_u32_e32 v14, vcc, 0, v14, vcc
	v_add_co_u32_e32 v11, vcc, v11, v13
	v_mul_hi_u32 v9, v6, v8
	v_addc_co_u32_e32 v11, vcc, v14, v12, vcc
	v_addc_co_u32_e32 v9, vcc, 0, v9, vcc
	v_mul_lo_u32 v8, v6, v8
	v_add_co_u32_e32 v8, vcc, v11, v8
	v_addc_co_u32_e32 v9, vcc, 0, v9, vcc
	v_add_co_u32_e32 v5, vcc, v5, v8
	v_addc_co_u32_e32 v6, vcc, v6, v9, vcc
	v_mad_u64_u32 v[8:9], s[2:3], v1, v6, 0
	v_mul_hi_u32 v11, v1, v5
	v_add_co_u32_e32 v11, vcc, v11, v8
	v_addc_co_u32_e32 v14, vcc, 0, v9, vcc
	v_mad_u64_u32 v[12:13], s[2:3], v7, v5, 0
	v_add_co_u32_e32 v5, vcc, v11, v12
	v_mad_u64_u32 v[8:9], s[2:3], v7, v6, 0
	v_addc_co_u32_e32 v5, vcc, v14, v13, vcc
	v_addc_co_u32_e32 v6, vcc, 0, v9, vcc
	v_add_co_u32_e32 v5, vcc, v5, v8
	v_mad_u64_u32 v[8:9], s[2:3], s36, v5, 0
	v_addc_co_u32_e32 v11, vcc, 0, v6, vcc
	v_mov_b32_e32 v6, v9
	v_mad_u64_u32 v[12:13], s[2:3], s36, v11, v[6:7]
	v_sub_co_u32_e32 v1, vcc, v1, v8
	v_subb_co_u32_e32 v6, vcc, v7, v12, vcc
	v_subrev_co_u32_e32 v7, vcc, s36, v1
	v_subbrev_co_u32_e32 v8, vcc, 0, v6, vcc
	v_cmp_le_u32_e32 vcc, s36, v7
	v_cndmask_b32_e64 v7, 0, -1, vcc
	v_cmp_eq_u32_e32 vcc, 0, v8
	v_cndmask_b32_e32 v7, -1, v7, vcc
	v_add_co_u32_e32 v8, vcc, 2, v5
	v_addc_co_u32_e32 v9, vcc, 0, v11, vcc
	v_add_co_u32_e32 v12, vcc, 1, v5
	v_cmp_le_u32_e64 s[2:3], s36, v1
	v_addc_co_u32_e32 v13, vcc, 0, v11, vcc
	v_cndmask_b32_e64 v1, 0, -1, s[2:3]
	v_cmp_eq_u32_e64 s[2:3], 0, v6
	v_cmp_ne_u32_e32 vcc, 0, v7
	v_cndmask_b32_e64 v1, -1, v1, s[2:3]
	v_cndmask_b32_e32 v7, v13, v9, vcc
	v_cmp_ne_u32_e64 s[2:3], 0, v1
	v_cndmask_b32_e32 v1, v12, v8, vcc
	v_cndmask_b32_e64 v9, v11, v7, s[2:3]
	v_cndmask_b32_e64 v8, v5, v1, s[2:3]
                                        ; implicit-def: $vgpr1
.LBB347_55:
	s_andn2_saveexec_b64 s[2:3], s[8:9]
	s_cbranch_execz .LBB347_57
; %bb.56:
	v_cvt_f32_u32_e32 v5, s36
	s_sub_i32 s8, 0, s36
	v_mov_b32_e32 v9, 0
	v_rcp_iflag_f32_e32 v5, v5
	v_mul_f32_e32 v5, 0x4f7ffffe, v5
	v_cvt_u32_f32_e32 v5, v5
	v_mul_lo_u32 v6, s8, v5
	v_mul_hi_u32 v6, v5, v6
	v_add_u32_e32 v5, v5, v6
	v_mul_hi_u32 v5, v1, v5
	v_mul_lo_u32 v6, v5, s36
	v_sub_u32_e32 v1, v1, v6
	v_add_u32_e32 v7, 1, v5
	v_subrev_u32_e32 v6, s36, v1
	v_cmp_le_u32_e32 vcc, s36, v1
	v_cndmask_b32_e32 v1, v1, v6, vcc
	v_cndmask_b32_e32 v5, v5, v7, vcc
	v_add_u32_e32 v6, 1, v5
	v_cmp_le_u32_e32 vcc, s36, v1
	v_cndmask_b32_e32 v8, v5, v6, vcc
.LBB347_57:
	s_or_b64 exec, exec, s[2:3]
	v_add_co_u32_e32 v1, vcc, v8, v4
	v_addc_co_u32_e32 v5, vcc, 0, v9, vcc
	v_add_co_u32_e32 v4, vcc, 1, v1
	v_addc_co_u32_e32 v5, vcc, 0, v5, vcc
	s_cmp_lg_u32 s36, 1
	v_cmp_gt_u64_e32 vcc, 2, v[4:5]
	s_cselect_b64 s[2:3], -1, 0
                                        ; kill: def $vgpr6_vgpr7 killed $sgpr0_sgpr1 killed $exec
	s_or_b64 s[10:11], vcc, s[2:3]
	s_mov_b64 s[8:9], 0
	v_mov_b32_e32 v7, v5
                                        ; implicit-def: $sgpr2_sgpr3
	s_and_saveexec_b64 s[12:13], s[10:11]
	s_xor_b64 s[10:11], exec, s[12:13]
; %bb.58:
	s_mov_b64 s[8:9], exec
	s_lshl_b32 s2, s36, 2
	s_mov_b32 s3, 0
                                        ; implicit-def: $vgpr4_vgpr5
                                        ; implicit-def: $vgpr7
; %bb.59:
	s_or_saveexec_b64 s[10:11], s[10:11]
	v_pk_mov_b32 v[12:13], s[40:41], s[40:41] op_sel:[0,1]
	v_pk_mov_b32 v[8:9], s[2:3], s[2:3] op_sel:[0,1]
	;; [unrolled: 1-line block ×3, first 2 shown]
	s_xor_b64 exec, exec, s[10:11]
	s_cbranch_execz .LBB347_63
; %bb.60:
	v_lshlrev_b64 v[8:9], 2, v[2:3]
	s_lshl_b32 s16, s36, 3
	v_mov_b32_e32 v1, s41
	v_add_co_u32_e32 v8, vcc, s40, v8
	s_add_u32 s3, s20, s44
	v_addc_co_u32_e32 v1, vcc, v1, v9, vcc
	v_lshlrev_b64 v[12:13], 1, v[2:3]
	s_addc_u32 s12, s21, s45
	v_and_b32_e32 v6, -2, v4
	s_mov_b32 s2, 0
	v_mov_b32_e32 v9, s12
	v_add_co_u32_e32 v12, vcc, s3, v12
	s_waitcnt lgkmcnt(0)
	v_mov_b32_e32 v11, v10
	v_addc_co_u32_e32 v13, vcc, v9, v13, vcc
	s_lshl_b32 s12, s36, 2
	s_mov_b32 s13, s2
	s_mov_b64 s[14:15], 0
	v_mov_b32_e32 v9, s25
	v_mov_b32_e32 v16, s23
	s_mov_b32 s17, 0x3fb8aa3b
	s_mov_b32 s33, 0xc2ce8ed0
	;; [unrolled: 1-line block ×3, first 2 shown]
	v_mov_b32_e32 v17, 0x7f800000
	s_movk_i32 s46, 0x7fff
	v_mov_b32_e32 v18, 0x7fc0
	s_mov_b32 s47, 0x5040100
	v_mov_b32_e32 v19, s2
	v_mov_b32_e32 v20, s2
	v_pk_mov_b32 v[14:15], v[6:7], v[6:7] op_sel:[0,1]
.LBB347_61:                             ; =>This Inner Loop Header: Depth=1
	v_add_co_u32_e32 v22, vcc, s24, v8
	v_addc_co_u32_e32 v23, vcc, v9, v1, vcc
	v_add_co_u32_e32 v24, vcc, s22, v8
	v_addc_co_u32_e32 v25, vcc, v16, v1, vcc
	global_load_dwordx2 v[26:27], v[24:25], off
	global_load_dwordx2 v[28:29], v[22:23], off
	v_add_co_u32_e32 v14, vcc, -2, v14
	v_addc_co_u32_e32 v15, vcc, -1, v15, vcc
	v_add_co_u32_e32 v8, vcc, s16, v8
	v_addc_co_u32_e32 v1, vcc, v1, v19, vcc
	v_cmp_eq_u64_e32 vcc, 0, v[14:15]
	s_or_b64 s[14:15], vcc, s[14:15]
	s_waitcnt vmcnt(1)
	v_mul_f32_e32 v21, 0x3fb8aa3b, v27
	v_mul_f32_e32 v22, 0x3fb8aa3b, v26
	v_fma_f32 v23, v27, s17, -v21
	v_rndne_f32_e32 v24, v21
	v_fma_f32 v25, v26, s17, -v22
	v_rndne_f32_e32 v30, v22
	v_fmac_f32_e32 v23, 0x32a5705f, v27
	v_sub_f32_e32 v21, v21, v24
	v_fmac_f32_e32 v25, 0x32a5705f, v26
	v_sub_f32_e32 v22, v22, v30
	v_add_f32_e32 v21, v21, v23
	v_add_f32_e32 v22, v22, v25
	v_cvt_i32_f32_e32 v24, v24
	v_cvt_i32_f32_e32 v30, v30
	v_exp_f32_e32 v21, v21
	v_exp_f32_e32 v22, v22
	v_cmp_ngt_f32_e32 vcc, s33, v26
	v_cmp_ngt_f32_e64 s[2:3], s33, v27
	v_ldexp_f32 v21, v21, v24
	v_ldexp_f32 v22, v22, v30
	v_cndmask_b32_e64 v21, 0, v21, s[2:3]
	v_cndmask_b32_e32 v22, 0, v22, vcc
	v_cmp_nlt_f32_e32 vcc, s37, v26
	v_cmp_nlt_f32_e64 s[2:3], s37, v27
	v_cndmask_b32_e64 v23, v17, v21, s[2:3]
	v_cndmask_b32_e32 v22, v17, v22, vcc
	s_waitcnt vmcnt(0)
	v_pk_fma_f32 v[22:23], v[10:11], v[22:23], v[28:29] neg_lo:[1,0,0] neg_hi:[1,0,0]
	v_bfe_u32 v21, v22, 16, 1
	v_bfe_u32 v24, v23, 16, 1
	v_add3_u32 v24, v23, v24, s46
	v_add3_u32 v21, v22, v21, s46
	v_lshrrev_b32_e32 v21, 16, v21
	v_lshrrev_b32_e32 v24, 16, v24
	v_cmp_o_f32_e32 vcc, v23, v23
	v_cmp_o_f32_e64 s[2:3], v22, v22
	v_cndmask_b32_e64 v21, v18, v21, s[2:3]
	v_cndmask_b32_e32 v22, v18, v24, vcc
	v_perm_b32 v21, v22, v21, s47
	global_store_dword v[12:13], v21, off
	v_add_co_u32_e32 v12, vcc, s12, v12
	v_addc_co_u32_e32 v13, vcc, v13, v20, vcc
	s_andn2_b64 exec, exec, s[14:15]
	s_cbranch_execnz .LBB347_61
; %bb.62:
	s_or_b64 exec, exec, s[14:15]
	v_mad_u64_u32 v[2:3], s[2:3], v6, s36, v[2:3]
	v_mov_b32_e32 v8, v3
	v_mad_u64_u32 v[8:9], s[2:3], v7, s36, v[8:9]
	v_cmp_ne_u64_e32 vcc, v[4:5], v[6:7]
	s_andn2_b64 s[2:3], s[8:9], exec
	s_and_b64 s[8:9], vcc, exec
	v_mov_b32_e32 v3, v8
	v_pk_mov_b32 v[12:13], s[40:41], s[40:41] op_sel:[0,1]
	v_pk_mov_b32 v[8:9], s[12:13], s[12:13] op_sel:[0,1]
	;; [unrolled: 1-line block ×3, first 2 shown]
	s_or_b64 s[8:9], s[2:3], s[8:9]
                                        ; kill: def $vgpr1 killed $sgpr0 killed $exec
.LBB347_63:
	s_or_b64 exec, exec, s[10:11]
	s_and_b64 exec, exec, s[8:9]
	s_cbranch_execz .LBB347_66
; %bb.64:
	v_lshlrev_b64 v[4:5], 2, v[2:3]
	v_add_co_u32_e32 v4, vcc, v12, v4
	v_addc_co_u32_e32 v1, vcc, v13, v5, vcc
	v_lshlrev_b64 v[6:7], 1, v[2:3]
	v_add_co_u32_e32 v5, vcc, v14, v6
	v_addc_co_u32_e32 v7, vcc, v15, v7, vcc
	v_mov_b32_e32 v11, s21
	v_add_co_u32_e32 v6, vcc, s20, v5
	s_mov_b32 s13, 0
	v_addc_co_u32_e32 v7, vcc, v11, v7, vcc
	s_lshl_b32 s8, s36, 1
	s_mov_b64 s[2:3], 0
	v_mov_b32_e32 v5, s25
	v_mov_b32_e32 v11, s23
	s_mov_b32 s9, 0x3fb8aa3b
	s_mov_b32 s10, 0xc2ce8ed0
	;; [unrolled: 1-line block ×3, first 2 shown]
	v_mov_b32_e32 v12, 0x7f800000
	s_movk_i32 s12, 0x7fff
	v_mov_b32_e32 v13, 0x7fc0
	v_mov_b32_e32 v14, s7
	;; [unrolled: 1-line block ×3, first 2 shown]
.LBB347_65:                             ; =>This Inner Loop Header: Depth=1
	v_add_co_u32_e32 v16, vcc, s22, v4
	v_addc_co_u32_e32 v17, vcc, v11, v1, vcc
	global_load_dword v18, v[16:17], off
	v_add_co_u32_e32 v16, vcc, s24, v4
	v_addc_co_u32_e32 v17, vcc, v5, v1, vcc
	global_load_dword v16, v[16:17], off
	v_add_co_u32_e32 v2, vcc, s36, v2
	v_addc_co_u32_e32 v3, vcc, v3, v14, vcc
	v_add_co_u32_e32 v4, vcc, v4, v8
	v_addc_co_u32_e32 v1, vcc, v1, v9, vcc
	v_cmp_le_i64_e32 vcc, s[42:43], v[2:3]
	s_or_b64 s[2:3], vcc, s[2:3]
	s_waitcnt vmcnt(1)
	v_mul_f32_e32 v17, 0x3fb8aa3b, v18
	v_fma_f32 v19, v18, s9, -v17
	v_rndne_f32_e32 v20, v17
	v_fmac_f32_e32 v19, 0x32a5705f, v18
	v_sub_f32_e32 v17, v17, v20
	v_add_f32_e32 v17, v17, v19
	v_cvt_i32_f32_e32 v20, v20
	v_exp_f32_e32 v17, v17
	v_cmp_ngt_f32_e32 vcc, s10, v18
	v_ldexp_f32 v17, v17, v20
	v_cndmask_b32_e32 v17, 0, v17, vcc
	v_cmp_nlt_f32_e32 vcc, s11, v18
	v_cndmask_b32_e32 v17, v12, v17, vcc
	s_waitcnt vmcnt(0) lgkmcnt(0)
	v_fma_f32 v16, -v10, v17, v16
	v_bfe_u32 v17, v16, 16, 1
	v_add3_u32 v17, v16, v17, s12
	v_lshrrev_b32_e32 v17, 16, v17
	v_cmp_o_f32_e32 vcc, v16, v16
	v_cndmask_b32_e32 v16, v13, v17, vcc
	global_store_short v[6:7], v16, off
	v_add_co_u32_e32 v6, vcc, s8, v6
	v_addc_co_u32_e32 v7, vcc, v7, v15, vcc
	s_andn2_b64 exec, exec, s[2:3]
	s_cbranch_execnz .LBB347_65
.LBB347_66:
	s_or_b64 exec, exec, s[4:5]
	s_mov_b64 s[2:3], 0
.LBB347_67:
	s_and_b64 vcc, exec, s[2:3]
	s_cbranch_vccz .LBB347_112
; %bb.68:
	s_lshl_b32 s2, s36, 2
	v_cvt_f32_u32_e32 v1, s2
	s_sub_i32 s3, 0, s2
	v_mov_b32_e32 v2, v0
	v_rcp_iflag_f32_e32 v1, v1
	v_mul_f32_e32 v1, 0x4f7ffffe, v1
	v_cvt_u32_f32_e32 v1, v1
	v_readfirstlane_b32 s4, v1
	s_mul_i32 s3, s3, s4
	s_mul_hi_u32 s3, s4, s3
	s_add_i32 s4, s4, s3
	s_mul_hi_u32 s3, s26, s4
	s_mul_i32 s3, s3, s2
	s_sub_i32 s3, s26, s3
	s_sub_i32 s4, s3, s2
	s_cmp_ge_u32 s3, s2
	s_cselect_b32 s3, s4, s3
	s_sub_i32 s4, s3, s2
	s_cmp_ge_u32 s3, s2
	s_cselect_b32 s2, s4, s3
	s_sub_i32 s7, s26, s2
	v_cmp_gt_i32_e32 vcc, s7, v0
	s_and_saveexec_b64 s[10:11], vcc
	s_cbranch_execz .LBB347_72
; %bb.69:
	s_add_i32 s22, s36, s36
	s_lshl_b32 s14, s36, 1
	s_mul_i32 s15, s36, 3
	s_mov_b64 s[12:13], 0
	v_mov_b32_e32 v1, s35
	v_mov_b32_e32 v8, s19
	s_mov_b32 s16, 0x3fb8aa3b
	s_mov_b32 s17, 0xc2ce8ed0
	;; [unrolled: 1-line block ×3, first 2 shown]
	v_mov_b32_e32 v9, 0x7f800000
	s_movk_i32 s21, 0x7fff
	v_mov_b32_e32 v11, 0x7fc0
	v_mov_b32_e32 v12, s31
	s_add_i32 s22, s22, s36
	v_mov_b32_e32 v3, 0
	v_mov_b32_e32 v2, v0
.LBB347_70:                             ; =>This Inner Loop Header: Depth=1
	v_lshlrev_b64 v[4:5], 2, v[2:3]
	v_add_co_u32_e32 v20, vcc, s34, v4
	v_addc_co_u32_e32 v21, vcc, v1, v5, vcc
	v_add_co_u32_e32 v22, vcc, s18, v4
	v_lshlrev_b64 v[18:19], 1, v[2:3]
	v_addc_co_u32_e32 v23, vcc, v8, v5, vcc
	v_add_u32_e32 v6, s36, v2
	v_mov_b32_e32 v7, v3
	v_add_co_u32_e32 v4, vcc, s30, v18
	v_lshlrev_b64 v[24:25], 2, v[6:7]
	v_addc_co_u32_e32 v5, vcc, v12, v19, vcc
	v_add_u32_e32 v14, s14, v2
	v_add_u32_e32 v16, s15, v2
	v_lshlrev_b64 v[18:19], 1, v[6:7]
	v_add_u32_e32 v2, s22, v6
	v_add_co_u32_e32 v6, vcc, s34, v24
	v_addc_co_u32_e32 v7, vcc, v1, v25, vcc
	v_mov_b32_e32 v15, v3
	global_load_dword v13, v[20:21], off
	global_load_dword v30, v[22:23], off
	v_add_co_u32_e32 v20, vcc, s18, v24
	v_lshlrev_b64 v[26:27], 2, v[14:15]
	v_addc_co_u32_e32 v21, vcc, v8, v25, vcc
	v_add_co_u32_e32 v22, vcc, s34, v26
	v_addc_co_u32_e32 v23, vcc, v1, v27, vcc
	v_mov_b32_e32 v17, v3
	v_add_co_u32_e32 v24, vcc, s18, v26
	v_lshlrev_b64 v[28:29], 2, v[16:17]
	v_addc_co_u32_e32 v25, vcc, v8, v27, vcc
	v_add_co_u32_e32 v26, vcc, s34, v28
	v_addc_co_u32_e32 v27, vcc, v1, v29, vcc
	v_add_co_u32_e32 v28, vcc, s18, v28
	v_addc_co_u32_e32 v29, vcc, v8, v29, vcc
	global_load_dword v31, v[6:7], off
	global_load_dword v32, v[22:23], off
	;; [unrolled: 1-line block ×6, first 2 shown]
	v_add_co_u32_e32 v18, vcc, s30, v18
	v_lshlrev_b64 v[14:15], 1, v[14:15]
	v_addc_co_u32_e32 v19, vcc, v12, v19, vcc
	v_add_co_u32_e32 v14, vcc, s30, v14
	v_lshlrev_b64 v[16:17], 1, v[16:17]
	v_addc_co_u32_e32 v15, vcc, v12, v15, vcc
	v_add_co_u32_e32 v6, vcc, s30, v16
	v_addc_co_u32_e32 v7, vcc, v12, v17, vcc
	v_cmp_le_i32_e32 vcc, s7, v2
	s_or_b64 s[12:13], vcc, s[12:13]
	s_waitcnt vmcnt(7)
	v_mul_f32_e32 v16, 0x3fb8aa3b, v13
	v_fma_f32 v17, v13, s16, -v16
	v_rndne_f32_e32 v20, v16
	v_fmac_f32_e32 v17, 0x32a5705f, v13
	v_sub_f32_e32 v16, v16, v20
	v_add_f32_e32 v16, v16, v17
	v_cvt_i32_f32_e32 v20, v20
	v_exp_f32_e32 v16, v16
	v_cmp_ngt_f32_e32 vcc, s17, v13
	v_cmp_nlt_f32_e64 s[8:9], s20, v13
	v_ldexp_f32 v16, v16, v20
	v_cndmask_b32_e32 v16, 0, v16, vcc
	v_cndmask_b32_e64 v13, v9, v16, s[8:9]
	s_waitcnt vmcnt(6) lgkmcnt(0)
	v_fma_f32 v13, -v10, v13, v30
	s_waitcnt vmcnt(5)
	v_mul_f32_e32 v21, 0x3fb8aa3b, v31
	s_waitcnt vmcnt(4)
	v_mul_f32_e32 v22, 0x3fb8aa3b, v32
	;; [unrolled: 2-line block ×3, first 2 shown]
	v_fma_f32 v24, v31, s16, -v21
	v_rndne_f32_e32 v25, v21
	v_fma_f32 v26, v32, s16, -v22
	v_rndne_f32_e32 v27, v22
	;; [unrolled: 2-line block ×3, first 2 shown]
	v_fmac_f32_e32 v24, 0x32a5705f, v31
	v_sub_f32_e32 v17, v21, v25
	v_fmac_f32_e32 v26, 0x32a5705f, v32
	v_sub_f32_e32 v22, v22, v27
	;; [unrolled: 2-line block ×3, first 2 shown]
	v_add_f32_e32 v17, v17, v24
	v_add_f32_e32 v22, v22, v26
	;; [unrolled: 1-line block ×3, first 2 shown]
	v_cvt_i32_f32_e32 v21, v25
	v_cvt_i32_f32_e32 v25, v27
	;; [unrolled: 1-line block ×3, first 2 shown]
	v_exp_f32_e32 v17, v17
	v_exp_f32_e32 v22, v22
	;; [unrolled: 1-line block ×3, first 2 shown]
	v_cmp_ngt_f32_e32 vcc, s17, v31
	v_ldexp_f32 v17, v17, v21
	v_ldexp_f32 v20, v22, v25
	v_cmp_ngt_f32_e64 s[2:3], s17, v32
	v_ldexp_f32 v21, v23, v27
	v_cmp_ngt_f32_e64 s[4:5], s17, v33
	v_cndmask_b32_e32 v16, 0, v17, vcc
	v_cndmask_b32_e64 v17, 0, v20, s[2:3]
	v_cndmask_b32_e64 v20, 0, v21, s[4:5]
	v_cmp_nlt_f32_e64 s[4:5], s20, v31
	v_cmp_nlt_f32_e32 vcc, s20, v32
	v_cmp_nlt_f32_e64 s[2:3], s20, v33
	v_cndmask_b32_e64 v16, v9, v16, s[4:5]
	v_cndmask_b32_e32 v17, v9, v17, vcc
	v_cndmask_b32_e64 v20, v9, v20, s[2:3]
	v_bfe_u32 v21, v13, 16, 1
	s_waitcnt vmcnt(2)
	v_fma_f32 v16, -v10, v16, v34
	s_waitcnt vmcnt(1)
	v_fma_f32 v17, -v10, v17, v35
	;; [unrolled: 2-line block ×3, first 2 shown]
	v_add3_u32 v21, v13, v21, s21
	v_bfe_u32 v22, v16, 16, 1
	v_bfe_u32 v23, v17, 16, 1
	v_bfe_u32 v24, v20, 16, 1
	v_lshrrev_b32_e32 v21, 16, v21
	v_add3_u32 v22, v16, v22, s21
	v_cmp_o_f32_e32 vcc, v13, v13
	v_add3_u32 v23, v17, v23, s21
	v_add3_u32 v24, v20, v24, s21
	v_cndmask_b32_e32 v13, v11, v21, vcc
	v_lshrrev_b32_e32 v21, 16, v22
	v_cmp_o_f32_e64 s[4:5], v16, v16
	v_lshrrev_b32_e32 v22, 16, v23
	v_cmp_o_f32_e32 vcc, v17, v17
	v_lshrrev_b32_e32 v17, 16, v24
	v_cmp_o_f32_e64 s[2:3], v20, v20
	global_store_short v[4:5], v13, off
	v_cndmask_b32_e64 v4, v11, v21, s[4:5]
	v_cndmask_b32_e32 v5, v11, v22, vcc
	v_cndmask_b32_e64 v13, v11, v17, s[2:3]
	global_store_short v[18:19], v4, off
	global_store_short v[14:15], v5, off
	;; [unrolled: 1-line block ×3, first 2 shown]
	s_andn2_b64 exec, exec, s[12:13]
	s_cbranch_execnz .LBB347_70
; %bb.71:
	s_or_b64 exec, exec, s[12:13]
.LBB347_72:
	s_or_b64 exec, exec, s[10:11]
	v_cmp_gt_i32_e32 vcc, s26, v2
	s_and_saveexec_b64 s[4:5], vcc
	s_cbranch_execz .LBB347_75
; %bb.73:
	s_mov_b64 s[8:9], 0
	v_mov_b32_e32 v1, s19
	v_mov_b32_e32 v4, s35
	s_mov_b32 s7, 0x3fb8aa3b
	s_mov_b32 s10, 0xc2ce8ed0
	;; [unrolled: 1-line block ×3, first 2 shown]
	v_mov_b32_e32 v5, 0x7f800000
	s_movk_i32 s12, 0x7fff
	v_mov_b32_e32 v6, 0x7fc0
	v_mov_b32_e32 v7, s31
.LBB347_74:                             ; =>This Inner Loop Header: Depth=1
	v_ashrrev_i32_e32 v3, 31, v2
	v_lshlrev_b64 v[8:9], 2, v[2:3]
	v_add_co_u32_e32 v12, vcc, s34, v8
	v_addc_co_u32_e32 v13, vcc, v4, v9, vcc
	global_load_dword v11, v[12:13], off
	v_add_co_u32_e32 v8, vcc, s18, v8
	v_addc_co_u32_e32 v9, vcc, v1, v9, vcc
	global_load_dword v12, v[8:9], off
	v_lshlrev_b64 v[8:9], 1, v[2:3]
	v_add_co_u32_e32 v8, vcc, s30, v8
	v_add_u32_e32 v2, s36, v2
	v_addc_co_u32_e32 v9, vcc, v7, v9, vcc
	v_cmp_le_i32_e32 vcc, s26, v2
	s_or_b64 s[8:9], vcc, s[8:9]
	s_waitcnt vmcnt(1)
	v_mul_f32_e32 v3, 0x3fb8aa3b, v11
	v_fma_f32 v13, v11, s7, -v3
	v_rndne_f32_e32 v14, v3
	v_fmac_f32_e32 v13, 0x32a5705f, v11
	v_sub_f32_e32 v3, v3, v14
	v_add_f32_e32 v3, v3, v13
	v_cvt_i32_f32_e32 v14, v14
	v_exp_f32_e32 v3, v3
	v_cmp_ngt_f32_e64 s[2:3], s10, v11
	v_ldexp_f32 v3, v3, v14
	v_cndmask_b32_e64 v3, 0, v3, s[2:3]
	v_cmp_nlt_f32_e64 s[2:3], s11, v11
	v_cndmask_b32_e64 v3, v5, v3, s[2:3]
	s_waitcnt vmcnt(0) lgkmcnt(0)
	v_fma_f32 v3, -v10, v3, v12
	v_bfe_u32 v11, v3, 16, 1
	v_add3_u32 v11, v3, v11, s12
	v_lshrrev_b32_e32 v11, 16, v11
	v_cmp_o_f32_e64 s[2:3], v3, v3
	v_cndmask_b32_e64 v3, v6, v11, s[2:3]
	global_store_short v[8:9], v3, off
	s_andn2_b64 exec, exec, s[8:9]
	s_cbranch_execnz .LBB347_74
.LBB347_75:
	s_or_b64 exec, exec, s[4:5]
	s_mov_b64 s[2:3], 0
.LBB347_76:
	s_andn2_b64 vcc, exec, s[2:3]
	s_cbranch_vccnz .LBB347_113
.LBB347_77:
	s_cmp_lg_u64 s[38:39], 0
	s_cselect_b64 s[4:5], -1, 0
	v_cndmask_b32_e64 v1, 0, 1, s[4:5]
	s_mov_b64 s[2:3], -1
	s_and_b64 vcc, exec, s[0:1]
	v_cmp_ne_u32_e64 s[0:1], 1, v1
	s_cbranch_vccz .LBB347_101
; %bb.78:
	v_mov_b32_e32 v1, 0
	s_and_b64 vcc, exec, s[0:1]
	s_mov_b64 s[10:11], s[26:27]
	s_mov_b64 s[16:17], s[30:31]
	;; [unrolled: 1-line block ×4, first 2 shown]
	s_cbranch_vccnz .LBB347_82
; %bb.79:
	s_lshl_b32 s2, s38, 1
	s_sub_u32 s9, s30, s2
	s_subb_u32 s12, s31, 0
	s_lshl_b32 s2, s38, 2
	s_sub_u32 s7, s34, s2
	s_subb_u32 s8, s35, 0
	s_sub_u32 s4, s18, s2
	s_mov_b32 s37, 0
	s_subb_u32 s5, s19, 0
	v_cmp_le_u64_e32 vcc, s[38:39], v[0:1]
	s_and_saveexec_b64 s[2:3], vcc
	s_cbranch_execz .LBB347_81
; %bb.80:
	v_lshlrev_b64 v[2:3], 2, v[0:1]
	v_mov_b32_e32 v5, s8
	v_add_co_u32_e32 v4, vcc, s7, v2
	v_addc_co_u32_e32 v5, vcc, v5, v3, vcc
	global_load_dword v4, v[4:5], off
	v_mov_b32_e32 v5, s5
	v_add_co_u32_e32 v2, vcc, s4, v2
	v_addc_co_u32_e32 v3, vcc, v5, v3, vcc
	global_load_dword v5, v[2:3], off
	s_mov_b32 s10, 0x3fb8aa3b
	s_mov_b32 s11, 0xc2ce8ed0
	;; [unrolled: 1-line block ×3, first 2 shown]
	v_mov_b32_e32 v6, 0x7f800000
	s_movk_i32 s14, 0x7fff
	v_mov_b32_e32 v9, 0x7fc0
	v_mov_b32_e32 v11, s12
	s_waitcnt vmcnt(1)
	v_mul_f32_e32 v2, 0x3fb8aa3b, v4
	v_fma_f32 v3, v4, s10, -v2
	v_rndne_f32_e32 v7, v2
	v_fmac_f32_e32 v3, 0x32a5705f, v4
	v_sub_f32_e32 v2, v2, v7
	v_add_f32_e32 v2, v2, v3
	v_cvt_i32_f32_e32 v7, v7
	v_exp_f32_e32 v8, v2
	v_cmp_ngt_f32_e32 vcc, s11, v4
	v_lshlrev_b64 v[2:3], 1, v[0:1]
	v_ldexp_f32 v7, v8, v7
	v_cndmask_b32_e32 v7, 0, v7, vcc
	v_cmp_nlt_f32_e32 vcc, s13, v4
	v_cndmask_b32_e32 v4, v6, v7, vcc
	s_waitcnt vmcnt(0) lgkmcnt(0)
	v_fma_f32 v4, -v10, v4, v5
	v_bfe_u32 v5, v4, 16, 1
	v_add3_u32 v5, v4, v5, s14
	v_lshrrev_b32_e32 v5, 16, v5
	v_cmp_o_f32_e32 vcc, v4, v4
	v_cndmask_b32_e32 v4, v9, v5, vcc
	v_add_co_u32_e32 v2, vcc, s9, v2
	v_addc_co_u32_e32 v3, vcc, v11, v3, vcc
	global_store_short v[2:3], v4, off
.LBB347_81:
	s_or_b64 exec, exec, s[2:3]
	s_add_u32 s2, s38, s26
	s_addc_u32 s3, 0, s27
	v_pk_mov_b32 v[2:3], s[36:37], s[36:37] op_sel:[0,1]
	v_cmp_lt_i64_e32 vcc, s[2:3], v[2:3]
	s_and_b64 s[10:11], vcc, exec
	s_cselect_b32 s10, s2, s36
	s_cselect_b32 s11, s3, 0
	s_sub_u32 s10, s2, s10
	s_subb_u32 s11, s3, s11
	s_lshl_b32 s2, s36, 1
	s_add_u32 s16, s9, s2
	s_addc_u32 s17, s12, 0
	s_lshl_b32 s2, s36, 2
	s_add_u32 s12, s7, s2
	s_addc_u32 s13, s8, 0
	s_add_u32 s14, s4, s2
	s_addc_u32 s15, s5, 0
.LBB347_82:
	s_load_dword s2, s[28:29], 0x0
	v_mov_b32_e32 v2, 0
	s_mov_b32 s33, 0
	s_waitcnt lgkmcnt(0)
	s_cmp_lt_u32 s6, s2
	s_cselect_b32 s2, 12, 18
	s_add_u32 s2, s28, s2
	s_addc_u32 s3, s29, 0
	global_load_ushort v2, v2, s[2:3]
	s_mov_b32 s2, s33
	s_waitcnt vmcnt(0)
	v_readfirstlane_b32 s3, v2
	s_and_b32 s7, s3, 0xffff
	s_lshl_b32 s27, s7, 2
	s_mov_b32 s3, s11
	s_cmp_lg_u64 s[2:3], 0
	s_cbranch_scc0 .LBB347_114
; %bb.83:
	v_cvt_f32_u32_e32 v2, s27
	v_cvt_f32_ubyte0_e32 v3, 0
	s_sub_u32 s4, 0, s27
	s_subb_u32 s5, 0, 0
	v_madmk_f32 v2, v3, 0x4f800000, v2
	v_rcp_f32_e32 v2, v2
	v_mul_f32_e32 v2, 0x5f7ffffc, v2
	v_mul_f32_e32 v3, 0x2f800000, v2
	v_trunc_f32_e32 v3, v3
	v_madmk_f32 v2, v3, 0xcf800000, v2
	v_cvt_u32_f32_e32 v3, v3
	v_cvt_u32_f32_e32 v2, v2
	v_readfirstlane_b32 s8, v3
	v_readfirstlane_b32 s9, v2
	s_mul_i32 s20, s4, s8
	s_mul_hi_u32 s22, s4, s9
	s_mul_i32 s21, s5, s9
	s_add_i32 s20, s22, s20
	s_add_i32 s20, s20, s21
	s_mul_i32 s23, s4, s9
	s_mul_hi_u32 s21, s9, s20
	s_mul_i32 s22, s9, s20
	s_mul_hi_u32 s9, s9, s23
	s_add_u32 s9, s9, s22
	s_addc_u32 s21, 0, s21
	s_mul_hi_u32 s24, s8, s23
	s_mul_i32 s23, s8, s23
	s_add_u32 s9, s9, s23
	s_mul_hi_u32 s22, s8, s20
	s_addc_u32 s9, s21, s24
	s_addc_u32 s21, s22, 0
	s_mul_i32 s20, s8, s20
	s_add_u32 s9, s9, s20
	s_addc_u32 s20, 0, s21
	v_add_co_u32_e32 v2, vcc, s9, v2
	s_cmp_lg_u64 vcc, 0
	s_addc_u32 s8, s8, s20
	v_readfirstlane_b32 s20, v2
	s_mul_i32 s9, s4, s8
	s_mul_hi_u32 s21, s4, s20
	s_add_i32 s9, s21, s9
	s_mul_i32 s5, s5, s20
	s_add_i32 s9, s9, s5
	s_mul_i32 s4, s4, s20
	s_mul_hi_u32 s21, s8, s4
	s_mul_i32 s22, s8, s4
	s_mul_i32 s24, s20, s9
	s_mul_hi_u32 s4, s20, s4
	s_mul_hi_u32 s23, s20, s9
	s_add_u32 s4, s4, s24
	s_addc_u32 s20, 0, s23
	s_add_u32 s4, s4, s22
	s_mul_hi_u32 s5, s8, s9
	s_addc_u32 s4, s20, s21
	s_addc_u32 s5, s5, 0
	s_mul_i32 s9, s8, s9
	s_add_u32 s4, s4, s9
	s_addc_u32 s5, 0, s5
	v_add_co_u32_e32 v2, vcc, s4, v2
	s_cmp_lg_u64 vcc, 0
	s_addc_u32 s20, s8, s5
	s_ashr_i32 s4, s11, 31
	s_add_u32 s8, s10, s4
	s_mov_b32 s5, s4
	s_addc_u32 s9, s11, s4
	s_xor_b64 s[8:9], s[8:9], s[4:5]
	v_readfirstlane_b32 s22, v2
	s_mul_i32 s21, s8, s20
	s_mul_hi_u32 s23, s8, s22
	s_mul_hi_u32 s5, s8, s20
	s_add_u32 s21, s23, s21
	s_addc_u32 s5, 0, s5
	s_mul_hi_u32 s24, s9, s22
	s_mul_i32 s22, s9, s22
	s_add_u32 s21, s21, s22
	s_mul_hi_u32 s23, s9, s20
	s_addc_u32 s5, s5, s24
	s_addc_u32 s21, s23, 0
	s_mul_i32 s20, s9, s20
	s_add_u32 s5, s5, s20
	s_addc_u32 s20, 0, s21
	s_mul_hi_u32 s21, s27, s5
	s_mul_i32 s5, s27, s5
	s_mul_i32 s20, s27, s20
	v_mov_b32_e32 v2, s5
	s_add_i32 s21, s21, s20
	v_sub_co_u32_e32 v2, vcc, s8, v2
	s_cmp_lg_u64 vcc, 0
	s_subb_u32 s5, s9, s21
	v_subrev_co_u32_e32 v3, vcc, s27, v2
	s_cmp_lg_u64 vcc, 0
	s_subb_u32 s8, s5, 0
	v_subrev_co_u32_e32 v4, vcc, s27, v3
	s_cmp_lg_u64 vcc, 0
	s_subb_u32 s9, s8, 0
	v_cmp_le_u32_e32 vcc, s27, v3
	s_cmp_eq_u32 s8, 0
	v_cndmask_b32_e64 v5, 0, -1, vcc
	s_cselect_b64 vcc, -1, 0
	v_cndmask_b32_e32 v5, -1, v5, vcc
	v_mov_b32_e32 v6, s8
	v_mov_b32_e32 v7, s9
	v_cmp_ne_u32_e32 vcc, 0, v5
	v_cndmask_b32_e32 v5, v6, v7, vcc
	v_cndmask_b32_e32 v3, v3, v4, vcc
	v_cmp_le_u32_e32 vcc, s27, v2
	s_cmp_eq_u32 s5, 0
	v_cndmask_b32_e64 v4, 0, -1, vcc
	s_cselect_b64 vcc, -1, 0
	v_cndmask_b32_e32 v4, -1, v4, vcc
	v_cmp_ne_u32_e32 vcc, 0, v4
	v_mov_b32_e32 v6, s5
	v_cndmask_b32_e32 v2, v2, v3, vcc
	v_cndmask_b32_e32 v4, v6, v5, vcc
	v_xor_b32_e32 v2, s4, v2
	v_xor_b32_e32 v3, s4, v4
	v_mov_b32_e32 v5, s4
	v_subrev_co_u32_e32 v4, vcc, s4, v2
	v_subb_co_u32_e32 v5, vcc, v3, v5, vcc
	s_cbranch_execnz .LBB347_85
.LBB347_84:
	v_cvt_f32_u32_e32 v2, s27
	s_sub_i32 s2, 0, s27
	v_mov_b32_e32 v5, 0
	v_rcp_iflag_f32_e32 v2, v2
	v_mul_f32_e32 v2, 0x4f7ffffe, v2
	v_cvt_u32_f32_e32 v2, v2
	v_mul_lo_u32 v3, s2, v2
	v_mul_hi_u32 v3, v2, v3
	v_add_u32_e32 v2, v2, v3
	v_mul_hi_u32 v2, s10, v2
	v_mul_lo_u32 v2, v2, s27
	v_sub_u32_e32 v2, s10, v2
	v_subrev_u32_e32 v3, s27, v2
	v_cmp_le_u32_e32 vcc, s27, v2
	v_cndmask_b32_e32 v2, v2, v3, vcc
	v_subrev_u32_e32 v3, s27, v2
	v_cmp_le_u32_e32 vcc, s27, v2
	v_cndmask_b32_e32 v4, v2, v3, vcc
.LBB347_85:
	v_mov_b32_e32 v3, s11
	v_sub_co_u32_e32 v2, vcc, s10, v4
	v_subb_co_u32_e32 v3, vcc, v3, v5, vcc
	v_lshlrev_b64 v[6:7], 2, v[0:1]
	v_cmp_lt_i64_e32 vcc, v[6:7], v[2:3]
	s_and_saveexec_b64 s[20:21], vcc
	s_cbranch_execz .LBB347_88
; %bb.86:
	v_lshlrev_b64 v[6:7], 3, v[0:1]
	v_mov_b32_e32 v8, s17
	v_add_co_u32_e32 v6, vcc, s16, v6
	s_mov_b32 s2, 0
	v_addc_co_u32_e32 v7, vcc, v8, v7, vcc
	s_lshl_b32 s37, s7, 3
	v_lshlrev_b64 v[8:9], 4, v[0:1]
	s_lshl_b32 s39, s7, 4
	s_mov_b64 s[22:23], 0
	s_mov_b32 s42, 0x3fb8aa3b
	s_mov_b32 s43, 0xc2ce8ed0
	s_mov_b32 s44, 0x42b17218
	v_mov_b32_e32 v11, 0x7f800000
	s_movk_i32 s45, 0x7fff
	v_mov_b32_e32 v14, 0x7fc00000
	v_mov_b32_e32 v15, 0x7fc0
	;; [unrolled: 1-line block ×4, first 2 shown]
	s_mov_b64 s[24:25], s[14:15]
	s_mov_b64 s[40:41], s[12:13]
	v_pk_mov_b32 v[12:13], v[0:1], v[0:1] op_sel:[0,1]
.LBB347_87:                             ; =>This Inner Loop Header: Depth=1
	v_add_co_u32_e64 v12, s[2:3], s7, v12
	v_addc_co_u32_e64 v13, s[2:3], v13, v16, s[2:3]
	v_mov_b32_e32 v1, s41
	v_add_co_u32_e64 v28, s[2:3], s40, v8
	v_mov_b32_e32 v18, s25
	v_add_co_u32_e32 v26, vcc, s24, v8
	v_addc_co_u32_e64 v29, s[2:3], v1, v9, s[2:3]
	v_addc_co_u32_e32 v27, vcc, v18, v9, vcc
	global_load_dwordx4 v[18:21], v[28:29], off
	global_load_dwordx4 v[22:25], v[26:27], off
	v_lshlrev_b64 v[30:31], 2, v[12:13]
	v_cmp_ge_i64_e32 vcc, v[30:31], v[2:3]
	s_add_u32 s40, s40, s39
	s_addc_u32 s41, s41, 0
	s_add_u32 s24, s24, s39
	s_addc_u32 s25, s25, 0
	s_or_b64 s[22:23], vcc, s[22:23]
	s_waitcnt vmcnt(1)
	v_mul_f32_e32 v1, 0x3fb8aa3b, v18
	v_mul_f32_e32 v26, 0x3fb8aa3b, v19
	;; [unrolled: 1-line block ×4, first 2 shown]
	v_fma_f32 v29, v18, s42, -v1
	v_rndne_f32_e32 v30, v1
	v_fma_f32 v31, v19, s42, -v26
	v_rndne_f32_e32 v32, v26
	;; [unrolled: 2-line block ×4, first 2 shown]
	v_fmac_f32_e32 v29, 0x32a5705f, v18
	v_sub_f32_e32 v1, v1, v30
	v_fmac_f32_e32 v31, 0x32a5705f, v19
	v_sub_f32_e32 v26, v26, v32
	;; [unrolled: 2-line block ×4, first 2 shown]
	v_add_f32_e32 v1, v1, v29
	v_add_f32_e32 v26, v26, v31
	v_cvt_i32_f32_e32 v30, v30
	v_cvt_i32_f32_e32 v32, v32
	v_add_f32_e32 v27, v27, v33
	v_add_f32_e32 v28, v28, v35
	v_exp_f32_e32 v1, v1
	v_exp_f32_e32 v26, v26
	v_cvt_i32_f32_e32 v34, v34
	v_cvt_i32_f32_e32 v36, v36
	v_exp_f32_e32 v27, v27
	v_exp_f32_e32 v28, v28
	v_ldexp_f32 v1, v1, v30
	v_ldexp_f32 v26, v26, v32
	v_cmp_ngt_f32_e32 vcc, s43, v19
	v_cmp_ngt_f32_e64 s[8:9], s43, v18
	v_ldexp_f32 v27, v27, v34
	v_cmp_ngt_f32_e64 s[2:3], s43, v20
	v_ldexp_f32 v28, v28, v36
	v_cmp_ngt_f32_e64 s[4:5], s43, v21
	v_cndmask_b32_e64 v1, 0, v1, s[8:9]
	v_cndmask_b32_e32 v26, 0, v26, vcc
	v_cmp_nlt_f32_e32 vcc, s44, v19
	v_cmp_nlt_f32_e64 s[8:9], s44, v18
	v_cndmask_b32_e64 v19, 0, v27, s[2:3]
	v_cmp_nlt_f32_e64 s[2:3], s44, v20
	v_cndmask_b32_e64 v20, 0, v28, s[4:5]
	;; [unrolled: 2-line block ×3, first 2 shown]
	v_cndmask_b32_e32 v18, v11, v26, vcc
	v_cndmask_b32_e64 v19, v11, v19, s[2:3]
	v_cndmask_b32_e64 v20, v11, v20, s[4:5]
	s_waitcnt vmcnt(0)
	v_fma_f32 v1, -v10, v1, v22
	v_fma_f32 v18, -v10, v18, v23
	;; [unrolled: 1-line block ×4, first 2 shown]
	v_bfe_u32 v21, v1, 16, 1
	v_bfe_u32 v22, v18, 16, 1
	;; [unrolled: 1-line block ×4, first 2 shown]
	v_add3_u32 v21, v1, v21, s45
	v_add3_u32 v22, v18, v22, s45
	;; [unrolled: 1-line block ×4, first 2 shown]
	v_lshrrev_b32_e32 v21, 16, v21
	v_and_b32_e32 v22, 0xffff0000, v22
	v_cmp_o_f32_e64 s[2:3], v18, v18
	v_cmp_o_f32_e64 s[4:5], v1, v1
	v_lshrrev_b32_e32 v23, 16, v23
	v_and_b32_e32 v24, 0xffff0000, v24
	v_cmp_o_f32_e32 vcc, v19, v19
	v_cmp_o_f32_e64 s[8:9], v20, v20
	v_cndmask_b32_e64 v19, v14, v22, s[2:3]
	v_cndmask_b32_e64 v20, v15, v21, s[4:5]
	;; [unrolled: 1-line block ×3, first 2 shown]
	v_cndmask_b32_e32 v18, v15, v23, vcc
	v_or_b32_e32 v20, v19, v20
	v_or3_b32 v19, 0, v18, v1
	v_or3_b32 v18, v20, 0, 0
	global_store_dwordx2 v[6:7], v[18:19], off
	v_add_co_u32_e32 v6, vcc, s37, v6
	v_addc_co_u32_e32 v7, vcc, v7, v17, vcc
	s_andn2_b64 exec, exec, s[22:23]
	s_cbranch_execnz .LBB347_87
.LBB347_88:
	s_or_b64 exec, exec, s[20:21]
	v_add_co_u32_e32 v2, vcc, v2, v0
	v_addc_co_u32_e32 v3, vcc, 0, v3, vcc
	v_cmp_gt_i64_e32 vcc, s[10:11], v[2:3]
	s_and_saveexec_b64 s[4:5], vcc
	s_cbranch_execz .LBB347_100
; %bb.89:
	v_mov_b32_e32 v1, s33
	v_add_co_u32_e32 v6, vcc, s7, v0
	v_addc_co_u32_e32 v7, vcc, 0, v1, vcc
	v_mov_b32_e32 v1, s11
	v_add_co_u32_e32 v8, vcc, s10, v6
	v_addc_co_u32_e32 v9, vcc, v7, v1, vcc
	v_sub_co_u32_e32 v8, vcc, v8, v4
	v_subb_co_u32_e32 v9, vcc, v9, v5, vcc
	v_mov_b32_e32 v11, s11
	v_cmp_gt_i64_e32 vcc, s[10:11], v[8:9]
	v_cndmask_b32_e32 v9, v9, v11, vcc
	v_mov_b32_e32 v11, s10
	v_cndmask_b32_e32 v8, v8, v11, vcc
	v_add_co_u32_e32 v4, vcc, v4, v8
	v_addc_co_u32_e32 v5, vcc, v5, v9, vcc
	v_subrev_co_u32_e32 v8, vcc, s10, v4
	v_subb_co_u32_e32 v9, vcc, v5, v1, vcc
	v_cmp_ne_u64_e32 vcc, v[8:9], v[6:7]
	v_cndmask_b32_e64 v4, 0, 1, vcc
	v_add_co_u32_e32 v1, vcc, v6, v4
	v_addc_co_u32_e32 v5, vcc, 0, v7, vcc
	v_sub_co_u32_e32 v1, vcc, v8, v1
	v_subb_co_u32_e32 v7, vcc, v9, v5, vcc
	v_mov_b32_e32 v6, 0
	v_cmp_ne_u64_e32 vcc, 0, v[6:7]
                                        ; implicit-def: $vgpr8_vgpr9
	s_and_saveexec_b64 s[2:3], vcc
	s_xor_b64 s[8:9], exec, s[2:3]
	s_cbranch_execz .LBB347_91
; %bb.90:
	v_cvt_f32_u32_e32 v5, s7
	v_mov_b32_e32 v6, 0x4f800000
	s_sub_u32 s2, 0, s7
	s_subb_u32 s3, 0, 0
	v_mac_f32_e32 v5, 0, v6
	v_rcp_f32_e32 v5, v5
	v_mul_f32_e32 v5, 0x5f7ffffc, v5
	v_mul_f32_e32 v6, 0x2f800000, v5
	v_trunc_f32_e32 v6, v6
	v_madmk_f32 v5, v6, 0xcf800000, v5
	v_cvt_u32_f32_e32 v6, v6
	v_cvt_u32_f32_e32 v5, v5
	v_mul_lo_u32 v8, s2, v6
	v_mul_hi_u32 v11, s2, v5
	v_mul_lo_u32 v9, s3, v5
	v_add_u32_e32 v8, v11, v8
	v_mul_lo_u32 v12, s2, v5
	v_add_u32_e32 v8, v8, v9
	v_mul_hi_u32 v11, v5, v12
	v_mul_lo_u32 v13, v5, v8
	v_mul_hi_u32 v9, v5, v8
	v_add_co_u32_e32 v11, vcc, v11, v13
	v_addc_co_u32_e32 v9, vcc, 0, v9, vcc
	v_mul_hi_u32 v14, v6, v12
	v_mul_lo_u32 v12, v6, v12
	v_add_co_u32_e32 v11, vcc, v11, v12
	v_mul_hi_u32 v13, v6, v8
	v_addc_co_u32_e32 v9, vcc, v9, v14, vcc
	v_addc_co_u32_e32 v11, vcc, 0, v13, vcc
	v_mul_lo_u32 v8, v6, v8
	v_add_co_u32_e32 v8, vcc, v9, v8
	v_addc_co_u32_e32 v9, vcc, 0, v11, vcc
	v_add_co_u32_e32 v5, vcc, v5, v8
	v_addc_co_u32_e32 v6, vcc, v6, v9, vcc
	v_mul_lo_u32 v8, s2, v6
	v_mul_hi_u32 v9, s2, v5
	v_add_u32_e32 v8, v9, v8
	v_mul_lo_u32 v9, s3, v5
	v_add_u32_e32 v8, v8, v9
	v_mul_lo_u32 v11, s2, v5
	v_mul_hi_u32 v12, v6, v11
	v_mul_lo_u32 v13, v6, v11
	v_mul_lo_u32 v15, v5, v8
	v_mul_hi_u32 v11, v5, v11
	v_mul_hi_u32 v14, v5, v8
	v_add_co_u32_e32 v11, vcc, v11, v15
	v_addc_co_u32_e32 v14, vcc, 0, v14, vcc
	v_add_co_u32_e32 v11, vcc, v11, v13
	v_mul_hi_u32 v9, v6, v8
	v_addc_co_u32_e32 v11, vcc, v14, v12, vcc
	v_addc_co_u32_e32 v9, vcc, 0, v9, vcc
	v_mul_lo_u32 v8, v6, v8
	v_add_co_u32_e32 v8, vcc, v11, v8
	v_addc_co_u32_e32 v9, vcc, 0, v9, vcc
	v_add_co_u32_e32 v5, vcc, v5, v8
	v_addc_co_u32_e32 v6, vcc, v6, v9, vcc
	v_mad_u64_u32 v[8:9], s[2:3], v1, v6, 0
	v_mul_hi_u32 v11, v1, v5
	v_add_co_u32_e32 v11, vcc, v11, v8
	v_addc_co_u32_e32 v14, vcc, 0, v9, vcc
	v_mad_u64_u32 v[12:13], s[2:3], v7, v5, 0
	v_add_co_u32_e32 v5, vcc, v11, v12
	v_mad_u64_u32 v[8:9], s[2:3], v7, v6, 0
	v_addc_co_u32_e32 v5, vcc, v14, v13, vcc
	v_addc_co_u32_e32 v6, vcc, 0, v9, vcc
	v_add_co_u32_e32 v5, vcc, v5, v8
	v_mad_u64_u32 v[8:9], s[2:3], s7, v5, 0
	v_addc_co_u32_e32 v11, vcc, 0, v6, vcc
	v_mov_b32_e32 v6, v9
	v_mad_u64_u32 v[12:13], s[2:3], s7, v11, v[6:7]
	v_sub_co_u32_e32 v1, vcc, v1, v8
	v_subb_co_u32_e32 v6, vcc, v7, v12, vcc
	v_subrev_co_u32_e32 v7, vcc, s7, v1
	v_subbrev_co_u32_e32 v8, vcc, 0, v6, vcc
	v_cmp_le_u32_e32 vcc, s7, v7
	v_cndmask_b32_e64 v7, 0, -1, vcc
	v_cmp_eq_u32_e32 vcc, 0, v8
	v_cndmask_b32_e32 v7, -1, v7, vcc
	v_add_co_u32_e32 v8, vcc, 2, v5
	v_addc_co_u32_e32 v9, vcc, 0, v11, vcc
	v_add_co_u32_e32 v12, vcc, 1, v5
	v_cmp_le_u32_e64 s[2:3], s7, v1
	v_addc_co_u32_e32 v13, vcc, 0, v11, vcc
	v_cndmask_b32_e64 v1, 0, -1, s[2:3]
	v_cmp_eq_u32_e64 s[2:3], 0, v6
	v_cmp_ne_u32_e32 vcc, 0, v7
	v_cndmask_b32_e64 v1, -1, v1, s[2:3]
	v_cndmask_b32_e32 v7, v13, v9, vcc
	v_cmp_ne_u32_e64 s[2:3], 0, v1
	v_cndmask_b32_e32 v1, v12, v8, vcc
	v_cndmask_b32_e64 v9, v11, v7, s[2:3]
	v_cndmask_b32_e64 v8, v5, v1, s[2:3]
                                        ; implicit-def: $vgpr1
.LBB347_91:
	s_andn2_saveexec_b64 s[2:3], s[8:9]
	s_cbranch_execz .LBB347_93
; %bb.92:
	v_cvt_f32_u32_e32 v5, s7
	s_sub_i32 s8, 0, s7
	v_mov_b32_e32 v9, 0
	v_rcp_iflag_f32_e32 v5, v5
	v_mul_f32_e32 v5, 0x4f7ffffe, v5
	v_cvt_u32_f32_e32 v5, v5
	v_mul_lo_u32 v6, s8, v5
	v_mul_hi_u32 v6, v5, v6
	v_add_u32_e32 v5, v5, v6
	v_mul_hi_u32 v5, v1, v5
	v_mul_lo_u32 v6, v5, s7
	v_sub_u32_e32 v1, v1, v6
	v_add_u32_e32 v7, 1, v5
	v_subrev_u32_e32 v6, s7, v1
	v_cmp_le_u32_e32 vcc, s7, v1
	v_cndmask_b32_e32 v1, v1, v6, vcc
	v_cndmask_b32_e32 v5, v5, v7, vcc
	v_add_u32_e32 v6, 1, v5
	v_cmp_le_u32_e32 vcc, s7, v1
	v_cndmask_b32_e32 v8, v5, v6, vcc
.LBB347_93:
	s_or_b64 exec, exec, s[2:3]
	v_add_co_u32_e32 v1, vcc, v8, v4
	v_addc_co_u32_e32 v5, vcc, 0, v9, vcc
	v_add_co_u32_e32 v4, vcc, 1, v1
	v_addc_co_u32_e32 v5, vcc, 0, v5, vcc
	v_cmp_lt_u64_e32 vcc, 1, v[4:5]
	v_cmp_eq_u16_e64 s[2:3], s7, 1
	s_and_b64 s[20:21], vcc, s[2:3]
	s_mov_b64 s[2:3], -1
	s_and_saveexec_b64 s[8:9], s[20:21]
	s_cbranch_execz .LBB347_97
; %bb.94:
	v_lshlrev_b64 v[12:13], 1, v[2:3]
	v_and_b32_e32 v6, -2, v4
	v_mov_b32_e32 v7, v5
	s_mov_b32 s2, 0
	v_mov_b32_e32 v1, s17
	v_add_co_u32_e32 v12, vcc, s16, v12
	v_mov_b32_e32 v11, v10
	v_lshlrev_b64 v[8:9], 2, v[2:3]
	s_lshl_b32 s22, s7, 3
	v_addc_co_u32_e32 v13, vcc, v1, v13, vcc
	s_mov_b64 s[20:21], 0
	v_mov_b32_e32 v1, s15
	v_mov_b32_e32 v16, s13
	s_mov_b32 s23, 0x3fb8aa3b
	s_mov_b32 s24, 0xc2ce8ed0
	;; [unrolled: 1-line block ×3, first 2 shown]
	v_mov_b32_e32 v17, 0x7f800000
	s_movk_i32 s37, 0x7fff
	v_mov_b32_e32 v18, 0x7fc0
	s_mov_b32 s39, 0x5040100
	v_mov_b32_e32 v19, s2
	v_pk_mov_b32 v[14:15], v[6:7], v[6:7] op_sel:[0,1]
.LBB347_95:                             ; =>This Inner Loop Header: Depth=1
	v_add_co_u32_e32 v20, vcc, s14, v8
	v_addc_co_u32_e32 v21, vcc, v1, v9, vcc
	v_add_co_u32_e32 v22, vcc, s12, v8
	v_addc_co_u32_e32 v23, vcc, v16, v9, vcc
	global_load_dwordx2 v[24:25], v[22:23], off
	global_load_dwordx2 v[26:27], v[20:21], off
	v_add_co_u32_e32 v14, vcc, -2, v14
	v_addc_co_u32_e32 v15, vcc, -1, v15, vcc
	v_add_co_u32_e32 v8, vcc, s22, v8
	v_addc_co_u32_e32 v9, vcc, v9, v19, vcc
	v_cmp_eq_u64_e32 vcc, 0, v[14:15]
	s_or_b64 s[20:21], vcc, s[20:21]
	s_waitcnt vmcnt(1)
	v_mul_f32_e32 v20, 0x3fb8aa3b, v25
	v_mul_f32_e32 v21, 0x3fb8aa3b, v24
	v_fma_f32 v22, v25, s23, -v20
	v_rndne_f32_e32 v23, v20
	v_fma_f32 v28, v24, s23, -v21
	v_rndne_f32_e32 v29, v21
	v_fmac_f32_e32 v22, 0x32a5705f, v25
	v_sub_f32_e32 v20, v20, v23
	v_fmac_f32_e32 v28, 0x32a5705f, v24
	v_sub_f32_e32 v21, v21, v29
	v_add_f32_e32 v20, v20, v22
	v_add_f32_e32 v21, v21, v28
	v_cvt_i32_f32_e32 v23, v23
	v_cvt_i32_f32_e32 v29, v29
	v_exp_f32_e32 v20, v20
	v_exp_f32_e32 v21, v21
	v_cmp_ngt_f32_e32 vcc, s24, v24
	v_cmp_ngt_f32_e64 s[2:3], s24, v25
	v_ldexp_f32 v20, v20, v23
	v_ldexp_f32 v21, v21, v29
	v_cndmask_b32_e64 v20, 0, v20, s[2:3]
	v_cndmask_b32_e32 v22, 0, v21, vcc
	v_cmp_nlt_f32_e32 vcc, s25, v24
	v_cmp_nlt_f32_e64 s[2:3], s25, v25
	v_cndmask_b32_e64 v21, v17, v20, s[2:3]
	v_cndmask_b32_e32 v20, v17, v22, vcc
	s_waitcnt vmcnt(0)
	v_pk_fma_f32 v[20:21], v[10:11], v[20:21], v[26:27] neg_lo:[1,0,0] neg_hi:[1,0,0]
	v_bfe_u32 v22, v20, 16, 1
	v_bfe_u32 v23, v21, 16, 1
	v_add3_u32 v23, v21, v23, s37
	v_add3_u32 v22, v20, v22, s37
	v_lshrrev_b32_e32 v22, 16, v22
	v_lshrrev_b32_e32 v23, 16, v23
	v_cmp_o_f32_e32 vcc, v21, v21
	v_cmp_o_f32_e64 s[2:3], v20, v20
	v_cndmask_b32_e64 v20, v18, v22, s[2:3]
	v_cndmask_b32_e32 v21, v18, v23, vcc
	v_perm_b32 v20, v21, v20, s39
	global_store_dword v[12:13], v20, off
	v_add_co_u32_e32 v12, vcc, s27, v12
	v_addc_co_u32_e32 v13, vcc, 0, v13, vcc
	s_andn2_b64 exec, exec, s[20:21]
	s_cbranch_execnz .LBB347_95
; %bb.96:
	s_or_b64 exec, exec, s[20:21]
	v_mad_u64_u32 v[2:3], s[2:3], v6, s7, v[2:3]
	v_mov_b32_e32 v8, v3
	v_mad_u64_u32 v[8:9], s[2:3], v7, s7, v[8:9]
	v_cmp_ne_u64_e32 vcc, v[4:5], v[6:7]
	v_mov_b32_e32 v3, v8
	s_orn2_b64 s[2:3], vcc, exec
                                        ; kill: def $vgpr1 killed $sgpr0 killed $exec
.LBB347_97:
	s_or_b64 exec, exec, s[8:9]
	s_and_b64 exec, exec, s[2:3]
	s_cbranch_execz .LBB347_100
; %bb.98:
	v_lshlrev_b64 v[6:7], 1, v[2:3]
	v_mov_b32_e32 v1, s17
	v_add_co_u32_e32 v6, vcc, s16, v6
	s_mov_b32 s17, 0
	v_lshlrev_b64 v[4:5], 2, v[2:3]
	v_addc_co_u32_e32 v7, vcc, v1, v7, vcc
	s_lshl_b32 s8, s7, 1
	s_mov_b64 s[2:3], 0
	v_mov_b32_e32 v1, s15
	v_mov_b32_e32 v8, s13
	s_mov_b32 s9, 0x3fb8aa3b
	s_mov_b32 s13, 0xc2ce8ed0
	;; [unrolled: 1-line block ×3, first 2 shown]
	v_mov_b32_e32 v9, 0x7f800000
	s_movk_i32 s16, 0x7fff
	v_mov_b32_e32 v11, 0x7fc0
	v_mov_b32_e32 v12, s33
	;; [unrolled: 1-line block ×3, first 2 shown]
.LBB347_99:                             ; =>This Inner Loop Header: Depth=1
	v_add_co_u32_e32 v14, vcc, s12, v4
	v_addc_co_u32_e32 v15, vcc, v8, v5, vcc
	global_load_dword v16, v[14:15], off
	v_add_co_u32_e32 v14, vcc, s14, v4
	v_addc_co_u32_e32 v15, vcc, v1, v5, vcc
	global_load_dword v14, v[14:15], off
	v_add_co_u32_e32 v2, vcc, s7, v2
	v_addc_co_u32_e32 v3, vcc, v3, v12, vcc
	v_add_co_u32_e32 v4, vcc, s27, v4
	v_addc_co_u32_e32 v5, vcc, 0, v5, vcc
	v_cmp_le_i64_e32 vcc, s[10:11], v[2:3]
	s_or_b64 s[2:3], vcc, s[2:3]
	s_waitcnt vmcnt(1)
	v_mul_f32_e32 v15, 0x3fb8aa3b, v16
	v_fma_f32 v17, v16, s9, -v15
	v_rndne_f32_e32 v18, v15
	v_fmac_f32_e32 v17, 0x32a5705f, v16
	v_sub_f32_e32 v15, v15, v18
	v_add_f32_e32 v15, v15, v17
	v_cvt_i32_f32_e32 v18, v18
	v_exp_f32_e32 v15, v15
	v_cmp_ngt_f32_e32 vcc, s13, v16
	v_ldexp_f32 v15, v15, v18
	v_cndmask_b32_e32 v15, 0, v15, vcc
	v_cmp_nlt_f32_e32 vcc, s15, v16
	v_cndmask_b32_e32 v15, v9, v15, vcc
	s_waitcnt vmcnt(0)
	v_fma_f32 v14, -v10, v15, v14
	v_bfe_u32 v15, v14, 16, 1
	v_add3_u32 v15, v14, v15, s16
	v_lshrrev_b32_e32 v15, 16, v15
	v_cmp_o_f32_e32 vcc, v14, v14
	v_cndmask_b32_e32 v14, v11, v15, vcc
	global_store_short v[6:7], v14, off
	v_add_co_u32_e32 v6, vcc, s8, v6
	v_addc_co_u32_e32 v7, vcc, v7, v13, vcc
	s_andn2_b64 exec, exec, s[2:3]
	s_cbranch_execnz .LBB347_99
.LBB347_100:
	s_or_b64 exec, exec, s[4:5]
	s_mov_b64 s[2:3], 0
.LBB347_101:
	s_and_b64 vcc, exec, s[2:3]
	s_cbranch_vccz .LBB347_113
; %bb.102:
	s_and_b64 vcc, exec, s[0:1]
	s_cbranch_vccnz .LBB347_106
; %bb.103:
	s_lshl_b32 s0, s38, 1
	s_sub_u32 s7, s30, s0
	s_subb_u32 s8, s31, 0
	s_lshl_b32 s0, s38, 2
	s_sub_u32 s4, s34, s0
	s_subb_u32 s5, s35, 0
	s_sub_u32 s2, s18, s0
	s_subb_u32 s3, s19, 0
	v_cmp_le_u32_e32 vcc, s38, v0
	s_and_saveexec_b64 s[0:1], vcc
	s_cbranch_execz .LBB347_105
; %bb.104:
	v_mov_b32_e32 v1, 0
	v_lshlrev_b64 v[2:3], 2, v[0:1]
	v_mov_b32_e32 v5, s5
	v_add_co_u32_e32 v4, vcc, s4, v2
	v_addc_co_u32_e32 v5, vcc, v5, v3, vcc
	global_load_dword v4, v[4:5], off
	v_mov_b32_e32 v5, s3
	v_add_co_u32_e32 v2, vcc, s2, v2
	v_addc_co_u32_e32 v3, vcc, v5, v3, vcc
	global_load_dword v5, v[2:3], off
	s_mov_b32 s9, 0x3fb8aa3b
	s_mov_b32 s10, 0xc2ce8ed0
	;; [unrolled: 1-line block ×3, first 2 shown]
	v_mov_b32_e32 v6, 0x7f800000
	s_movk_i32 s12, 0x7fff
	v_mov_b32_e32 v9, 0x7fc0
	v_mov_b32_e32 v11, s8
	s_waitcnt vmcnt(1)
	v_mul_f32_e32 v2, 0x3fb8aa3b, v4
	v_fma_f32 v3, v4, s9, -v2
	v_rndne_f32_e32 v7, v2
	v_fmac_f32_e32 v3, 0x32a5705f, v4
	v_sub_f32_e32 v2, v2, v7
	v_add_f32_e32 v2, v2, v3
	v_cvt_i32_f32_e32 v7, v7
	v_exp_f32_e32 v8, v2
	v_lshlrev_b64 v[2:3], 1, v[0:1]
	v_cmp_ngt_f32_e32 vcc, s10, v4
	v_ldexp_f32 v1, v8, v7
	v_cndmask_b32_e32 v1, 0, v1, vcc
	v_cmp_nlt_f32_e32 vcc, s11, v4
	v_cndmask_b32_e32 v1, v6, v1, vcc
	s_waitcnt vmcnt(0) lgkmcnt(0)
	v_fma_f32 v1, -v10, v1, v5
	v_bfe_u32 v4, v1, 16, 1
	v_add3_u32 v4, v1, v4, s12
	v_lshrrev_b32_e32 v4, 16, v4
	v_cmp_o_f32_e32 vcc, v1, v1
	v_cndmask_b32_e32 v1, v9, v4, vcc
	v_add_co_u32_e32 v2, vcc, s7, v2
	v_addc_co_u32_e32 v3, vcc, v11, v3, vcc
	global_store_short v[2:3], v1, off
.LBB347_105:
	s_or_b64 exec, exec, s[0:1]
	s_add_i32 s0, s38, s26
	v_mov_b32_e32 v1, s36
	v_sub_u32_e64 v1, s0, v1 clamp
	s_lshl_b32 s0, s36, 1
	s_add_u32 s30, s7, s0
	s_addc_u32 s31, s8, 0
	s_lshl_b32 s0, s36, 2
	s_add_u32 s34, s4, s0
	s_addc_u32 s35, s5, 0
	s_add_u32 s18, s2, s0
	v_readfirstlane_b32 s26, v1
	s_addc_u32 s19, s3, 0
.LBB347_106:
	s_load_dword s0, s[28:29], 0x0
	v_mov_b32_e32 v1, 0
	s_waitcnt lgkmcnt(0)
	s_cmp_lt_u32 s6, s0
	s_cselect_b32 s0, 12, 18
	s_add_u32 s0, s28, s0
	s_addc_u32 s1, s29, 0
	global_load_ushort v11, v1, s[0:1]
	s_waitcnt vmcnt(0)
	v_readfirstlane_b32 s0, v11
	s_lshl_b32 s0, s0, 2
	v_cvt_f32_u32_e32 v1, s0
	s_sub_i32 s1, 0, s0
	v_rcp_iflag_f32_e32 v1, v1
	v_mul_f32_e32 v1, 0x4f7ffffe, v1
	v_cvt_u32_f32_e32 v1, v1
	v_readfirstlane_b32 s2, v1
	s_mul_i32 s1, s1, s2
	s_mul_hi_u32 s1, s2, s1
	s_add_i32 s2, s2, s1
	s_mul_hi_u32 s1, s26, s2
	s_mul_i32 s1, s1, s0
	s_sub_i32 s1, s26, s1
	s_sub_i32 s2, s1, s0
	s_cmp_ge_u32 s1, s0
	s_cselect_b32 s1, s2, s1
	s_sub_i32 s2, s1, s0
	s_cmp_ge_u32 s1, s0
	s_cselect_b32 s0, s2, s1
	s_sub_i32 s6, s26, s0
	v_lshlrev_b32_e32 v1, 2, v0
	v_cmp_gt_i32_e32 vcc, s6, v1
	s_and_saveexec_b64 s[2:3], vcc
	s_cbranch_execz .LBB347_109
; %bb.107:
	s_mov_b64 s[4:5], 0
	v_mov_b32_e32 v1, s35
	v_mov_b32_e32 v14, s19
	s_mov_b32 s7, 0x3fb8aa3b
	s_mov_b32 s8, 0xc2ce8ed0
	;; [unrolled: 1-line block ×3, first 2 shown]
	v_mov_b32_e32 v15, 0x7f800000
	s_movk_i32 s10, 0x7fff
	v_mov_b32_e32 v16, s31
	v_mov_b32_e32 v17, 0x7fc00000
	;; [unrolled: 1-line block ×4, first 2 shown]
.LBB347_108:                            ; =>This Inner Loop Header: Depth=1
	v_ashrrev_i32_e32 v13, 31, v12
	v_lshlrev_b64 v[6:7], 4, v[12:13]
	v_add_co_u32_e32 v2, vcc, s34, v6
	v_addc_co_u32_e32 v3, vcc, v1, v7, vcc
	global_load_dwordx4 v[2:5], v[2:3], off
	v_add_co_u32_e32 v6, vcc, s18, v6
	v_addc_co_u32_e32 v7, vcc, v14, v7, vcc
	global_load_dwordx4 v[6:9], v[6:7], off
	v_lshlrev_b64 v[20:21], 3, v[12:13]
	v_add_u32_e32 v12, v12, v11
	v_add_co_u32_e32 v20, vcc, s30, v20
	v_addc_co_u32_e32 v21, vcc, v16, v21, vcc
	v_lshlrev_b32_e32 v13, 2, v12
	v_cmp_le_i32_e32 vcc, s6, v13
	s_or_b64 s[4:5], vcc, s[4:5]
	s_waitcnt vmcnt(1)
	v_mul_f32_e32 v13, 0x3fb8aa3b, v2
	v_mul_f32_e32 v19, 0x3fb8aa3b, v3
	v_fma_f32 v24, v2, s7, -v13
	v_rndne_f32_e32 v25, v13
	v_mul_f32_e32 v22, 0x3fb8aa3b, v4
	v_fma_f32 v26, v3, s7, -v19
	v_rndne_f32_e32 v27, v19
	v_fmac_f32_e32 v24, 0x32a5705f, v2
	v_sub_f32_e32 v13, v13, v25
	v_mul_f32_e32 v23, 0x3fb8aa3b, v5
	v_fma_f32 v28, v4, s7, -v22
	v_rndne_f32_e32 v29, v22
	v_fmac_f32_e32 v26, 0x32a5705f, v3
	v_sub_f32_e32 v19, v19, v27
	v_add_f32_e32 v13, v13, v24
	v_fma_f32 v30, v5, s7, -v23
	v_rndne_f32_e32 v31, v23
	v_cvt_i32_f32_e32 v25, v25
	v_fmac_f32_e32 v28, 0x32a5705f, v4
	v_sub_f32_e32 v22, v22, v29
	v_add_f32_e32 v19, v19, v26
	v_exp_f32_e32 v13, v13
	v_cvt_i32_f32_e32 v27, v27
	v_fmac_f32_e32 v30, 0x32a5705f, v5
	v_sub_f32_e32 v23, v23, v31
	v_add_f32_e32 v22, v22, v28
	v_exp_f32_e32 v19, v19
	v_cvt_i32_f32_e32 v29, v29
	v_add_f32_e32 v23, v23, v30
	v_exp_f32_e32 v22, v22
	v_cvt_i32_f32_e32 v31, v31
	v_exp_f32_e32 v23, v23
	v_ldexp_f32 v13, v13, v25
	v_cmp_ngt_f32_e64 s[0:1], s8, v2
	v_ldexp_f32 v19, v19, v27
	v_cndmask_b32_e64 v13, 0, v13, s[0:1]
	v_cmp_ngt_f32_e64 s[0:1], s8, v3
	v_ldexp_f32 v22, v22, v29
	v_cndmask_b32_e64 v19, 0, v19, s[0:1]
	;; [unrolled: 3-line block ×3, first 2 shown]
	v_cmp_ngt_f32_e64 s[0:1], s8, v5
	v_cndmask_b32_e64 v23, 0, v23, s[0:1]
	v_cmp_nlt_f32_e64 s[0:1], s9, v2
	v_cndmask_b32_e64 v2, v15, v13, s[0:1]
	v_cmp_nlt_f32_e64 s[0:1], s9, v3
	;; [unrolled: 2-line block ×4, first 2 shown]
	v_cndmask_b32_e64 v5, v15, v23, s[0:1]
	s_waitcnt vmcnt(0)
	v_fma_f32 v5, -v10, v5, v9
	v_fma_f32 v4, -v10, v4, v8
	v_bfe_u32 v9, v5, 16, 1
	v_fma_f32 v3, -v10, v3, v7
	v_bfe_u32 v8, v4, 16, 1
	v_add3_u32 v9, v5, v9, s10
	v_fma_f32 v2, -v10, v2, v6
	v_bfe_u32 v7, v3, 16, 1
	v_add3_u32 v8, v4, v8, s10
	v_and_b32_e32 v9, 0xffff0000, v9
	v_cmp_o_f32_e64 s[0:1], v5, v5
	v_bfe_u32 v6, v2, 16, 1
	v_add3_u32 v7, v3, v7, s10
	v_lshrrev_b32_e32 v8, 16, v8
	v_cndmask_b32_e64 v5, v17, v9, s[0:1]
	v_cmp_o_f32_e64 s[0:1], v4, v4
	v_add3_u32 v6, v2, v6, s10
	v_and_b32_e32 v7, 0xffff0000, v7
	v_cndmask_b32_e64 v4, v18, v8, s[0:1]
	v_cmp_o_f32_e64 s[0:1], v3, v3
	v_lshrrev_b32_e32 v6, 16, v6
	v_cndmask_b32_e64 v3, v17, v7, s[0:1]
	v_cmp_o_f32_e64 s[0:1], v2, v2
	v_cndmask_b32_e64 v2, v18, v6, s[0:1]
	v_or_b32_e32 v2, v3, v2
	v_or3_b32 v3, 0, v4, v5
	v_or3_b32 v2, v2, 0, 0
	global_store_dwordx2 v[20:21], v[2:3], off
	s_andn2_b64 exec, exec, s[4:5]
	s_cbranch_execnz .LBB347_108
.LBB347_109:
	s_or_b64 exec, exec, s[2:3]
	v_add_u32_e32 v0, s6, v0
	v_cmp_gt_i32_e32 vcc, s26, v0
	s_and_saveexec_b64 s[0:1], vcc
	s_cbranch_execz .LBB347_113
; %bb.110:
	s_mov_b64 s[2:3], 0
	v_mov_b32_e32 v2, s19
	v_mov_b32_e32 v3, s35
	s_mov_b32 s4, 0x3fb8aa3b
	s_mov_b32 s5, 0xc2ce8ed0
	;; [unrolled: 1-line block ×3, first 2 shown]
	v_mov_b32_e32 v4, 0x7f800000
	s_movk_i32 s7, 0x7fff
	v_mov_b32_e32 v5, 0x7fc0
	v_mov_b32_e32 v6, s31
.LBB347_111:                            ; =>This Inner Loop Header: Depth=1
	v_ashrrev_i32_e32 v1, 31, v0
	v_lshlrev_b64 v[8:9], 2, v[0:1]
	v_add_co_u32_e32 v12, vcc, s34, v8
	v_addc_co_u32_e32 v13, vcc, v3, v9, vcc
	global_load_dword v7, v[12:13], off
	v_add_co_u32_e32 v8, vcc, s18, v8
	v_addc_co_u32_e32 v9, vcc, v2, v9, vcc
	global_load_dword v12, v[8:9], off
	v_lshlrev_b64 v[8:9], 1, v[0:1]
	v_add_co_u32_e32 v8, vcc, s30, v8
	v_add_u32_e32 v0, v0, v11
	v_addc_co_u32_e32 v9, vcc, v6, v9, vcc
	v_cmp_le_i32_e32 vcc, s26, v0
	s_or_b64 s[2:3], vcc, s[2:3]
	s_waitcnt vmcnt(1)
	v_mul_f32_e32 v1, 0x3fb8aa3b, v7
	v_fma_f32 v13, v7, s4, -v1
	v_rndne_f32_e32 v14, v1
	v_fmac_f32_e32 v13, 0x32a5705f, v7
	v_sub_f32_e32 v1, v1, v14
	v_add_f32_e32 v1, v1, v13
	v_cvt_i32_f32_e32 v14, v14
	v_exp_f32_e32 v1, v1
	v_cmp_ngt_f32_e64 s[0:1], s5, v7
	v_ldexp_f32 v1, v1, v14
	v_cndmask_b32_e64 v1, 0, v1, s[0:1]
	v_cmp_nlt_f32_e64 s[0:1], s6, v7
	v_cndmask_b32_e64 v1, v4, v1, s[0:1]
	s_waitcnt vmcnt(0)
	v_fma_f32 v1, -v10, v1, v12
	v_bfe_u32 v7, v1, 16, 1
	v_add3_u32 v7, v1, v7, s7
	v_lshrrev_b32_e32 v7, 16, v7
	v_cmp_o_f32_e64 s[0:1], v1, v1
	v_cndmask_b32_e64 v1, v5, v7, s[0:1]
	global_store_short v[8:9], v1, off
	s_andn2_b64 exec, exec, s[2:3]
	s_cbranch_execnz .LBB347_111
	s_branch .LBB347_113
.LBB347_112:
	s_cbranch_execz .LBB347_77
.LBB347_113:
	s_endpgm
.LBB347_114:
                                        ; implicit-def: $vgpr4_vgpr5
	s_branch .LBB347_84
	.section	.rodata,"a",@progbits
	.p2align	6, 0x0
	.amdhsa_kernel _ZN2at6native12_GLOBAL__N_120cunn_SoftMaxBackwardILi4EN3c108BFloat16EffNS1_26LogSoftMaxBackwardEpilogueEEEvPT0_PKT2_SA_l
		.amdhsa_group_segment_fixed_size 0
		.amdhsa_private_segment_fixed_size 0
		.amdhsa_kernarg_size 288
		.amdhsa_user_sgpr_count 6
		.amdhsa_user_sgpr_private_segment_buffer 1
		.amdhsa_user_sgpr_dispatch_ptr 0
		.amdhsa_user_sgpr_queue_ptr 0
		.amdhsa_user_sgpr_kernarg_segment_ptr 1
		.amdhsa_user_sgpr_dispatch_id 0
		.amdhsa_user_sgpr_flat_scratch_init 0
		.amdhsa_user_sgpr_kernarg_preload_length 0
		.amdhsa_user_sgpr_kernarg_preload_offset 0
		.amdhsa_user_sgpr_private_segment_size 0
		.amdhsa_uses_dynamic_stack 0
		.amdhsa_system_sgpr_private_segment_wavefront_offset 0
		.amdhsa_system_sgpr_workgroup_id_x 1
		.amdhsa_system_sgpr_workgroup_id_y 0
		.amdhsa_system_sgpr_workgroup_id_z 0
		.amdhsa_system_sgpr_workgroup_info 0
		.amdhsa_system_vgpr_workitem_id 0
		.amdhsa_next_free_vgpr 40
		.amdhsa_next_free_sgpr 74
		.amdhsa_accum_offset 40
		.amdhsa_reserve_vcc 1
		.amdhsa_reserve_flat_scratch 0
		.amdhsa_float_round_mode_32 0
		.amdhsa_float_round_mode_16_64 0
		.amdhsa_float_denorm_mode_32 3
		.amdhsa_float_denorm_mode_16_64 3
		.amdhsa_dx10_clamp 1
		.amdhsa_ieee_mode 1
		.amdhsa_fp16_overflow 0
		.amdhsa_tg_split 0
		.amdhsa_exception_fp_ieee_invalid_op 0
		.amdhsa_exception_fp_denorm_src 0
		.amdhsa_exception_fp_ieee_div_zero 0
		.amdhsa_exception_fp_ieee_overflow 0
		.amdhsa_exception_fp_ieee_underflow 0
		.amdhsa_exception_fp_ieee_inexact 0
		.amdhsa_exception_int_div_zero 0
	.end_amdhsa_kernel
	.section	.text._ZN2at6native12_GLOBAL__N_120cunn_SoftMaxBackwardILi4EN3c108BFloat16EffNS1_26LogSoftMaxBackwardEpilogueEEEvPT0_PKT2_SA_l,"axG",@progbits,_ZN2at6native12_GLOBAL__N_120cunn_SoftMaxBackwardILi4EN3c108BFloat16EffNS1_26LogSoftMaxBackwardEpilogueEEEvPT0_PKT2_SA_l,comdat
.Lfunc_end347:
	.size	_ZN2at6native12_GLOBAL__N_120cunn_SoftMaxBackwardILi4EN3c108BFloat16EffNS1_26LogSoftMaxBackwardEpilogueEEEvPT0_PKT2_SA_l, .Lfunc_end347-_ZN2at6native12_GLOBAL__N_120cunn_SoftMaxBackwardILi4EN3c108BFloat16EffNS1_26LogSoftMaxBackwardEpilogueEEEvPT0_PKT2_SA_l
                                        ; -- End function
	.section	.AMDGPU.csdata,"",@progbits
; Kernel info:
; codeLenInByte = 12076
; NumSgprs: 78
; NumVgprs: 40
; NumAgprs: 0
; TotalNumVgprs: 40
; ScratchSize: 0
; MemoryBound: 0
; FloatMode: 240
; IeeeMode: 1
; LDSByteSize: 0 bytes/workgroup (compile time only)
; SGPRBlocks: 9
; VGPRBlocks: 4
; NumSGPRsForWavesPerEU: 78
; NumVGPRsForWavesPerEU: 40
; AccumOffset: 40
; Occupancy: 8
; WaveLimiterHint : 0
; COMPUTE_PGM_RSRC2:SCRATCH_EN: 0
; COMPUTE_PGM_RSRC2:USER_SGPR: 6
; COMPUTE_PGM_RSRC2:TRAP_HANDLER: 0
; COMPUTE_PGM_RSRC2:TGID_X_EN: 1
; COMPUTE_PGM_RSRC2:TGID_Y_EN: 0
; COMPUTE_PGM_RSRC2:TGID_Z_EN: 0
; COMPUTE_PGM_RSRC2:TIDIG_COMP_CNT: 0
; COMPUTE_PGM_RSRC3_GFX90A:ACCUM_OFFSET: 9
; COMPUTE_PGM_RSRC3_GFX90A:TG_SPLIT: 0
	.section	.text._ZN2at6native12_GLOBAL__N_127cunn_SpatialSoftMaxBackwardIdddNS1_26LogSoftMaxBackwardEpilogueEEEvPT_PKT1_S8_jjj,"axG",@progbits,_ZN2at6native12_GLOBAL__N_127cunn_SpatialSoftMaxBackwardIdddNS1_26LogSoftMaxBackwardEpilogueEEEvPT_PKT1_S8_jjj,comdat
	.globl	_ZN2at6native12_GLOBAL__N_127cunn_SpatialSoftMaxBackwardIdddNS1_26LogSoftMaxBackwardEpilogueEEEvPT_PKT1_S8_jjj ; -- Begin function _ZN2at6native12_GLOBAL__N_127cunn_SpatialSoftMaxBackwardIdddNS1_26LogSoftMaxBackwardEpilogueEEEvPT_PKT1_S8_jjj
	.p2align	8
	.type	_ZN2at6native12_GLOBAL__N_127cunn_SpatialSoftMaxBackwardIdddNS1_26LogSoftMaxBackwardEpilogueEEEvPT_PKT1_S8_jjj,@function
_ZN2at6native12_GLOBAL__N_127cunn_SpatialSoftMaxBackwardIdddNS1_26LogSoftMaxBackwardEpilogueEEEvPT_PKT1_S8_jjj: ; @_ZN2at6native12_GLOBAL__N_127cunn_SpatialSoftMaxBackwardIdddNS1_26LogSoftMaxBackwardEpilogueEEEvPT_PKT1_S8_jjj
; %bb.0:
	s_load_dwordx4 s[16:19], s[4:5], 0x18
	s_waitcnt lgkmcnt(0)
	s_cmp_ge_u32 s6, s16
	s_cbranch_scc1 .LBB348_26
; %bb.1:
	s_load_dwordx2 s[14:15], s[4:5], 0x28
	s_load_dword s0, s[4:5], 0x34
	s_load_dwordx4 s[20:23], s[4:5], 0x0
	s_load_dwordx2 s[24:25], s[4:5], 0x10
	s_add_u32 s26, s4, 40
	s_addc_u32 s27, s5, 0
	s_waitcnt lgkmcnt(0)
	s_lshr_b32 s4, s0, 16
	v_and_b32_e32 v24, 0x3ff, v0
	s_mul_i32 s9, s6, s17
	v_bfe_u32 v22, v0, 10, 10
	s_cmp_lg_u32 s17, 0
	v_add_u32_e32 v0, s9, v24
	s_mul_i32 s8, s7, s4
	s_mul_i32 s7, s15, s4
	;; [unrolled: 1-line block ×3, first 2 shown]
	s_cselect_b64 s[4:5], -1, 0
	v_mul_lo_u32 v0, s18, v0
	v_add_u32_e32 v23, s8, v22
	s_add_i32 s10, s8, s10
	s_mul_i32 s15, s14, s18
	v_add3_u32 v26, v22, v0, s8
	v_cndmask_b32_e64 v0, 0, 1, s[4:5]
	s_mov_b32 s28, 0x652b82fe
	s_mov_b32 s30, 0xfefa39ef
	;; [unrolled: 1-line block ×6, first 2 shown]
	v_cmp_gt_u32_e64 s[0:1], s18, v23
	v_cmp_gt_u32_e64 s[2:3], s17, v24
	v_add_u32_e32 v25, s10, v22
	s_mul_i32 s15, s15, s17
	v_cmp_ne_u32_e64 s[4:5], 1, v0
	v_mov_b32_e32 v1, 0
	s_mov_b32 s29, 0x3ff71547
	s_mov_b32 s31, 0xbfe62e42
	;; [unrolled: 1-line block ×6, first 2 shown]
	v_mov_b32_e32 v2, 0xfca7ab0c
	v_mov_b32_e32 v3, 0x3e928af3
	v_mov_b32_e32 v4, 0x623fde64
	v_mov_b32_e32 v5, 0x3ec71dee
	v_mov_b32_e32 v6, 0x7c89e6b0
	v_mov_b32_e32 v7, 0x3efa0199
	v_mov_b32_e32 v8, 0x14761f6e
	v_mov_b32_e32 v9, 0x3f2a01a0
	v_mov_b32_e32 v10, 0x1852b7b0
	v_mov_b32_e32 v11, 0x3f56c16c
	v_mov_b32_e32 v12, 0x11122322
	v_mov_b32_e32 v13, 0x3f811111
	v_mov_b32_e32 v14, 0x555502a1
	v_mov_b32_e32 v15, 0x3fa55555
	v_mov_b32_e32 v16, 0x55555511
	v_mov_b32_e32 v17, 0x3fc55555
	v_mov_b32_e32 v18, 11
	v_mov_b32_e32 v19, 0x3fe00000
	v_mov_b32_e32 v27, 0x7ff00000
	s_branch .LBB348_3
.LBB348_2:                              ;   in Loop: Header=BB348_3 Depth=1
	s_or_b64 exec, exec, s[42:43]
	s_add_i32 s6, s14, s6
	v_add_u32_e32 v25, s15, v25
	s_cmp_ge_u32 s6, s16
	v_add_u32_e32 v26, s15, v26
	s_cbranch_scc1 .LBB348_26
.LBB348_3:                              ; =>This Loop Header: Depth=1
                                        ;     Child Loop BB348_7 Depth 2
                                        ;       Child Loop BB348_10 Depth 3
                                        ;       Child Loop BB348_12 Depth 3
	;; [unrolled: 1-line block ×5, first 2 shown]
	s_and_saveexec_b64 s[42:43], s[0:1]
	s_cbranch_execz .LBB348_2
; %bb.4:                                ;   in Loop: Header=BB348_3 Depth=1
	s_load_dword s8, s[26:27], 0xc
	s_mov_b64 s[44:45], 0
	v_mov_b32_e32 v30, v26
	v_mov_b32_e32 v31, v25
	;; [unrolled: 1-line block ×3, first 2 shown]
	s_waitcnt lgkmcnt(0)
	s_and_b32 s19, s8, 0xffff
	s_cmp_lt_u32 s19, 2
	v_mul_u32_u24_e32 v0, s19, v22
	s_cselect_b64 s[8:9], -1, 0
	v_lshl_add_u32 v28, v0, 3, 0
	v_cndmask_b32_e64 v0, 0, 1, s[8:9]
	s_mul_i32 s33, s18, s19
	v_lshl_add_u32 v29, v24, 3, v28
	v_cmp_ne_u32_e64 s[8:9], 1, v0
	s_branch .LBB348_7
.LBB348_5:                              ;   in Loop: Header=BB348_7 Depth=2
	s_or_b64 exec, exec, s[46:47]
.LBB348_6:                              ;   in Loop: Header=BB348_7 Depth=2
	v_add_u32_e32 v32, s7, v32
	v_cmp_le_u32_e32 vcc, s18, v32
	v_add_u32_e32 v31, s7, v31
	s_or_b64 s[44:45], vcc, s[44:45]
	v_add_u32_e32 v30, s7, v30
	s_andn2_b64 exec, exec, s[44:45]
	s_cbranch_execz .LBB348_2
.LBB348_7:                              ;   Parent Loop BB348_3 Depth=1
                                        ; =>  This Loop Header: Depth=2
                                        ;       Child Loop BB348_10 Depth 3
                                        ;       Child Loop BB348_12 Depth 3
	;; [unrolled: 1-line block ×5, first 2 shown]
	s_and_b64 vcc, exec, s[8:9]
	s_mov_b64 s[10:11], -1
	s_cbranch_vccnz .LBB348_14
; %bb.8:                                ;   in Loop: Header=BB348_7 Depth=2
	v_pk_mov_b32 v[20:21], 0, 0
	s_and_b64 vcc, exec, s[4:5]
	s_cbranch_vccnz .LBB348_11
; %bb.9:                                ;   in Loop: Header=BB348_7 Depth=2
	v_mov_b32_e32 v0, v31
	s_mov_b32 s10, s17
.LBB348_10:                             ;   Parent Loop BB348_3 Depth=1
                                        ;     Parent Loop BB348_7 Depth=2
                                        ; =>    This Inner Loop Header: Depth=3
	v_lshlrev_b64 v[34:35], 3, v[0:1]
	v_mov_b32_e32 v33, s25
	v_add_co_u32_e32 v34, vcc, s24, v34
	v_addc_co_u32_e32 v35, vcc, v33, v35, vcc
	global_load_dwordx2 v[34:35], v[34:35], off
	s_add_i32 s10, s10, -1
	v_add_u32_e32 v0, s18, v0
	s_cmp_eq_u32 s10, 0
	s_waitcnt vmcnt(0)
	v_add_f64 v[20:21], v[20:21], v[34:35]
	s_cbranch_scc0 .LBB348_10
.LBB348_11:                             ;   in Loop: Header=BB348_7 Depth=2
	s_and_b64 vcc, exec, s[4:5]
	v_mov_b32_e32 v0, v31
	s_mov_b32 s12, s17
	s_cbranch_vccnz .LBB348_13
.LBB348_12:                             ;   Parent Loop BB348_3 Depth=1
                                        ;     Parent Loop BB348_7 Depth=2
                                        ; =>    This Inner Loop Header: Depth=3
	v_lshlrev_b64 v[34:35], 3, v[0:1]
	v_mov_b32_e32 v33, s23
	v_add_co_u32_e32 v36, vcc, s22, v34
	v_addc_co_u32_e32 v37, vcc, v33, v35, vcc
	global_load_dwordx2 v[36:37], v[36:37], off
	v_mov_b32_e32 v33, s25
	v_add_co_u32_e32 v38, vcc, s24, v34
	v_addc_co_u32_e32 v39, vcc, v33, v35, vcc
	global_load_dwordx2 v[38:39], v[38:39], off
	v_pk_mov_b32 v[40:41], v[2:3], v[2:3] op_sel:[0,1]
	v_pk_mov_b32 v[42:43], v[4:5], v[4:5] op_sel:[0,1]
	;; [unrolled: 1-line block ×9, first 2 shown]
	v_mov_b32_e32 v33, s21
	v_add_co_u32_e32 v34, vcc, s20, v34
	v_addc_co_u32_e32 v35, vcc, v33, v35, vcc
	s_add_i32 s12, s12, -1
	v_add_u32_e32 v0, s18, v0
	s_waitcnt vmcnt(1)
	v_mul_f64 v[58:59], v[36:37], s[28:29]
	v_rndne_f64_e32 v[58:59], v[58:59]
	v_fma_f64 v[60:61], s[30:31], v[58:59], v[36:37]
	v_fmac_f64_e32 v[60:61], s[34:35], v[58:59]
	v_fmac_f64_e32 v[40:41], s[36:37], v[60:61]
	;; [unrolled: 1-line block ×10, first 2 shown]
	v_fma_f64 v[40:41], v[60:61], v[56:57], 1.0
	v_cvt_i32_f64_e32 v33, v[58:59]
	v_fma_f64 v[40:41], v[60:61], v[40:41], 1.0
	v_ldexp_f64 v[40:41], v[40:41], v33
	v_cmp_nlt_f64_e32 vcc, s[38:39], v[36:37]
	v_cmp_ngt_f64_e64 s[10:11], s[40:41], v[36:37]
	v_cndmask_b32_e32 v33, v27, v41, vcc
	s_and_b64 vcc, s[10:11], vcc
	v_cndmask_b32_e64 v37, 0, v33, s[10:11]
	v_cndmask_b32_e32 v36, 0, v40, vcc
	s_waitcnt vmcnt(0)
	v_fma_f64 v[36:37], -v[20:21], v[36:37], v[38:39]
	s_cmp_lg_u32 s12, 0
	global_store_dwordx2 v[34:35], v[36:37], off
	s_cbranch_scc1 .LBB348_12
.LBB348_13:                             ;   in Loop: Header=BB348_7 Depth=2
	s_mov_b64 s[10:11], 0
.LBB348_14:                             ;   in Loop: Header=BB348_7 Depth=2
	s_and_b64 vcc, exec, s[10:11]
	s_cbranch_vccz .LBB348_6
; %bb.15:                               ;   in Loop: Header=BB348_7 Depth=2
	v_pk_mov_b32 v[20:21], 0, 0
	s_and_saveexec_b64 s[10:11], s[2:3]
	s_cbranch_execz .LBB348_19
; %bb.16:                               ;   in Loop: Header=BB348_7 Depth=2
	s_mov_b64 s[12:13], 0
	v_pk_mov_b32 v[20:21], 0, 0
	v_mov_b32_e32 v0, v30
	v_mov_b32_e32 v33, v24
.LBB348_17:                             ;   Parent Loop BB348_3 Depth=1
                                        ;     Parent Loop BB348_7 Depth=2
                                        ; =>    This Inner Loop Header: Depth=3
	v_lshlrev_b64 v[34:35], 3, v[0:1]
	v_mov_b32_e32 v36, s25
	v_add_co_u32_e32 v34, vcc, s24, v34
	v_addc_co_u32_e32 v35, vcc, v36, v35, vcc
	global_load_dwordx2 v[34:35], v[34:35], off
	v_add_u32_e32 v33, s19, v33
	v_cmp_le_u32_e32 vcc, s17, v33
	v_add_u32_e32 v0, s33, v0
	s_or_b64 s[12:13], vcc, s[12:13]
	s_waitcnt vmcnt(0)
	v_add_f64 v[20:21], v[20:21], v[34:35]
	s_andn2_b64 exec, exec, s[12:13]
	s_cbranch_execnz .LBB348_17
; %bb.18:                               ;   in Loop: Header=BB348_7 Depth=2
	s_or_b64 exec, exec, s[12:13]
.LBB348_19:                             ;   in Loop: Header=BB348_7 Depth=2
	s_or_b64 exec, exec, s[10:11]
	s_mov_b32 s12, s19
	s_barrier
	ds_write_b64 v29, v[20:21]
	s_branch .LBB348_21
.LBB348_20:                             ;   in Loop: Header=BB348_21 Depth=3
	s_or_b64 exec, exec, s[10:11]
	s_cmp_gt_u32 s12, 3
	s_mov_b32 s12, s13
	s_cbranch_scc0 .LBB348_23
.LBB348_21:                             ;   Parent Loop BB348_3 Depth=1
                                        ;     Parent Loop BB348_7 Depth=2
                                        ; =>    This Inner Loop Header: Depth=3
	s_lshr_b32 s13, s12, 1
	v_cmp_gt_u32_e32 vcc, s13, v24
	s_waitcnt lgkmcnt(0)
	s_barrier
	s_and_saveexec_b64 s[10:11], vcc
	s_cbranch_execz .LBB348_20
; %bb.22:                               ;   in Loop: Header=BB348_21 Depth=3
	v_lshl_add_u32 v0, s13, 3, v29
	ds_read_b64 v[20:21], v29
	ds_read_b64 v[34:35], v0
	s_waitcnt lgkmcnt(0)
	v_add_f64 v[20:21], v[20:21], v[34:35]
	ds_write_b64 v29, v[20:21]
	s_branch .LBB348_20
.LBB348_23:                             ;   in Loop: Header=BB348_7 Depth=2
	s_waitcnt lgkmcnt(0)
	s_barrier
	s_and_saveexec_b64 s[46:47], s[2:3]
	s_cbranch_execz .LBB348_5
; %bb.24:                               ;   in Loop: Header=BB348_7 Depth=2
	ds_read_b64 v[20:21], v28
	s_mov_b64 s[48:49], 0
	v_mov_b32_e32 v0, v30
	v_mov_b32_e32 v33, v24
.LBB348_25:                             ;   Parent Loop BB348_3 Depth=1
                                        ;     Parent Loop BB348_7 Depth=2
                                        ; =>    This Inner Loop Header: Depth=3
	v_lshlrev_b64 v[34:35], 3, v[0:1]
	v_mov_b32_e32 v37, s23
	v_add_co_u32_e32 v36, vcc, s22, v34
	v_addc_co_u32_e32 v37, vcc, v37, v35, vcc
	global_load_dwordx2 v[36:37], v[36:37], off
	v_mov_b32_e32 v39, s25
	v_add_co_u32_e32 v38, vcc, s24, v34
	v_addc_co_u32_e32 v39, vcc, v39, v35, vcc
	global_load_dwordx2 v[38:39], v[38:39], off
	v_mov_b32_e32 v58, s21
	v_add_co_u32_e32 v34, vcc, s20, v34
	v_addc_co_u32_e32 v35, vcc, v58, v35, vcc
	v_pk_mov_b32 v[40:41], v[2:3], v[2:3] op_sel:[0,1]
	v_pk_mov_b32 v[42:43], v[4:5], v[4:5] op_sel:[0,1]
	;; [unrolled: 1-line block ×9, first 2 shown]
	v_add_u32_e32 v33, s19, v33
	v_cmp_le_u32_e32 vcc, s17, v33
	v_add_u32_e32 v0, s33, v0
	s_waitcnt vmcnt(1)
	v_mul_f64 v[58:59], v[36:37], s[28:29]
	v_rndne_f64_e32 v[58:59], v[58:59]
	v_fma_f64 v[60:61], s[30:31], v[58:59], v[36:37]
	v_fmac_f64_e32 v[60:61], s[34:35], v[58:59]
	v_fmac_f64_e32 v[40:41], s[36:37], v[60:61]
	;; [unrolled: 1-line block ×10, first 2 shown]
	v_fma_f64 v[40:41], v[60:61], v[56:57], 1.0
	v_cvt_i32_f64_e32 v62, v[58:59]
	v_fma_f64 v[40:41], v[60:61], v[40:41], 1.0
	v_ldexp_f64 v[40:41], v[40:41], v62
	v_cmp_nlt_f64_e64 s[10:11], s[38:39], v[36:37]
	v_cmp_ngt_f64_e64 s[12:13], s[40:41], v[36:37]
	v_cndmask_b32_e64 v41, v27, v41, s[10:11]
	s_and_b64 s[10:11], s[12:13], s[10:11]
	v_cndmask_b32_e64 v37, 0, v41, s[12:13]
	v_cndmask_b32_e64 v36, 0, v40, s[10:11]
	s_waitcnt vmcnt(0) lgkmcnt(0)
	v_fma_f64 v[36:37], -v[20:21], v[36:37], v[38:39]
	s_or_b64 s[48:49], vcc, s[48:49]
	global_store_dwordx2 v[34:35], v[36:37], off
	s_andn2_b64 exec, exec, s[48:49]
	s_cbranch_execnz .LBB348_25
	s_branch .LBB348_5
.LBB348_26:
	s_endpgm
	.section	.rodata,"a",@progbits
	.p2align	6, 0x0
	.amdhsa_kernel _ZN2at6native12_GLOBAL__N_127cunn_SpatialSoftMaxBackwardIdddNS1_26LogSoftMaxBackwardEpilogueEEEvPT_PKT1_S8_jjj
		.amdhsa_group_segment_fixed_size 0
		.amdhsa_private_segment_fixed_size 0
		.amdhsa_kernarg_size 296
		.amdhsa_user_sgpr_count 6
		.amdhsa_user_sgpr_private_segment_buffer 1
		.amdhsa_user_sgpr_dispatch_ptr 0
		.amdhsa_user_sgpr_queue_ptr 0
		.amdhsa_user_sgpr_kernarg_segment_ptr 1
		.amdhsa_user_sgpr_dispatch_id 0
		.amdhsa_user_sgpr_flat_scratch_init 0
		.amdhsa_user_sgpr_kernarg_preload_length 0
		.amdhsa_user_sgpr_kernarg_preload_offset 0
		.amdhsa_user_sgpr_private_segment_size 0
		.amdhsa_uses_dynamic_stack 0
		.amdhsa_system_sgpr_private_segment_wavefront_offset 0
		.amdhsa_system_sgpr_workgroup_id_x 1
		.amdhsa_system_sgpr_workgroup_id_y 1
		.amdhsa_system_sgpr_workgroup_id_z 0
		.amdhsa_system_sgpr_workgroup_info 0
		.amdhsa_system_vgpr_workitem_id 1
		.amdhsa_next_free_vgpr 63
		.amdhsa_next_free_sgpr 50
		.amdhsa_accum_offset 64
		.amdhsa_reserve_vcc 1
		.amdhsa_reserve_flat_scratch 0
		.amdhsa_float_round_mode_32 0
		.amdhsa_float_round_mode_16_64 0
		.amdhsa_float_denorm_mode_32 3
		.amdhsa_float_denorm_mode_16_64 3
		.amdhsa_dx10_clamp 1
		.amdhsa_ieee_mode 1
		.amdhsa_fp16_overflow 0
		.amdhsa_tg_split 0
		.amdhsa_exception_fp_ieee_invalid_op 0
		.amdhsa_exception_fp_denorm_src 0
		.amdhsa_exception_fp_ieee_div_zero 0
		.amdhsa_exception_fp_ieee_overflow 0
		.amdhsa_exception_fp_ieee_underflow 0
		.amdhsa_exception_fp_ieee_inexact 0
		.amdhsa_exception_int_div_zero 0
	.end_amdhsa_kernel
	.section	.text._ZN2at6native12_GLOBAL__N_127cunn_SpatialSoftMaxBackwardIdddNS1_26LogSoftMaxBackwardEpilogueEEEvPT_PKT1_S8_jjj,"axG",@progbits,_ZN2at6native12_GLOBAL__N_127cunn_SpatialSoftMaxBackwardIdddNS1_26LogSoftMaxBackwardEpilogueEEEvPT_PKT1_S8_jjj,comdat
.Lfunc_end348:
	.size	_ZN2at6native12_GLOBAL__N_127cunn_SpatialSoftMaxBackwardIdddNS1_26LogSoftMaxBackwardEpilogueEEEvPT_PKT1_S8_jjj, .Lfunc_end348-_ZN2at6native12_GLOBAL__N_127cunn_SpatialSoftMaxBackwardIdddNS1_26LogSoftMaxBackwardEpilogueEEEvPT_PKT1_S8_jjj
                                        ; -- End function
	.section	.AMDGPU.csdata,"",@progbits
; Kernel info:
; codeLenInByte = 1560
; NumSgprs: 54
; NumVgprs: 63
; NumAgprs: 0
; TotalNumVgprs: 63
; ScratchSize: 0
; MemoryBound: 0
; FloatMode: 240
; IeeeMode: 1
; LDSByteSize: 0 bytes/workgroup (compile time only)
; SGPRBlocks: 6
; VGPRBlocks: 7
; NumSGPRsForWavesPerEU: 54
; NumVGPRsForWavesPerEU: 63
; AccumOffset: 64
; Occupancy: 8
; WaveLimiterHint : 0
; COMPUTE_PGM_RSRC2:SCRATCH_EN: 0
; COMPUTE_PGM_RSRC2:USER_SGPR: 6
; COMPUTE_PGM_RSRC2:TRAP_HANDLER: 0
; COMPUTE_PGM_RSRC2:TGID_X_EN: 1
; COMPUTE_PGM_RSRC2:TGID_Y_EN: 1
; COMPUTE_PGM_RSRC2:TGID_Z_EN: 0
; COMPUTE_PGM_RSRC2:TIDIG_COMP_CNT: 1
; COMPUTE_PGM_RSRC3_GFX90A:ACCUM_OFFSET: 15
; COMPUTE_PGM_RSRC3_GFX90A:TG_SPLIT: 0
	.section	.text._ZN2at6native12_GLOBAL__N_127cunn_SpatialSoftMaxBackwardIfffNS1_26LogSoftMaxBackwardEpilogueEEEvPT_PKT1_S8_jjj,"axG",@progbits,_ZN2at6native12_GLOBAL__N_127cunn_SpatialSoftMaxBackwardIfffNS1_26LogSoftMaxBackwardEpilogueEEEvPT_PKT1_S8_jjj,comdat
	.globl	_ZN2at6native12_GLOBAL__N_127cunn_SpatialSoftMaxBackwardIfffNS1_26LogSoftMaxBackwardEpilogueEEEvPT_PKT1_S8_jjj ; -- Begin function _ZN2at6native12_GLOBAL__N_127cunn_SpatialSoftMaxBackwardIfffNS1_26LogSoftMaxBackwardEpilogueEEEvPT_PKT1_S8_jjj
	.p2align	8
	.type	_ZN2at6native12_GLOBAL__N_127cunn_SpatialSoftMaxBackwardIfffNS1_26LogSoftMaxBackwardEpilogueEEEvPT_PKT1_S8_jjj,@function
_ZN2at6native12_GLOBAL__N_127cunn_SpatialSoftMaxBackwardIfffNS1_26LogSoftMaxBackwardEpilogueEEEvPT_PKT1_S8_jjj: ; @_ZN2at6native12_GLOBAL__N_127cunn_SpatialSoftMaxBackwardIfffNS1_26LogSoftMaxBackwardEpilogueEEEvPT_PKT1_S8_jjj
; %bb.0:
	s_load_dwordx4 s[12:15], s[4:5], 0x18
	s_waitcnt lgkmcnt(0)
	s_cmp_ge_u32 s6, s12
	s_cbranch_scc1 .LBB349_26
; %bb.1:
	s_load_dwordx2 s[10:11], s[4:5], 0x28
	s_load_dword s0, s[4:5], 0x34
	s_load_dwordx4 s[16:19], s[4:5], 0x0
	s_load_dwordx2 s[20:21], s[4:5], 0x10
	s_add_u32 s22, s4, 40
	s_addc_u32 s23, s5, 0
	s_waitcnt lgkmcnt(0)
	s_lshr_b32 s4, s0, 16
	v_and_b32_e32 v4, 0x3ff, v0
	s_mul_i32 s9, s6, s13
	s_mul_i32 s8, s7, s4
	v_bfe_u32 v2, v0, 10, 10
	s_cmp_lg_u32 s13, 0
	s_mul_i32 s7, s11, s4
	s_mul_i32 s11, s9, s14
	v_add_u32_e32 v0, s9, v4
	s_cselect_b64 s[4:5], -1, 0
	s_add_i32 s11, s8, s11
	v_mul_lo_u32 v0, s14, v0
	v_add_u32_e32 v3, s8, v2
	v_add_u32_e32 v5, s11, v2
	s_mul_i32 s11, s10, s14
	v_add3_u32 v6, v2, v0, s8
	v_cndmask_b32_e64 v0, 0, 1, s[4:5]
	v_cmp_gt_u32_e64 s[0:1], s14, v3
	v_cmp_gt_u32_e64 s[2:3], s13, v4
	s_mul_i32 s11, s11, s13
	v_cmp_ne_u32_e64 s[4:5], 1, v0
	v_mov_b32_e32 v1, 0
	s_mov_b32 s15, 0x3fb8aa3b
	s_mov_b32 s33, 0xc2ce8ed0
	;; [unrolled: 1-line block ×3, first 2 shown]
	v_mov_b32_e32 v7, 0x7f800000
	s_branch .LBB349_3
.LBB349_2:                              ;   in Loop: Header=BB349_3 Depth=1
	s_or_b64 exec, exec, s[24:25]
	s_add_i32 s6, s10, s6
	v_add_u32_e32 v5, s11, v5
	s_cmp_ge_u32 s6, s12
	v_add_u32_e32 v6, s11, v6
	s_cbranch_scc1 .LBB349_26
.LBB349_3:                              ; =>This Loop Header: Depth=1
                                        ;     Child Loop BB349_7 Depth 2
                                        ;       Child Loop BB349_10 Depth 3
                                        ;       Child Loop BB349_12 Depth 3
	;; [unrolled: 1-line block ×5, first 2 shown]
	s_and_saveexec_b64 s[24:25], s[0:1]
	s_cbranch_execz .LBB349_2
; %bb.4:                                ;   in Loop: Header=BB349_3 Depth=1
	s_load_dword s8, s[22:23], 0xc
	s_mov_b64 s[26:27], 0
	v_mov_b32_e32 v10, v6
	v_mov_b32_e32 v11, v5
	;; [unrolled: 1-line block ×3, first 2 shown]
	s_waitcnt lgkmcnt(0)
	s_and_b32 s35, s8, 0xffff
	s_cmp_lt_u32 s35, 2
	v_mul_u32_u24_e32 v0, s35, v2
	s_cselect_b64 s[8:9], -1, 0
	v_lshl_add_u32 v8, v0, 2, 0
	v_cndmask_b32_e64 v0, 0, 1, s[8:9]
	s_mul_i32 s36, s14, s35
	v_lshl_add_u32 v9, v4, 2, v8
	v_cmp_ne_u32_e64 s[8:9], 1, v0
	s_branch .LBB349_7
.LBB349_5:                              ;   in Loop: Header=BB349_7 Depth=2
	s_or_b64 exec, exec, s[28:29]
.LBB349_6:                              ;   in Loop: Header=BB349_7 Depth=2
	v_add_u32_e32 v12, s7, v12
	v_cmp_le_u32_e32 vcc, s14, v12
	v_add_u32_e32 v11, s7, v11
	s_or_b64 s[26:27], vcc, s[26:27]
	v_add_u32_e32 v10, s7, v10
	s_andn2_b64 exec, exec, s[26:27]
	s_cbranch_execz .LBB349_2
.LBB349_7:                              ;   Parent Loop BB349_3 Depth=1
                                        ; =>  This Loop Header: Depth=2
                                        ;       Child Loop BB349_10 Depth 3
                                        ;       Child Loop BB349_12 Depth 3
	;; [unrolled: 1-line block ×5, first 2 shown]
	s_and_b64 vcc, exec, s[8:9]
	s_mov_b64 s[28:29], -1
	s_cbranch_vccnz .LBB349_14
; %bb.8:                                ;   in Loop: Header=BB349_7 Depth=2
	v_mov_b32_e32 v13, 0
	s_and_b64 vcc, exec, s[4:5]
	s_cbranch_vccnz .LBB349_11
; %bb.9:                                ;   in Loop: Header=BB349_7 Depth=2
	v_mov_b32_e32 v0, v11
	s_mov_b32 s28, s13
.LBB349_10:                             ;   Parent Loop BB349_3 Depth=1
                                        ;     Parent Loop BB349_7 Depth=2
                                        ; =>    This Inner Loop Header: Depth=3
	v_lshlrev_b64 v[14:15], 2, v[0:1]
	v_mov_b32_e32 v16, s21
	v_add_co_u32_e32 v14, vcc, s20, v14
	v_addc_co_u32_e32 v15, vcc, v16, v15, vcc
	global_load_dword v14, v[14:15], off
	s_add_i32 s28, s28, -1
	v_add_u32_e32 v0, s14, v0
	s_cmp_eq_u32 s28, 0
	s_waitcnt vmcnt(0)
	v_add_f32_e32 v13, v13, v14
	s_cbranch_scc0 .LBB349_10
.LBB349_11:                             ;   in Loop: Header=BB349_7 Depth=2
	s_and_b64 vcc, exec, s[4:5]
	v_mov_b32_e32 v0, v11
	s_mov_b32 s28, s13
	s_cbranch_vccnz .LBB349_13
.LBB349_12:                             ;   Parent Loop BB349_3 Depth=1
                                        ;     Parent Loop BB349_7 Depth=2
                                        ; =>    This Inner Loop Header: Depth=3
	v_lshlrev_b64 v[14:15], 2, v[0:1]
	v_mov_b32_e32 v17, s19
	v_add_co_u32_e32 v16, vcc, s18, v14
	v_addc_co_u32_e32 v17, vcc, v17, v15, vcc
	global_load_dword v18, v[16:17], off
	v_mov_b32_e32 v17, s21
	v_add_co_u32_e32 v16, vcc, s20, v14
	v_addc_co_u32_e32 v17, vcc, v17, v15, vcc
	global_load_dword v16, v[16:17], off
	v_mov_b32_e32 v17, s17
	v_add_co_u32_e32 v14, vcc, s16, v14
	v_addc_co_u32_e32 v15, vcc, v17, v15, vcc
	s_add_i32 s28, s28, -1
	v_add_u32_e32 v0, s14, v0
	s_cmp_lg_u32 s28, 0
	s_waitcnt vmcnt(1)
	v_mul_f32_e32 v17, 0x3fb8aa3b, v18
	v_fma_f32 v19, v18, s15, -v17
	v_rndne_f32_e32 v20, v17
	v_fmac_f32_e32 v19, 0x32a5705f, v18
	v_sub_f32_e32 v17, v17, v20
	v_add_f32_e32 v17, v17, v19
	v_cvt_i32_f32_e32 v20, v20
	v_exp_f32_e32 v17, v17
	v_cmp_ngt_f32_e32 vcc, s33, v18
	v_ldexp_f32 v17, v17, v20
	v_cndmask_b32_e32 v17, 0, v17, vcc
	v_cmp_nlt_f32_e32 vcc, s34, v18
	v_cndmask_b32_e32 v17, v7, v17, vcc
	s_waitcnt vmcnt(0)
	v_fma_f32 v16, -v13, v17, v16
	global_store_dword v[14:15], v16, off
	s_cbranch_scc1 .LBB349_12
.LBB349_13:                             ;   in Loop: Header=BB349_7 Depth=2
	s_mov_b64 s[28:29], 0
.LBB349_14:                             ;   in Loop: Header=BB349_7 Depth=2
	s_and_b64 vcc, exec, s[28:29]
	s_cbranch_vccz .LBB349_6
; %bb.15:                               ;   in Loop: Header=BB349_7 Depth=2
	v_mov_b32_e32 v13, 0
	s_and_saveexec_b64 s[28:29], s[2:3]
	s_cbranch_execz .LBB349_19
; %bb.16:                               ;   in Loop: Header=BB349_7 Depth=2
	s_mov_b64 s[30:31], 0
	v_mov_b32_e32 v13, 0
	v_mov_b32_e32 v0, v10
	;; [unrolled: 1-line block ×3, first 2 shown]
.LBB349_17:                             ;   Parent Loop BB349_3 Depth=1
                                        ;     Parent Loop BB349_7 Depth=2
                                        ; =>    This Inner Loop Header: Depth=3
	v_lshlrev_b64 v[16:17], 2, v[0:1]
	v_mov_b32_e32 v15, s21
	v_add_co_u32_e32 v16, vcc, s20, v16
	v_addc_co_u32_e32 v17, vcc, v15, v17, vcc
	global_load_dword v15, v[16:17], off
	v_add_u32_e32 v14, s35, v14
	v_cmp_le_u32_e32 vcc, s13, v14
	v_add_u32_e32 v0, s36, v0
	s_or_b64 s[30:31], vcc, s[30:31]
	s_waitcnt vmcnt(0)
	v_add_f32_e32 v13, v13, v15
	s_andn2_b64 exec, exec, s[30:31]
	s_cbranch_execnz .LBB349_17
; %bb.18:                               ;   in Loop: Header=BB349_7 Depth=2
	s_or_b64 exec, exec, s[30:31]
.LBB349_19:                             ;   in Loop: Header=BB349_7 Depth=2
	s_or_b64 exec, exec, s[28:29]
	s_mov_b32 s30, s35
	s_barrier
	ds_write_b32 v9, v13
	s_branch .LBB349_21
.LBB349_20:                             ;   in Loop: Header=BB349_21 Depth=3
	s_or_b64 exec, exec, s[28:29]
	s_cmp_gt_u32 s30, 3
	s_mov_b32 s30, s31
	s_cbranch_scc0 .LBB349_23
.LBB349_21:                             ;   Parent Loop BB349_3 Depth=1
                                        ;     Parent Loop BB349_7 Depth=2
                                        ; =>    This Inner Loop Header: Depth=3
	s_lshr_b32 s31, s30, 1
	v_cmp_gt_u32_e32 vcc, s31, v4
	s_waitcnt lgkmcnt(0)
	s_barrier
	s_and_saveexec_b64 s[28:29], vcc
	s_cbranch_execz .LBB349_20
; %bb.22:                               ;   in Loop: Header=BB349_21 Depth=3
	v_lshl_add_u32 v0, s31, 2, v9
	ds_read_b32 v13, v9
	ds_read_b32 v0, v0
	s_waitcnt lgkmcnt(0)
	v_add_f32_e32 v0, v13, v0
	ds_write_b32 v9, v0
	s_branch .LBB349_20
.LBB349_23:                             ;   in Loop: Header=BB349_7 Depth=2
	s_waitcnt lgkmcnt(0)
	s_barrier
	s_and_saveexec_b64 s[28:29], s[2:3]
	s_cbranch_execz .LBB349_5
; %bb.24:                               ;   in Loop: Header=BB349_7 Depth=2
	ds_read_b32 v13, v8
	s_mov_b64 s[30:31], 0
	v_mov_b32_e32 v0, v10
	v_mov_b32_e32 v14, v4
.LBB349_25:                             ;   Parent Loop BB349_3 Depth=1
                                        ;     Parent Loop BB349_7 Depth=2
                                        ; =>    This Inner Loop Header: Depth=3
	v_lshlrev_b64 v[16:17], 2, v[0:1]
	v_mov_b32_e32 v15, s19
	v_add_co_u32_e32 v18, vcc, s18, v16
	v_addc_co_u32_e32 v19, vcc, v15, v17, vcc
	global_load_dword v15, v[18:19], off
	v_mov_b32_e32 v19, s21
	v_add_co_u32_e32 v18, vcc, s20, v16
	v_addc_co_u32_e32 v19, vcc, v19, v17, vcc
	global_load_dword v18, v[18:19], off
	v_mov_b32_e32 v19, s17
	v_add_co_u32_e32 v16, vcc, s16, v16
	v_addc_co_u32_e32 v17, vcc, v19, v17, vcc
	v_add_u32_e32 v14, s35, v14
	v_cmp_le_u32_e32 vcc, s13, v14
	s_or_b64 s[30:31], vcc, s[30:31]
	v_add_u32_e32 v0, s36, v0
	s_waitcnt vmcnt(1)
	v_mul_f32_e32 v19, 0x3fb8aa3b, v15
	v_fma_f32 v20, v15, s15, -v19
	v_rndne_f32_e32 v21, v19
	v_fmac_f32_e32 v20, 0x32a5705f, v15
	v_sub_f32_e32 v19, v19, v21
	v_add_f32_e32 v19, v19, v20
	v_cvt_i32_f32_e32 v21, v21
	v_exp_f32_e32 v19, v19
	v_cmp_ngt_f32_e32 vcc, s33, v15
	v_ldexp_f32 v19, v19, v21
	v_cndmask_b32_e32 v19, 0, v19, vcc
	v_cmp_nlt_f32_e32 vcc, s34, v15
	v_cndmask_b32_e32 v15, v7, v19, vcc
	s_waitcnt vmcnt(0) lgkmcnt(0)
	v_fma_f32 v15, -v13, v15, v18
	global_store_dword v[16:17], v15, off
	s_andn2_b64 exec, exec, s[30:31]
	s_cbranch_execnz .LBB349_25
	s_branch .LBB349_5
.LBB349_26:
	s_endpgm
	.section	.rodata,"a",@progbits
	.p2align	6, 0x0
	.amdhsa_kernel _ZN2at6native12_GLOBAL__N_127cunn_SpatialSoftMaxBackwardIfffNS1_26LogSoftMaxBackwardEpilogueEEEvPT_PKT1_S8_jjj
		.amdhsa_group_segment_fixed_size 0
		.amdhsa_private_segment_fixed_size 0
		.amdhsa_kernarg_size 296
		.amdhsa_user_sgpr_count 6
		.amdhsa_user_sgpr_private_segment_buffer 1
		.amdhsa_user_sgpr_dispatch_ptr 0
		.amdhsa_user_sgpr_queue_ptr 0
		.amdhsa_user_sgpr_kernarg_segment_ptr 1
		.amdhsa_user_sgpr_dispatch_id 0
		.amdhsa_user_sgpr_flat_scratch_init 0
		.amdhsa_user_sgpr_kernarg_preload_length 0
		.amdhsa_user_sgpr_kernarg_preload_offset 0
		.amdhsa_user_sgpr_private_segment_size 0
		.amdhsa_uses_dynamic_stack 0
		.amdhsa_system_sgpr_private_segment_wavefront_offset 0
		.amdhsa_system_sgpr_workgroup_id_x 1
		.amdhsa_system_sgpr_workgroup_id_y 1
		.amdhsa_system_sgpr_workgroup_id_z 0
		.amdhsa_system_sgpr_workgroup_info 0
		.amdhsa_system_vgpr_workitem_id 1
		.amdhsa_next_free_vgpr 22
		.amdhsa_next_free_sgpr 37
		.amdhsa_accum_offset 24
		.amdhsa_reserve_vcc 1
		.amdhsa_reserve_flat_scratch 0
		.amdhsa_float_round_mode_32 0
		.amdhsa_float_round_mode_16_64 0
		.amdhsa_float_denorm_mode_32 3
		.amdhsa_float_denorm_mode_16_64 3
		.amdhsa_dx10_clamp 1
		.amdhsa_ieee_mode 1
		.amdhsa_fp16_overflow 0
		.amdhsa_tg_split 0
		.amdhsa_exception_fp_ieee_invalid_op 0
		.amdhsa_exception_fp_denorm_src 0
		.amdhsa_exception_fp_ieee_div_zero 0
		.amdhsa_exception_fp_ieee_overflow 0
		.amdhsa_exception_fp_ieee_underflow 0
		.amdhsa_exception_fp_ieee_inexact 0
		.amdhsa_exception_int_div_zero 0
	.end_amdhsa_kernel
	.section	.text._ZN2at6native12_GLOBAL__N_127cunn_SpatialSoftMaxBackwardIfffNS1_26LogSoftMaxBackwardEpilogueEEEvPT_PKT1_S8_jjj,"axG",@progbits,_ZN2at6native12_GLOBAL__N_127cunn_SpatialSoftMaxBackwardIfffNS1_26LogSoftMaxBackwardEpilogueEEEvPT_PKT1_S8_jjj,comdat
.Lfunc_end349:
	.size	_ZN2at6native12_GLOBAL__N_127cunn_SpatialSoftMaxBackwardIfffNS1_26LogSoftMaxBackwardEpilogueEEEvPT_PKT1_S8_jjj, .Lfunc_end349-_ZN2at6native12_GLOBAL__N_127cunn_SpatialSoftMaxBackwardIfffNS1_26LogSoftMaxBackwardEpilogueEEEvPT_PKT1_S8_jjj
                                        ; -- End function
	.section	.AMDGPU.csdata,"",@progbits
; Kernel info:
; codeLenInByte = 1072
; NumSgprs: 41
; NumVgprs: 22
; NumAgprs: 0
; TotalNumVgprs: 22
; ScratchSize: 0
; MemoryBound: 0
; FloatMode: 240
; IeeeMode: 1
; LDSByteSize: 0 bytes/workgroup (compile time only)
; SGPRBlocks: 5
; VGPRBlocks: 2
; NumSGPRsForWavesPerEU: 41
; NumVGPRsForWavesPerEU: 22
; AccumOffset: 24
; Occupancy: 8
; WaveLimiterHint : 0
; COMPUTE_PGM_RSRC2:SCRATCH_EN: 0
; COMPUTE_PGM_RSRC2:USER_SGPR: 6
; COMPUTE_PGM_RSRC2:TRAP_HANDLER: 0
; COMPUTE_PGM_RSRC2:TGID_X_EN: 1
; COMPUTE_PGM_RSRC2:TGID_Y_EN: 1
; COMPUTE_PGM_RSRC2:TGID_Z_EN: 0
; COMPUTE_PGM_RSRC2:TIDIG_COMP_CNT: 1
; COMPUTE_PGM_RSRC3_GFX90A:ACCUM_OFFSET: 5
; COMPUTE_PGM_RSRC3_GFX90A:TG_SPLIT: 0
	.section	.text._ZN2at6native12_GLOBAL__N_127cunn_SpatialSoftMaxBackwardIN3c104HalfEfS4_NS1_26LogSoftMaxBackwardEpilogueEEEvPT_PKT1_SA_jjj,"axG",@progbits,_ZN2at6native12_GLOBAL__N_127cunn_SpatialSoftMaxBackwardIN3c104HalfEfS4_NS1_26LogSoftMaxBackwardEpilogueEEEvPT_PKT1_SA_jjj,comdat
	.globl	_ZN2at6native12_GLOBAL__N_127cunn_SpatialSoftMaxBackwardIN3c104HalfEfS4_NS1_26LogSoftMaxBackwardEpilogueEEEvPT_PKT1_SA_jjj ; -- Begin function _ZN2at6native12_GLOBAL__N_127cunn_SpatialSoftMaxBackwardIN3c104HalfEfS4_NS1_26LogSoftMaxBackwardEpilogueEEEvPT_PKT1_SA_jjj
	.p2align	8
	.type	_ZN2at6native12_GLOBAL__N_127cunn_SpatialSoftMaxBackwardIN3c104HalfEfS4_NS1_26LogSoftMaxBackwardEpilogueEEEvPT_PKT1_SA_jjj,@function
_ZN2at6native12_GLOBAL__N_127cunn_SpatialSoftMaxBackwardIN3c104HalfEfS4_NS1_26LogSoftMaxBackwardEpilogueEEEvPT_PKT1_SA_jjj: ; @_ZN2at6native12_GLOBAL__N_127cunn_SpatialSoftMaxBackwardIN3c104HalfEfS4_NS1_26LogSoftMaxBackwardEpilogueEEEvPT_PKT1_SA_jjj
; %bb.0:
	s_load_dwordx4 s[12:15], s[4:5], 0x18
	s_waitcnt lgkmcnt(0)
	s_cmp_ge_u32 s6, s12
	s_cbranch_scc1 .LBB350_26
; %bb.1:
	s_load_dwordx2 s[10:11], s[4:5], 0x28
	s_load_dword s0, s[4:5], 0x34
	s_load_dwordx4 s[16:19], s[4:5], 0x0
	s_load_dwordx2 s[20:21], s[4:5], 0x10
	s_add_u32 s22, s4, 40
	s_addc_u32 s23, s5, 0
	s_waitcnt lgkmcnt(0)
	s_lshr_b32 s4, s0, 16
	v_and_b32_e32 v4, 0x3ff, v0
	s_mul_i32 s9, s6, s13
	s_mul_i32 s8, s7, s4
	v_bfe_u32 v2, v0, 10, 10
	s_cmp_lg_u32 s13, 0
	s_mul_i32 s7, s11, s4
	s_mul_i32 s11, s9, s14
	v_add_u32_e32 v0, s9, v4
	s_cselect_b64 s[4:5], -1, 0
	s_add_i32 s11, s8, s11
	v_mul_lo_u32 v0, s14, v0
	v_add_u32_e32 v3, s8, v2
	v_add_u32_e32 v5, s11, v2
	s_mul_i32 s11, s10, s14
	v_add3_u32 v6, v2, v0, s8
	v_cndmask_b32_e64 v0, 0, 1, s[4:5]
	v_cmp_gt_u32_e64 s[0:1], s14, v3
	v_cmp_gt_u32_e64 s[2:3], s13, v4
	s_mul_i32 s11, s11, s13
	v_cmp_ne_u32_e64 s[4:5], 1, v0
	v_mov_b32_e32 v1, 0
	s_mov_b32 s15, 0x3fb8aa3b
	s_mov_b32 s33, 0x32a5705f
	;; [unrolled: 1-line block ×4, first 2 shown]
	v_mov_b32_e32 v7, 0x7f800000
	s_branch .LBB350_3
.LBB350_2:                              ;   in Loop: Header=BB350_3 Depth=1
	s_or_b64 exec, exec, s[24:25]
	s_add_i32 s6, s10, s6
	v_add_u32_e32 v5, s11, v5
	s_cmp_ge_u32 s6, s12
	v_add_u32_e32 v6, s11, v6
	s_cbranch_scc1 .LBB350_26
.LBB350_3:                              ; =>This Loop Header: Depth=1
                                        ;     Child Loop BB350_7 Depth 2
                                        ;       Child Loop BB350_10 Depth 3
                                        ;       Child Loop BB350_12 Depth 3
	;; [unrolled: 1-line block ×5, first 2 shown]
	s_and_saveexec_b64 s[24:25], s[0:1]
	s_cbranch_execz .LBB350_2
; %bb.4:                                ;   in Loop: Header=BB350_3 Depth=1
	s_load_dword s8, s[22:23], 0xc
	s_mov_b64 s[26:27], 0
	v_mov_b32_e32 v10, v6
	v_mov_b32_e32 v11, v5
	;; [unrolled: 1-line block ×3, first 2 shown]
	s_waitcnt lgkmcnt(0)
	s_and_b32 s36, s8, 0xffff
	s_cmp_lt_u32 s36, 2
	v_mul_u32_u24_e32 v0, s36, v2
	s_cselect_b64 s[8:9], -1, 0
	v_lshl_add_u32 v8, v0, 2, 0
	v_cndmask_b32_e64 v0, 0, 1, s[8:9]
	s_mul_i32 s37, s14, s36
	v_lshl_add_u32 v9, v4, 2, v8
	v_cmp_ne_u32_e64 s[8:9], 1, v0
	s_branch .LBB350_7
.LBB350_5:                              ;   in Loop: Header=BB350_7 Depth=2
	s_or_b64 exec, exec, s[28:29]
.LBB350_6:                              ;   in Loop: Header=BB350_7 Depth=2
	v_add_u32_e32 v12, s7, v12
	v_cmp_le_u32_e32 vcc, s14, v12
	v_add_u32_e32 v11, s7, v11
	s_or_b64 s[26:27], vcc, s[26:27]
	v_add_u32_e32 v10, s7, v10
	s_andn2_b64 exec, exec, s[26:27]
	s_cbranch_execz .LBB350_2
.LBB350_7:                              ;   Parent Loop BB350_3 Depth=1
                                        ; =>  This Loop Header: Depth=2
                                        ;       Child Loop BB350_10 Depth 3
                                        ;       Child Loop BB350_12 Depth 3
	;; [unrolled: 1-line block ×5, first 2 shown]
	s_and_b64 vcc, exec, s[8:9]
	s_mov_b64 s[28:29], -1
	s_cbranch_vccnz .LBB350_14
; %bb.8:                                ;   in Loop: Header=BB350_7 Depth=2
	v_mov_b32_e32 v13, 0
	s_and_b64 vcc, exec, s[4:5]
	s_cbranch_vccnz .LBB350_11
; %bb.9:                                ;   in Loop: Header=BB350_7 Depth=2
	v_mov_b32_e32 v0, v11
	s_mov_b32 s28, s13
.LBB350_10:                             ;   Parent Loop BB350_3 Depth=1
                                        ;     Parent Loop BB350_7 Depth=2
                                        ; =>    This Inner Loop Header: Depth=3
	v_lshlrev_b64 v[14:15], 1, v[0:1]
	v_mov_b32_e32 v16, s21
	v_add_co_u32_e32 v14, vcc, s20, v14
	v_addc_co_u32_e32 v15, vcc, v16, v15, vcc
	global_load_ushort v14, v[14:15], off
	s_add_i32 s28, s28, -1
	v_add_u32_e32 v0, s14, v0
	s_cmp_eq_u32 s28, 0
	s_waitcnt vmcnt(0)
	v_cvt_f32_f16_e32 v14, v14
	v_add_f32_e32 v13, v13, v14
	s_cbranch_scc0 .LBB350_10
.LBB350_11:                             ;   in Loop: Header=BB350_7 Depth=2
	s_and_b64 vcc, exec, s[4:5]
	v_mov_b32_e32 v0, v11
	s_mov_b32 s28, s13
	s_cbranch_vccnz .LBB350_13
.LBB350_12:                             ;   Parent Loop BB350_3 Depth=1
                                        ;     Parent Loop BB350_7 Depth=2
                                        ; =>    This Inner Loop Header: Depth=3
	v_lshlrev_b64 v[14:15], 1, v[0:1]
	v_mov_b32_e32 v17, s19
	v_add_co_u32_e32 v16, vcc, s18, v14
	v_addc_co_u32_e32 v17, vcc, v17, v15, vcc
	global_load_ushort v18, v[16:17], off
	v_mov_b32_e32 v17, s21
	v_add_co_u32_e32 v16, vcc, s20, v14
	v_addc_co_u32_e32 v17, vcc, v17, v15, vcc
	global_load_ushort v16, v[16:17], off
	v_mov_b32_e32 v17, s17
	v_add_co_u32_e32 v14, vcc, s16, v14
	v_addc_co_u32_e32 v15, vcc, v17, v15, vcc
	s_add_i32 s28, s28, -1
	v_add_u32_e32 v0, s14, v0
	s_cmp_lg_u32 s28, 0
	s_waitcnt vmcnt(1)
	v_cvt_f32_f16_e32 v17, v18
	v_mul_f32_e32 v19, 0x3fb8aa3b, v17
	v_fma_mix_f32 v20, v18, s15, -v19 op_sel_hi:[1,0,0]
	v_rndne_f32_e32 v21, v19
	v_fma_mix_f32 v18, v18, s33, v20 op_sel_hi:[1,0,0]
	v_sub_f32_e32 v19, v19, v21
	v_add_f32_e32 v18, v19, v18
	v_cvt_i32_f32_e32 v20, v21
	v_exp_f32_e32 v18, v18
	v_cmp_ngt_f32_e32 vcc, s34, v17
	v_ldexp_f32 v18, v18, v20
	v_cndmask_b32_e32 v18, 0, v18, vcc
	v_cmp_nlt_f32_e32 vcc, s35, v17
	v_cndmask_b32_e32 v17, v7, v18, vcc
	s_waitcnt vmcnt(0)
	v_fma_mixlo_f16 v16, -v13, v17, v16 op_sel_hi:[0,0,1]
	global_store_short v[14:15], v16, off
	s_cbranch_scc1 .LBB350_12
.LBB350_13:                             ;   in Loop: Header=BB350_7 Depth=2
	s_mov_b64 s[28:29], 0
.LBB350_14:                             ;   in Loop: Header=BB350_7 Depth=2
	s_and_b64 vcc, exec, s[28:29]
	s_cbranch_vccz .LBB350_6
; %bb.15:                               ;   in Loop: Header=BB350_7 Depth=2
	v_mov_b32_e32 v13, 0
	s_and_saveexec_b64 s[28:29], s[2:3]
	s_cbranch_execz .LBB350_19
; %bb.16:                               ;   in Loop: Header=BB350_7 Depth=2
	s_mov_b64 s[30:31], 0
	v_mov_b32_e32 v13, 0
	v_mov_b32_e32 v0, v10
	;; [unrolled: 1-line block ×3, first 2 shown]
.LBB350_17:                             ;   Parent Loop BB350_3 Depth=1
                                        ;     Parent Loop BB350_7 Depth=2
                                        ; =>    This Inner Loop Header: Depth=3
	v_lshlrev_b64 v[16:17], 1, v[0:1]
	v_mov_b32_e32 v15, s21
	v_add_co_u32_e32 v16, vcc, s20, v16
	v_addc_co_u32_e32 v17, vcc, v15, v17, vcc
	global_load_ushort v15, v[16:17], off
	v_add_u32_e32 v14, s36, v14
	v_cmp_le_u32_e32 vcc, s13, v14
	v_add_u32_e32 v0, s37, v0
	s_or_b64 s[30:31], vcc, s[30:31]
	s_waitcnt vmcnt(0)
	v_cvt_f32_f16_e32 v15, v15
	v_add_f32_e32 v13, v13, v15
	s_andn2_b64 exec, exec, s[30:31]
	s_cbranch_execnz .LBB350_17
; %bb.18:                               ;   in Loop: Header=BB350_7 Depth=2
	s_or_b64 exec, exec, s[30:31]
.LBB350_19:                             ;   in Loop: Header=BB350_7 Depth=2
	s_or_b64 exec, exec, s[28:29]
	s_mov_b32 s30, s36
	s_barrier
	ds_write_b32 v9, v13
	s_branch .LBB350_21
.LBB350_20:                             ;   in Loop: Header=BB350_21 Depth=3
	s_or_b64 exec, exec, s[28:29]
	s_cmp_gt_u32 s30, 3
	s_mov_b32 s30, s31
	s_cbranch_scc0 .LBB350_23
.LBB350_21:                             ;   Parent Loop BB350_3 Depth=1
                                        ;     Parent Loop BB350_7 Depth=2
                                        ; =>    This Inner Loop Header: Depth=3
	s_lshr_b32 s31, s30, 1
	v_cmp_gt_u32_e32 vcc, s31, v4
	s_waitcnt lgkmcnt(0)
	s_barrier
	s_and_saveexec_b64 s[28:29], vcc
	s_cbranch_execz .LBB350_20
; %bb.22:                               ;   in Loop: Header=BB350_21 Depth=3
	v_lshl_add_u32 v0, s31, 2, v9
	ds_read_b32 v13, v9
	ds_read_b32 v0, v0
	s_waitcnt lgkmcnt(0)
	v_add_f32_e32 v0, v13, v0
	ds_write_b32 v9, v0
	s_branch .LBB350_20
.LBB350_23:                             ;   in Loop: Header=BB350_7 Depth=2
	s_waitcnt lgkmcnt(0)
	s_barrier
	s_and_saveexec_b64 s[28:29], s[2:3]
	s_cbranch_execz .LBB350_5
; %bb.24:                               ;   in Loop: Header=BB350_7 Depth=2
	ds_read_b32 v13, v8
	s_mov_b64 s[30:31], 0
	v_mov_b32_e32 v0, v10
	v_mov_b32_e32 v14, v4
.LBB350_25:                             ;   Parent Loop BB350_3 Depth=1
                                        ;     Parent Loop BB350_7 Depth=2
                                        ; =>    This Inner Loop Header: Depth=3
	v_lshlrev_b64 v[16:17], 1, v[0:1]
	v_mov_b32_e32 v15, s19
	v_add_co_u32_e32 v18, vcc, s18, v16
	v_addc_co_u32_e32 v19, vcc, v15, v17, vcc
	global_load_ushort v15, v[18:19], off
	v_mov_b32_e32 v19, s21
	v_add_co_u32_e32 v18, vcc, s20, v16
	v_addc_co_u32_e32 v19, vcc, v19, v17, vcc
	global_load_ushort v18, v[18:19], off
	v_mov_b32_e32 v19, s17
	v_add_co_u32_e32 v16, vcc, s16, v16
	v_addc_co_u32_e32 v17, vcc, v19, v17, vcc
	v_add_u32_e32 v14, s36, v14
	v_cmp_le_u32_e32 vcc, s13, v14
	s_or_b64 s[30:31], vcc, s[30:31]
	v_add_u32_e32 v0, s37, v0
	s_waitcnt vmcnt(1)
	v_cvt_f32_f16_e32 v19, v15
	v_mul_f32_e32 v20, 0x3fb8aa3b, v19
	v_fma_mix_f32 v21, v15, s15, -v20 op_sel_hi:[1,0,0]
	v_rndne_f32_e32 v22, v20
	v_fma_mix_f32 v15, v15, s33, v21 op_sel_hi:[1,0,0]
	v_sub_f32_e32 v20, v20, v22
	v_add_f32_e32 v15, v20, v15
	v_cvt_i32_f32_e32 v21, v22
	v_exp_f32_e32 v15, v15
	v_cmp_ngt_f32_e32 vcc, s34, v19
	v_ldexp_f32 v15, v15, v21
	v_cndmask_b32_e32 v15, 0, v15, vcc
	v_cmp_nlt_f32_e32 vcc, s35, v19
	v_cndmask_b32_e32 v15, v7, v15, vcc
	s_waitcnt vmcnt(0) lgkmcnt(0)
	v_fma_mixlo_f16 v15, -v13, v15, v18 op_sel_hi:[0,0,1]
	global_store_short v[16:17], v15, off
	s_andn2_b64 exec, exec, s[30:31]
	s_cbranch_execnz .LBB350_25
	s_branch .LBB350_5
.LBB350_26:
	s_endpgm
	.section	.rodata,"a",@progbits
	.p2align	6, 0x0
	.amdhsa_kernel _ZN2at6native12_GLOBAL__N_127cunn_SpatialSoftMaxBackwardIN3c104HalfEfS4_NS1_26LogSoftMaxBackwardEpilogueEEEvPT_PKT1_SA_jjj
		.amdhsa_group_segment_fixed_size 0
		.amdhsa_private_segment_fixed_size 0
		.amdhsa_kernarg_size 296
		.amdhsa_user_sgpr_count 6
		.amdhsa_user_sgpr_private_segment_buffer 1
		.amdhsa_user_sgpr_dispatch_ptr 0
		.amdhsa_user_sgpr_queue_ptr 0
		.amdhsa_user_sgpr_kernarg_segment_ptr 1
		.amdhsa_user_sgpr_dispatch_id 0
		.amdhsa_user_sgpr_flat_scratch_init 0
		.amdhsa_user_sgpr_kernarg_preload_length 0
		.amdhsa_user_sgpr_kernarg_preload_offset 0
		.amdhsa_user_sgpr_private_segment_size 0
		.amdhsa_uses_dynamic_stack 0
		.amdhsa_system_sgpr_private_segment_wavefront_offset 0
		.amdhsa_system_sgpr_workgroup_id_x 1
		.amdhsa_system_sgpr_workgroup_id_y 1
		.amdhsa_system_sgpr_workgroup_id_z 0
		.amdhsa_system_sgpr_workgroup_info 0
		.amdhsa_system_vgpr_workitem_id 1
		.amdhsa_next_free_vgpr 23
		.amdhsa_next_free_sgpr 38
		.amdhsa_accum_offset 24
		.amdhsa_reserve_vcc 1
		.amdhsa_reserve_flat_scratch 0
		.amdhsa_float_round_mode_32 0
		.amdhsa_float_round_mode_16_64 0
		.amdhsa_float_denorm_mode_32 3
		.amdhsa_float_denorm_mode_16_64 3
		.amdhsa_dx10_clamp 1
		.amdhsa_ieee_mode 1
		.amdhsa_fp16_overflow 0
		.amdhsa_tg_split 0
		.amdhsa_exception_fp_ieee_invalid_op 0
		.amdhsa_exception_fp_denorm_src 0
		.amdhsa_exception_fp_ieee_div_zero 0
		.amdhsa_exception_fp_ieee_overflow 0
		.amdhsa_exception_fp_ieee_underflow 0
		.amdhsa_exception_fp_ieee_inexact 0
		.amdhsa_exception_int_div_zero 0
	.end_amdhsa_kernel
	.section	.text._ZN2at6native12_GLOBAL__N_127cunn_SpatialSoftMaxBackwardIN3c104HalfEfS4_NS1_26LogSoftMaxBackwardEpilogueEEEvPT_PKT1_SA_jjj,"axG",@progbits,_ZN2at6native12_GLOBAL__N_127cunn_SpatialSoftMaxBackwardIN3c104HalfEfS4_NS1_26LogSoftMaxBackwardEpilogueEEEvPT_PKT1_SA_jjj,comdat
.Lfunc_end350:
	.size	_ZN2at6native12_GLOBAL__N_127cunn_SpatialSoftMaxBackwardIN3c104HalfEfS4_NS1_26LogSoftMaxBackwardEpilogueEEEvPT_PKT1_SA_jjj, .Lfunc_end350-_ZN2at6native12_GLOBAL__N_127cunn_SpatialSoftMaxBackwardIN3c104HalfEfS4_NS1_26LogSoftMaxBackwardEpilogueEEEvPT_PKT1_SA_jjj
                                        ; -- End function
	.section	.AMDGPU.csdata,"",@progbits
; Kernel info:
; codeLenInByte = 1096
; NumSgprs: 42
; NumVgprs: 23
; NumAgprs: 0
; TotalNumVgprs: 23
; ScratchSize: 0
; MemoryBound: 0
; FloatMode: 240
; IeeeMode: 1
; LDSByteSize: 0 bytes/workgroup (compile time only)
; SGPRBlocks: 5
; VGPRBlocks: 2
; NumSGPRsForWavesPerEU: 42
; NumVGPRsForWavesPerEU: 23
; AccumOffset: 24
; Occupancy: 8
; WaveLimiterHint : 0
; COMPUTE_PGM_RSRC2:SCRATCH_EN: 0
; COMPUTE_PGM_RSRC2:USER_SGPR: 6
; COMPUTE_PGM_RSRC2:TRAP_HANDLER: 0
; COMPUTE_PGM_RSRC2:TGID_X_EN: 1
; COMPUTE_PGM_RSRC2:TGID_Y_EN: 1
; COMPUTE_PGM_RSRC2:TGID_Z_EN: 0
; COMPUTE_PGM_RSRC2:TIDIG_COMP_CNT: 1
; COMPUTE_PGM_RSRC3_GFX90A:ACCUM_OFFSET: 5
; COMPUTE_PGM_RSRC3_GFX90A:TG_SPLIT: 0
	.section	.text._ZN2at6native12_GLOBAL__N_127cunn_SpatialSoftMaxBackwardIN3c104HalfEffNS1_26LogSoftMaxBackwardEpilogueEEEvPT_PKT1_SA_jjj,"axG",@progbits,_ZN2at6native12_GLOBAL__N_127cunn_SpatialSoftMaxBackwardIN3c104HalfEffNS1_26LogSoftMaxBackwardEpilogueEEEvPT_PKT1_SA_jjj,comdat
	.globl	_ZN2at6native12_GLOBAL__N_127cunn_SpatialSoftMaxBackwardIN3c104HalfEffNS1_26LogSoftMaxBackwardEpilogueEEEvPT_PKT1_SA_jjj ; -- Begin function _ZN2at6native12_GLOBAL__N_127cunn_SpatialSoftMaxBackwardIN3c104HalfEffNS1_26LogSoftMaxBackwardEpilogueEEEvPT_PKT1_SA_jjj
	.p2align	8
	.type	_ZN2at6native12_GLOBAL__N_127cunn_SpatialSoftMaxBackwardIN3c104HalfEffNS1_26LogSoftMaxBackwardEpilogueEEEvPT_PKT1_SA_jjj,@function
_ZN2at6native12_GLOBAL__N_127cunn_SpatialSoftMaxBackwardIN3c104HalfEffNS1_26LogSoftMaxBackwardEpilogueEEEvPT_PKT1_SA_jjj: ; @_ZN2at6native12_GLOBAL__N_127cunn_SpatialSoftMaxBackwardIN3c104HalfEffNS1_26LogSoftMaxBackwardEpilogueEEEvPT_PKT1_SA_jjj
; %bb.0:
	s_load_dwordx4 s[12:15], s[4:5], 0x18
	s_waitcnt lgkmcnt(0)
	s_cmp_ge_u32 s6, s12
	s_cbranch_scc1 .LBB351_33
; %bb.1:
	s_load_dwordx2 s[20:21], s[4:5], 0x28
	s_load_dword s0, s[4:5], 0x34
	s_load_dwordx4 s[16:19], s[4:5], 0x0
	s_load_dwordx2 s[22:23], s[4:5], 0x10
	s_add_u32 s24, s4, 40
	s_addc_u32 s25, s5, 0
	s_waitcnt lgkmcnt(0)
	s_lshr_b32 s4, s0, 16
	s_cmp_lg_u32 s13, 0
	s_mul_i32 s8, s7, s4
	s_mul_i32 s15, s21, s4
	s_cselect_b64 s[4:5], -1, 0
	s_cmp_lt_u32 s13, 4
	v_and_b32_e32 v7, 0x3ff, v0
	s_mul_i32 s9, s6, s13
	s_cselect_b64 s[26:27], -1, 0
	s_cmp_lg_u32 s14, 1
	v_bfe_u32 v3, v0, 10, 10
	s_cselect_b64 s[28:29], -1, 0
	s_sub_i32 s33, 0, s13
	s_and_b32 s42, s13, -2
	v_add_u32_e32 v0, s9, v7
	s_cmp_lg_u32 s42, s13
	s_mul_i32 s10, s9, s14
	v_mul_lo_u32 v0, s14, v0
	v_add_u32_e32 v6, s8, v3
	s_mul_i32 s21, s20, s13
	s_cselect_b64 s[30:31], -1, 0
	s_add_i32 s10, s8, s10
	v_add3_u32 v10, v3, v0, s8
	v_cndmask_b32_e64 v0, 0, 1, s[4:5]
	v_cmp_gt_u32_e64 s[0:1], s14, v6
	s_mov_b32 s7, 0
	v_cmp_gt_u32_e64 s[2:3], s13, v7
	v_add_u32_e32 v8, s9, v6
	v_add_u32_e32 v9, s10, v3
	s_mul_i32 s43, s21, s14
	v_cmp_ne_u32_e64 s[4:5], 1, v0
	v_mov_b32_e32 v1, 0
	s_mov_b32 s44, 0x3fb8aa3b
	s_mov_b32 s45, 0xc2ce8ed0
	;; [unrolled: 1-line block ×3, first 2 shown]
	v_mov_b32_e32 v11, 0x7f800000
	s_branch .LBB351_3
.LBB351_2:                              ;   in Loop: Header=BB351_3 Depth=1
	s_or_b64 exec, exec, s[34:35]
	s_add_i32 s6, s20, s6
	s_add_i32 s7, s7, 1
	v_add_u32_e32 v9, s43, v9
	s_cmp_ge_u32 s6, s12
	v_add_u32_e32 v10, s43, v10
	s_cbranch_scc1 .LBB351_33
.LBB351_3:                              ; =>This Loop Header: Depth=1
                                        ;     Child Loop BB351_7 Depth 2
                                        ;       Child Loop BB351_10 Depth 3
                                        ;       Child Loop BB351_14 Depth 3
	;; [unrolled: 1-line block ×6, first 2 shown]
	s_and_saveexec_b64 s[34:35], s[0:1]
	s_cbranch_execz .LBB351_2
; %bb.4:                                ;   in Loop: Header=BB351_3 Depth=1
	s_load_dword s8, s[24:25], 0xc
	s_mul_i32 s9, s21, s7
	v_add_u32_e32 v12, s9, v8
	s_mov_b32 s49, 0
	s_mov_b64 s[36:37], 0
	s_waitcnt lgkmcnt(0)
	s_and_b32 s47, s8, 0xffff
	s_cmp_lt_u32 s47, 2
	v_mul_u32_u24_e32 v0, s47, v3
	s_cselect_b64 s[8:9], -1, 0
	v_lshl_add_u32 v13, v0, 2, 0
	v_cndmask_b32_e64 v0, 0, 1, s[8:9]
	s_mul_i32 s48, s14, s47
	v_lshl_add_u32 v14, v7, 2, v13
	v_cmp_ne_u32_e64 s[8:9], 1, v0
	v_mov_b32_e32 v15, v10
	v_mov_b32_e32 v2, v9
	v_mov_b32_e32 v16, v6
	s_branch .LBB351_7
.LBB351_5:                              ;   in Loop: Header=BB351_7 Depth=2
	s_or_b64 exec, exec, s[10:11]
.LBB351_6:                              ;   in Loop: Header=BB351_7 Depth=2
	v_add_u32_e32 v16, s15, v16
	s_add_i32 s49, s49, 1
	v_cmp_le_u32_e32 vcc, s14, v16
	v_add_u32_e32 v2, s15, v2
	s_or_b64 s[36:37], vcc, s[36:37]
	v_add_u32_e32 v15, s15, v15
	s_andn2_b64 exec, exec, s[36:37]
	s_cbranch_execz .LBB351_2
.LBB351_7:                              ;   Parent Loop BB351_3 Depth=1
                                        ; =>  This Loop Header: Depth=2
                                        ;       Child Loop BB351_10 Depth 3
                                        ;       Child Loop BB351_14 Depth 3
	;; [unrolled: 1-line block ×6, first 2 shown]
	s_and_b64 vcc, exec, s[8:9]
	s_mov_b64 s[10:11], -1
	s_cbranch_vccnz .LBB351_21
; %bb.8:                                ;   in Loop: Header=BB351_7 Depth=2
	v_mov_b32_e32 v4, 0
	s_and_b64 vcc, exec, s[4:5]
	s_cbranch_vccnz .LBB351_11
; %bb.9:                                ;   in Loop: Header=BB351_7 Depth=2
	v_mov_b32_e32 v0, v2
	s_mov_b32 s10, s13
.LBB351_10:                             ;   Parent Loop BB351_3 Depth=1
                                        ;     Parent Loop BB351_7 Depth=2
                                        ; =>    This Inner Loop Header: Depth=3
	v_lshlrev_b64 v[18:19], 2, v[0:1]
	v_mov_b32_e32 v5, s23
	v_add_co_u32_e32 v18, vcc, s22, v18
	v_addc_co_u32_e32 v19, vcc, v5, v19, vcc
	global_load_dword v5, v[18:19], off
	s_add_i32 s10, s10, -1
	v_add_u32_e32 v0, s14, v0
	s_cmp_eq_u32 s10, 0
	s_waitcnt vmcnt(0)
	v_add_f32_e32 v4, v4, v5
	s_cbranch_scc0 .LBB351_10
.LBB351_11:                             ;   in Loop: Header=BB351_7 Depth=2
	s_and_b64 vcc, exec, s[4:5]
	s_cbranch_vccnz .LBB351_20
; %bb.12:                               ;   in Loop: Header=BB351_7 Depth=2
	s_mul_i32 s10, s15, s49
	v_add_u32_e32 v0, s10, v12
	v_cmp_lt_u32_e32 vcc, s33, v0
	s_or_b64 s[10:11], s[28:29], vcc
	s_or_b64 s[10:11], s[26:27], s[10:11]
	s_mov_b64 s[40:41], -1
	s_xor_b64 s[10:11], s[10:11], -1
	v_mov_b32_e32 v0, 0
	s_and_saveexec_b64 s[38:39], s[10:11]
	s_cbranch_execz .LBB351_16
; %bb.13:                               ;   in Loop: Header=BB351_7 Depth=2
	v_mov_b32_e32 v5, v4
	s_mov_b32 s40, 0
.LBB351_14:                             ;   Parent Loop BB351_3 Depth=1
                                        ;     Parent Loop BB351_7 Depth=2
                                        ; =>    This Inner Loop Header: Depth=3
	v_add_u32_e32 v0, s40, v2
	v_lshlrev_b64 v[18:19], 2, v[0:1]
	v_mov_b32_e32 v17, s19
	v_add_co_u32_e32 v20, vcc, s18, v18
	v_addc_co_u32_e32 v21, vcc, v17, v19, vcc
	global_load_dwordx2 v[20:21], v[20:21], off
	v_mov_b32_e32 v17, s23
	v_add_co_u32_e32 v18, vcc, s22, v18
	v_addc_co_u32_e32 v19, vcc, v17, v19, vcc
	global_load_dwordx2 v[18:19], v[18:19], off
	v_lshlrev_b64 v[22:23], 1, v[0:1]
	v_mov_b32_e32 v17, s17
	s_add_i32 s40, s40, 2
	s_cmp_lg_u32 s42, s40
	s_waitcnt vmcnt(1)
	v_mul_f32_e32 v0, 0x3fb8aa3b, v21
	v_mul_f32_e32 v24, 0x3fb8aa3b, v20
	v_fma_f32 v25, v21, s44, -v0
	v_rndne_f32_e32 v26, v0
	v_fma_f32 v27, v20, s44, -v24
	v_rndne_f32_e32 v28, v24
	v_fmac_f32_e32 v25, 0x32a5705f, v21
	v_sub_f32_e32 v0, v0, v26
	v_fmac_f32_e32 v27, 0x32a5705f, v20
	v_sub_f32_e32 v24, v24, v28
	v_add_f32_e32 v0, v0, v25
	v_add_f32_e32 v24, v24, v27
	v_cvt_i32_f32_e32 v26, v26
	v_cvt_i32_f32_e32 v28, v28
	v_exp_f32_e32 v0, v0
	v_exp_f32_e32 v24, v24
	v_cmp_ngt_f32_e32 vcc, s45, v20
	v_cmp_ngt_f32_e64 s[10:11], s45, v21
	v_ldexp_f32 v0, v0, v26
	v_ldexp_f32 v24, v24, v28
	v_cndmask_b32_e64 v0, 0, v0, s[10:11]
	v_cndmask_b32_e32 v24, 0, v24, vcc
	v_cmp_nlt_f32_e32 vcc, s46, v20
	v_cmp_nlt_f32_e64 s[10:11], s46, v21
	v_cndmask_b32_e64 v21, v11, v0, s[10:11]
	v_cndmask_b32_e32 v20, v11, v24, vcc
	s_waitcnt vmcnt(0)
	v_pk_fma_f32 v[18:19], v[4:5], v[20:21], v[18:19] neg_lo:[1,0,0] neg_hi:[1,0,0]
	v_cvt_f16_f32_e32 v0, v19
	v_cvt_f16_f32_e32 v20, v18
	v_add_co_u32_e32 v18, vcc, s16, v22
	v_addc_co_u32_e32 v19, vcc, v17, v23, vcc
	v_pack_b32_f16 v0, v20, v0
	global_store_dword v[18:19], v0, off
	s_cbranch_scc1 .LBB351_14
; %bb.15:                               ;   in Loop: Header=BB351_7 Depth=2
	v_mov_b32_e32 v0, s42
	s_orn2_b64 s[40:41], s[30:31], exec
.LBB351_16:                             ;   in Loop: Header=BB351_7 Depth=2
	s_or_b64 exec, exec, s[38:39]
	s_and_saveexec_b64 s[10:11], s[40:41]
	s_cbranch_execz .LBB351_19
; %bb.17:                               ;   in Loop: Header=BB351_7 Depth=2
	v_mad_u64_u32 v[18:19], s[38:39], s14, v0, v[2:3]
	v_sub_u32_e32 v5, s13, v0
	s_mov_b64 s[38:39], 0
	v_mov_b32_e32 v0, v18
.LBB351_18:                             ;   Parent Loop BB351_3 Depth=1
                                        ;     Parent Loop BB351_7 Depth=2
                                        ; =>    This Inner Loop Header: Depth=3
	v_lshlrev_b64 v[18:19], 2, v[0:1]
	v_mov_b32_e32 v17, s19
	v_add_co_u32_e32 v20, vcc, s18, v18
	v_addc_co_u32_e32 v21, vcc, v17, v19, vcc
	global_load_dword v17, v[20:21], off
	v_mov_b32_e32 v20, s23
	v_add_co_u32_e32 v18, vcc, s22, v18
	v_addc_co_u32_e32 v19, vcc, v20, v19, vcc
	global_load_dword v20, v[18:19], off
	v_lshlrev_b64 v[18:19], 1, v[0:1]
	v_mov_b32_e32 v21, s17
	v_add_co_u32_e32 v18, vcc, s16, v18
	v_addc_co_u32_e32 v19, vcc, v21, v19, vcc
	v_add_u32_e32 v5, -1, v5
	v_cmp_eq_u32_e32 vcc, 0, v5
	s_or_b64 s[38:39], vcc, s[38:39]
	v_add_u32_e32 v0, s14, v0
	s_waitcnt vmcnt(1)
	v_mul_f32_e32 v21, 0x3fb8aa3b, v17
	v_fma_f32 v22, v17, s44, -v21
	v_rndne_f32_e32 v23, v21
	v_fmac_f32_e32 v22, 0x32a5705f, v17
	v_sub_f32_e32 v21, v21, v23
	v_add_f32_e32 v21, v21, v22
	v_cvt_i32_f32_e32 v23, v23
	v_exp_f32_e32 v21, v21
	v_cmp_ngt_f32_e32 vcc, s45, v17
	v_ldexp_f32 v21, v21, v23
	v_cndmask_b32_e32 v21, 0, v21, vcc
	v_cmp_nlt_f32_e32 vcc, s46, v17
	v_cndmask_b32_e32 v17, v11, v21, vcc
	s_waitcnt vmcnt(0)
	v_fma_mixlo_f16 v17, -v4, v17, v20
	global_store_short v[18:19], v17, off
	s_andn2_b64 exec, exec, s[38:39]
	s_cbranch_execnz .LBB351_18
.LBB351_19:                             ;   in Loop: Header=BB351_7 Depth=2
	s_or_b64 exec, exec, s[10:11]
.LBB351_20:                             ;   in Loop: Header=BB351_7 Depth=2
	s_mov_b64 s[10:11], 0
.LBB351_21:                             ;   in Loop: Header=BB351_7 Depth=2
	s_and_b64 vcc, exec, s[10:11]
	s_cbranch_vccz .LBB351_6
; %bb.22:                               ;   in Loop: Header=BB351_7 Depth=2
	v_mov_b32_e32 v4, 0
	s_and_saveexec_b64 s[10:11], s[2:3]
	s_cbranch_execz .LBB351_26
; %bb.23:                               ;   in Loop: Header=BB351_7 Depth=2
	s_mov_b64 s[38:39], 0
	v_mov_b32_e32 v4, 0
	v_mov_b32_e32 v0, v15
	;; [unrolled: 1-line block ×3, first 2 shown]
.LBB351_24:                             ;   Parent Loop BB351_3 Depth=1
                                        ;     Parent Loop BB351_7 Depth=2
                                        ; =>    This Inner Loop Header: Depth=3
	v_lshlrev_b64 v[18:19], 2, v[0:1]
	v_mov_b32_e32 v17, s23
	v_add_co_u32_e32 v18, vcc, s22, v18
	v_addc_co_u32_e32 v19, vcc, v17, v19, vcc
	global_load_dword v17, v[18:19], off
	v_add_u32_e32 v5, s47, v5
	v_cmp_le_u32_e32 vcc, s13, v5
	v_add_u32_e32 v0, s48, v0
	s_or_b64 s[38:39], vcc, s[38:39]
	s_waitcnt vmcnt(0)
	v_add_f32_e32 v4, v4, v17
	s_andn2_b64 exec, exec, s[38:39]
	s_cbranch_execnz .LBB351_24
; %bb.25:                               ;   in Loop: Header=BB351_7 Depth=2
	s_or_b64 exec, exec, s[38:39]
.LBB351_26:                             ;   in Loop: Header=BB351_7 Depth=2
	s_or_b64 exec, exec, s[10:11]
	s_mov_b32 s38, s47
	s_barrier
	ds_write_b32 v14, v4
	s_branch .LBB351_28
.LBB351_27:                             ;   in Loop: Header=BB351_28 Depth=3
	s_or_b64 exec, exec, s[10:11]
	s_cmp_gt_u32 s38, 3
	s_mov_b32 s38, s39
	s_cbranch_scc0 .LBB351_30
.LBB351_28:                             ;   Parent Loop BB351_3 Depth=1
                                        ;     Parent Loop BB351_7 Depth=2
                                        ; =>    This Inner Loop Header: Depth=3
	s_lshr_b32 s39, s38, 1
	v_cmp_gt_u32_e32 vcc, s39, v7
	s_waitcnt lgkmcnt(0)
	s_barrier
	s_and_saveexec_b64 s[10:11], vcc
	s_cbranch_execz .LBB351_27
; %bb.29:                               ;   in Loop: Header=BB351_28 Depth=3
	v_lshl_add_u32 v0, s39, 2, v14
	ds_read_b32 v4, v14
	ds_read_b32 v0, v0
	s_waitcnt lgkmcnt(0)
	v_add_f32_e32 v0, v4, v0
	ds_write_b32 v14, v0
	s_branch .LBB351_27
.LBB351_30:                             ;   in Loop: Header=BB351_7 Depth=2
	s_waitcnt lgkmcnt(0)
	s_barrier
	s_and_saveexec_b64 s[10:11], s[2:3]
	s_cbranch_execz .LBB351_5
; %bb.31:                               ;   in Loop: Header=BB351_7 Depth=2
	ds_read_b32 v4, v13
	s_mov_b64 s[38:39], 0
	v_mov_b32_e32 v0, v15
	v_mov_b32_e32 v5, v7
.LBB351_32:                             ;   Parent Loop BB351_3 Depth=1
                                        ;     Parent Loop BB351_7 Depth=2
                                        ; =>    This Inner Loop Header: Depth=3
	v_lshlrev_b64 v[18:19], 2, v[0:1]
	v_mov_b32_e32 v17, s19
	v_add_co_u32_e32 v20, vcc, s18, v18
	v_addc_co_u32_e32 v21, vcc, v17, v19, vcc
	global_load_dword v17, v[20:21], off
	v_mov_b32_e32 v20, s23
	v_add_co_u32_e32 v18, vcc, s22, v18
	v_addc_co_u32_e32 v19, vcc, v20, v19, vcc
	global_load_dword v20, v[18:19], off
	v_lshlrev_b64 v[18:19], 1, v[0:1]
	v_mov_b32_e32 v21, s17
	v_add_co_u32_e32 v18, vcc, s16, v18
	v_addc_co_u32_e32 v19, vcc, v21, v19, vcc
	v_add_u32_e32 v5, s47, v5
	v_cmp_le_u32_e32 vcc, s13, v5
	s_or_b64 s[38:39], vcc, s[38:39]
	v_add_u32_e32 v0, s48, v0
	s_waitcnt vmcnt(1)
	v_mul_f32_e32 v21, 0x3fb8aa3b, v17
	v_fma_f32 v22, v17, s44, -v21
	v_rndne_f32_e32 v23, v21
	v_fmac_f32_e32 v22, 0x32a5705f, v17
	v_sub_f32_e32 v21, v21, v23
	v_add_f32_e32 v21, v21, v22
	v_cvt_i32_f32_e32 v23, v23
	v_exp_f32_e32 v21, v21
	v_cmp_ngt_f32_e32 vcc, s45, v17
	v_ldexp_f32 v21, v21, v23
	v_cndmask_b32_e32 v21, 0, v21, vcc
	v_cmp_nlt_f32_e32 vcc, s46, v17
	v_cndmask_b32_e32 v17, v11, v21, vcc
	s_waitcnt vmcnt(0) lgkmcnt(0)
	v_fma_mixlo_f16 v17, -v4, v17, v20
	global_store_short v[18:19], v17, off
	s_andn2_b64 exec, exec, s[38:39]
	s_cbranch_execnz .LBB351_32
	s_branch .LBB351_5
.LBB351_33:
	s_endpgm
	.section	.rodata,"a",@progbits
	.p2align	6, 0x0
	.amdhsa_kernel _ZN2at6native12_GLOBAL__N_127cunn_SpatialSoftMaxBackwardIN3c104HalfEffNS1_26LogSoftMaxBackwardEpilogueEEEvPT_PKT1_SA_jjj
		.amdhsa_group_segment_fixed_size 0
		.amdhsa_private_segment_fixed_size 0
		.amdhsa_kernarg_size 296
		.amdhsa_user_sgpr_count 6
		.amdhsa_user_sgpr_private_segment_buffer 1
		.amdhsa_user_sgpr_dispatch_ptr 0
		.amdhsa_user_sgpr_queue_ptr 0
		.amdhsa_user_sgpr_kernarg_segment_ptr 1
		.amdhsa_user_sgpr_dispatch_id 0
		.amdhsa_user_sgpr_flat_scratch_init 0
		.amdhsa_user_sgpr_kernarg_preload_length 0
		.amdhsa_user_sgpr_kernarg_preload_offset 0
		.amdhsa_user_sgpr_private_segment_size 0
		.amdhsa_uses_dynamic_stack 0
		.amdhsa_system_sgpr_private_segment_wavefront_offset 0
		.amdhsa_system_sgpr_workgroup_id_x 1
		.amdhsa_system_sgpr_workgroup_id_y 1
		.amdhsa_system_sgpr_workgroup_id_z 0
		.amdhsa_system_sgpr_workgroup_info 0
		.amdhsa_system_vgpr_workitem_id 1
		.amdhsa_next_free_vgpr 29
		.amdhsa_next_free_sgpr 50
		.amdhsa_accum_offset 32
		.amdhsa_reserve_vcc 1
		.amdhsa_reserve_flat_scratch 0
		.amdhsa_float_round_mode_32 0
		.amdhsa_float_round_mode_16_64 0
		.amdhsa_float_denorm_mode_32 3
		.amdhsa_float_denorm_mode_16_64 3
		.amdhsa_dx10_clamp 1
		.amdhsa_ieee_mode 1
		.amdhsa_fp16_overflow 0
		.amdhsa_tg_split 0
		.amdhsa_exception_fp_ieee_invalid_op 0
		.amdhsa_exception_fp_denorm_src 0
		.amdhsa_exception_fp_ieee_div_zero 0
		.amdhsa_exception_fp_ieee_overflow 0
		.amdhsa_exception_fp_ieee_underflow 0
		.amdhsa_exception_fp_ieee_inexact 0
		.amdhsa_exception_int_div_zero 0
	.end_amdhsa_kernel
	.section	.text._ZN2at6native12_GLOBAL__N_127cunn_SpatialSoftMaxBackwardIN3c104HalfEffNS1_26LogSoftMaxBackwardEpilogueEEEvPT_PKT1_SA_jjj,"axG",@progbits,_ZN2at6native12_GLOBAL__N_127cunn_SpatialSoftMaxBackwardIN3c104HalfEffNS1_26LogSoftMaxBackwardEpilogueEEEvPT_PKT1_SA_jjj,comdat
.Lfunc_end351:
	.size	_ZN2at6native12_GLOBAL__N_127cunn_SpatialSoftMaxBackwardIN3c104HalfEffNS1_26LogSoftMaxBackwardEpilogueEEEvPT_PKT1_SA_jjj, .Lfunc_end351-_ZN2at6native12_GLOBAL__N_127cunn_SpatialSoftMaxBackwardIN3c104HalfEffNS1_26LogSoftMaxBackwardEpilogueEEEvPT_PKT1_SA_jjj
                                        ; -- End function
	.section	.AMDGPU.csdata,"",@progbits
; Kernel info:
; codeLenInByte = 1516
; NumSgprs: 54
; NumVgprs: 29
; NumAgprs: 0
; TotalNumVgprs: 29
; ScratchSize: 0
; MemoryBound: 0
; FloatMode: 240
; IeeeMode: 1
; LDSByteSize: 0 bytes/workgroup (compile time only)
; SGPRBlocks: 6
; VGPRBlocks: 3
; NumSGPRsForWavesPerEU: 54
; NumVGPRsForWavesPerEU: 29
; AccumOffset: 32
; Occupancy: 8
; WaveLimiterHint : 0
; COMPUTE_PGM_RSRC2:SCRATCH_EN: 0
; COMPUTE_PGM_RSRC2:USER_SGPR: 6
; COMPUTE_PGM_RSRC2:TRAP_HANDLER: 0
; COMPUTE_PGM_RSRC2:TGID_X_EN: 1
; COMPUTE_PGM_RSRC2:TGID_Y_EN: 1
; COMPUTE_PGM_RSRC2:TGID_Z_EN: 0
; COMPUTE_PGM_RSRC2:TIDIG_COMP_CNT: 1
; COMPUTE_PGM_RSRC3_GFX90A:ACCUM_OFFSET: 7
; COMPUTE_PGM_RSRC3_GFX90A:TG_SPLIT: 0
	.section	.text._ZN2at6native12_GLOBAL__N_127cunn_SpatialSoftMaxBackwardIN3c108BFloat16EfS4_NS1_26LogSoftMaxBackwardEpilogueEEEvPT_PKT1_SA_jjj,"axG",@progbits,_ZN2at6native12_GLOBAL__N_127cunn_SpatialSoftMaxBackwardIN3c108BFloat16EfS4_NS1_26LogSoftMaxBackwardEpilogueEEEvPT_PKT1_SA_jjj,comdat
	.globl	_ZN2at6native12_GLOBAL__N_127cunn_SpatialSoftMaxBackwardIN3c108BFloat16EfS4_NS1_26LogSoftMaxBackwardEpilogueEEEvPT_PKT1_SA_jjj ; -- Begin function _ZN2at6native12_GLOBAL__N_127cunn_SpatialSoftMaxBackwardIN3c108BFloat16EfS4_NS1_26LogSoftMaxBackwardEpilogueEEEvPT_PKT1_SA_jjj
	.p2align	8
	.type	_ZN2at6native12_GLOBAL__N_127cunn_SpatialSoftMaxBackwardIN3c108BFloat16EfS4_NS1_26LogSoftMaxBackwardEpilogueEEEvPT_PKT1_SA_jjj,@function
_ZN2at6native12_GLOBAL__N_127cunn_SpatialSoftMaxBackwardIN3c108BFloat16EfS4_NS1_26LogSoftMaxBackwardEpilogueEEEvPT_PKT1_SA_jjj: ; @_ZN2at6native12_GLOBAL__N_127cunn_SpatialSoftMaxBackwardIN3c108BFloat16EfS4_NS1_26LogSoftMaxBackwardEpilogueEEEvPT_PKT1_SA_jjj
; %bb.0:
	s_load_dwordx4 s[12:15], s[4:5], 0x18
	s_waitcnt lgkmcnt(0)
	s_cmp_ge_u32 s6, s12
	s_cbranch_scc1 .LBB352_26
; %bb.1:
	s_load_dwordx2 s[10:11], s[4:5], 0x28
	s_load_dword s0, s[4:5], 0x34
	s_load_dwordx4 s[16:19], s[4:5], 0x0
	s_load_dwordx2 s[20:21], s[4:5], 0x10
	s_add_u32 s22, s4, 40
	s_addc_u32 s23, s5, 0
	s_waitcnt lgkmcnt(0)
	s_lshr_b32 s4, s0, 16
	v_and_b32_e32 v4, 0x3ff, v0
	s_mul_i32 s9, s6, s13
	s_mul_i32 s8, s7, s4
	v_bfe_u32 v2, v0, 10, 10
	s_cmp_lg_u32 s13, 0
	s_mul_i32 s7, s11, s4
	s_mul_i32 s11, s9, s14
	v_add_u32_e32 v0, s9, v4
	s_cselect_b64 s[4:5], -1, 0
	s_add_i32 s11, s8, s11
	v_mul_lo_u32 v0, s14, v0
	v_add_u32_e32 v3, s8, v2
	v_add_u32_e32 v5, s11, v2
	s_mul_i32 s11, s10, s14
	v_add3_u32 v6, v2, v0, s8
	v_cndmask_b32_e64 v0, 0, 1, s[4:5]
	v_cmp_gt_u32_e64 s[0:1], s14, v3
	v_cmp_gt_u32_e64 s[2:3], s13, v4
	s_mul_i32 s11, s11, s13
	v_cmp_ne_u32_e64 s[4:5], 1, v0
	v_mov_b32_e32 v1, 0
	s_mov_b32 s15, 0x3fb8aa3b
	s_mov_b32 s33, 0xc2ce8ed0
	;; [unrolled: 1-line block ×3, first 2 shown]
	s_movk_i32 s35, 0x7fff
	v_mov_b32_e32 v7, 0x7f800000
	v_mov_b32_e32 v8, 0x7fc0
	s_branch .LBB352_3
.LBB352_2:                              ;   in Loop: Header=BB352_3 Depth=1
	s_or_b64 exec, exec, s[24:25]
	s_add_i32 s6, s10, s6
	v_add_u32_e32 v5, s11, v5
	s_cmp_ge_u32 s6, s12
	v_add_u32_e32 v6, s11, v6
	s_cbranch_scc1 .LBB352_26
.LBB352_3:                              ; =>This Loop Header: Depth=1
                                        ;     Child Loop BB352_7 Depth 2
                                        ;       Child Loop BB352_10 Depth 3
                                        ;       Child Loop BB352_12 Depth 3
	;; [unrolled: 1-line block ×5, first 2 shown]
	s_and_saveexec_b64 s[24:25], s[0:1]
	s_cbranch_execz .LBB352_2
; %bb.4:                                ;   in Loop: Header=BB352_3 Depth=1
	s_load_dword s8, s[22:23], 0xc
	s_mov_b64 s[26:27], 0
	v_mov_b32_e32 v11, v6
	v_mov_b32_e32 v12, v5
	;; [unrolled: 1-line block ×3, first 2 shown]
	s_waitcnt lgkmcnt(0)
	s_and_b32 s36, s8, 0xffff
	s_cmp_lt_u32 s36, 2
	v_mul_u32_u24_e32 v0, s36, v2
	s_cselect_b64 s[8:9], -1, 0
	v_lshl_add_u32 v9, v0, 2, 0
	v_cndmask_b32_e64 v0, 0, 1, s[8:9]
	s_mul_i32 s37, s14, s36
	v_lshl_add_u32 v10, v4, 2, v9
	v_cmp_ne_u32_e64 s[8:9], 1, v0
	s_branch .LBB352_7
.LBB352_5:                              ;   in Loop: Header=BB352_7 Depth=2
	s_or_b64 exec, exec, s[28:29]
.LBB352_6:                              ;   in Loop: Header=BB352_7 Depth=2
	v_add_u32_e32 v13, s7, v13
	v_cmp_le_u32_e32 vcc, s14, v13
	v_add_u32_e32 v12, s7, v12
	s_or_b64 s[26:27], vcc, s[26:27]
	v_add_u32_e32 v11, s7, v11
	s_andn2_b64 exec, exec, s[26:27]
	s_cbranch_execz .LBB352_2
.LBB352_7:                              ;   Parent Loop BB352_3 Depth=1
                                        ; =>  This Loop Header: Depth=2
                                        ;       Child Loop BB352_10 Depth 3
                                        ;       Child Loop BB352_12 Depth 3
	;; [unrolled: 1-line block ×5, first 2 shown]
	s_and_b64 vcc, exec, s[8:9]
	s_mov_b64 s[28:29], -1
	s_cbranch_vccnz .LBB352_14
; %bb.8:                                ;   in Loop: Header=BB352_7 Depth=2
	v_mov_b32_e32 v14, 0
	s_and_b64 vcc, exec, s[4:5]
	s_cbranch_vccnz .LBB352_11
; %bb.9:                                ;   in Loop: Header=BB352_7 Depth=2
	v_mov_b32_e32 v0, v12
	s_mov_b32 s28, s13
.LBB352_10:                             ;   Parent Loop BB352_3 Depth=1
                                        ;     Parent Loop BB352_7 Depth=2
                                        ; =>    This Inner Loop Header: Depth=3
	v_lshlrev_b64 v[16:17], 1, v[0:1]
	v_mov_b32_e32 v15, s21
	v_add_co_u32_e32 v16, vcc, s20, v16
	v_addc_co_u32_e32 v17, vcc, v15, v17, vcc
	global_load_ushort v15, v[16:17], off
	s_add_i32 s28, s28, -1
	v_add_u32_e32 v0, s14, v0
	s_cmp_eq_u32 s28, 0
	s_waitcnt vmcnt(0)
	v_lshlrev_b32_e32 v15, 16, v15
	v_add_f32_e32 v14, v14, v15
	s_cbranch_scc0 .LBB352_10
.LBB352_11:                             ;   in Loop: Header=BB352_7 Depth=2
	s_and_b64 vcc, exec, s[4:5]
	v_mov_b32_e32 v0, v12
	s_mov_b32 s28, s13
	s_cbranch_vccnz .LBB352_13
.LBB352_12:                             ;   Parent Loop BB352_3 Depth=1
                                        ;     Parent Loop BB352_7 Depth=2
                                        ; =>    This Inner Loop Header: Depth=3
	v_lshlrev_b64 v[16:17], 1, v[0:1]
	v_mov_b32_e32 v15, s21
	v_add_co_u32_e32 v18, vcc, s20, v16
	v_addc_co_u32_e32 v19, vcc, v15, v17, vcc
	v_mov_b32_e32 v21, s19
	v_add_co_u32_e32 v20, vcc, s18, v16
	v_addc_co_u32_e32 v21, vcc, v21, v17, vcc
	global_load_ushort v15, v[20:21], off
	global_load_ushort v22, v[18:19], off
	v_mov_b32_e32 v18, s17
	v_add_co_u32_e32 v16, vcc, s16, v16
	v_addc_co_u32_e32 v17, vcc, v18, v17, vcc
	s_add_i32 s28, s28, -1
	v_add_u32_e32 v0, s14, v0
	s_cmp_lg_u32 s28, 0
	s_waitcnt vmcnt(1)
	v_lshlrev_b32_e32 v15, 16, v15
	v_mul_f32_e32 v19, 0x3fb8aa3b, v15
	v_fma_f32 v20, v15, s15, -v19
	v_rndne_f32_e32 v21, v19
	v_fmac_f32_e32 v20, 0x32a5705f, v15
	v_sub_f32_e32 v19, v19, v21
	v_add_f32_e32 v19, v19, v20
	v_cvt_i32_f32_e32 v21, v21
	v_exp_f32_e32 v19, v19
	v_cmp_ngt_f32_e32 vcc, s33, v15
	s_waitcnt vmcnt(0)
	v_lshlrev_b32_e32 v18, 16, v22
	v_ldexp_f32 v19, v19, v21
	v_cndmask_b32_e32 v19, 0, v19, vcc
	v_cmp_nlt_f32_e32 vcc, s34, v15
	v_cndmask_b32_e32 v15, v7, v19, vcc
	v_fma_f32 v15, -v14, v15, v18
	v_bfe_u32 v18, v15, 16, 1
	v_add3_u32 v18, v15, v18, s35
	v_lshrrev_b32_e32 v18, 16, v18
	v_cmp_o_f32_e32 vcc, v15, v15
	v_cndmask_b32_e32 v15, v8, v18, vcc
	global_store_short v[16:17], v15, off
	s_cbranch_scc1 .LBB352_12
.LBB352_13:                             ;   in Loop: Header=BB352_7 Depth=2
	s_mov_b64 s[28:29], 0
.LBB352_14:                             ;   in Loop: Header=BB352_7 Depth=2
	s_and_b64 vcc, exec, s[28:29]
	s_cbranch_vccz .LBB352_6
; %bb.15:                               ;   in Loop: Header=BB352_7 Depth=2
	v_mov_b32_e32 v14, 0
	s_and_saveexec_b64 s[28:29], s[2:3]
	s_cbranch_execz .LBB352_19
; %bb.16:                               ;   in Loop: Header=BB352_7 Depth=2
	s_mov_b64 s[30:31], 0
	v_mov_b32_e32 v14, 0
	v_mov_b32_e32 v0, v11
	;; [unrolled: 1-line block ×3, first 2 shown]
.LBB352_17:                             ;   Parent Loop BB352_3 Depth=1
                                        ;     Parent Loop BB352_7 Depth=2
                                        ; =>    This Inner Loop Header: Depth=3
	v_lshlrev_b64 v[16:17], 1, v[0:1]
	v_mov_b32_e32 v18, s21
	v_add_co_u32_e32 v16, vcc, s20, v16
	v_addc_co_u32_e32 v17, vcc, v18, v17, vcc
	global_load_ushort v16, v[16:17], off
	v_add_u32_e32 v15, s36, v15
	v_cmp_le_u32_e32 vcc, s13, v15
	v_add_u32_e32 v0, s37, v0
	s_or_b64 s[30:31], vcc, s[30:31]
	s_waitcnt vmcnt(0)
	v_lshlrev_b32_e32 v16, 16, v16
	v_add_f32_e32 v14, v14, v16
	s_andn2_b64 exec, exec, s[30:31]
	s_cbranch_execnz .LBB352_17
; %bb.18:                               ;   in Loop: Header=BB352_7 Depth=2
	s_or_b64 exec, exec, s[30:31]
.LBB352_19:                             ;   in Loop: Header=BB352_7 Depth=2
	s_or_b64 exec, exec, s[28:29]
	s_mov_b32 s30, s36
	s_barrier
	ds_write_b32 v10, v14
	s_branch .LBB352_21
.LBB352_20:                             ;   in Loop: Header=BB352_21 Depth=3
	s_or_b64 exec, exec, s[28:29]
	s_cmp_gt_u32 s30, 3
	s_mov_b32 s30, s31
	s_cbranch_scc0 .LBB352_23
.LBB352_21:                             ;   Parent Loop BB352_3 Depth=1
                                        ;     Parent Loop BB352_7 Depth=2
                                        ; =>    This Inner Loop Header: Depth=3
	s_lshr_b32 s31, s30, 1
	v_cmp_gt_u32_e32 vcc, s31, v4
	s_waitcnt lgkmcnt(0)
	s_barrier
	s_and_saveexec_b64 s[28:29], vcc
	s_cbranch_execz .LBB352_20
; %bb.22:                               ;   in Loop: Header=BB352_21 Depth=3
	v_lshl_add_u32 v0, s31, 2, v10
	ds_read_b32 v14, v10
	ds_read_b32 v0, v0
	s_waitcnt lgkmcnt(0)
	v_add_f32_e32 v0, v14, v0
	ds_write_b32 v10, v0
	s_branch .LBB352_20
.LBB352_23:                             ;   in Loop: Header=BB352_7 Depth=2
	s_waitcnt lgkmcnt(0)
	s_barrier
	s_and_saveexec_b64 s[28:29], s[2:3]
	s_cbranch_execz .LBB352_5
; %bb.24:                               ;   in Loop: Header=BB352_7 Depth=2
	ds_read_b32 v14, v9
	s_mov_b64 s[30:31], 0
	v_mov_b32_e32 v0, v11
	v_mov_b32_e32 v15, v4
.LBB352_25:                             ;   Parent Loop BB352_3 Depth=1
                                        ;     Parent Loop BB352_7 Depth=2
                                        ; =>    This Inner Loop Header: Depth=3
	v_lshlrev_b64 v[16:17], 1, v[0:1]
	v_mov_b32_e32 v19, s21
	v_add_co_u32_e32 v18, vcc, s20, v16
	v_addc_co_u32_e32 v19, vcc, v19, v17, vcc
	v_mov_b32_e32 v21, s19
	v_add_co_u32_e32 v20, vcc, s18, v16
	v_addc_co_u32_e32 v21, vcc, v21, v17, vcc
	global_load_ushort v22, v[20:21], off
	global_load_ushort v23, v[18:19], off
	v_mov_b32_e32 v18, s17
	v_add_co_u32_e32 v16, vcc, s16, v16
	v_addc_co_u32_e32 v17, vcc, v18, v17, vcc
	v_add_u32_e32 v15, s36, v15
	v_cmp_le_u32_e32 vcc, s13, v15
	s_or_b64 s[30:31], vcc, s[30:31]
	v_add_u32_e32 v0, s37, v0
	s_waitcnt vmcnt(1)
	v_lshlrev_b32_e32 v18, 16, v22
	v_mul_f32_e32 v20, 0x3fb8aa3b, v18
	v_fma_f32 v21, v18, s15, -v20
	v_rndne_f32_e32 v22, v20
	v_fmac_f32_e32 v21, 0x32a5705f, v18
	v_sub_f32_e32 v20, v20, v22
	v_add_f32_e32 v20, v20, v21
	v_cvt_i32_f32_e32 v22, v22
	v_exp_f32_e32 v20, v20
	v_cmp_ngt_f32_e32 vcc, s33, v18
	s_waitcnt vmcnt(0)
	v_lshlrev_b32_e32 v19, 16, v23
	v_ldexp_f32 v20, v20, v22
	v_cndmask_b32_e32 v20, 0, v20, vcc
	v_cmp_nlt_f32_e32 vcc, s34, v18
	v_cndmask_b32_e32 v18, v7, v20, vcc
	s_waitcnt lgkmcnt(0)
	v_fma_f32 v18, -v14, v18, v19
	v_bfe_u32 v19, v18, 16, 1
	v_add3_u32 v19, v18, v19, s35
	v_lshrrev_b32_e32 v19, 16, v19
	v_cmp_o_f32_e32 vcc, v18, v18
	v_cndmask_b32_e32 v18, v8, v19, vcc
	global_store_short v[16:17], v18, off
	s_andn2_b64 exec, exec, s[30:31]
	s_cbranch_execnz .LBB352_25
	s_branch .LBB352_5
.LBB352_26:
	s_endpgm
	.section	.rodata,"a",@progbits
	.p2align	6, 0x0
	.amdhsa_kernel _ZN2at6native12_GLOBAL__N_127cunn_SpatialSoftMaxBackwardIN3c108BFloat16EfS4_NS1_26LogSoftMaxBackwardEpilogueEEEvPT_PKT1_SA_jjj
		.amdhsa_group_segment_fixed_size 0
		.amdhsa_private_segment_fixed_size 0
		.amdhsa_kernarg_size 296
		.amdhsa_user_sgpr_count 6
		.amdhsa_user_sgpr_private_segment_buffer 1
		.amdhsa_user_sgpr_dispatch_ptr 0
		.amdhsa_user_sgpr_queue_ptr 0
		.amdhsa_user_sgpr_kernarg_segment_ptr 1
		.amdhsa_user_sgpr_dispatch_id 0
		.amdhsa_user_sgpr_flat_scratch_init 0
		.amdhsa_user_sgpr_kernarg_preload_length 0
		.amdhsa_user_sgpr_kernarg_preload_offset 0
		.amdhsa_user_sgpr_private_segment_size 0
		.amdhsa_uses_dynamic_stack 0
		.amdhsa_system_sgpr_private_segment_wavefront_offset 0
		.amdhsa_system_sgpr_workgroup_id_x 1
		.amdhsa_system_sgpr_workgroup_id_y 1
		.amdhsa_system_sgpr_workgroup_id_z 0
		.amdhsa_system_sgpr_workgroup_info 0
		.amdhsa_system_vgpr_workitem_id 1
		.amdhsa_next_free_vgpr 24
		.amdhsa_next_free_sgpr 38
		.amdhsa_accum_offset 24
		.amdhsa_reserve_vcc 1
		.amdhsa_reserve_flat_scratch 0
		.amdhsa_float_round_mode_32 0
		.amdhsa_float_round_mode_16_64 0
		.amdhsa_float_denorm_mode_32 3
		.amdhsa_float_denorm_mode_16_64 3
		.amdhsa_dx10_clamp 1
		.amdhsa_ieee_mode 1
		.amdhsa_fp16_overflow 0
		.amdhsa_tg_split 0
		.amdhsa_exception_fp_ieee_invalid_op 0
		.amdhsa_exception_fp_denorm_src 0
		.amdhsa_exception_fp_ieee_div_zero 0
		.amdhsa_exception_fp_ieee_overflow 0
		.amdhsa_exception_fp_ieee_underflow 0
		.amdhsa_exception_fp_ieee_inexact 0
		.amdhsa_exception_int_div_zero 0
	.end_amdhsa_kernel
	.section	.text._ZN2at6native12_GLOBAL__N_127cunn_SpatialSoftMaxBackwardIN3c108BFloat16EfS4_NS1_26LogSoftMaxBackwardEpilogueEEEvPT_PKT1_SA_jjj,"axG",@progbits,_ZN2at6native12_GLOBAL__N_127cunn_SpatialSoftMaxBackwardIN3c108BFloat16EfS4_NS1_26LogSoftMaxBackwardEpilogueEEEvPT_PKT1_SA_jjj,comdat
.Lfunc_end352:
	.size	_ZN2at6native12_GLOBAL__N_127cunn_SpatialSoftMaxBackwardIN3c108BFloat16EfS4_NS1_26LogSoftMaxBackwardEpilogueEEEvPT_PKT1_SA_jjj, .Lfunc_end352-_ZN2at6native12_GLOBAL__N_127cunn_SpatialSoftMaxBackwardIN3c108BFloat16EfS4_NS1_26LogSoftMaxBackwardEpilogueEEEvPT_PKT1_SA_jjj
                                        ; -- End function
	.section	.AMDGPU.csdata,"",@progbits
; Kernel info:
; codeLenInByte = 1168
; NumSgprs: 42
; NumVgprs: 24
; NumAgprs: 0
; TotalNumVgprs: 24
; ScratchSize: 0
; MemoryBound: 0
; FloatMode: 240
; IeeeMode: 1
; LDSByteSize: 0 bytes/workgroup (compile time only)
; SGPRBlocks: 5
; VGPRBlocks: 2
; NumSGPRsForWavesPerEU: 42
; NumVGPRsForWavesPerEU: 24
; AccumOffset: 24
; Occupancy: 8
; WaveLimiterHint : 0
; COMPUTE_PGM_RSRC2:SCRATCH_EN: 0
; COMPUTE_PGM_RSRC2:USER_SGPR: 6
; COMPUTE_PGM_RSRC2:TRAP_HANDLER: 0
; COMPUTE_PGM_RSRC2:TGID_X_EN: 1
; COMPUTE_PGM_RSRC2:TGID_Y_EN: 1
; COMPUTE_PGM_RSRC2:TGID_Z_EN: 0
; COMPUTE_PGM_RSRC2:TIDIG_COMP_CNT: 1
; COMPUTE_PGM_RSRC3_GFX90A:ACCUM_OFFSET: 5
; COMPUTE_PGM_RSRC3_GFX90A:TG_SPLIT: 0
	.section	.text._ZN2at6native12_GLOBAL__N_127cunn_SpatialSoftMaxBackwardIN3c108BFloat16EffNS1_26LogSoftMaxBackwardEpilogueEEEvPT_PKT1_SA_jjj,"axG",@progbits,_ZN2at6native12_GLOBAL__N_127cunn_SpatialSoftMaxBackwardIN3c108BFloat16EffNS1_26LogSoftMaxBackwardEpilogueEEEvPT_PKT1_SA_jjj,comdat
	.globl	_ZN2at6native12_GLOBAL__N_127cunn_SpatialSoftMaxBackwardIN3c108BFloat16EffNS1_26LogSoftMaxBackwardEpilogueEEEvPT_PKT1_SA_jjj ; -- Begin function _ZN2at6native12_GLOBAL__N_127cunn_SpatialSoftMaxBackwardIN3c108BFloat16EffNS1_26LogSoftMaxBackwardEpilogueEEEvPT_PKT1_SA_jjj
	.p2align	8
	.type	_ZN2at6native12_GLOBAL__N_127cunn_SpatialSoftMaxBackwardIN3c108BFloat16EffNS1_26LogSoftMaxBackwardEpilogueEEEvPT_PKT1_SA_jjj,@function
_ZN2at6native12_GLOBAL__N_127cunn_SpatialSoftMaxBackwardIN3c108BFloat16EffNS1_26LogSoftMaxBackwardEpilogueEEEvPT_PKT1_SA_jjj: ; @_ZN2at6native12_GLOBAL__N_127cunn_SpatialSoftMaxBackwardIN3c108BFloat16EffNS1_26LogSoftMaxBackwardEpilogueEEEvPT_PKT1_SA_jjj
; %bb.0:
	s_load_dwordx4 s[12:15], s[4:5], 0x18
	s_waitcnt lgkmcnt(0)
	s_cmp_ge_u32 s6, s12
	s_cbranch_scc1 .LBB353_33
; %bb.1:
	s_load_dwordx2 s[20:21], s[4:5], 0x28
	s_load_dword s0, s[4:5], 0x34
	s_load_dwordx4 s[16:19], s[4:5], 0x0
	s_load_dwordx2 s[22:23], s[4:5], 0x10
	s_add_u32 s24, s4, 40
	s_addc_u32 s25, s5, 0
	s_waitcnt lgkmcnt(0)
	s_lshr_b32 s4, s0, 16
	s_cmp_lg_u32 s13, 0
	s_mul_i32 s8, s7, s4
	s_mul_i32 s15, s21, s4
	s_cselect_b64 s[4:5], -1, 0
	s_cmp_eq_u32 s13, 1
	v_and_b32_e32 v7, 0x3ff, v0
	s_mul_i32 s9, s6, s13
	s_cselect_b64 s[26:27], -1, 0
	s_cmp_lg_u32 s14, 1
	v_bfe_u32 v3, v0, 10, 10
	s_cselect_b64 s[28:29], -1, 0
	s_sub_i32 s33, 0, s13
	s_and_b32 s42, s13, -2
	v_add_u32_e32 v0, s9, v7
	s_cmp_lg_u32 s42, s13
	s_mul_i32 s10, s9, s14
	v_mul_lo_u32 v0, s14, v0
	v_add_u32_e32 v6, s8, v3
	s_mul_i32 s21, s20, s13
	s_cselect_b64 s[30:31], -1, 0
	s_add_i32 s10, s8, s10
	v_add3_u32 v10, v3, v0, s8
	v_cndmask_b32_e64 v0, 0, 1, s[4:5]
	v_cmp_gt_u32_e64 s[0:1], s14, v6
	s_mov_b32 s7, 0
	v_cmp_gt_u32_e64 s[2:3], s13, v7
	v_add_u32_e32 v8, s9, v6
	v_add_u32_e32 v9, s10, v3
	s_mul_i32 s43, s21, s14
	v_cmp_ne_u32_e64 s[4:5], 1, v0
	v_mov_b32_e32 v1, 0
	s_mov_b32 s44, 0x3fb8aa3b
	s_mov_b32 s45, 0xc2ce8ed0
	;; [unrolled: 1-line block ×3, first 2 shown]
	s_movk_i32 s47, 0x7fff
	s_mov_b32 s48, 0x5040100
	v_mov_b32_e32 v11, 0x7f800000
	v_mov_b32_e32 v12, 0x7fc0
	s_branch .LBB353_3
.LBB353_2:                              ;   in Loop: Header=BB353_3 Depth=1
	s_or_b64 exec, exec, s[34:35]
	s_add_i32 s6, s20, s6
	s_add_i32 s7, s7, 1
	v_add_u32_e32 v9, s43, v9
	s_cmp_ge_u32 s6, s12
	v_add_u32_e32 v10, s43, v10
	s_cbranch_scc1 .LBB353_33
.LBB353_3:                              ; =>This Loop Header: Depth=1
                                        ;     Child Loop BB353_7 Depth 2
                                        ;       Child Loop BB353_10 Depth 3
                                        ;       Child Loop BB353_14 Depth 3
	;; [unrolled: 1-line block ×6, first 2 shown]
	s_and_saveexec_b64 s[34:35], s[0:1]
	s_cbranch_execz .LBB353_2
; %bb.4:                                ;   in Loop: Header=BB353_3 Depth=1
	s_load_dword s8, s[24:25], 0xc
	s_mul_i32 s9, s21, s7
	v_add_u32_e32 v13, s9, v8
	s_mov_b32 s51, 0
	s_mov_b64 s[36:37], 0
	s_waitcnt lgkmcnt(0)
	s_and_b32 s49, s8, 0xffff
	s_cmp_lt_u32 s49, 2
	v_mul_u32_u24_e32 v0, s49, v3
	s_cselect_b64 s[8:9], -1, 0
	v_lshl_add_u32 v14, v0, 2, 0
	v_cndmask_b32_e64 v0, 0, 1, s[8:9]
	s_mul_i32 s50, s14, s49
	v_lshl_add_u32 v15, v7, 2, v14
	v_cmp_ne_u32_e64 s[8:9], 1, v0
	v_mov_b32_e32 v16, v10
	v_mov_b32_e32 v2, v9
	;; [unrolled: 1-line block ×3, first 2 shown]
	s_branch .LBB353_7
.LBB353_5:                              ;   in Loop: Header=BB353_7 Depth=2
	s_or_b64 exec, exec, s[10:11]
.LBB353_6:                              ;   in Loop: Header=BB353_7 Depth=2
	v_add_u32_e32 v17, s15, v17
	s_add_i32 s51, s51, 1
	v_cmp_le_u32_e32 vcc, s14, v17
	v_add_u32_e32 v2, s15, v2
	s_or_b64 s[36:37], vcc, s[36:37]
	v_add_u32_e32 v16, s15, v16
	s_andn2_b64 exec, exec, s[36:37]
	s_cbranch_execz .LBB353_2
.LBB353_7:                              ;   Parent Loop BB353_3 Depth=1
                                        ; =>  This Loop Header: Depth=2
                                        ;       Child Loop BB353_10 Depth 3
                                        ;       Child Loop BB353_14 Depth 3
	;; [unrolled: 1-line block ×6, first 2 shown]
	s_and_b64 vcc, exec, s[8:9]
	s_mov_b64 s[10:11], -1
	s_cbranch_vccnz .LBB353_21
; %bb.8:                                ;   in Loop: Header=BB353_7 Depth=2
	v_mov_b32_e32 v4, 0
	s_and_b64 vcc, exec, s[4:5]
	s_cbranch_vccnz .LBB353_11
; %bb.9:                                ;   in Loop: Header=BB353_7 Depth=2
	v_mov_b32_e32 v0, v2
	s_mov_b32 s10, s13
.LBB353_10:                             ;   Parent Loop BB353_3 Depth=1
                                        ;     Parent Loop BB353_7 Depth=2
                                        ; =>    This Inner Loop Header: Depth=3
	v_lshlrev_b64 v[18:19], 2, v[0:1]
	v_mov_b32_e32 v5, s23
	v_add_co_u32_e32 v18, vcc, s22, v18
	v_addc_co_u32_e32 v19, vcc, v5, v19, vcc
	global_load_dword v5, v[18:19], off
	s_add_i32 s10, s10, -1
	v_add_u32_e32 v0, s14, v0
	s_cmp_eq_u32 s10, 0
	s_waitcnt vmcnt(0)
	v_add_f32_e32 v4, v4, v5
	s_cbranch_scc0 .LBB353_10
.LBB353_11:                             ;   in Loop: Header=BB353_7 Depth=2
	s_and_b64 vcc, exec, s[4:5]
	s_cbranch_vccnz .LBB353_20
; %bb.12:                               ;   in Loop: Header=BB353_7 Depth=2
	s_mul_i32 s10, s15, s51
	v_add_u32_e32 v0, s10, v13
	v_cmp_lt_u32_e32 vcc, s33, v0
	s_or_b64 s[10:11], s[28:29], vcc
	s_or_b64 s[10:11], s[26:27], s[10:11]
	s_mov_b64 s[40:41], -1
	s_xor_b64 s[10:11], s[10:11], -1
	v_mov_b32_e32 v0, 0
	s_and_saveexec_b64 s[38:39], s[10:11]
	s_cbranch_execz .LBB353_16
; %bb.13:                               ;   in Loop: Header=BB353_7 Depth=2
	v_mov_b32_e32 v5, v4
	s_mov_b32 s40, 0
.LBB353_14:                             ;   Parent Loop BB353_3 Depth=1
                                        ;     Parent Loop BB353_7 Depth=2
                                        ; =>    This Inner Loop Header: Depth=3
	v_add_u32_e32 v0, s40, v2
	v_lshlrev_b64 v[18:19], 2, v[0:1]
	v_mov_b32_e32 v21, s19
	v_add_co_u32_e32 v20, vcc, s18, v18
	v_addc_co_u32_e32 v21, vcc, v21, v19, vcc
	global_load_dwordx2 v[20:21], v[20:21], off
	v_mov_b32_e32 v22, s23
	v_add_co_u32_e32 v18, vcc, s22, v18
	v_addc_co_u32_e32 v19, vcc, v22, v19, vcc
	global_load_dwordx2 v[18:19], v[18:19], off
	v_lshlrev_b64 v[22:23], 1, v[0:1]
	v_mov_b32_e32 v24, s17
	v_add_co_u32_e32 v22, vcc, s16, v22
	v_addc_co_u32_e32 v23, vcc, v24, v23, vcc
	s_add_i32 s40, s40, 2
	s_cmp_lg_u32 s42, s40
	s_waitcnt vmcnt(1)
	v_mul_f32_e32 v0, 0x3fb8aa3b, v21
	v_mul_f32_e32 v24, 0x3fb8aa3b, v20
	v_fma_f32 v25, v21, s44, -v0
	v_rndne_f32_e32 v26, v0
	v_fma_f32 v27, v20, s44, -v24
	v_rndne_f32_e32 v28, v24
	v_fmac_f32_e32 v25, 0x32a5705f, v21
	v_sub_f32_e32 v0, v0, v26
	v_fmac_f32_e32 v27, 0x32a5705f, v20
	v_sub_f32_e32 v24, v24, v28
	v_add_f32_e32 v0, v0, v25
	v_add_f32_e32 v24, v24, v27
	v_cvt_i32_f32_e32 v26, v26
	v_cvt_i32_f32_e32 v28, v28
	v_exp_f32_e32 v0, v0
	v_exp_f32_e32 v24, v24
	v_cmp_ngt_f32_e32 vcc, s45, v20
	v_cmp_ngt_f32_e64 s[10:11], s45, v21
	v_ldexp_f32 v0, v0, v26
	v_ldexp_f32 v24, v24, v28
	v_cndmask_b32_e64 v0, 0, v0, s[10:11]
	v_cndmask_b32_e32 v24, 0, v24, vcc
	v_cmp_nlt_f32_e32 vcc, s46, v20
	v_cmp_nlt_f32_e64 s[10:11], s46, v21
	v_cndmask_b32_e64 v21, v11, v0, s[10:11]
	v_cndmask_b32_e32 v20, v11, v24, vcc
	s_waitcnt vmcnt(0)
	v_pk_fma_f32 v[18:19], v[4:5], v[20:21], v[18:19] neg_lo:[1,0,0] neg_hi:[1,0,0]
	v_bfe_u32 v0, v18, 16, 1
	v_bfe_u32 v20, v19, 16, 1
	v_add3_u32 v20, v19, v20, s47
	v_add3_u32 v0, v18, v0, s47
	v_lshrrev_b32_e32 v0, 16, v0
	v_lshrrev_b32_e32 v20, 16, v20
	v_cmp_o_f32_e32 vcc, v19, v19
	v_cmp_o_f32_e64 s[10:11], v18, v18
	v_cndmask_b32_e64 v0, v12, v0, s[10:11]
	v_cndmask_b32_e32 v18, v12, v20, vcc
	v_perm_b32 v0, v18, v0, s48
	global_store_dword v[22:23], v0, off
	s_cbranch_scc1 .LBB353_14
; %bb.15:                               ;   in Loop: Header=BB353_7 Depth=2
	v_mov_b32_e32 v0, s42
	s_orn2_b64 s[40:41], s[30:31], exec
.LBB353_16:                             ;   in Loop: Header=BB353_7 Depth=2
	s_or_b64 exec, exec, s[38:39]
	s_and_saveexec_b64 s[10:11], s[40:41]
	s_cbranch_execz .LBB353_19
; %bb.17:                               ;   in Loop: Header=BB353_7 Depth=2
	v_mad_u64_u32 v[18:19], s[38:39], s14, v0, v[2:3]
	v_sub_u32_e32 v5, s13, v0
	s_mov_b64 s[38:39], 0
	v_mov_b32_e32 v0, v18
.LBB353_18:                             ;   Parent Loop BB353_3 Depth=1
                                        ;     Parent Loop BB353_7 Depth=2
                                        ; =>    This Inner Loop Header: Depth=3
	v_lshlrev_b64 v[18:19], 2, v[0:1]
	v_mov_b32_e32 v21, s19
	v_add_co_u32_e32 v20, vcc, s18, v18
	v_addc_co_u32_e32 v21, vcc, v21, v19, vcc
	global_load_dword v20, v[20:21], off
	v_mov_b32_e32 v21, s23
	v_add_co_u32_e32 v18, vcc, s22, v18
	v_addc_co_u32_e32 v19, vcc, v21, v19, vcc
	global_load_dword v21, v[18:19], off
	v_lshlrev_b64 v[18:19], 1, v[0:1]
	v_mov_b32_e32 v22, s17
	v_add_co_u32_e32 v18, vcc, s16, v18
	v_addc_co_u32_e32 v19, vcc, v22, v19, vcc
	v_add_u32_e32 v5, -1, v5
	v_cmp_eq_u32_e32 vcc, 0, v5
	s_or_b64 s[38:39], vcc, s[38:39]
	v_add_u32_e32 v0, s14, v0
	s_waitcnt vmcnt(1)
	v_mul_f32_e32 v22, 0x3fb8aa3b, v20
	v_fma_f32 v23, v20, s44, -v22
	v_rndne_f32_e32 v24, v22
	v_fmac_f32_e32 v23, 0x32a5705f, v20
	v_sub_f32_e32 v22, v22, v24
	v_add_f32_e32 v22, v22, v23
	v_cvt_i32_f32_e32 v24, v24
	v_exp_f32_e32 v22, v22
	v_cmp_ngt_f32_e32 vcc, s45, v20
	v_ldexp_f32 v22, v22, v24
	v_cndmask_b32_e32 v22, 0, v22, vcc
	v_cmp_nlt_f32_e32 vcc, s46, v20
	v_cndmask_b32_e32 v20, v11, v22, vcc
	s_waitcnt vmcnt(0)
	v_fma_f32 v20, -v4, v20, v21
	v_bfe_u32 v21, v20, 16, 1
	v_add3_u32 v21, v20, v21, s47
	v_lshrrev_b32_e32 v21, 16, v21
	v_cmp_o_f32_e32 vcc, v20, v20
	v_cndmask_b32_e32 v20, v12, v21, vcc
	global_store_short v[18:19], v20, off
	s_andn2_b64 exec, exec, s[38:39]
	s_cbranch_execnz .LBB353_18
.LBB353_19:                             ;   in Loop: Header=BB353_7 Depth=2
	s_or_b64 exec, exec, s[10:11]
.LBB353_20:                             ;   in Loop: Header=BB353_7 Depth=2
	s_mov_b64 s[10:11], 0
.LBB353_21:                             ;   in Loop: Header=BB353_7 Depth=2
	s_and_b64 vcc, exec, s[10:11]
	s_cbranch_vccz .LBB353_6
; %bb.22:                               ;   in Loop: Header=BB353_7 Depth=2
	v_mov_b32_e32 v4, 0
	s_and_saveexec_b64 s[10:11], s[2:3]
	s_cbranch_execz .LBB353_26
; %bb.23:                               ;   in Loop: Header=BB353_7 Depth=2
	s_mov_b64 s[38:39], 0
	v_mov_b32_e32 v4, 0
	v_mov_b32_e32 v0, v16
	;; [unrolled: 1-line block ×3, first 2 shown]
.LBB353_24:                             ;   Parent Loop BB353_3 Depth=1
                                        ;     Parent Loop BB353_7 Depth=2
                                        ; =>    This Inner Loop Header: Depth=3
	v_lshlrev_b64 v[18:19], 2, v[0:1]
	v_mov_b32_e32 v20, s23
	v_add_co_u32_e32 v18, vcc, s22, v18
	v_addc_co_u32_e32 v19, vcc, v20, v19, vcc
	global_load_dword v18, v[18:19], off
	v_add_u32_e32 v5, s49, v5
	v_cmp_le_u32_e32 vcc, s13, v5
	v_add_u32_e32 v0, s50, v0
	s_or_b64 s[38:39], vcc, s[38:39]
	s_waitcnt vmcnt(0)
	v_add_f32_e32 v4, v4, v18
	s_andn2_b64 exec, exec, s[38:39]
	s_cbranch_execnz .LBB353_24
; %bb.25:                               ;   in Loop: Header=BB353_7 Depth=2
	s_or_b64 exec, exec, s[38:39]
.LBB353_26:                             ;   in Loop: Header=BB353_7 Depth=2
	s_or_b64 exec, exec, s[10:11]
	s_mov_b32 s38, s49
	s_barrier
	ds_write_b32 v15, v4
	s_branch .LBB353_28
.LBB353_27:                             ;   in Loop: Header=BB353_28 Depth=3
	s_or_b64 exec, exec, s[10:11]
	s_cmp_gt_u32 s38, 3
	s_mov_b32 s38, s39
	s_cbranch_scc0 .LBB353_30
.LBB353_28:                             ;   Parent Loop BB353_3 Depth=1
                                        ;     Parent Loop BB353_7 Depth=2
                                        ; =>    This Inner Loop Header: Depth=3
	s_lshr_b32 s39, s38, 1
	v_cmp_gt_u32_e32 vcc, s39, v7
	s_waitcnt lgkmcnt(0)
	s_barrier
	s_and_saveexec_b64 s[10:11], vcc
	s_cbranch_execz .LBB353_27
; %bb.29:                               ;   in Loop: Header=BB353_28 Depth=3
	v_lshl_add_u32 v0, s39, 2, v15
	ds_read_b32 v4, v15
	ds_read_b32 v0, v0
	s_waitcnt lgkmcnt(0)
	v_add_f32_e32 v0, v4, v0
	ds_write_b32 v15, v0
	s_branch .LBB353_27
.LBB353_30:                             ;   in Loop: Header=BB353_7 Depth=2
	s_waitcnt lgkmcnt(0)
	s_barrier
	s_and_saveexec_b64 s[10:11], s[2:3]
	s_cbranch_execz .LBB353_5
; %bb.31:                               ;   in Loop: Header=BB353_7 Depth=2
	ds_read_b32 v4, v14
	s_mov_b64 s[38:39], 0
	v_mov_b32_e32 v0, v16
	v_mov_b32_e32 v5, v7
.LBB353_32:                             ;   Parent Loop BB353_3 Depth=1
                                        ;     Parent Loop BB353_7 Depth=2
                                        ; =>    This Inner Loop Header: Depth=3
	v_lshlrev_b64 v[18:19], 2, v[0:1]
	v_mov_b32_e32 v21, s19
	v_add_co_u32_e32 v20, vcc, s18, v18
	v_addc_co_u32_e32 v21, vcc, v21, v19, vcc
	global_load_dword v20, v[20:21], off
	v_mov_b32_e32 v21, s23
	v_add_co_u32_e32 v18, vcc, s22, v18
	v_addc_co_u32_e32 v19, vcc, v21, v19, vcc
	global_load_dword v21, v[18:19], off
	v_lshlrev_b64 v[18:19], 1, v[0:1]
	v_mov_b32_e32 v22, s17
	v_add_co_u32_e32 v18, vcc, s16, v18
	v_addc_co_u32_e32 v19, vcc, v22, v19, vcc
	v_add_u32_e32 v5, s49, v5
	v_cmp_le_u32_e32 vcc, s13, v5
	s_or_b64 s[38:39], vcc, s[38:39]
	v_add_u32_e32 v0, s50, v0
	s_waitcnt vmcnt(1)
	v_mul_f32_e32 v22, 0x3fb8aa3b, v20
	v_fma_f32 v23, v20, s44, -v22
	v_rndne_f32_e32 v24, v22
	v_fmac_f32_e32 v23, 0x32a5705f, v20
	v_sub_f32_e32 v22, v22, v24
	v_add_f32_e32 v22, v22, v23
	v_cvt_i32_f32_e32 v24, v24
	v_exp_f32_e32 v22, v22
	v_cmp_ngt_f32_e32 vcc, s45, v20
	v_ldexp_f32 v22, v22, v24
	v_cndmask_b32_e32 v22, 0, v22, vcc
	v_cmp_nlt_f32_e32 vcc, s46, v20
	v_cndmask_b32_e32 v20, v11, v22, vcc
	s_waitcnt vmcnt(0) lgkmcnt(0)
	v_fma_f32 v20, -v4, v20, v21
	v_bfe_u32 v21, v20, 16, 1
	v_add3_u32 v21, v20, v21, s47
	v_lshrrev_b32_e32 v21, 16, v21
	v_cmp_o_f32_e32 vcc, v20, v20
	v_cndmask_b32_e32 v20, v12, v21, vcc
	global_store_short v[18:19], v20, off
	s_andn2_b64 exec, exec, s[38:39]
	s_cbranch_execnz .LBB353_32
	s_branch .LBB353_5
.LBB353_33:
	s_endpgm
	.section	.rodata,"a",@progbits
	.p2align	6, 0x0
	.amdhsa_kernel _ZN2at6native12_GLOBAL__N_127cunn_SpatialSoftMaxBackwardIN3c108BFloat16EffNS1_26LogSoftMaxBackwardEpilogueEEEvPT_PKT1_SA_jjj
		.amdhsa_group_segment_fixed_size 0
		.amdhsa_private_segment_fixed_size 0
		.amdhsa_kernarg_size 296
		.amdhsa_user_sgpr_count 6
		.amdhsa_user_sgpr_private_segment_buffer 1
		.amdhsa_user_sgpr_dispatch_ptr 0
		.amdhsa_user_sgpr_queue_ptr 0
		.amdhsa_user_sgpr_kernarg_segment_ptr 1
		.amdhsa_user_sgpr_dispatch_id 0
		.amdhsa_user_sgpr_flat_scratch_init 0
		.amdhsa_user_sgpr_kernarg_preload_length 0
		.amdhsa_user_sgpr_kernarg_preload_offset 0
		.amdhsa_user_sgpr_private_segment_size 0
		.amdhsa_uses_dynamic_stack 0
		.amdhsa_system_sgpr_private_segment_wavefront_offset 0
		.amdhsa_system_sgpr_workgroup_id_x 1
		.amdhsa_system_sgpr_workgroup_id_y 1
		.amdhsa_system_sgpr_workgroup_id_z 0
		.amdhsa_system_sgpr_workgroup_info 0
		.amdhsa_system_vgpr_workitem_id 1
		.amdhsa_next_free_vgpr 29
		.amdhsa_next_free_sgpr 52
		.amdhsa_accum_offset 32
		.amdhsa_reserve_vcc 1
		.amdhsa_reserve_flat_scratch 0
		.amdhsa_float_round_mode_32 0
		.amdhsa_float_round_mode_16_64 0
		.amdhsa_float_denorm_mode_32 3
		.amdhsa_float_denorm_mode_16_64 3
		.amdhsa_dx10_clamp 1
		.amdhsa_ieee_mode 1
		.amdhsa_fp16_overflow 0
		.amdhsa_tg_split 0
		.amdhsa_exception_fp_ieee_invalid_op 0
		.amdhsa_exception_fp_denorm_src 0
		.amdhsa_exception_fp_ieee_div_zero 0
		.amdhsa_exception_fp_ieee_overflow 0
		.amdhsa_exception_fp_ieee_underflow 0
		.amdhsa_exception_fp_ieee_inexact 0
		.amdhsa_exception_int_div_zero 0
	.end_amdhsa_kernel
	.section	.text._ZN2at6native12_GLOBAL__N_127cunn_SpatialSoftMaxBackwardIN3c108BFloat16EffNS1_26LogSoftMaxBackwardEpilogueEEEvPT_PKT1_SA_jjj,"axG",@progbits,_ZN2at6native12_GLOBAL__N_127cunn_SpatialSoftMaxBackwardIN3c108BFloat16EffNS1_26LogSoftMaxBackwardEpilogueEEEvPT_PKT1_SA_jjj,comdat
.Lfunc_end353:
	.size	_ZN2at6native12_GLOBAL__N_127cunn_SpatialSoftMaxBackwardIN3c108BFloat16EffNS1_26LogSoftMaxBackwardEpilogueEEEvPT_PKT1_SA_jjj, .Lfunc_end353-_ZN2at6native12_GLOBAL__N_127cunn_SpatialSoftMaxBackwardIN3c108BFloat16EffNS1_26LogSoftMaxBackwardEpilogueEEEvPT_PKT1_SA_jjj
                                        ; -- End function
	.section	.AMDGPU.csdata,"",@progbits
; Kernel info:
; codeLenInByte = 1648
; NumSgprs: 56
; NumVgprs: 29
; NumAgprs: 0
; TotalNumVgprs: 29
; ScratchSize: 0
; MemoryBound: 0
; FloatMode: 240
; IeeeMode: 1
; LDSByteSize: 0 bytes/workgroup (compile time only)
; SGPRBlocks: 6
; VGPRBlocks: 3
; NumSGPRsForWavesPerEU: 56
; NumVGPRsForWavesPerEU: 29
; AccumOffset: 32
; Occupancy: 8
; WaveLimiterHint : 0
; COMPUTE_PGM_RSRC2:SCRATCH_EN: 0
; COMPUTE_PGM_RSRC2:USER_SGPR: 6
; COMPUTE_PGM_RSRC2:TRAP_HANDLER: 0
; COMPUTE_PGM_RSRC2:TGID_X_EN: 1
; COMPUTE_PGM_RSRC2:TGID_Y_EN: 1
; COMPUTE_PGM_RSRC2:TGID_Z_EN: 0
; COMPUTE_PGM_RSRC2:TIDIG_COMP_CNT: 1
; COMPUTE_PGM_RSRC3_GFX90A:ACCUM_OFFSET: 7
; COMPUTE_PGM_RSRC3_GFX90A:TG_SPLIT: 0
	.section	.text._ZN12_GLOBAL__N_120softmax_warp_forwardIdddLi0ELb0ELb0ELi64EEEvPT0_PKT_iiiPKbib,"axG",@progbits,_ZN12_GLOBAL__N_120softmax_warp_forwardIdddLi0ELb0ELb0ELi64EEEvPT0_PKT_iiiPKbib,comdat
	.globl	_ZN12_GLOBAL__N_120softmax_warp_forwardIdddLi0ELb0ELb0ELi64EEEvPT0_PKT_iiiPKbib ; -- Begin function _ZN12_GLOBAL__N_120softmax_warp_forwardIdddLi0ELb0ELb0ELi64EEEvPT0_PKT_iiiPKbib
	.p2align	8
	.type	_ZN12_GLOBAL__N_120softmax_warp_forwardIdddLi0ELb0ELb0ELi64EEEvPT0_PKT_iiiPKbib,@function
_ZN12_GLOBAL__N_120softmax_warp_forwardIdddLi0ELb0ELb0ELi64EEEvPT0_PKT_iiiPKbib: ; @_ZN12_GLOBAL__N_120softmax_warp_forwardIdddLi0ELb0ELb0ELi64EEEvPT0_PKT_iiiPKbib
; %bb.0:
	s_load_dword s0, s[4:5], 0x3c
	s_load_dwordx8 s[8:15], s[4:5], 0x0
	v_bfe_u32 v1, v0, 10, 10
	v_and_b32_e32 v2, 0x3ff, v0
	s_waitcnt lgkmcnt(0)
	s_lshr_b32 s0, s0, 16
	s_mul_i32 s6, s6, s0
	v_add_lshl_u32 v1, s6, v1, 1
	v_sub_u32_e32 v8, s12, v1
	v_mad_u64_u32 v[0:1], s[0:1], v1, s13, v[2:3]
	v_ashrrev_i32_e32 v1, 31, v0
	v_lshlrev_b64 v[0:1], 3, v[0:1]
	v_mov_b32_e32 v3, s11
	v_add_co_u32_e32 v6, vcc, s10, v0
	v_addc_co_u32_e32 v7, vcc, v3, v1, vcc
	v_cmp_gt_i32_e64 s[0:1], s14, v2
	v_mov_b32_e32 v2, 0
	v_cmp_lt_i32_e32 vcc, 0, v8
	v_mov_b32_e32 v3, 0xfff00000
	s_and_b64 s[4:5], s[0:1], vcc
	v_pk_mov_b32 v[4:5], v[2:3], v[2:3] op_sel:[0,1]
	s_and_saveexec_b64 s[2:3], s[4:5]
	s_cbranch_execz .LBB354_2
; %bb.1:
	global_load_dwordx2 v[4:5], v[6:7], off
.LBB354_2:
	s_or_b64 exec, exec, s[2:3]
	v_cmp_lt_i32_e64 s[2:3], 1, v8
	s_and_b64 s[2:3], s[0:1], s[2:3]
	s_and_saveexec_b64 s[4:5], s[2:3]
	s_cbranch_execz .LBB354_4
; %bb.3:
	s_mov_b32 s15, 0
	s_lshl_b64 s[2:3], s[14:15], 3
	v_mov_b32_e32 v3, s3
	v_add_co_u32_e64 v2, s[2:3], s2, v6
	v_addc_co_u32_e64 v3, s[2:3], v7, v3, s[2:3]
	global_load_dwordx2 v[2:3], v[2:3], off
.LBB354_4:
	s_or_b64 exec, exec, s[4:5]
	s_and_saveexec_b64 s[2:3], vcc
	s_cbranch_execz .LBB354_10
; %bb.5:
	v_mov_b32_e32 v6, s9
	v_add_co_u32_e32 v0, vcc, s8, v0
	v_addc_co_u32_e32 v1, vcc, v6, v1, vcc
	s_and_saveexec_b64 s[4:5], s[0:1]
	s_cbranch_execz .LBB354_7
; %bb.6:
	s_mov_b32 s2, 0x652b82fe
	s_waitcnt vmcnt(0)
	v_add_f64 v[4:5], v[4:5], -v[4:5]
	s_mov_b32 s3, 0x3ff71547
	v_mul_f64 v[6:7], v[4:5], s[2:3]
	s_mov_b32 s2, 0xfefa39ef
	v_rndne_f64_e32 v[6:7], v[6:7]
	s_mov_b32 s3, 0xbfe62e42
	v_fma_f64 v[10:11], s[2:3], v[6:7], v[4:5]
	s_mov_b32 s2, 0x3b39803f
	s_mov_b32 s3, 0xbc7abc9e
	v_fmac_f64_e32 v[10:11], s[2:3], v[6:7]
	s_mov_b32 s2, 0x6a5dcb37
	v_mov_b32_e32 v12, 0xfca7ab0c
	v_mov_b32_e32 v13, 0x3e928af3
	s_mov_b32 s3, 0x3e5ade15
	v_fmac_f64_e32 v[12:13], s[2:3], v[10:11]
	v_mov_b32_e32 v14, 0x623fde64
	v_mov_b32_e32 v15, 0x3ec71dee
	v_fmac_f64_e32 v[14:15], v[10:11], v[12:13]
	v_mov_b32_e32 v12, 0x7c89e6b0
	v_mov_b32_e32 v13, 0x3efa0199
	;; [unrolled: 3-line block ×8, first 2 shown]
	s_mov_b32 s2, 0
	v_fmac_f64_e32 v[12:13], v[10:11], v[14:15]
	s_mov_b32 s3, 0x40900000
	v_fma_f64 v[12:13], v[10:11], v[12:13], 1.0
	v_cmp_nlt_f64_e32 vcc, s[2:3], v[4:5]
	s_mov_b32 s2, 0
	v_fma_f64 v[10:11], v[10:11], v[12:13], 1.0
	v_cvt_i32_f64_e32 v6, v[6:7]
	s_mov_b32 s3, 0xc090cc00
	v_ldexp_f64 v[6:7], v[10:11], v6
	v_mov_b32_e32 v9, 0x7ff00000
	v_cmp_ngt_f64_e64 s[2:3], s[2:3], v[4:5]
	v_cndmask_b32_e32 v7, v9, v7, vcc
	s_and_b64 vcc, s[2:3], vcc
	v_cndmask_b32_e64 v5, 0, v7, s[2:3]
	v_cndmask_b32_e32 v4, 0, v6, vcc
	v_add_f64 v[6:7], v[4:5], 0
	v_div_scale_f64 v[10:11], s[2:3], v[6:7], v[6:7], v[4:5]
	v_rcp_f64_e32 v[12:13], v[10:11]
	v_mov_b32_e32 v9, 0x7ff80000
	v_fma_f64 v[14:15], -v[10:11], v[12:13], 1.0
	v_fmac_f64_e32 v[12:13], v[12:13], v[14:15]
	v_fma_f64 v[14:15], -v[10:11], v[12:13], 1.0
	v_fmac_f64_e32 v[12:13], v[12:13], v[14:15]
	v_div_scale_f64 v[14:15], vcc, v[4:5], v[6:7], v[4:5]
	v_mul_f64 v[16:17], v[14:15], v[12:13]
	v_fma_f64 v[10:11], -v[10:11], v[16:17], v[14:15]
	s_nop 1
	v_div_fmas_f64 v[10:11], v[10:11], v[12:13], v[16:17]
	v_div_fixup_f64 v[6:7], v[10:11], v[6:7], v[4:5]
	v_cmp_neq_f64_e32 vcc, 0, v[4:5]
	v_cndmask_b32_e32 v5, v9, v7, vcc
	v_cndmask_b32_e32 v4, 0, v6, vcc
	global_store_dwordx2 v[0:1], v[4:5], off
.LBB354_7:
	s_or_b64 exec, exec, s[4:5]
	v_cmp_ne_u32_e32 vcc, 1, v8
	s_and_b64 exec, exec, vcc
	s_cbranch_execz .LBB354_10
; %bb.8:
	s_and_b64 exec, exec, s[0:1]
	s_cbranch_execz .LBB354_10
; %bb.9:
	s_mov_b32 s0, 0x652b82fe
	s_waitcnt vmcnt(0)
	v_add_f64 v[2:3], v[2:3], -v[2:3]
	s_mov_b32 s1, 0x3ff71547
	v_mul_f64 v[4:5], v[2:3], s[0:1]
	s_mov_b32 s0, 0xfefa39ef
	v_rndne_f64_e32 v[4:5], v[4:5]
	s_mov_b32 s1, 0xbfe62e42
	v_fma_f64 v[6:7], s[0:1], v[4:5], v[2:3]
	s_mov_b32 s0, 0x3b39803f
	s_mov_b32 s1, 0xbc7abc9e
	v_fmac_f64_e32 v[6:7], s[0:1], v[4:5]
	s_mov_b32 s0, 0x6a5dcb37
	v_mov_b32_e32 v8, 0xfca7ab0c
	v_mov_b32_e32 v9, 0x3e928af3
	s_mov_b32 s1, 0x3e5ade15
	v_fmac_f64_e32 v[8:9], s[0:1], v[6:7]
	v_mov_b32_e32 v10, 0x623fde64
	v_mov_b32_e32 v11, 0x3ec71dee
	v_fmac_f64_e32 v[10:11], v[6:7], v[8:9]
	v_mov_b32_e32 v8, 0x7c89e6b0
	v_mov_b32_e32 v9, 0x3efa0199
	;; [unrolled: 3-line block ×8, first 2 shown]
	s_mov_b32 s0, 0
	v_fmac_f64_e32 v[8:9], v[6:7], v[10:11]
	s_mov_b32 s1, 0x40900000
	v_fma_f64 v[8:9], v[6:7], v[8:9], 1.0
	v_cmp_nlt_f64_e32 vcc, s[0:1], v[2:3]
	s_mov_b32 s0, 0
	v_fma_f64 v[6:7], v[6:7], v[8:9], 1.0
	v_cvt_i32_f64_e32 v4, v[4:5]
	s_mov_b32 s1, 0xc090cc00
	v_ldexp_f64 v[4:5], v[6:7], v4
	v_mov_b32_e32 v6, 0x7ff00000
	v_cmp_ngt_f64_e64 s[0:1], s[0:1], v[2:3]
	v_cndmask_b32_e32 v5, v6, v5, vcc
	s_and_b64 vcc, s[0:1], vcc
	v_cndmask_b32_e64 v3, 0, v5, s[0:1]
	v_cndmask_b32_e32 v2, 0, v4, vcc
	v_add_f64 v[4:5], v[2:3], 0
	v_div_scale_f64 v[6:7], s[0:1], v[4:5], v[4:5], v[2:3]
	v_rcp_f64_e32 v[8:9], v[6:7]
	s_mov_b32 s15, 0
	s_lshl_b64 s[0:1], s[14:15], 3
	v_fma_f64 v[10:11], -v[6:7], v[8:9], 1.0
	v_fmac_f64_e32 v[8:9], v[8:9], v[10:11]
	v_fma_f64 v[10:11], -v[6:7], v[8:9], 1.0
	v_fmac_f64_e32 v[8:9], v[8:9], v[10:11]
	v_div_scale_f64 v[10:11], vcc, v[2:3], v[4:5], v[2:3]
	v_mul_f64 v[12:13], v[10:11], v[8:9]
	v_fma_f64 v[6:7], -v[6:7], v[12:13], v[10:11]
	s_nop 1
	v_div_fmas_f64 v[6:7], v[6:7], v[8:9], v[12:13]
	v_div_fixup_f64 v[4:5], v[6:7], v[4:5], v[2:3]
	v_mov_b32_e32 v6, s1
	v_add_co_u32_e32 v0, vcc, s0, v0
	v_addc_co_u32_e32 v1, vcc, v1, v6, vcc
	v_mov_b32_e32 v6, 0x7ff80000
	v_cmp_neq_f64_e32 vcc, 0, v[2:3]
	v_cndmask_b32_e32 v3, v6, v5, vcc
	v_cndmask_b32_e32 v2, 0, v4, vcc
	global_store_dwordx2 v[0:1], v[2:3], off
.LBB354_10:
	s_endpgm
	.section	.rodata,"a",@progbits
	.p2align	6, 0x0
	.amdhsa_kernel _ZN12_GLOBAL__N_120softmax_warp_forwardIdddLi0ELb0ELb0ELi64EEEvPT0_PKT_iiiPKbib
		.amdhsa_group_segment_fixed_size 0
		.amdhsa_private_segment_fixed_size 0
		.amdhsa_kernarg_size 304
		.amdhsa_user_sgpr_count 6
		.amdhsa_user_sgpr_private_segment_buffer 1
		.amdhsa_user_sgpr_dispatch_ptr 0
		.amdhsa_user_sgpr_queue_ptr 0
		.amdhsa_user_sgpr_kernarg_segment_ptr 1
		.amdhsa_user_sgpr_dispatch_id 0
		.amdhsa_user_sgpr_flat_scratch_init 0
		.amdhsa_user_sgpr_kernarg_preload_length 0
		.amdhsa_user_sgpr_kernarg_preload_offset 0
		.amdhsa_user_sgpr_private_segment_size 0
		.amdhsa_uses_dynamic_stack 0
		.amdhsa_system_sgpr_private_segment_wavefront_offset 0
		.amdhsa_system_sgpr_workgroup_id_x 1
		.amdhsa_system_sgpr_workgroup_id_y 0
		.amdhsa_system_sgpr_workgroup_id_z 0
		.amdhsa_system_sgpr_workgroup_info 0
		.amdhsa_system_vgpr_workitem_id 1
		.amdhsa_next_free_vgpr 18
		.amdhsa_next_free_sgpr 16
		.amdhsa_accum_offset 20
		.amdhsa_reserve_vcc 1
		.amdhsa_reserve_flat_scratch 0
		.amdhsa_float_round_mode_32 0
		.amdhsa_float_round_mode_16_64 0
		.amdhsa_float_denorm_mode_32 3
		.amdhsa_float_denorm_mode_16_64 3
		.amdhsa_dx10_clamp 1
		.amdhsa_ieee_mode 1
		.amdhsa_fp16_overflow 0
		.amdhsa_tg_split 0
		.amdhsa_exception_fp_ieee_invalid_op 0
		.amdhsa_exception_fp_denorm_src 0
		.amdhsa_exception_fp_ieee_div_zero 0
		.amdhsa_exception_fp_ieee_overflow 0
		.amdhsa_exception_fp_ieee_underflow 0
		.amdhsa_exception_fp_ieee_inexact 0
		.amdhsa_exception_int_div_zero 0
	.end_amdhsa_kernel
	.section	.text._ZN12_GLOBAL__N_120softmax_warp_forwardIdddLi0ELb0ELb0ELi64EEEvPT0_PKT_iiiPKbib,"axG",@progbits,_ZN12_GLOBAL__N_120softmax_warp_forwardIdddLi0ELb0ELb0ELi64EEEvPT0_PKT_iiiPKbib,comdat
.Lfunc_end354:
	.size	_ZN12_GLOBAL__N_120softmax_warp_forwardIdddLi0ELb0ELb0ELi64EEEvPT0_PKT_iiiPKbib, .Lfunc_end354-_ZN12_GLOBAL__N_120softmax_warp_forwardIdddLi0ELb0ELb0ELi64EEEvPT0_PKT_iiiPKbib
                                        ; -- End function
	.section	.AMDGPU.csdata,"",@progbits
; Kernel info:
; codeLenInByte = 1248
; NumSgprs: 20
; NumVgprs: 18
; NumAgprs: 0
; TotalNumVgprs: 18
; ScratchSize: 0
; MemoryBound: 0
; FloatMode: 240
; IeeeMode: 1
; LDSByteSize: 0 bytes/workgroup (compile time only)
; SGPRBlocks: 2
; VGPRBlocks: 2
; NumSGPRsForWavesPerEU: 20
; NumVGPRsForWavesPerEU: 18
; AccumOffset: 20
; Occupancy: 8
; WaveLimiterHint : 0
; COMPUTE_PGM_RSRC2:SCRATCH_EN: 0
; COMPUTE_PGM_RSRC2:USER_SGPR: 6
; COMPUTE_PGM_RSRC2:TRAP_HANDLER: 0
; COMPUTE_PGM_RSRC2:TGID_X_EN: 1
; COMPUTE_PGM_RSRC2:TGID_Y_EN: 0
; COMPUTE_PGM_RSRC2:TGID_Z_EN: 0
; COMPUTE_PGM_RSRC2:TIDIG_COMP_CNT: 1
; COMPUTE_PGM_RSRC3_GFX90A:ACCUM_OFFSET: 4
; COMPUTE_PGM_RSRC3_GFX90A:TG_SPLIT: 0
	.section	.text._ZN12_GLOBAL__N_120softmax_warp_forwardIdddLi0ELb0ELb0ELi32EEEvPT0_PKT_iiiPKbib,"axG",@progbits,_ZN12_GLOBAL__N_120softmax_warp_forwardIdddLi0ELb0ELb0ELi32EEEvPT0_PKT_iiiPKbib,comdat
	.globl	_ZN12_GLOBAL__N_120softmax_warp_forwardIdddLi0ELb0ELb0ELi32EEEvPT0_PKT_iiiPKbib ; -- Begin function _ZN12_GLOBAL__N_120softmax_warp_forwardIdddLi0ELb0ELb0ELi32EEEvPT0_PKT_iiiPKbib
	.p2align	8
	.type	_ZN12_GLOBAL__N_120softmax_warp_forwardIdddLi0ELb0ELb0ELi32EEEvPT0_PKT_iiiPKbib,@function
_ZN12_GLOBAL__N_120softmax_warp_forwardIdddLi0ELb0ELb0ELi32EEEvPT0_PKT_iiiPKbib: ; @_ZN12_GLOBAL__N_120softmax_warp_forwardIdddLi0ELb0ELb0ELi32EEEvPT0_PKT_iiiPKbib
; %bb.0:
	s_load_dword s0, s[4:5], 0x3c
	s_load_dwordx8 s[8:15], s[4:5], 0x0
	v_bfe_u32 v1, v0, 10, 10
	v_and_b32_e32 v2, 0x3ff, v0
	s_waitcnt lgkmcnt(0)
	s_lshr_b32 s0, s0, 16
	s_mul_i32 s6, s6, s0
	v_add_lshl_u32 v1, s6, v1, 1
	v_sub_u32_e32 v8, s12, v1
	v_mad_u64_u32 v[0:1], s[0:1], v1, s13, v[2:3]
	v_ashrrev_i32_e32 v1, 31, v0
	v_lshlrev_b64 v[0:1], 3, v[0:1]
	v_mov_b32_e32 v3, s11
	v_add_co_u32_e32 v6, vcc, s10, v0
	v_addc_co_u32_e32 v7, vcc, v3, v1, vcc
	v_cmp_gt_i32_e64 s[0:1], s14, v2
	v_mov_b32_e32 v2, 0
	v_cmp_lt_i32_e32 vcc, 0, v8
	v_mov_b32_e32 v3, 0xfff00000
	s_and_b64 s[4:5], s[0:1], vcc
	v_pk_mov_b32 v[4:5], v[2:3], v[2:3] op_sel:[0,1]
	s_and_saveexec_b64 s[2:3], s[4:5]
	s_cbranch_execz .LBB355_2
; %bb.1:
	global_load_dwordx2 v[4:5], v[6:7], off
.LBB355_2:
	s_or_b64 exec, exec, s[2:3]
	v_cmp_lt_i32_e64 s[2:3], 1, v8
	s_and_b64 s[2:3], s[0:1], s[2:3]
	s_and_saveexec_b64 s[4:5], s[2:3]
	s_cbranch_execz .LBB355_4
; %bb.3:
	s_mov_b32 s15, 0
	s_lshl_b64 s[2:3], s[14:15], 3
	v_mov_b32_e32 v3, s3
	v_add_co_u32_e64 v2, s[2:3], s2, v6
	v_addc_co_u32_e64 v3, s[2:3], v7, v3, s[2:3]
	global_load_dwordx2 v[2:3], v[2:3], off
.LBB355_4:
	s_or_b64 exec, exec, s[4:5]
	s_and_saveexec_b64 s[2:3], vcc
	s_cbranch_execz .LBB355_10
; %bb.5:
	v_mov_b32_e32 v6, s9
	v_add_co_u32_e32 v0, vcc, s8, v0
	v_addc_co_u32_e32 v1, vcc, v6, v1, vcc
	s_and_saveexec_b64 s[4:5], s[0:1]
	s_cbranch_execz .LBB355_7
; %bb.6:
	s_mov_b32 s2, 0x652b82fe
	s_waitcnt vmcnt(0)
	v_add_f64 v[4:5], v[4:5], -v[4:5]
	s_mov_b32 s3, 0x3ff71547
	v_mul_f64 v[6:7], v[4:5], s[2:3]
	s_mov_b32 s2, 0xfefa39ef
	v_rndne_f64_e32 v[6:7], v[6:7]
	s_mov_b32 s3, 0xbfe62e42
	v_fma_f64 v[10:11], s[2:3], v[6:7], v[4:5]
	s_mov_b32 s2, 0x3b39803f
	s_mov_b32 s3, 0xbc7abc9e
	v_fmac_f64_e32 v[10:11], s[2:3], v[6:7]
	s_mov_b32 s2, 0x6a5dcb37
	v_mov_b32_e32 v12, 0xfca7ab0c
	v_mov_b32_e32 v13, 0x3e928af3
	s_mov_b32 s3, 0x3e5ade15
	v_fmac_f64_e32 v[12:13], s[2:3], v[10:11]
	v_mov_b32_e32 v14, 0x623fde64
	v_mov_b32_e32 v15, 0x3ec71dee
	v_fmac_f64_e32 v[14:15], v[10:11], v[12:13]
	v_mov_b32_e32 v12, 0x7c89e6b0
	v_mov_b32_e32 v13, 0x3efa0199
	;; [unrolled: 3-line block ×8, first 2 shown]
	s_mov_b32 s2, 0
	v_fmac_f64_e32 v[12:13], v[10:11], v[14:15]
	s_mov_b32 s3, 0x40900000
	v_fma_f64 v[12:13], v[10:11], v[12:13], 1.0
	v_cmp_nlt_f64_e32 vcc, s[2:3], v[4:5]
	s_mov_b32 s2, 0
	v_fma_f64 v[10:11], v[10:11], v[12:13], 1.0
	v_cvt_i32_f64_e32 v6, v[6:7]
	s_mov_b32 s3, 0xc090cc00
	v_ldexp_f64 v[6:7], v[10:11], v6
	v_mov_b32_e32 v9, 0x7ff00000
	v_cmp_ngt_f64_e64 s[2:3], s[2:3], v[4:5]
	v_cndmask_b32_e32 v7, v9, v7, vcc
	s_and_b64 vcc, s[2:3], vcc
	v_cndmask_b32_e64 v5, 0, v7, s[2:3]
	v_cndmask_b32_e32 v4, 0, v6, vcc
	v_add_f64 v[6:7], v[4:5], 0
	v_div_scale_f64 v[10:11], s[2:3], v[6:7], v[6:7], v[4:5]
	v_rcp_f64_e32 v[12:13], v[10:11]
	v_mov_b32_e32 v9, 0x7ff80000
	v_fma_f64 v[14:15], -v[10:11], v[12:13], 1.0
	v_fmac_f64_e32 v[12:13], v[12:13], v[14:15]
	v_fma_f64 v[14:15], -v[10:11], v[12:13], 1.0
	v_fmac_f64_e32 v[12:13], v[12:13], v[14:15]
	v_div_scale_f64 v[14:15], vcc, v[4:5], v[6:7], v[4:5]
	v_mul_f64 v[16:17], v[14:15], v[12:13]
	v_fma_f64 v[10:11], -v[10:11], v[16:17], v[14:15]
	s_nop 1
	v_div_fmas_f64 v[10:11], v[10:11], v[12:13], v[16:17]
	v_div_fixup_f64 v[6:7], v[10:11], v[6:7], v[4:5]
	v_cmp_neq_f64_e32 vcc, 0, v[4:5]
	v_cndmask_b32_e32 v5, v9, v7, vcc
	v_cndmask_b32_e32 v4, 0, v6, vcc
	global_store_dwordx2 v[0:1], v[4:5], off
.LBB355_7:
	s_or_b64 exec, exec, s[4:5]
	v_cmp_ne_u32_e32 vcc, 1, v8
	s_and_b64 exec, exec, vcc
	s_cbranch_execz .LBB355_10
; %bb.8:
	s_and_b64 exec, exec, s[0:1]
	s_cbranch_execz .LBB355_10
; %bb.9:
	s_mov_b32 s0, 0x652b82fe
	s_waitcnt vmcnt(0)
	v_add_f64 v[2:3], v[2:3], -v[2:3]
	s_mov_b32 s1, 0x3ff71547
	v_mul_f64 v[4:5], v[2:3], s[0:1]
	s_mov_b32 s0, 0xfefa39ef
	v_rndne_f64_e32 v[4:5], v[4:5]
	s_mov_b32 s1, 0xbfe62e42
	v_fma_f64 v[6:7], s[0:1], v[4:5], v[2:3]
	s_mov_b32 s0, 0x3b39803f
	s_mov_b32 s1, 0xbc7abc9e
	v_fmac_f64_e32 v[6:7], s[0:1], v[4:5]
	s_mov_b32 s0, 0x6a5dcb37
	v_mov_b32_e32 v8, 0xfca7ab0c
	v_mov_b32_e32 v9, 0x3e928af3
	s_mov_b32 s1, 0x3e5ade15
	v_fmac_f64_e32 v[8:9], s[0:1], v[6:7]
	v_mov_b32_e32 v10, 0x623fde64
	v_mov_b32_e32 v11, 0x3ec71dee
	v_fmac_f64_e32 v[10:11], v[6:7], v[8:9]
	v_mov_b32_e32 v8, 0x7c89e6b0
	v_mov_b32_e32 v9, 0x3efa0199
	;; [unrolled: 3-line block ×8, first 2 shown]
	s_mov_b32 s0, 0
	v_fmac_f64_e32 v[8:9], v[6:7], v[10:11]
	s_mov_b32 s1, 0x40900000
	v_fma_f64 v[8:9], v[6:7], v[8:9], 1.0
	v_cmp_nlt_f64_e32 vcc, s[0:1], v[2:3]
	s_mov_b32 s0, 0
	v_fma_f64 v[6:7], v[6:7], v[8:9], 1.0
	v_cvt_i32_f64_e32 v4, v[4:5]
	s_mov_b32 s1, 0xc090cc00
	v_ldexp_f64 v[4:5], v[6:7], v4
	v_mov_b32_e32 v6, 0x7ff00000
	v_cmp_ngt_f64_e64 s[0:1], s[0:1], v[2:3]
	v_cndmask_b32_e32 v5, v6, v5, vcc
	s_and_b64 vcc, s[0:1], vcc
	v_cndmask_b32_e64 v3, 0, v5, s[0:1]
	v_cndmask_b32_e32 v2, 0, v4, vcc
	v_add_f64 v[4:5], v[2:3], 0
	v_div_scale_f64 v[6:7], s[0:1], v[4:5], v[4:5], v[2:3]
	v_rcp_f64_e32 v[8:9], v[6:7]
	s_mov_b32 s15, 0
	s_lshl_b64 s[0:1], s[14:15], 3
	v_fma_f64 v[10:11], -v[6:7], v[8:9], 1.0
	v_fmac_f64_e32 v[8:9], v[8:9], v[10:11]
	v_fma_f64 v[10:11], -v[6:7], v[8:9], 1.0
	v_fmac_f64_e32 v[8:9], v[8:9], v[10:11]
	v_div_scale_f64 v[10:11], vcc, v[2:3], v[4:5], v[2:3]
	v_mul_f64 v[12:13], v[10:11], v[8:9]
	v_fma_f64 v[6:7], -v[6:7], v[12:13], v[10:11]
	s_nop 1
	v_div_fmas_f64 v[6:7], v[6:7], v[8:9], v[12:13]
	v_div_fixup_f64 v[4:5], v[6:7], v[4:5], v[2:3]
	v_mov_b32_e32 v6, s1
	v_add_co_u32_e32 v0, vcc, s0, v0
	v_addc_co_u32_e32 v1, vcc, v1, v6, vcc
	v_mov_b32_e32 v6, 0x7ff80000
	v_cmp_neq_f64_e32 vcc, 0, v[2:3]
	v_cndmask_b32_e32 v3, v6, v5, vcc
	v_cndmask_b32_e32 v2, 0, v4, vcc
	global_store_dwordx2 v[0:1], v[2:3], off
.LBB355_10:
	s_endpgm
	.section	.rodata,"a",@progbits
	.p2align	6, 0x0
	.amdhsa_kernel _ZN12_GLOBAL__N_120softmax_warp_forwardIdddLi0ELb0ELb0ELi32EEEvPT0_PKT_iiiPKbib
		.amdhsa_group_segment_fixed_size 0
		.amdhsa_private_segment_fixed_size 0
		.amdhsa_kernarg_size 304
		.amdhsa_user_sgpr_count 6
		.amdhsa_user_sgpr_private_segment_buffer 1
		.amdhsa_user_sgpr_dispatch_ptr 0
		.amdhsa_user_sgpr_queue_ptr 0
		.amdhsa_user_sgpr_kernarg_segment_ptr 1
		.amdhsa_user_sgpr_dispatch_id 0
		.amdhsa_user_sgpr_flat_scratch_init 0
		.amdhsa_user_sgpr_kernarg_preload_length 0
		.amdhsa_user_sgpr_kernarg_preload_offset 0
		.amdhsa_user_sgpr_private_segment_size 0
		.amdhsa_uses_dynamic_stack 0
		.amdhsa_system_sgpr_private_segment_wavefront_offset 0
		.amdhsa_system_sgpr_workgroup_id_x 1
		.amdhsa_system_sgpr_workgroup_id_y 0
		.amdhsa_system_sgpr_workgroup_id_z 0
		.amdhsa_system_sgpr_workgroup_info 0
		.amdhsa_system_vgpr_workitem_id 1
		.amdhsa_next_free_vgpr 18
		.amdhsa_next_free_sgpr 16
		.amdhsa_accum_offset 20
		.amdhsa_reserve_vcc 1
		.amdhsa_reserve_flat_scratch 0
		.amdhsa_float_round_mode_32 0
		.amdhsa_float_round_mode_16_64 0
		.amdhsa_float_denorm_mode_32 3
		.amdhsa_float_denorm_mode_16_64 3
		.amdhsa_dx10_clamp 1
		.amdhsa_ieee_mode 1
		.amdhsa_fp16_overflow 0
		.amdhsa_tg_split 0
		.amdhsa_exception_fp_ieee_invalid_op 0
		.amdhsa_exception_fp_denorm_src 0
		.amdhsa_exception_fp_ieee_div_zero 0
		.amdhsa_exception_fp_ieee_overflow 0
		.amdhsa_exception_fp_ieee_underflow 0
		.amdhsa_exception_fp_ieee_inexact 0
		.amdhsa_exception_int_div_zero 0
	.end_amdhsa_kernel
	.section	.text._ZN12_GLOBAL__N_120softmax_warp_forwardIdddLi0ELb0ELb0ELi32EEEvPT0_PKT_iiiPKbib,"axG",@progbits,_ZN12_GLOBAL__N_120softmax_warp_forwardIdddLi0ELb0ELb0ELi32EEEvPT0_PKT_iiiPKbib,comdat
.Lfunc_end355:
	.size	_ZN12_GLOBAL__N_120softmax_warp_forwardIdddLi0ELb0ELb0ELi32EEEvPT0_PKT_iiiPKbib, .Lfunc_end355-_ZN12_GLOBAL__N_120softmax_warp_forwardIdddLi0ELb0ELb0ELi32EEEvPT0_PKT_iiiPKbib
                                        ; -- End function
	.section	.AMDGPU.csdata,"",@progbits
; Kernel info:
; codeLenInByte = 1248
; NumSgprs: 20
; NumVgprs: 18
; NumAgprs: 0
; TotalNumVgprs: 18
; ScratchSize: 0
; MemoryBound: 0
; FloatMode: 240
; IeeeMode: 1
; LDSByteSize: 0 bytes/workgroup (compile time only)
; SGPRBlocks: 2
; VGPRBlocks: 2
; NumSGPRsForWavesPerEU: 20
; NumVGPRsForWavesPerEU: 18
; AccumOffset: 20
; Occupancy: 8
; WaveLimiterHint : 0
; COMPUTE_PGM_RSRC2:SCRATCH_EN: 0
; COMPUTE_PGM_RSRC2:USER_SGPR: 6
; COMPUTE_PGM_RSRC2:TRAP_HANDLER: 0
; COMPUTE_PGM_RSRC2:TGID_X_EN: 1
; COMPUTE_PGM_RSRC2:TGID_Y_EN: 0
; COMPUTE_PGM_RSRC2:TGID_Z_EN: 0
; COMPUTE_PGM_RSRC2:TIDIG_COMP_CNT: 1
; COMPUTE_PGM_RSRC3_GFX90A:ACCUM_OFFSET: 4
; COMPUTE_PGM_RSRC3_GFX90A:TG_SPLIT: 0
	.section	.text._ZN12_GLOBAL__N_120softmax_warp_forwardIdddLi1ELb0ELb0ELi64EEEvPT0_PKT_iiiPKbib,"axG",@progbits,_ZN12_GLOBAL__N_120softmax_warp_forwardIdddLi1ELb0ELb0ELi64EEEvPT0_PKT_iiiPKbib,comdat
	.globl	_ZN12_GLOBAL__N_120softmax_warp_forwardIdddLi1ELb0ELb0ELi64EEEvPT0_PKT_iiiPKbib ; -- Begin function _ZN12_GLOBAL__N_120softmax_warp_forwardIdddLi1ELb0ELb0ELi64EEEvPT0_PKT_iiiPKbib
	.p2align	8
	.type	_ZN12_GLOBAL__N_120softmax_warp_forwardIdddLi1ELb0ELb0ELi64EEEvPT0_PKT_iiiPKbib,@function
_ZN12_GLOBAL__N_120softmax_warp_forwardIdddLi1ELb0ELb0ELi64EEEvPT0_PKT_iiiPKbib: ; @_ZN12_GLOBAL__N_120softmax_warp_forwardIdddLi1ELb0ELb0ELi64EEEvPT0_PKT_iiiPKbib
; %bb.0:
	s_load_dword s0, s[4:5], 0x3c
	s_load_dwordx8 s[8:15], s[4:5], 0x0
	v_bfe_u32 v1, v0, 10, 10
	v_and_b32_e32 v2, 0x3ff, v0
	s_waitcnt lgkmcnt(0)
	s_lshr_b32 s0, s0, 16
	s_mul_i32 s6, s6, s0
	v_add_lshl_u32 v1, s6, v1, 1
	v_sub_u32_e32 v14, s12, v1
	v_mad_u64_u32 v[0:1], s[0:1], v1, s13, v[2:3]
	v_ashrrev_i32_e32 v1, 31, v0
	v_lshlrev_b64 v[0:1], 3, v[0:1]
	v_mov_b32_e32 v3, s11
	v_add_co_u32_e32 v6, vcc, s10, v0
	v_addc_co_u32_e32 v7, vcc, v3, v1, vcc
	v_cmp_gt_i32_e64 s[0:1], s14, v2
	v_mov_b32_e32 v2, 0
	v_cmp_lt_i32_e32 vcc, 0, v14
	v_mov_b32_e32 v3, 0xfff00000
	s_and_b64 s[4:5], s[0:1], vcc
	v_pk_mov_b32 v[4:5], v[2:3], v[2:3] op_sel:[0,1]
	s_and_saveexec_b64 s[2:3], s[4:5]
	s_cbranch_execz .LBB356_2
; %bb.1:
	global_load_dwordx2 v[4:5], v[6:7], off
.LBB356_2:
	s_or_b64 exec, exec, s[2:3]
	v_cmp_lt_i32_e64 s[2:3], 1, v14
	s_and_b64 s[2:3], s[0:1], s[2:3]
	s_and_saveexec_b64 s[4:5], s[2:3]
	s_cbranch_execz .LBB356_4
; %bb.3:
	s_mov_b32 s15, 0
	s_lshl_b64 s[2:3], s[14:15], 3
	v_mov_b32_e32 v3, s3
	v_add_co_u32_e64 v2, s[2:3], s2, v6
	v_addc_co_u32_e64 v3, s[2:3], v7, v3, s[2:3]
	global_load_dwordx2 v[2:3], v[2:3], off
.LBB356_4:
	s_or_b64 exec, exec, s[4:5]
	v_mbcnt_lo_u32_b32 v6, -1, 0
	v_mbcnt_hi_u32_b32 v6, -1, v6
	v_and_b32_e32 v8, 0x7e, v6
	v_xor_b32_e32 v7, 1, v6
	v_add_u32_e32 v8, 2, v8
	v_cmp_lt_i32_e64 s[2:3], v7, v8
	v_cndmask_b32_e64 v6, v6, v7, s[2:3]
	v_lshlrev_b32_e32 v15, 2, v6
	s_waitcnt vmcnt(0)
	ds_bpermute_b32 v6, v15, v4
	ds_bpermute_b32 v7, v15, v5
	;; [unrolled: 1-line block ×4, first 2 shown]
	s_mov_b32 s6, 0x652b82fe
	s_mov_b32 s7, 0x3ff71547
	s_waitcnt lgkmcnt(2)
	v_cmp_lt_f64_e64 s[2:3], v[4:5], v[6:7]
	v_cndmask_b32_e64 v7, v5, v7, s[2:3]
	v_cndmask_b32_e64 v6, v4, v6, s[2:3]
	v_add_f64 v[4:5], v[4:5], -v[6:7]
	s_waitcnt lgkmcnt(0)
	v_cmp_lt_f64_e64 s[2:3], v[2:3], v[8:9]
	v_mul_f64 v[6:7], v[4:5], s[6:7]
	s_mov_b32 s10, 0xfefa39ef
	v_cndmask_b32_e64 v9, v3, v9, s[2:3]
	v_cndmask_b32_e64 v8, v2, v8, s[2:3]
	v_rndne_f64_e32 v[6:7], v[6:7]
	s_mov_b32 s11, 0xbfe62e42
	s_mov_b32 s12, 0x3b39803f
	;; [unrolled: 1-line block ×3, first 2 shown]
	v_fma_f64 v[10:11], s[10:11], v[6:7], v[4:5]
	s_mov_b32 s13, 0xbc7abc9e
	s_mov_b32 s3, 0x3e928af3
	;; [unrolled: 1-line block ×3, first 2 shown]
	v_fmac_f64_e32 v[10:11], s[12:13], v[6:7]
	s_mov_b32 s17, 0x3e5ade15
	v_pk_mov_b32 v[12:13], s[2:3], s[2:3] op_sel:[0,1]
	s_mov_b32 s18, 0x623fde64
	v_fma_f64 v[16:17], s[16:17], v[10:11], v[12:13]
	s_mov_b32 s19, 0x3ec71dee
	s_mov_b32 s20, 0x7c89e6b0
	v_fma_f64 v[16:17], v[10:11], v[16:17], s[18:19]
	s_mov_b32 s21, 0x3efa0199
	;; [unrolled: 3-line block ×8, first 2 shown]
	v_fma_f64 v[16:17], v[10:11], v[16:17], s[34:35]
	v_fma_f64 v[16:17], v[10:11], v[16:17], 1.0
	s_mov_b32 s36, 0
	s_mov_b32 s38, 0
	v_fma_f64 v[10:11], v[10:11], v[16:17], 1.0
	v_cvt_i32_f64_e32 v6, v[6:7]
	s_mov_b32 s37, 0x40900000
	s_mov_b32 s39, 0xc090cc00
	v_ldexp_f64 v[6:7], v[10:11], v6
	v_mov_b32_e32 v16, 0x7ff00000
	v_cmp_nlt_f64_e64 s[2:3], s[36:37], v[4:5]
	v_cmp_ngt_f64_e64 s[4:5], s[38:39], v[4:5]
	v_cndmask_b32_e64 v7, v16, v7, s[2:3]
	s_and_b64 s[2:3], s[4:5], s[2:3]
	v_add_f64 v[2:3], v[2:3], -v[8:9]
	v_cndmask_b32_e64 v5, 0, v7, s[4:5]
	v_cndmask_b32_e64 v4, 0, v6, s[2:3]
	v_mul_f64 v[6:7], v[2:3], s[6:7]
	v_rndne_f64_e32 v[6:7], v[6:7]
	v_fma_f64 v[8:9], s[10:11], v[6:7], v[2:3]
	v_fmac_f64_e32 v[8:9], s[12:13], v[6:7]
	v_fmac_f64_e32 v[12:13], s[16:17], v[8:9]
	v_fma_f64 v[12:13], v[8:9], v[12:13], s[18:19]
	v_fma_f64 v[12:13], v[8:9], v[12:13], s[20:21]
	;; [unrolled: 1-line block ×8, first 2 shown]
	v_fma_f64 v[12:13], v[8:9], v[12:13], 1.0
	v_fma_f64 v[8:9], v[8:9], v[12:13], 1.0
	v_cvt_i32_f64_e32 v6, v[6:7]
	v_ldexp_f64 v[6:7], v[8:9], v6
	v_cmp_nlt_f64_e64 s[2:3], s[36:37], v[2:3]
	v_cmp_ngt_f64_e64 s[4:5], s[38:39], v[2:3]
	v_cndmask_b32_e64 v7, v16, v7, s[2:3]
	s_and_b64 s[2:3], s[4:5], s[2:3]
	v_cndmask_b32_e64 v3, 0, v7, s[4:5]
	v_cndmask_b32_e64 v2, 0, v6, s[2:3]
	v_add_f64 v[10:11], v[4:5], 0
	v_add_f64 v[6:7], v[2:3], 0
	ds_bpermute_b32 v12, v15, v10
	ds_bpermute_b32 v13, v15, v11
	;; [unrolled: 1-line block ×4, first 2 shown]
	s_and_saveexec_b64 s[2:3], vcc
	s_cbranch_execz .LBB356_10
; %bb.5:
	v_mov_b32_e32 v15, s9
	v_add_co_u32_e32 v0, vcc, s8, v0
	v_addc_co_u32_e32 v1, vcc, v15, v1, vcc
	s_and_saveexec_b64 s[2:3], s[0:1]
	s_cbranch_execz .LBB356_7
; %bb.6:
	s_waitcnt lgkmcnt(2)
	v_add_f64 v[10:11], v[10:11], v[12:13]
	v_div_scale_f64 v[12:13], s[4:5], v[10:11], v[10:11], v[4:5]
	v_rcp_f64_e32 v[16:17], v[12:13]
	v_div_scale_f64 v[18:19], vcc, v[4:5], v[10:11], v[4:5]
	v_fma_f64 v[20:21], -v[12:13], v[16:17], 1.0
	v_fmac_f64_e32 v[16:17], v[16:17], v[20:21]
	v_fma_f64 v[20:21], -v[12:13], v[16:17], 1.0
	v_fmac_f64_e32 v[16:17], v[16:17], v[20:21]
	v_mul_f64 v[20:21], v[18:19], v[16:17]
	v_fma_f64 v[12:13], -v[12:13], v[20:21], v[18:19]
	v_div_fmas_f64 v[12:13], v[12:13], v[16:17], v[20:21]
	v_div_fixup_f64 v[4:5], v[12:13], v[10:11], v[4:5]
	v_mov_b32_e32 v12, 0x7ff80000
	v_cmp_neq_f64_e32 vcc, 0, v[10:11]
	v_cndmask_b32_e32 v5, v12, v5, vcc
	v_cndmask_b32_e32 v4, 0, v4, vcc
	global_store_dwordx2 v[0:1], v[4:5], off
.LBB356_7:
	s_or_b64 exec, exec, s[2:3]
	v_cmp_ne_u32_e32 vcc, 1, v14
	s_and_b64 exec, exec, vcc
	s_cbranch_execz .LBB356_10
; %bb.8:
	s_and_b64 exec, exec, s[0:1]
	s_cbranch_execz .LBB356_10
; %bb.9:
	s_waitcnt lgkmcnt(0)
	v_add_f64 v[4:5], v[6:7], v[8:9]
	v_div_scale_f64 v[6:7], s[0:1], v[4:5], v[4:5], v[2:3]
	v_rcp_f64_e32 v[8:9], v[6:7]
	v_div_scale_f64 v[10:11], vcc, v[2:3], v[4:5], v[2:3]
	s_mov_b32 s15, 0
	v_fma_f64 v[12:13], -v[6:7], v[8:9], 1.0
	v_fmac_f64_e32 v[8:9], v[8:9], v[12:13]
	v_fma_f64 v[12:13], -v[6:7], v[8:9], 1.0
	v_fmac_f64_e32 v[8:9], v[8:9], v[12:13]
	v_mul_f64 v[12:13], v[10:11], v[8:9]
	v_fma_f64 v[6:7], -v[6:7], v[12:13], v[10:11]
	v_div_fmas_f64 v[6:7], v[6:7], v[8:9], v[12:13]
	s_lshl_b64 s[0:1], s[14:15], 3
	v_div_fixup_f64 v[2:3], v[6:7], v[4:5], v[2:3]
	v_mov_b32_e32 v6, s1
	v_add_co_u32_e32 v0, vcc, s0, v0
	v_addc_co_u32_e32 v1, vcc, v1, v6, vcc
	v_mov_b32_e32 v6, 0x7ff80000
	v_cmp_neq_f64_e32 vcc, 0, v[4:5]
	v_cndmask_b32_e32 v3, v6, v3, vcc
	v_cndmask_b32_e32 v2, 0, v2, vcc
	global_store_dwordx2 v[0:1], v[2:3], off
.LBB356_10:
	s_endpgm
	.section	.rodata,"a",@progbits
	.p2align	6, 0x0
	.amdhsa_kernel _ZN12_GLOBAL__N_120softmax_warp_forwardIdddLi1ELb0ELb0ELi64EEEvPT0_PKT_iiiPKbib
		.amdhsa_group_segment_fixed_size 0
		.amdhsa_private_segment_fixed_size 0
		.amdhsa_kernarg_size 304
		.amdhsa_user_sgpr_count 6
		.amdhsa_user_sgpr_private_segment_buffer 1
		.amdhsa_user_sgpr_dispatch_ptr 0
		.amdhsa_user_sgpr_queue_ptr 0
		.amdhsa_user_sgpr_kernarg_segment_ptr 1
		.amdhsa_user_sgpr_dispatch_id 0
		.amdhsa_user_sgpr_flat_scratch_init 0
		.amdhsa_user_sgpr_kernarg_preload_length 0
		.amdhsa_user_sgpr_kernarg_preload_offset 0
		.amdhsa_user_sgpr_private_segment_size 0
		.amdhsa_uses_dynamic_stack 0
		.amdhsa_system_sgpr_private_segment_wavefront_offset 0
		.amdhsa_system_sgpr_workgroup_id_x 1
		.amdhsa_system_sgpr_workgroup_id_y 0
		.amdhsa_system_sgpr_workgroup_id_z 0
		.amdhsa_system_sgpr_workgroup_info 0
		.amdhsa_system_vgpr_workitem_id 1
		.amdhsa_next_free_vgpr 22
		.amdhsa_next_free_sgpr 40
		.amdhsa_accum_offset 24
		.amdhsa_reserve_vcc 1
		.amdhsa_reserve_flat_scratch 0
		.amdhsa_float_round_mode_32 0
		.amdhsa_float_round_mode_16_64 0
		.amdhsa_float_denorm_mode_32 3
		.amdhsa_float_denorm_mode_16_64 3
		.amdhsa_dx10_clamp 1
		.amdhsa_ieee_mode 1
		.amdhsa_fp16_overflow 0
		.amdhsa_tg_split 0
		.amdhsa_exception_fp_ieee_invalid_op 0
		.amdhsa_exception_fp_denorm_src 0
		.amdhsa_exception_fp_ieee_div_zero 0
		.amdhsa_exception_fp_ieee_overflow 0
		.amdhsa_exception_fp_ieee_underflow 0
		.amdhsa_exception_fp_ieee_inexact 0
		.amdhsa_exception_int_div_zero 0
	.end_amdhsa_kernel
	.section	.text._ZN12_GLOBAL__N_120softmax_warp_forwardIdddLi1ELb0ELb0ELi64EEEvPT0_PKT_iiiPKbib,"axG",@progbits,_ZN12_GLOBAL__N_120softmax_warp_forwardIdddLi1ELb0ELb0ELi64EEEvPT0_PKT_iiiPKbib,comdat
.Lfunc_end356:
	.size	_ZN12_GLOBAL__N_120softmax_warp_forwardIdddLi1ELb0ELb0ELi64EEEvPT0_PKT_iiiPKbib, .Lfunc_end356-_ZN12_GLOBAL__N_120softmax_warp_forwardIdddLi1ELb0ELb0ELi64EEEvPT0_PKT_iiiPKbib
                                        ; -- End function
	.section	.AMDGPU.csdata,"",@progbits
; Kernel info:
; codeLenInByte = 1296
; NumSgprs: 44
; NumVgprs: 22
; NumAgprs: 0
; TotalNumVgprs: 22
; ScratchSize: 0
; MemoryBound: 0
; FloatMode: 240
; IeeeMode: 1
; LDSByteSize: 0 bytes/workgroup (compile time only)
; SGPRBlocks: 5
; VGPRBlocks: 2
; NumSGPRsForWavesPerEU: 44
; NumVGPRsForWavesPerEU: 22
; AccumOffset: 24
; Occupancy: 8
; WaveLimiterHint : 0
; COMPUTE_PGM_RSRC2:SCRATCH_EN: 0
; COMPUTE_PGM_RSRC2:USER_SGPR: 6
; COMPUTE_PGM_RSRC2:TRAP_HANDLER: 0
; COMPUTE_PGM_RSRC2:TGID_X_EN: 1
; COMPUTE_PGM_RSRC2:TGID_Y_EN: 0
; COMPUTE_PGM_RSRC2:TGID_Z_EN: 0
; COMPUTE_PGM_RSRC2:TIDIG_COMP_CNT: 1
; COMPUTE_PGM_RSRC3_GFX90A:ACCUM_OFFSET: 5
; COMPUTE_PGM_RSRC3_GFX90A:TG_SPLIT: 0
	.section	.text._ZN12_GLOBAL__N_120softmax_warp_forwardIdddLi1ELb0ELb0ELi32EEEvPT0_PKT_iiiPKbib,"axG",@progbits,_ZN12_GLOBAL__N_120softmax_warp_forwardIdddLi1ELb0ELb0ELi32EEEvPT0_PKT_iiiPKbib,comdat
	.globl	_ZN12_GLOBAL__N_120softmax_warp_forwardIdddLi1ELb0ELb0ELi32EEEvPT0_PKT_iiiPKbib ; -- Begin function _ZN12_GLOBAL__N_120softmax_warp_forwardIdddLi1ELb0ELb0ELi32EEEvPT0_PKT_iiiPKbib
	.p2align	8
	.type	_ZN12_GLOBAL__N_120softmax_warp_forwardIdddLi1ELb0ELb0ELi32EEEvPT0_PKT_iiiPKbib,@function
_ZN12_GLOBAL__N_120softmax_warp_forwardIdddLi1ELb0ELb0ELi32EEEvPT0_PKT_iiiPKbib: ; @_ZN12_GLOBAL__N_120softmax_warp_forwardIdddLi1ELb0ELb0ELi32EEEvPT0_PKT_iiiPKbib
; %bb.0:
	s_load_dword s0, s[4:5], 0x3c
	s_load_dwordx8 s[8:15], s[4:5], 0x0
	v_bfe_u32 v1, v0, 10, 10
	v_and_b32_e32 v2, 0x3ff, v0
	s_waitcnt lgkmcnt(0)
	s_lshr_b32 s0, s0, 16
	s_mul_i32 s6, s6, s0
	v_add_lshl_u32 v1, s6, v1, 1
	v_sub_u32_e32 v14, s12, v1
	v_mad_u64_u32 v[0:1], s[0:1], v1, s13, v[2:3]
	v_ashrrev_i32_e32 v1, 31, v0
	v_lshlrev_b64 v[0:1], 3, v[0:1]
	v_mov_b32_e32 v3, s11
	v_add_co_u32_e32 v6, vcc, s10, v0
	v_addc_co_u32_e32 v7, vcc, v3, v1, vcc
	v_cmp_gt_i32_e64 s[0:1], s14, v2
	v_mov_b32_e32 v2, 0
	v_cmp_lt_i32_e32 vcc, 0, v14
	v_mov_b32_e32 v3, 0xfff00000
	s_and_b64 s[4:5], s[0:1], vcc
	v_pk_mov_b32 v[4:5], v[2:3], v[2:3] op_sel:[0,1]
	s_and_saveexec_b64 s[2:3], s[4:5]
	s_cbranch_execz .LBB357_2
; %bb.1:
	global_load_dwordx2 v[4:5], v[6:7], off
.LBB357_2:
	s_or_b64 exec, exec, s[2:3]
	v_cmp_lt_i32_e64 s[2:3], 1, v14
	s_and_b64 s[2:3], s[0:1], s[2:3]
	s_and_saveexec_b64 s[4:5], s[2:3]
	s_cbranch_execz .LBB357_4
; %bb.3:
	s_mov_b32 s15, 0
	s_lshl_b64 s[2:3], s[14:15], 3
	v_mov_b32_e32 v3, s3
	v_add_co_u32_e64 v2, s[2:3], s2, v6
	v_addc_co_u32_e64 v3, s[2:3], v7, v3, s[2:3]
	global_load_dwordx2 v[2:3], v[2:3], off
.LBB357_4:
	s_or_b64 exec, exec, s[4:5]
	v_mbcnt_lo_u32_b32 v6, -1, 0
	v_mbcnt_hi_u32_b32 v6, -1, v6
	v_and_b32_e32 v8, 0x7e, v6
	v_xor_b32_e32 v7, 1, v6
	v_add_u32_e32 v8, 2, v8
	v_cmp_lt_i32_e64 s[2:3], v7, v8
	v_cndmask_b32_e64 v6, v6, v7, s[2:3]
	v_lshlrev_b32_e32 v15, 2, v6
	s_waitcnt vmcnt(0)
	ds_bpermute_b32 v6, v15, v4
	ds_bpermute_b32 v7, v15, v5
	;; [unrolled: 1-line block ×4, first 2 shown]
	s_mov_b32 s6, 0x652b82fe
	s_mov_b32 s7, 0x3ff71547
	s_waitcnt lgkmcnt(2)
	v_cmp_lt_f64_e64 s[2:3], v[4:5], v[6:7]
	v_cndmask_b32_e64 v7, v5, v7, s[2:3]
	v_cndmask_b32_e64 v6, v4, v6, s[2:3]
	v_add_f64 v[4:5], v[4:5], -v[6:7]
	s_waitcnt lgkmcnt(0)
	v_cmp_lt_f64_e64 s[2:3], v[2:3], v[8:9]
	v_mul_f64 v[6:7], v[4:5], s[6:7]
	s_mov_b32 s10, 0xfefa39ef
	v_cndmask_b32_e64 v9, v3, v9, s[2:3]
	v_cndmask_b32_e64 v8, v2, v8, s[2:3]
	v_rndne_f64_e32 v[6:7], v[6:7]
	s_mov_b32 s11, 0xbfe62e42
	s_mov_b32 s12, 0x3b39803f
	;; [unrolled: 1-line block ×3, first 2 shown]
	v_fma_f64 v[10:11], s[10:11], v[6:7], v[4:5]
	s_mov_b32 s13, 0xbc7abc9e
	s_mov_b32 s3, 0x3e928af3
	;; [unrolled: 1-line block ×3, first 2 shown]
	v_fmac_f64_e32 v[10:11], s[12:13], v[6:7]
	s_mov_b32 s17, 0x3e5ade15
	v_pk_mov_b32 v[12:13], s[2:3], s[2:3] op_sel:[0,1]
	s_mov_b32 s18, 0x623fde64
	v_fma_f64 v[16:17], s[16:17], v[10:11], v[12:13]
	s_mov_b32 s19, 0x3ec71dee
	s_mov_b32 s20, 0x7c89e6b0
	v_fma_f64 v[16:17], v[10:11], v[16:17], s[18:19]
	s_mov_b32 s21, 0x3efa0199
	;; [unrolled: 3-line block ×8, first 2 shown]
	v_fma_f64 v[16:17], v[10:11], v[16:17], s[34:35]
	v_fma_f64 v[16:17], v[10:11], v[16:17], 1.0
	s_mov_b32 s36, 0
	s_mov_b32 s38, 0
	v_fma_f64 v[10:11], v[10:11], v[16:17], 1.0
	v_cvt_i32_f64_e32 v6, v[6:7]
	s_mov_b32 s37, 0x40900000
	s_mov_b32 s39, 0xc090cc00
	v_ldexp_f64 v[6:7], v[10:11], v6
	v_mov_b32_e32 v16, 0x7ff00000
	v_cmp_nlt_f64_e64 s[2:3], s[36:37], v[4:5]
	v_cmp_ngt_f64_e64 s[4:5], s[38:39], v[4:5]
	v_cndmask_b32_e64 v7, v16, v7, s[2:3]
	s_and_b64 s[2:3], s[4:5], s[2:3]
	v_add_f64 v[2:3], v[2:3], -v[8:9]
	v_cndmask_b32_e64 v5, 0, v7, s[4:5]
	v_cndmask_b32_e64 v4, 0, v6, s[2:3]
	v_mul_f64 v[6:7], v[2:3], s[6:7]
	v_rndne_f64_e32 v[6:7], v[6:7]
	v_fma_f64 v[8:9], s[10:11], v[6:7], v[2:3]
	v_fmac_f64_e32 v[8:9], s[12:13], v[6:7]
	v_fmac_f64_e32 v[12:13], s[16:17], v[8:9]
	v_fma_f64 v[12:13], v[8:9], v[12:13], s[18:19]
	v_fma_f64 v[12:13], v[8:9], v[12:13], s[20:21]
	;; [unrolled: 1-line block ×8, first 2 shown]
	v_fma_f64 v[12:13], v[8:9], v[12:13], 1.0
	v_fma_f64 v[8:9], v[8:9], v[12:13], 1.0
	v_cvt_i32_f64_e32 v6, v[6:7]
	v_ldexp_f64 v[6:7], v[8:9], v6
	v_cmp_nlt_f64_e64 s[2:3], s[36:37], v[2:3]
	v_cmp_ngt_f64_e64 s[4:5], s[38:39], v[2:3]
	v_cndmask_b32_e64 v7, v16, v7, s[2:3]
	s_and_b64 s[2:3], s[4:5], s[2:3]
	v_cndmask_b32_e64 v3, 0, v7, s[4:5]
	v_cndmask_b32_e64 v2, 0, v6, s[2:3]
	v_add_f64 v[10:11], v[4:5], 0
	v_add_f64 v[6:7], v[2:3], 0
	ds_bpermute_b32 v12, v15, v10
	ds_bpermute_b32 v13, v15, v11
	ds_bpermute_b32 v8, v15, v6
	ds_bpermute_b32 v9, v15, v7
	s_and_saveexec_b64 s[2:3], vcc
	s_cbranch_execz .LBB357_10
; %bb.5:
	v_mov_b32_e32 v15, s9
	v_add_co_u32_e32 v0, vcc, s8, v0
	v_addc_co_u32_e32 v1, vcc, v15, v1, vcc
	s_and_saveexec_b64 s[2:3], s[0:1]
	s_cbranch_execz .LBB357_7
; %bb.6:
	s_waitcnt lgkmcnt(2)
	v_add_f64 v[10:11], v[10:11], v[12:13]
	v_div_scale_f64 v[12:13], s[4:5], v[10:11], v[10:11], v[4:5]
	v_rcp_f64_e32 v[16:17], v[12:13]
	v_div_scale_f64 v[18:19], vcc, v[4:5], v[10:11], v[4:5]
	v_fma_f64 v[20:21], -v[12:13], v[16:17], 1.0
	v_fmac_f64_e32 v[16:17], v[16:17], v[20:21]
	v_fma_f64 v[20:21], -v[12:13], v[16:17], 1.0
	v_fmac_f64_e32 v[16:17], v[16:17], v[20:21]
	v_mul_f64 v[20:21], v[18:19], v[16:17]
	v_fma_f64 v[12:13], -v[12:13], v[20:21], v[18:19]
	v_div_fmas_f64 v[12:13], v[12:13], v[16:17], v[20:21]
	v_div_fixup_f64 v[4:5], v[12:13], v[10:11], v[4:5]
	v_mov_b32_e32 v12, 0x7ff80000
	v_cmp_neq_f64_e32 vcc, 0, v[10:11]
	v_cndmask_b32_e32 v5, v12, v5, vcc
	v_cndmask_b32_e32 v4, 0, v4, vcc
	global_store_dwordx2 v[0:1], v[4:5], off
.LBB357_7:
	s_or_b64 exec, exec, s[2:3]
	v_cmp_ne_u32_e32 vcc, 1, v14
	s_and_b64 exec, exec, vcc
	s_cbranch_execz .LBB357_10
; %bb.8:
	s_and_b64 exec, exec, s[0:1]
	s_cbranch_execz .LBB357_10
; %bb.9:
	s_waitcnt lgkmcnt(0)
	v_add_f64 v[4:5], v[6:7], v[8:9]
	v_div_scale_f64 v[6:7], s[0:1], v[4:5], v[4:5], v[2:3]
	v_rcp_f64_e32 v[8:9], v[6:7]
	v_div_scale_f64 v[10:11], vcc, v[2:3], v[4:5], v[2:3]
	s_mov_b32 s15, 0
	v_fma_f64 v[12:13], -v[6:7], v[8:9], 1.0
	v_fmac_f64_e32 v[8:9], v[8:9], v[12:13]
	v_fma_f64 v[12:13], -v[6:7], v[8:9], 1.0
	v_fmac_f64_e32 v[8:9], v[8:9], v[12:13]
	v_mul_f64 v[12:13], v[10:11], v[8:9]
	v_fma_f64 v[6:7], -v[6:7], v[12:13], v[10:11]
	v_div_fmas_f64 v[6:7], v[6:7], v[8:9], v[12:13]
	s_lshl_b64 s[0:1], s[14:15], 3
	v_div_fixup_f64 v[2:3], v[6:7], v[4:5], v[2:3]
	v_mov_b32_e32 v6, s1
	v_add_co_u32_e32 v0, vcc, s0, v0
	v_addc_co_u32_e32 v1, vcc, v1, v6, vcc
	v_mov_b32_e32 v6, 0x7ff80000
	v_cmp_neq_f64_e32 vcc, 0, v[4:5]
	v_cndmask_b32_e32 v3, v6, v3, vcc
	v_cndmask_b32_e32 v2, 0, v2, vcc
	global_store_dwordx2 v[0:1], v[2:3], off
.LBB357_10:
	s_endpgm
	.section	.rodata,"a",@progbits
	.p2align	6, 0x0
	.amdhsa_kernel _ZN12_GLOBAL__N_120softmax_warp_forwardIdddLi1ELb0ELb0ELi32EEEvPT0_PKT_iiiPKbib
		.amdhsa_group_segment_fixed_size 0
		.amdhsa_private_segment_fixed_size 0
		.amdhsa_kernarg_size 304
		.amdhsa_user_sgpr_count 6
		.amdhsa_user_sgpr_private_segment_buffer 1
		.amdhsa_user_sgpr_dispatch_ptr 0
		.amdhsa_user_sgpr_queue_ptr 0
		.amdhsa_user_sgpr_kernarg_segment_ptr 1
		.amdhsa_user_sgpr_dispatch_id 0
		.amdhsa_user_sgpr_flat_scratch_init 0
		.amdhsa_user_sgpr_kernarg_preload_length 0
		.amdhsa_user_sgpr_kernarg_preload_offset 0
		.amdhsa_user_sgpr_private_segment_size 0
		.amdhsa_uses_dynamic_stack 0
		.amdhsa_system_sgpr_private_segment_wavefront_offset 0
		.amdhsa_system_sgpr_workgroup_id_x 1
		.amdhsa_system_sgpr_workgroup_id_y 0
		.amdhsa_system_sgpr_workgroup_id_z 0
		.amdhsa_system_sgpr_workgroup_info 0
		.amdhsa_system_vgpr_workitem_id 1
		.amdhsa_next_free_vgpr 22
		.amdhsa_next_free_sgpr 40
		.amdhsa_accum_offset 24
		.amdhsa_reserve_vcc 1
		.amdhsa_reserve_flat_scratch 0
		.amdhsa_float_round_mode_32 0
		.amdhsa_float_round_mode_16_64 0
		.amdhsa_float_denorm_mode_32 3
		.amdhsa_float_denorm_mode_16_64 3
		.amdhsa_dx10_clamp 1
		.amdhsa_ieee_mode 1
		.amdhsa_fp16_overflow 0
		.amdhsa_tg_split 0
		.amdhsa_exception_fp_ieee_invalid_op 0
		.amdhsa_exception_fp_denorm_src 0
		.amdhsa_exception_fp_ieee_div_zero 0
		.amdhsa_exception_fp_ieee_overflow 0
		.amdhsa_exception_fp_ieee_underflow 0
		.amdhsa_exception_fp_ieee_inexact 0
		.amdhsa_exception_int_div_zero 0
	.end_amdhsa_kernel
	.section	.text._ZN12_GLOBAL__N_120softmax_warp_forwardIdddLi1ELb0ELb0ELi32EEEvPT0_PKT_iiiPKbib,"axG",@progbits,_ZN12_GLOBAL__N_120softmax_warp_forwardIdddLi1ELb0ELb0ELi32EEEvPT0_PKT_iiiPKbib,comdat
.Lfunc_end357:
	.size	_ZN12_GLOBAL__N_120softmax_warp_forwardIdddLi1ELb0ELb0ELi32EEEvPT0_PKT_iiiPKbib, .Lfunc_end357-_ZN12_GLOBAL__N_120softmax_warp_forwardIdddLi1ELb0ELb0ELi32EEEvPT0_PKT_iiiPKbib
                                        ; -- End function
	.section	.AMDGPU.csdata,"",@progbits
; Kernel info:
; codeLenInByte = 1296
; NumSgprs: 44
; NumVgprs: 22
; NumAgprs: 0
; TotalNumVgprs: 22
; ScratchSize: 0
; MemoryBound: 0
; FloatMode: 240
; IeeeMode: 1
; LDSByteSize: 0 bytes/workgroup (compile time only)
; SGPRBlocks: 5
; VGPRBlocks: 2
; NumSGPRsForWavesPerEU: 44
; NumVGPRsForWavesPerEU: 22
; AccumOffset: 24
; Occupancy: 8
; WaveLimiterHint : 0
; COMPUTE_PGM_RSRC2:SCRATCH_EN: 0
; COMPUTE_PGM_RSRC2:USER_SGPR: 6
; COMPUTE_PGM_RSRC2:TRAP_HANDLER: 0
; COMPUTE_PGM_RSRC2:TGID_X_EN: 1
; COMPUTE_PGM_RSRC2:TGID_Y_EN: 0
; COMPUTE_PGM_RSRC2:TGID_Z_EN: 0
; COMPUTE_PGM_RSRC2:TIDIG_COMP_CNT: 1
; COMPUTE_PGM_RSRC3_GFX90A:ACCUM_OFFSET: 5
; COMPUTE_PGM_RSRC3_GFX90A:TG_SPLIT: 0
	.section	.text._ZN12_GLOBAL__N_120softmax_warp_forwardIdddLi2ELb0ELb0ELi64EEEvPT0_PKT_iiiPKbib,"axG",@progbits,_ZN12_GLOBAL__N_120softmax_warp_forwardIdddLi2ELb0ELb0ELi64EEEvPT0_PKT_iiiPKbib,comdat
	.globl	_ZN12_GLOBAL__N_120softmax_warp_forwardIdddLi2ELb0ELb0ELi64EEEvPT0_PKT_iiiPKbib ; -- Begin function _ZN12_GLOBAL__N_120softmax_warp_forwardIdddLi2ELb0ELb0ELi64EEEvPT0_PKT_iiiPKbib
	.p2align	8
	.type	_ZN12_GLOBAL__N_120softmax_warp_forwardIdddLi2ELb0ELb0ELi64EEEvPT0_PKT_iiiPKbib,@function
_ZN12_GLOBAL__N_120softmax_warp_forwardIdddLi2ELb0ELb0ELi64EEEvPT0_PKT_iiiPKbib: ; @_ZN12_GLOBAL__N_120softmax_warp_forwardIdddLi2ELb0ELb0ELi64EEEvPT0_PKT_iiiPKbib
; %bb.0:
	s_load_dword s0, s[4:5], 0x3c
	s_load_dwordx8 s[8:15], s[4:5], 0x0
	v_bfe_u32 v1, v0, 10, 10
	v_and_b32_e32 v2, 0x3ff, v0
	s_waitcnt lgkmcnt(0)
	s_lshr_b32 s0, s0, 16
	s_mul_i32 s6, s6, s0
	v_add_lshl_u32 v1, s6, v1, 1
	v_sub_u32_e32 v14, s12, v1
	v_mad_u64_u32 v[0:1], s[0:1], v1, s13, v[2:3]
	v_ashrrev_i32_e32 v1, 31, v0
	v_lshlrev_b64 v[0:1], 3, v[0:1]
	v_mov_b32_e32 v3, s11
	v_add_co_u32_e32 v6, vcc, s10, v0
	v_addc_co_u32_e32 v7, vcc, v3, v1, vcc
	v_cmp_gt_i32_e64 s[0:1], s14, v2
	v_mov_b32_e32 v2, 0
	v_cmp_lt_i32_e32 vcc, 0, v14
	v_mov_b32_e32 v3, 0xfff00000
	s_and_b64 s[4:5], s[0:1], vcc
	v_pk_mov_b32 v[4:5], v[2:3], v[2:3] op_sel:[0,1]
	s_and_saveexec_b64 s[2:3], s[4:5]
	s_cbranch_execz .LBB358_2
; %bb.1:
	global_load_dwordx2 v[4:5], v[6:7], off
.LBB358_2:
	s_or_b64 exec, exec, s[2:3]
	v_cmp_lt_i32_e64 s[2:3], 1, v14
	s_and_b64 s[2:3], s[0:1], s[2:3]
	s_and_saveexec_b64 s[4:5], s[2:3]
	s_cbranch_execz .LBB358_4
; %bb.3:
	s_mov_b32 s15, 0
	s_lshl_b64 s[2:3], s[14:15], 3
	v_mov_b32_e32 v3, s3
	v_add_co_u32_e64 v2, s[2:3], s2, v6
	v_addc_co_u32_e64 v3, s[2:3], v7, v3, s[2:3]
	global_load_dwordx2 v[2:3], v[2:3], off
.LBB358_4:
	s_or_b64 exec, exec, s[4:5]
	v_mbcnt_lo_u32_b32 v6, -1, 0
	v_mbcnt_hi_u32_b32 v10, -1, v6
	v_and_b32_e32 v6, 0x7c, v10
	v_add_u32_e32 v11, 4, v6
	v_xor_b32_e32 v6, 2, v10
	v_cmp_lt_i32_e64 s[2:3], v6, v11
	v_cndmask_b32_e64 v6, v10, v6, s[2:3]
	v_lshlrev_b32_e32 v15, 2, v6
	s_waitcnt vmcnt(0)
	ds_bpermute_b32 v6, v15, v4
	ds_bpermute_b32 v7, v15, v5
	;; [unrolled: 1-line block ×4, first 2 shown]
	v_xor_b32_e32 v12, 1, v10
	v_cmp_lt_i32_e64 s[4:5], v12, v11
	s_waitcnt lgkmcnt(2)
	v_cmp_lt_f64_e64 s[2:3], v[4:5], v[6:7]
	v_cndmask_b32_e64 v10, v10, v12, s[4:5]
	v_cndmask_b32_e64 v7, v5, v7, s[2:3]
	;; [unrolled: 1-line block ×3, first 2 shown]
	v_lshlrev_b32_e32 v18, 2, v10
	ds_bpermute_b32 v10, v18, v6
	ds_bpermute_b32 v11, v18, v7
	s_waitcnt lgkmcnt(2)
	v_cmp_lt_f64_e64 s[2:3], v[2:3], v[8:9]
	v_cndmask_b32_e64 v9, v3, v9, s[2:3]
	v_cndmask_b32_e64 v8, v2, v8, s[2:3]
	ds_bpermute_b32 v12, v18, v8
	ds_bpermute_b32 v13, v18, v9
	s_waitcnt lgkmcnt(2)
	v_cmp_lt_f64_e64 s[2:3], v[6:7], v[10:11]
	v_cndmask_b32_e64 v7, v7, v11, s[2:3]
	v_cndmask_b32_e64 v6, v6, v10, s[2:3]
	s_mov_b32 s6, 0x652b82fe
	v_add_f64 v[4:5], v[4:5], -v[6:7]
	s_mov_b32 s7, 0x3ff71547
	s_waitcnt lgkmcnt(0)
	v_cmp_lt_f64_e64 s[2:3], v[8:9], v[12:13]
	v_mul_f64 v[6:7], v[4:5], s[6:7]
	s_mov_b32 s10, 0xfefa39ef
	v_cndmask_b32_e64 v9, v9, v13, s[2:3]
	v_cndmask_b32_e64 v8, v8, v12, s[2:3]
	v_rndne_f64_e32 v[6:7], v[6:7]
	s_mov_b32 s11, 0xbfe62e42
	s_mov_b32 s12, 0x3b39803f
	;; [unrolled: 1-line block ×3, first 2 shown]
	v_fma_f64 v[10:11], s[10:11], v[6:7], v[4:5]
	s_mov_b32 s13, 0xbc7abc9e
	s_mov_b32 s3, 0x3e928af3
	;; [unrolled: 1-line block ×3, first 2 shown]
	v_fmac_f64_e32 v[10:11], s[12:13], v[6:7]
	s_mov_b32 s17, 0x3e5ade15
	v_pk_mov_b32 v[12:13], s[2:3], s[2:3] op_sel:[0,1]
	s_mov_b32 s18, 0x623fde64
	v_fma_f64 v[16:17], s[16:17], v[10:11], v[12:13]
	s_mov_b32 s19, 0x3ec71dee
	s_mov_b32 s20, 0x7c89e6b0
	v_fma_f64 v[16:17], v[10:11], v[16:17], s[18:19]
	s_mov_b32 s21, 0x3efa0199
	;; [unrolled: 3-line block ×8, first 2 shown]
	v_fma_f64 v[16:17], v[10:11], v[16:17], s[34:35]
	v_add_f64 v[2:3], v[2:3], -v[8:9]
	v_fma_f64 v[16:17], v[10:11], v[16:17], 1.0
	v_mul_f64 v[8:9], v[2:3], s[6:7]
	v_fma_f64 v[10:11], v[10:11], v[16:17], 1.0
	v_cvt_i32_f64_e32 v6, v[6:7]
	v_rndne_f64_e32 v[8:9], v[8:9]
	v_ldexp_f64 v[6:7], v[10:11], v6
	v_fma_f64 v[10:11], s[10:11], v[8:9], v[2:3]
	v_fmac_f64_e32 v[10:11], s[12:13], v[8:9]
	v_fmac_f64_e32 v[12:13], s[16:17], v[10:11]
	v_fma_f64 v[12:13], v[10:11], v[12:13], s[18:19]
	v_fma_f64 v[12:13], v[10:11], v[12:13], s[20:21]
	;; [unrolled: 1-line block ×6, first 2 shown]
	s_mov_b32 s36, 0
	s_mov_b32 s38, 0
	v_fma_f64 v[12:13], v[10:11], v[12:13], s[30:31]
	s_mov_b32 s37, 0x40900000
	s_mov_b32 s39, 0xc090cc00
	v_fma_f64 v[12:13], v[10:11], v[12:13], s[34:35]
	v_mov_b32_e32 v16, 0x7ff00000
	v_cmp_nlt_f64_e64 s[2:3], s[36:37], v[4:5]
	v_cmp_ngt_f64_e64 s[4:5], s[38:39], v[4:5]
	v_fma_f64 v[12:13], v[10:11], v[12:13], 1.0
	v_cndmask_b32_e64 v7, v16, v7, s[2:3]
	s_and_b64 s[2:3], s[4:5], s[2:3]
	v_fma_f64 v[10:11], v[10:11], v[12:13], 1.0
	v_cvt_i32_f64_e32 v8, v[8:9]
	v_cndmask_b32_e64 v5, 0, v7, s[4:5]
	v_cndmask_b32_e64 v4, 0, v6, s[2:3]
	v_ldexp_f64 v[8:9], v[10:11], v8
	v_cmp_nlt_f64_e64 s[2:3], s[36:37], v[2:3]
	v_cmp_ngt_f64_e64 s[4:5], s[38:39], v[2:3]
	v_cndmask_b32_e64 v9, v16, v9, s[2:3]
	s_and_b64 s[2:3], s[4:5], s[2:3]
	v_cndmask_b32_e64 v3, 0, v9, s[4:5]
	v_cndmask_b32_e64 v2, 0, v8, s[2:3]
	v_add_f64 v[6:7], v[4:5], 0
	v_add_f64 v[8:9], v[2:3], 0
	ds_bpermute_b32 v10, v15, v6
	ds_bpermute_b32 v11, v15, v7
	;; [unrolled: 1-line block ×4, first 2 shown]
	s_waitcnt lgkmcnt(2)
	v_add_f64 v[10:11], v[6:7], v[10:11]
	s_waitcnt lgkmcnt(0)
	v_add_f64 v[6:7], v[8:9], v[12:13]
	ds_bpermute_b32 v12, v18, v10
	ds_bpermute_b32 v13, v18, v11
	;; [unrolled: 1-line block ×4, first 2 shown]
	s_and_saveexec_b64 s[2:3], vcc
	s_cbranch_execz .LBB358_10
; %bb.5:
	v_mov_b32_e32 v15, s9
	v_add_co_u32_e32 v0, vcc, s8, v0
	v_addc_co_u32_e32 v1, vcc, v15, v1, vcc
	s_and_saveexec_b64 s[2:3], s[0:1]
	s_cbranch_execz .LBB358_7
; %bb.6:
	s_waitcnt lgkmcnt(2)
	v_add_f64 v[10:11], v[10:11], v[12:13]
	v_div_scale_f64 v[12:13], s[4:5], v[10:11], v[10:11], v[4:5]
	v_rcp_f64_e32 v[16:17], v[12:13]
	v_div_scale_f64 v[18:19], vcc, v[4:5], v[10:11], v[4:5]
	v_fma_f64 v[20:21], -v[12:13], v[16:17], 1.0
	v_fmac_f64_e32 v[16:17], v[16:17], v[20:21]
	v_fma_f64 v[20:21], -v[12:13], v[16:17], 1.0
	v_fmac_f64_e32 v[16:17], v[16:17], v[20:21]
	v_mul_f64 v[20:21], v[18:19], v[16:17]
	v_fma_f64 v[12:13], -v[12:13], v[20:21], v[18:19]
	v_div_fmas_f64 v[12:13], v[12:13], v[16:17], v[20:21]
	v_div_fixup_f64 v[4:5], v[12:13], v[10:11], v[4:5]
	v_mov_b32_e32 v12, 0x7ff80000
	v_cmp_neq_f64_e32 vcc, 0, v[10:11]
	v_cndmask_b32_e32 v5, v12, v5, vcc
	v_cndmask_b32_e32 v4, 0, v4, vcc
	global_store_dwordx2 v[0:1], v[4:5], off
.LBB358_7:
	s_or_b64 exec, exec, s[2:3]
	v_cmp_ne_u32_e32 vcc, 1, v14
	s_and_b64 exec, exec, vcc
	s_cbranch_execz .LBB358_10
; %bb.8:
	s_and_b64 exec, exec, s[0:1]
	s_cbranch_execz .LBB358_10
; %bb.9:
	s_waitcnt lgkmcnt(0)
	v_add_f64 v[4:5], v[6:7], v[8:9]
	v_div_scale_f64 v[6:7], s[0:1], v[4:5], v[4:5], v[2:3]
	v_rcp_f64_e32 v[8:9], v[6:7]
	v_div_scale_f64 v[10:11], vcc, v[2:3], v[4:5], v[2:3]
	s_mov_b32 s15, 0
	v_fma_f64 v[12:13], -v[6:7], v[8:9], 1.0
	v_fmac_f64_e32 v[8:9], v[8:9], v[12:13]
	v_fma_f64 v[12:13], -v[6:7], v[8:9], 1.0
	v_fmac_f64_e32 v[8:9], v[8:9], v[12:13]
	v_mul_f64 v[12:13], v[10:11], v[8:9]
	v_fma_f64 v[6:7], -v[6:7], v[12:13], v[10:11]
	v_div_fmas_f64 v[6:7], v[6:7], v[8:9], v[12:13]
	s_lshl_b64 s[0:1], s[14:15], 3
	v_div_fixup_f64 v[2:3], v[6:7], v[4:5], v[2:3]
	v_mov_b32_e32 v6, s1
	v_add_co_u32_e32 v0, vcc, s0, v0
	v_addc_co_u32_e32 v1, vcc, v1, v6, vcc
	v_mov_b32_e32 v6, 0x7ff80000
	v_cmp_neq_f64_e32 vcc, 0, v[4:5]
	v_cndmask_b32_e32 v3, v6, v3, vcc
	v_cndmask_b32_e32 v2, 0, v2, vcc
	global_store_dwordx2 v[0:1], v[2:3], off
.LBB358_10:
	s_endpgm
	.section	.rodata,"a",@progbits
	.p2align	6, 0x0
	.amdhsa_kernel _ZN12_GLOBAL__N_120softmax_warp_forwardIdddLi2ELb0ELb0ELi64EEEvPT0_PKT_iiiPKbib
		.amdhsa_group_segment_fixed_size 0
		.amdhsa_private_segment_fixed_size 0
		.amdhsa_kernarg_size 304
		.amdhsa_user_sgpr_count 6
		.amdhsa_user_sgpr_private_segment_buffer 1
		.amdhsa_user_sgpr_dispatch_ptr 0
		.amdhsa_user_sgpr_queue_ptr 0
		.amdhsa_user_sgpr_kernarg_segment_ptr 1
		.amdhsa_user_sgpr_dispatch_id 0
		.amdhsa_user_sgpr_flat_scratch_init 0
		.amdhsa_user_sgpr_kernarg_preload_length 0
		.amdhsa_user_sgpr_kernarg_preload_offset 0
		.amdhsa_user_sgpr_private_segment_size 0
		.amdhsa_uses_dynamic_stack 0
		.amdhsa_system_sgpr_private_segment_wavefront_offset 0
		.amdhsa_system_sgpr_workgroup_id_x 1
		.amdhsa_system_sgpr_workgroup_id_y 0
		.amdhsa_system_sgpr_workgroup_id_z 0
		.amdhsa_system_sgpr_workgroup_info 0
		.amdhsa_system_vgpr_workitem_id 1
		.amdhsa_next_free_vgpr 22
		.amdhsa_next_free_sgpr 40
		.amdhsa_accum_offset 24
		.amdhsa_reserve_vcc 1
		.amdhsa_reserve_flat_scratch 0
		.amdhsa_float_round_mode_32 0
		.amdhsa_float_round_mode_16_64 0
		.amdhsa_float_denorm_mode_32 3
		.amdhsa_float_denorm_mode_16_64 3
		.amdhsa_dx10_clamp 1
		.amdhsa_ieee_mode 1
		.amdhsa_fp16_overflow 0
		.amdhsa_tg_split 0
		.amdhsa_exception_fp_ieee_invalid_op 0
		.amdhsa_exception_fp_denorm_src 0
		.amdhsa_exception_fp_ieee_div_zero 0
		.amdhsa_exception_fp_ieee_overflow 0
		.amdhsa_exception_fp_ieee_underflow 0
		.amdhsa_exception_fp_ieee_inexact 0
		.amdhsa_exception_int_div_zero 0
	.end_amdhsa_kernel
	.section	.text._ZN12_GLOBAL__N_120softmax_warp_forwardIdddLi2ELb0ELb0ELi64EEEvPT0_PKT_iiiPKbib,"axG",@progbits,_ZN12_GLOBAL__N_120softmax_warp_forwardIdddLi2ELb0ELb0ELi64EEEvPT0_PKT_iiiPKbib,comdat
.Lfunc_end358:
	.size	_ZN12_GLOBAL__N_120softmax_warp_forwardIdddLi2ELb0ELb0ELi64EEEvPT0_PKT_iiiPKbib, .Lfunc_end358-_ZN12_GLOBAL__N_120softmax_warp_forwardIdddLi2ELb0ELb0ELi64EEEvPT0_PKT_iiiPKbib
                                        ; -- End function
	.section	.AMDGPU.csdata,"",@progbits
; Kernel info:
; codeLenInByte = 1464
; NumSgprs: 44
; NumVgprs: 22
; NumAgprs: 0
; TotalNumVgprs: 22
; ScratchSize: 0
; MemoryBound: 0
; FloatMode: 240
; IeeeMode: 1
; LDSByteSize: 0 bytes/workgroup (compile time only)
; SGPRBlocks: 5
; VGPRBlocks: 2
; NumSGPRsForWavesPerEU: 44
; NumVGPRsForWavesPerEU: 22
; AccumOffset: 24
; Occupancy: 8
; WaveLimiterHint : 0
; COMPUTE_PGM_RSRC2:SCRATCH_EN: 0
; COMPUTE_PGM_RSRC2:USER_SGPR: 6
; COMPUTE_PGM_RSRC2:TRAP_HANDLER: 0
; COMPUTE_PGM_RSRC2:TGID_X_EN: 1
; COMPUTE_PGM_RSRC2:TGID_Y_EN: 0
; COMPUTE_PGM_RSRC2:TGID_Z_EN: 0
; COMPUTE_PGM_RSRC2:TIDIG_COMP_CNT: 1
; COMPUTE_PGM_RSRC3_GFX90A:ACCUM_OFFSET: 5
; COMPUTE_PGM_RSRC3_GFX90A:TG_SPLIT: 0
	.section	.text._ZN12_GLOBAL__N_120softmax_warp_forwardIdddLi2ELb0ELb0ELi32EEEvPT0_PKT_iiiPKbib,"axG",@progbits,_ZN12_GLOBAL__N_120softmax_warp_forwardIdddLi2ELb0ELb0ELi32EEEvPT0_PKT_iiiPKbib,comdat
	.globl	_ZN12_GLOBAL__N_120softmax_warp_forwardIdddLi2ELb0ELb0ELi32EEEvPT0_PKT_iiiPKbib ; -- Begin function _ZN12_GLOBAL__N_120softmax_warp_forwardIdddLi2ELb0ELb0ELi32EEEvPT0_PKT_iiiPKbib
	.p2align	8
	.type	_ZN12_GLOBAL__N_120softmax_warp_forwardIdddLi2ELb0ELb0ELi32EEEvPT0_PKT_iiiPKbib,@function
_ZN12_GLOBAL__N_120softmax_warp_forwardIdddLi2ELb0ELb0ELi32EEEvPT0_PKT_iiiPKbib: ; @_ZN12_GLOBAL__N_120softmax_warp_forwardIdddLi2ELb0ELb0ELi32EEEvPT0_PKT_iiiPKbib
; %bb.0:
	s_load_dword s0, s[4:5], 0x3c
	s_load_dwordx8 s[8:15], s[4:5], 0x0
	v_bfe_u32 v1, v0, 10, 10
	v_and_b32_e32 v2, 0x3ff, v0
	s_waitcnt lgkmcnt(0)
	s_lshr_b32 s0, s0, 16
	s_mul_i32 s6, s6, s0
	v_add_lshl_u32 v1, s6, v1, 1
	v_sub_u32_e32 v14, s12, v1
	v_mad_u64_u32 v[0:1], s[0:1], v1, s13, v[2:3]
	v_ashrrev_i32_e32 v1, 31, v0
	v_lshlrev_b64 v[0:1], 3, v[0:1]
	v_mov_b32_e32 v3, s11
	v_add_co_u32_e32 v6, vcc, s10, v0
	v_addc_co_u32_e32 v7, vcc, v3, v1, vcc
	v_cmp_gt_i32_e64 s[0:1], s14, v2
	v_mov_b32_e32 v2, 0
	v_cmp_lt_i32_e32 vcc, 0, v14
	v_mov_b32_e32 v3, 0xfff00000
	s_and_b64 s[4:5], s[0:1], vcc
	v_pk_mov_b32 v[4:5], v[2:3], v[2:3] op_sel:[0,1]
	s_and_saveexec_b64 s[2:3], s[4:5]
	s_cbranch_execz .LBB359_2
; %bb.1:
	global_load_dwordx2 v[4:5], v[6:7], off
.LBB359_2:
	s_or_b64 exec, exec, s[2:3]
	v_cmp_lt_i32_e64 s[2:3], 1, v14
	s_and_b64 s[2:3], s[0:1], s[2:3]
	s_and_saveexec_b64 s[4:5], s[2:3]
	s_cbranch_execz .LBB359_4
; %bb.3:
	s_mov_b32 s15, 0
	s_lshl_b64 s[2:3], s[14:15], 3
	v_mov_b32_e32 v3, s3
	v_add_co_u32_e64 v2, s[2:3], s2, v6
	v_addc_co_u32_e64 v3, s[2:3], v7, v3, s[2:3]
	global_load_dwordx2 v[2:3], v[2:3], off
.LBB359_4:
	s_or_b64 exec, exec, s[4:5]
	v_mbcnt_lo_u32_b32 v6, -1, 0
	v_mbcnt_hi_u32_b32 v10, -1, v6
	v_and_b32_e32 v6, 0x7c, v10
	v_add_u32_e32 v11, 4, v6
	v_xor_b32_e32 v6, 2, v10
	v_cmp_lt_i32_e64 s[2:3], v6, v11
	v_cndmask_b32_e64 v6, v10, v6, s[2:3]
	v_lshlrev_b32_e32 v15, 2, v6
	s_waitcnt vmcnt(0)
	ds_bpermute_b32 v6, v15, v4
	ds_bpermute_b32 v7, v15, v5
	;; [unrolled: 1-line block ×4, first 2 shown]
	v_xor_b32_e32 v12, 1, v10
	v_cmp_lt_i32_e64 s[4:5], v12, v11
	s_waitcnt lgkmcnt(2)
	v_cmp_lt_f64_e64 s[2:3], v[4:5], v[6:7]
	v_cndmask_b32_e64 v10, v10, v12, s[4:5]
	v_cndmask_b32_e64 v7, v5, v7, s[2:3]
	;; [unrolled: 1-line block ×3, first 2 shown]
	v_lshlrev_b32_e32 v18, 2, v10
	ds_bpermute_b32 v10, v18, v6
	ds_bpermute_b32 v11, v18, v7
	s_waitcnt lgkmcnt(2)
	v_cmp_lt_f64_e64 s[2:3], v[2:3], v[8:9]
	v_cndmask_b32_e64 v9, v3, v9, s[2:3]
	v_cndmask_b32_e64 v8, v2, v8, s[2:3]
	ds_bpermute_b32 v12, v18, v8
	ds_bpermute_b32 v13, v18, v9
	s_waitcnt lgkmcnt(2)
	v_cmp_lt_f64_e64 s[2:3], v[6:7], v[10:11]
	v_cndmask_b32_e64 v7, v7, v11, s[2:3]
	v_cndmask_b32_e64 v6, v6, v10, s[2:3]
	s_mov_b32 s6, 0x652b82fe
	v_add_f64 v[4:5], v[4:5], -v[6:7]
	s_mov_b32 s7, 0x3ff71547
	s_waitcnt lgkmcnt(0)
	v_cmp_lt_f64_e64 s[2:3], v[8:9], v[12:13]
	v_mul_f64 v[6:7], v[4:5], s[6:7]
	s_mov_b32 s10, 0xfefa39ef
	v_cndmask_b32_e64 v9, v9, v13, s[2:3]
	v_cndmask_b32_e64 v8, v8, v12, s[2:3]
	v_rndne_f64_e32 v[6:7], v[6:7]
	s_mov_b32 s11, 0xbfe62e42
	s_mov_b32 s12, 0x3b39803f
	;; [unrolled: 1-line block ×3, first 2 shown]
	v_fma_f64 v[10:11], s[10:11], v[6:7], v[4:5]
	s_mov_b32 s13, 0xbc7abc9e
	s_mov_b32 s3, 0x3e928af3
	;; [unrolled: 1-line block ×3, first 2 shown]
	v_fmac_f64_e32 v[10:11], s[12:13], v[6:7]
	s_mov_b32 s17, 0x3e5ade15
	v_pk_mov_b32 v[12:13], s[2:3], s[2:3] op_sel:[0,1]
	s_mov_b32 s18, 0x623fde64
	v_fma_f64 v[16:17], s[16:17], v[10:11], v[12:13]
	s_mov_b32 s19, 0x3ec71dee
	s_mov_b32 s20, 0x7c89e6b0
	v_fma_f64 v[16:17], v[10:11], v[16:17], s[18:19]
	s_mov_b32 s21, 0x3efa0199
	;; [unrolled: 3-line block ×8, first 2 shown]
	v_fma_f64 v[16:17], v[10:11], v[16:17], s[34:35]
	v_add_f64 v[2:3], v[2:3], -v[8:9]
	v_fma_f64 v[16:17], v[10:11], v[16:17], 1.0
	v_mul_f64 v[8:9], v[2:3], s[6:7]
	v_fma_f64 v[10:11], v[10:11], v[16:17], 1.0
	v_cvt_i32_f64_e32 v6, v[6:7]
	v_rndne_f64_e32 v[8:9], v[8:9]
	v_ldexp_f64 v[6:7], v[10:11], v6
	v_fma_f64 v[10:11], s[10:11], v[8:9], v[2:3]
	v_fmac_f64_e32 v[10:11], s[12:13], v[8:9]
	v_fmac_f64_e32 v[12:13], s[16:17], v[10:11]
	v_fma_f64 v[12:13], v[10:11], v[12:13], s[18:19]
	v_fma_f64 v[12:13], v[10:11], v[12:13], s[20:21]
	;; [unrolled: 1-line block ×6, first 2 shown]
	s_mov_b32 s36, 0
	s_mov_b32 s38, 0
	v_fma_f64 v[12:13], v[10:11], v[12:13], s[30:31]
	s_mov_b32 s37, 0x40900000
	s_mov_b32 s39, 0xc090cc00
	v_fma_f64 v[12:13], v[10:11], v[12:13], s[34:35]
	v_mov_b32_e32 v16, 0x7ff00000
	v_cmp_nlt_f64_e64 s[2:3], s[36:37], v[4:5]
	v_cmp_ngt_f64_e64 s[4:5], s[38:39], v[4:5]
	v_fma_f64 v[12:13], v[10:11], v[12:13], 1.0
	v_cndmask_b32_e64 v7, v16, v7, s[2:3]
	s_and_b64 s[2:3], s[4:5], s[2:3]
	v_fma_f64 v[10:11], v[10:11], v[12:13], 1.0
	v_cvt_i32_f64_e32 v8, v[8:9]
	v_cndmask_b32_e64 v5, 0, v7, s[4:5]
	v_cndmask_b32_e64 v4, 0, v6, s[2:3]
	v_ldexp_f64 v[8:9], v[10:11], v8
	v_cmp_nlt_f64_e64 s[2:3], s[36:37], v[2:3]
	v_cmp_ngt_f64_e64 s[4:5], s[38:39], v[2:3]
	v_cndmask_b32_e64 v9, v16, v9, s[2:3]
	s_and_b64 s[2:3], s[4:5], s[2:3]
	v_cndmask_b32_e64 v3, 0, v9, s[4:5]
	v_cndmask_b32_e64 v2, 0, v8, s[2:3]
	v_add_f64 v[6:7], v[4:5], 0
	v_add_f64 v[8:9], v[2:3], 0
	ds_bpermute_b32 v10, v15, v6
	ds_bpermute_b32 v11, v15, v7
	;; [unrolled: 1-line block ×4, first 2 shown]
	s_waitcnt lgkmcnt(2)
	v_add_f64 v[10:11], v[6:7], v[10:11]
	s_waitcnt lgkmcnt(0)
	v_add_f64 v[6:7], v[8:9], v[12:13]
	ds_bpermute_b32 v12, v18, v10
	ds_bpermute_b32 v13, v18, v11
	;; [unrolled: 1-line block ×4, first 2 shown]
	s_and_saveexec_b64 s[2:3], vcc
	s_cbranch_execz .LBB359_10
; %bb.5:
	v_mov_b32_e32 v15, s9
	v_add_co_u32_e32 v0, vcc, s8, v0
	v_addc_co_u32_e32 v1, vcc, v15, v1, vcc
	s_and_saveexec_b64 s[2:3], s[0:1]
	s_cbranch_execz .LBB359_7
; %bb.6:
	s_waitcnt lgkmcnt(2)
	v_add_f64 v[10:11], v[10:11], v[12:13]
	v_div_scale_f64 v[12:13], s[4:5], v[10:11], v[10:11], v[4:5]
	v_rcp_f64_e32 v[16:17], v[12:13]
	v_div_scale_f64 v[18:19], vcc, v[4:5], v[10:11], v[4:5]
	v_fma_f64 v[20:21], -v[12:13], v[16:17], 1.0
	v_fmac_f64_e32 v[16:17], v[16:17], v[20:21]
	v_fma_f64 v[20:21], -v[12:13], v[16:17], 1.0
	v_fmac_f64_e32 v[16:17], v[16:17], v[20:21]
	v_mul_f64 v[20:21], v[18:19], v[16:17]
	v_fma_f64 v[12:13], -v[12:13], v[20:21], v[18:19]
	v_div_fmas_f64 v[12:13], v[12:13], v[16:17], v[20:21]
	v_div_fixup_f64 v[4:5], v[12:13], v[10:11], v[4:5]
	v_mov_b32_e32 v12, 0x7ff80000
	v_cmp_neq_f64_e32 vcc, 0, v[10:11]
	v_cndmask_b32_e32 v5, v12, v5, vcc
	v_cndmask_b32_e32 v4, 0, v4, vcc
	global_store_dwordx2 v[0:1], v[4:5], off
.LBB359_7:
	s_or_b64 exec, exec, s[2:3]
	v_cmp_ne_u32_e32 vcc, 1, v14
	s_and_b64 exec, exec, vcc
	s_cbranch_execz .LBB359_10
; %bb.8:
	s_and_b64 exec, exec, s[0:1]
	s_cbranch_execz .LBB359_10
; %bb.9:
	s_waitcnt lgkmcnt(0)
	v_add_f64 v[4:5], v[6:7], v[8:9]
	v_div_scale_f64 v[6:7], s[0:1], v[4:5], v[4:5], v[2:3]
	v_rcp_f64_e32 v[8:9], v[6:7]
	v_div_scale_f64 v[10:11], vcc, v[2:3], v[4:5], v[2:3]
	s_mov_b32 s15, 0
	v_fma_f64 v[12:13], -v[6:7], v[8:9], 1.0
	v_fmac_f64_e32 v[8:9], v[8:9], v[12:13]
	v_fma_f64 v[12:13], -v[6:7], v[8:9], 1.0
	v_fmac_f64_e32 v[8:9], v[8:9], v[12:13]
	v_mul_f64 v[12:13], v[10:11], v[8:9]
	v_fma_f64 v[6:7], -v[6:7], v[12:13], v[10:11]
	v_div_fmas_f64 v[6:7], v[6:7], v[8:9], v[12:13]
	s_lshl_b64 s[0:1], s[14:15], 3
	v_div_fixup_f64 v[2:3], v[6:7], v[4:5], v[2:3]
	v_mov_b32_e32 v6, s1
	v_add_co_u32_e32 v0, vcc, s0, v0
	v_addc_co_u32_e32 v1, vcc, v1, v6, vcc
	v_mov_b32_e32 v6, 0x7ff80000
	v_cmp_neq_f64_e32 vcc, 0, v[4:5]
	v_cndmask_b32_e32 v3, v6, v3, vcc
	v_cndmask_b32_e32 v2, 0, v2, vcc
	global_store_dwordx2 v[0:1], v[2:3], off
.LBB359_10:
	s_endpgm
	.section	.rodata,"a",@progbits
	.p2align	6, 0x0
	.amdhsa_kernel _ZN12_GLOBAL__N_120softmax_warp_forwardIdddLi2ELb0ELb0ELi32EEEvPT0_PKT_iiiPKbib
		.amdhsa_group_segment_fixed_size 0
		.amdhsa_private_segment_fixed_size 0
		.amdhsa_kernarg_size 304
		.amdhsa_user_sgpr_count 6
		.amdhsa_user_sgpr_private_segment_buffer 1
		.amdhsa_user_sgpr_dispatch_ptr 0
		.amdhsa_user_sgpr_queue_ptr 0
		.amdhsa_user_sgpr_kernarg_segment_ptr 1
		.amdhsa_user_sgpr_dispatch_id 0
		.amdhsa_user_sgpr_flat_scratch_init 0
		.amdhsa_user_sgpr_kernarg_preload_length 0
		.amdhsa_user_sgpr_kernarg_preload_offset 0
		.amdhsa_user_sgpr_private_segment_size 0
		.amdhsa_uses_dynamic_stack 0
		.amdhsa_system_sgpr_private_segment_wavefront_offset 0
		.amdhsa_system_sgpr_workgroup_id_x 1
		.amdhsa_system_sgpr_workgroup_id_y 0
		.amdhsa_system_sgpr_workgroup_id_z 0
		.amdhsa_system_sgpr_workgroup_info 0
		.amdhsa_system_vgpr_workitem_id 1
		.amdhsa_next_free_vgpr 22
		.amdhsa_next_free_sgpr 40
		.amdhsa_accum_offset 24
		.amdhsa_reserve_vcc 1
		.amdhsa_reserve_flat_scratch 0
		.amdhsa_float_round_mode_32 0
		.amdhsa_float_round_mode_16_64 0
		.amdhsa_float_denorm_mode_32 3
		.amdhsa_float_denorm_mode_16_64 3
		.amdhsa_dx10_clamp 1
		.amdhsa_ieee_mode 1
		.amdhsa_fp16_overflow 0
		.amdhsa_tg_split 0
		.amdhsa_exception_fp_ieee_invalid_op 0
		.amdhsa_exception_fp_denorm_src 0
		.amdhsa_exception_fp_ieee_div_zero 0
		.amdhsa_exception_fp_ieee_overflow 0
		.amdhsa_exception_fp_ieee_underflow 0
		.amdhsa_exception_fp_ieee_inexact 0
		.amdhsa_exception_int_div_zero 0
	.end_amdhsa_kernel
	.section	.text._ZN12_GLOBAL__N_120softmax_warp_forwardIdddLi2ELb0ELb0ELi32EEEvPT0_PKT_iiiPKbib,"axG",@progbits,_ZN12_GLOBAL__N_120softmax_warp_forwardIdddLi2ELb0ELb0ELi32EEEvPT0_PKT_iiiPKbib,comdat
.Lfunc_end359:
	.size	_ZN12_GLOBAL__N_120softmax_warp_forwardIdddLi2ELb0ELb0ELi32EEEvPT0_PKT_iiiPKbib, .Lfunc_end359-_ZN12_GLOBAL__N_120softmax_warp_forwardIdddLi2ELb0ELb0ELi32EEEvPT0_PKT_iiiPKbib
                                        ; -- End function
	.section	.AMDGPU.csdata,"",@progbits
; Kernel info:
; codeLenInByte = 1464
; NumSgprs: 44
; NumVgprs: 22
; NumAgprs: 0
; TotalNumVgprs: 22
; ScratchSize: 0
; MemoryBound: 0
; FloatMode: 240
; IeeeMode: 1
; LDSByteSize: 0 bytes/workgroup (compile time only)
; SGPRBlocks: 5
; VGPRBlocks: 2
; NumSGPRsForWavesPerEU: 44
; NumVGPRsForWavesPerEU: 22
; AccumOffset: 24
; Occupancy: 8
; WaveLimiterHint : 0
; COMPUTE_PGM_RSRC2:SCRATCH_EN: 0
; COMPUTE_PGM_RSRC2:USER_SGPR: 6
; COMPUTE_PGM_RSRC2:TRAP_HANDLER: 0
; COMPUTE_PGM_RSRC2:TGID_X_EN: 1
; COMPUTE_PGM_RSRC2:TGID_Y_EN: 0
; COMPUTE_PGM_RSRC2:TGID_Z_EN: 0
; COMPUTE_PGM_RSRC2:TIDIG_COMP_CNT: 1
; COMPUTE_PGM_RSRC3_GFX90A:ACCUM_OFFSET: 5
; COMPUTE_PGM_RSRC3_GFX90A:TG_SPLIT: 0
	.section	.text._ZN12_GLOBAL__N_120softmax_warp_forwardIdddLi3ELb0ELb0ELi64EEEvPT0_PKT_iiiPKbib,"axG",@progbits,_ZN12_GLOBAL__N_120softmax_warp_forwardIdddLi3ELb0ELb0ELi64EEEvPT0_PKT_iiiPKbib,comdat
	.globl	_ZN12_GLOBAL__N_120softmax_warp_forwardIdddLi3ELb0ELb0ELi64EEEvPT0_PKT_iiiPKbib ; -- Begin function _ZN12_GLOBAL__N_120softmax_warp_forwardIdddLi3ELb0ELb0ELi64EEEvPT0_PKT_iiiPKbib
	.p2align	8
	.type	_ZN12_GLOBAL__N_120softmax_warp_forwardIdddLi3ELb0ELb0ELi64EEEvPT0_PKT_iiiPKbib,@function
_ZN12_GLOBAL__N_120softmax_warp_forwardIdddLi3ELb0ELb0ELi64EEEvPT0_PKT_iiiPKbib: ; @_ZN12_GLOBAL__N_120softmax_warp_forwardIdddLi3ELb0ELb0ELi64EEEvPT0_PKT_iiiPKbib
; %bb.0:
	s_load_dword s0, s[4:5], 0x3c
	s_load_dwordx8 s[8:15], s[4:5], 0x0
	v_bfe_u32 v1, v0, 10, 10
	v_and_b32_e32 v2, 0x3ff, v0
	s_waitcnt lgkmcnt(0)
	s_lshr_b32 s0, s0, 16
	s_mul_i32 s6, s6, s0
	v_add_lshl_u32 v1, s6, v1, 1
	v_sub_u32_e32 v14, s12, v1
	v_mad_u64_u32 v[0:1], s[0:1], v1, s13, v[2:3]
	v_ashrrev_i32_e32 v1, 31, v0
	v_lshlrev_b64 v[0:1], 3, v[0:1]
	v_mov_b32_e32 v3, s11
	v_add_co_u32_e32 v6, vcc, s10, v0
	v_addc_co_u32_e32 v7, vcc, v3, v1, vcc
	v_cmp_gt_i32_e64 s[0:1], s14, v2
	v_mov_b32_e32 v2, 0
	v_cmp_lt_i32_e32 vcc, 0, v14
	v_mov_b32_e32 v3, 0xfff00000
	s_and_b64 s[4:5], s[0:1], vcc
	v_pk_mov_b32 v[4:5], v[2:3], v[2:3] op_sel:[0,1]
	s_and_saveexec_b64 s[2:3], s[4:5]
	s_cbranch_execz .LBB360_2
; %bb.1:
	global_load_dwordx2 v[4:5], v[6:7], off
.LBB360_2:
	s_or_b64 exec, exec, s[2:3]
	v_cmp_lt_i32_e64 s[2:3], 1, v14
	s_and_b64 s[2:3], s[0:1], s[2:3]
	s_and_saveexec_b64 s[4:5], s[2:3]
	s_cbranch_execz .LBB360_4
; %bb.3:
	s_mov_b32 s15, 0
	s_lshl_b64 s[2:3], s[14:15], 3
	v_mov_b32_e32 v3, s3
	v_add_co_u32_e64 v2, s[2:3], s2, v6
	v_addc_co_u32_e64 v3, s[2:3], v7, v3, s[2:3]
	global_load_dwordx2 v[2:3], v[2:3], off
.LBB360_4:
	s_or_b64 exec, exec, s[4:5]
	v_mbcnt_lo_u32_b32 v6, -1, 0
	v_mbcnt_hi_u32_b32 v15, -1, v6
	v_and_b32_e32 v6, 0x78, v15
	v_add_u32_e32 v16, 8, v6
	v_xor_b32_e32 v6, 4, v15
	v_cmp_lt_i32_e64 s[2:3], v6, v16
	v_cndmask_b32_e64 v6, v15, v6, s[2:3]
	v_lshlrev_b32_e32 v18, 2, v6
	s_waitcnt vmcnt(0)
	ds_bpermute_b32 v6, v18, v4
	ds_bpermute_b32 v7, v18, v5
	v_xor_b32_e32 v10, 2, v15
	v_cmp_lt_i32_e64 s[4:5], v10, v16
	v_cndmask_b32_e64 v10, v15, v10, s[4:5]
	ds_bpermute_b32 v8, v18, v2
	s_waitcnt lgkmcnt(1)
	v_cmp_lt_f64_e64 s[2:3], v[4:5], v[6:7]
	ds_bpermute_b32 v9, v18, v3
	v_cndmask_b32_e64 v7, v5, v7, s[2:3]
	v_cndmask_b32_e64 v6, v4, v6, s[2:3]
	v_lshlrev_b32_e32 v19, 2, v10
	ds_bpermute_b32 v10, v19, v6
	ds_bpermute_b32 v11, v19, v7
	s_waitcnt lgkmcnt(2)
	v_cmp_lt_f64_e64 s[2:3], v[2:3], v[8:9]
	v_cndmask_b32_e64 v9, v3, v9, s[2:3]
	v_cndmask_b32_e64 v8, v2, v8, s[2:3]
	ds_bpermute_b32 v12, v19, v8
	s_waitcnt lgkmcnt(1)
	v_cmp_lt_f64_e64 s[2:3], v[6:7], v[10:11]
	ds_bpermute_b32 v13, v19, v9
	v_cndmask_b32_e64 v6, v6, v10, s[2:3]
	v_xor_b32_e32 v10, 1, v15
	v_cmp_lt_i32_e64 s[4:5], v10, v16
	v_cndmask_b32_e64 v10, v15, v10, s[4:5]
	v_cndmask_b32_e64 v7, v7, v11, s[2:3]
	v_lshlrev_b32_e32 v15, 2, v10
	ds_bpermute_b32 v10, v15, v6
	ds_bpermute_b32 v11, v15, v7
	s_waitcnt lgkmcnt(2)
	v_cmp_lt_f64_e64 s[2:3], v[8:9], v[12:13]
	v_cndmask_b32_e64 v9, v9, v13, s[2:3]
	v_cndmask_b32_e64 v8, v8, v12, s[2:3]
	ds_bpermute_b32 v12, v15, v8
	ds_bpermute_b32 v13, v15, v9
	s_waitcnt lgkmcnt(2)
	v_cmp_lt_f64_e64 s[2:3], v[6:7], v[10:11]
	v_cndmask_b32_e64 v7, v7, v11, s[2:3]
	v_cndmask_b32_e64 v6, v6, v10, s[2:3]
	s_mov_b32 s6, 0x652b82fe
	v_add_f64 v[4:5], v[4:5], -v[6:7]
	s_mov_b32 s7, 0x3ff71547
	s_waitcnt lgkmcnt(0)
	v_cmp_lt_f64_e64 s[2:3], v[8:9], v[12:13]
	v_mul_f64 v[6:7], v[4:5], s[6:7]
	s_mov_b32 s10, 0xfefa39ef
	v_cndmask_b32_e64 v9, v9, v13, s[2:3]
	v_cndmask_b32_e64 v8, v8, v12, s[2:3]
	v_rndne_f64_e32 v[6:7], v[6:7]
	s_mov_b32 s11, 0xbfe62e42
	s_mov_b32 s12, 0x3b39803f
	s_mov_b32 s2, 0xfca7ab0c
	v_fma_f64 v[10:11], s[10:11], v[6:7], v[4:5]
	s_mov_b32 s13, 0xbc7abc9e
	s_mov_b32 s3, 0x3e928af3
	;; [unrolled: 1-line block ×3, first 2 shown]
	v_fmac_f64_e32 v[10:11], s[12:13], v[6:7]
	s_mov_b32 s17, 0x3e5ade15
	v_pk_mov_b32 v[12:13], s[2:3], s[2:3] op_sel:[0,1]
	s_mov_b32 s18, 0x623fde64
	v_fma_f64 v[16:17], s[16:17], v[10:11], v[12:13]
	s_mov_b32 s19, 0x3ec71dee
	s_mov_b32 s20, 0x7c89e6b0
	v_fma_f64 v[16:17], v[10:11], v[16:17], s[18:19]
	s_mov_b32 s21, 0x3efa0199
	;; [unrolled: 3-line block ×8, first 2 shown]
	v_fma_f64 v[16:17], v[10:11], v[16:17], s[34:35]
	v_add_f64 v[2:3], v[2:3], -v[8:9]
	v_fma_f64 v[16:17], v[10:11], v[16:17], 1.0
	v_mul_f64 v[8:9], v[2:3], s[6:7]
	v_fma_f64 v[10:11], v[10:11], v[16:17], 1.0
	v_cvt_i32_f64_e32 v6, v[6:7]
	v_rndne_f64_e32 v[8:9], v[8:9]
	v_ldexp_f64 v[6:7], v[10:11], v6
	v_fma_f64 v[10:11], s[10:11], v[8:9], v[2:3]
	v_fmac_f64_e32 v[10:11], s[12:13], v[8:9]
	v_fmac_f64_e32 v[12:13], s[16:17], v[10:11]
	v_fma_f64 v[12:13], v[10:11], v[12:13], s[18:19]
	v_fma_f64 v[12:13], v[10:11], v[12:13], s[20:21]
	;; [unrolled: 1-line block ×6, first 2 shown]
	s_mov_b32 s36, 0
	s_mov_b32 s38, 0
	v_fma_f64 v[12:13], v[10:11], v[12:13], s[30:31]
	s_mov_b32 s37, 0x40900000
	s_mov_b32 s39, 0xc090cc00
	v_fma_f64 v[12:13], v[10:11], v[12:13], s[34:35]
	v_mov_b32_e32 v16, 0x7ff00000
	v_cmp_nlt_f64_e64 s[2:3], s[36:37], v[4:5]
	v_cmp_ngt_f64_e64 s[4:5], s[38:39], v[4:5]
	v_fma_f64 v[12:13], v[10:11], v[12:13], 1.0
	v_cndmask_b32_e64 v7, v16, v7, s[2:3]
	s_and_b64 s[2:3], s[4:5], s[2:3]
	v_fma_f64 v[10:11], v[10:11], v[12:13], 1.0
	v_cvt_i32_f64_e32 v8, v[8:9]
	v_cndmask_b32_e64 v5, 0, v7, s[4:5]
	v_cndmask_b32_e64 v4, 0, v6, s[2:3]
	v_ldexp_f64 v[8:9], v[10:11], v8
	v_cmp_nlt_f64_e64 s[2:3], s[36:37], v[2:3]
	v_cmp_ngt_f64_e64 s[4:5], s[38:39], v[2:3]
	v_cndmask_b32_e64 v9, v16, v9, s[2:3]
	s_and_b64 s[2:3], s[4:5], s[2:3]
	v_cndmask_b32_e64 v3, 0, v9, s[4:5]
	v_cndmask_b32_e64 v2, 0, v8, s[2:3]
	v_add_f64 v[6:7], v[4:5], 0
	v_add_f64 v[8:9], v[2:3], 0
	ds_bpermute_b32 v10, v18, v6
	ds_bpermute_b32 v11, v18, v7
	;; [unrolled: 1-line block ×4, first 2 shown]
	s_waitcnt lgkmcnt(2)
	v_add_f64 v[6:7], v[6:7], v[10:11]
	ds_bpermute_b32 v10, v19, v6
	s_waitcnt lgkmcnt(1)
	v_add_f64 v[8:9], v[8:9], v[12:13]
	ds_bpermute_b32 v11, v19, v7
	ds_bpermute_b32 v12, v19, v8
	ds_bpermute_b32 v13, v19, v9
	s_waitcnt lgkmcnt(2)
	v_add_f64 v[10:11], v[6:7], v[10:11]
	s_waitcnt lgkmcnt(0)
	v_add_f64 v[6:7], v[8:9], v[12:13]
	ds_bpermute_b32 v12, v15, v10
	ds_bpermute_b32 v13, v15, v11
	;; [unrolled: 1-line block ×4, first 2 shown]
	s_and_saveexec_b64 s[2:3], vcc
	s_cbranch_execz .LBB360_10
; %bb.5:
	v_mov_b32_e32 v15, s9
	v_add_co_u32_e32 v0, vcc, s8, v0
	v_addc_co_u32_e32 v1, vcc, v15, v1, vcc
	s_and_saveexec_b64 s[2:3], s[0:1]
	s_cbranch_execz .LBB360_7
; %bb.6:
	s_waitcnt lgkmcnt(2)
	v_add_f64 v[10:11], v[10:11], v[12:13]
	v_div_scale_f64 v[12:13], s[4:5], v[10:11], v[10:11], v[4:5]
	v_rcp_f64_e32 v[16:17], v[12:13]
	v_div_scale_f64 v[18:19], vcc, v[4:5], v[10:11], v[4:5]
	v_fma_f64 v[20:21], -v[12:13], v[16:17], 1.0
	v_fmac_f64_e32 v[16:17], v[16:17], v[20:21]
	v_fma_f64 v[20:21], -v[12:13], v[16:17], 1.0
	v_fmac_f64_e32 v[16:17], v[16:17], v[20:21]
	v_mul_f64 v[20:21], v[18:19], v[16:17]
	v_fma_f64 v[12:13], -v[12:13], v[20:21], v[18:19]
	v_div_fmas_f64 v[12:13], v[12:13], v[16:17], v[20:21]
	v_div_fixup_f64 v[4:5], v[12:13], v[10:11], v[4:5]
	v_mov_b32_e32 v12, 0x7ff80000
	v_cmp_neq_f64_e32 vcc, 0, v[10:11]
	v_cndmask_b32_e32 v5, v12, v5, vcc
	v_cndmask_b32_e32 v4, 0, v4, vcc
	global_store_dwordx2 v[0:1], v[4:5], off
.LBB360_7:
	s_or_b64 exec, exec, s[2:3]
	v_cmp_ne_u32_e32 vcc, 1, v14
	s_and_b64 exec, exec, vcc
	s_cbranch_execz .LBB360_10
; %bb.8:
	s_and_b64 exec, exec, s[0:1]
	s_cbranch_execz .LBB360_10
; %bb.9:
	s_waitcnt lgkmcnt(0)
	v_add_f64 v[4:5], v[6:7], v[8:9]
	v_div_scale_f64 v[6:7], s[0:1], v[4:5], v[4:5], v[2:3]
	v_rcp_f64_e32 v[8:9], v[6:7]
	v_div_scale_f64 v[10:11], vcc, v[2:3], v[4:5], v[2:3]
	s_mov_b32 s15, 0
	v_fma_f64 v[12:13], -v[6:7], v[8:9], 1.0
	v_fmac_f64_e32 v[8:9], v[8:9], v[12:13]
	v_fma_f64 v[12:13], -v[6:7], v[8:9], 1.0
	v_fmac_f64_e32 v[8:9], v[8:9], v[12:13]
	v_mul_f64 v[12:13], v[10:11], v[8:9]
	v_fma_f64 v[6:7], -v[6:7], v[12:13], v[10:11]
	v_div_fmas_f64 v[6:7], v[6:7], v[8:9], v[12:13]
	s_lshl_b64 s[0:1], s[14:15], 3
	v_div_fixup_f64 v[2:3], v[6:7], v[4:5], v[2:3]
	v_mov_b32_e32 v6, s1
	v_add_co_u32_e32 v0, vcc, s0, v0
	v_addc_co_u32_e32 v1, vcc, v1, v6, vcc
	v_mov_b32_e32 v6, 0x7ff80000
	v_cmp_neq_f64_e32 vcc, 0, v[4:5]
	v_cndmask_b32_e32 v3, v6, v3, vcc
	v_cndmask_b32_e32 v2, 0, v2, vcc
	global_store_dwordx2 v[0:1], v[2:3], off
.LBB360_10:
	s_endpgm
	.section	.rodata,"a",@progbits
	.p2align	6, 0x0
	.amdhsa_kernel _ZN12_GLOBAL__N_120softmax_warp_forwardIdddLi3ELb0ELb0ELi64EEEvPT0_PKT_iiiPKbib
		.amdhsa_group_segment_fixed_size 0
		.amdhsa_private_segment_fixed_size 0
		.amdhsa_kernarg_size 304
		.amdhsa_user_sgpr_count 6
		.amdhsa_user_sgpr_private_segment_buffer 1
		.amdhsa_user_sgpr_dispatch_ptr 0
		.amdhsa_user_sgpr_queue_ptr 0
		.amdhsa_user_sgpr_kernarg_segment_ptr 1
		.amdhsa_user_sgpr_dispatch_id 0
		.amdhsa_user_sgpr_flat_scratch_init 0
		.amdhsa_user_sgpr_kernarg_preload_length 0
		.amdhsa_user_sgpr_kernarg_preload_offset 0
		.amdhsa_user_sgpr_private_segment_size 0
		.amdhsa_uses_dynamic_stack 0
		.amdhsa_system_sgpr_private_segment_wavefront_offset 0
		.amdhsa_system_sgpr_workgroup_id_x 1
		.amdhsa_system_sgpr_workgroup_id_y 0
		.amdhsa_system_sgpr_workgroup_id_z 0
		.amdhsa_system_sgpr_workgroup_info 0
		.amdhsa_system_vgpr_workitem_id 1
		.amdhsa_next_free_vgpr 22
		.amdhsa_next_free_sgpr 40
		.amdhsa_accum_offset 24
		.amdhsa_reserve_vcc 1
		.amdhsa_reserve_flat_scratch 0
		.amdhsa_float_round_mode_32 0
		.amdhsa_float_round_mode_16_64 0
		.amdhsa_float_denorm_mode_32 3
		.amdhsa_float_denorm_mode_16_64 3
		.amdhsa_dx10_clamp 1
		.amdhsa_ieee_mode 1
		.amdhsa_fp16_overflow 0
		.amdhsa_tg_split 0
		.amdhsa_exception_fp_ieee_invalid_op 0
		.amdhsa_exception_fp_denorm_src 0
		.amdhsa_exception_fp_ieee_div_zero 0
		.amdhsa_exception_fp_ieee_overflow 0
		.amdhsa_exception_fp_ieee_underflow 0
		.amdhsa_exception_fp_ieee_inexact 0
		.amdhsa_exception_int_div_zero 0
	.end_amdhsa_kernel
	.section	.text._ZN12_GLOBAL__N_120softmax_warp_forwardIdddLi3ELb0ELb0ELi64EEEvPT0_PKT_iiiPKbib,"axG",@progbits,_ZN12_GLOBAL__N_120softmax_warp_forwardIdddLi3ELb0ELb0ELi64EEEvPT0_PKT_iiiPKbib,comdat
.Lfunc_end360:
	.size	_ZN12_GLOBAL__N_120softmax_warp_forwardIdddLi3ELb0ELb0ELi64EEEvPT0_PKT_iiiPKbib, .Lfunc_end360-_ZN12_GLOBAL__N_120softmax_warp_forwardIdddLi3ELb0ELb0ELi64EEEvPT0_PKT_iiiPKbib
                                        ; -- End function
	.section	.AMDGPU.csdata,"",@progbits
; Kernel info:
; codeLenInByte = 1632
; NumSgprs: 44
; NumVgprs: 22
; NumAgprs: 0
; TotalNumVgprs: 22
; ScratchSize: 0
; MemoryBound: 0
; FloatMode: 240
; IeeeMode: 1
; LDSByteSize: 0 bytes/workgroup (compile time only)
; SGPRBlocks: 5
; VGPRBlocks: 2
; NumSGPRsForWavesPerEU: 44
; NumVGPRsForWavesPerEU: 22
; AccumOffset: 24
; Occupancy: 8
; WaveLimiterHint : 0
; COMPUTE_PGM_RSRC2:SCRATCH_EN: 0
; COMPUTE_PGM_RSRC2:USER_SGPR: 6
; COMPUTE_PGM_RSRC2:TRAP_HANDLER: 0
; COMPUTE_PGM_RSRC2:TGID_X_EN: 1
; COMPUTE_PGM_RSRC2:TGID_Y_EN: 0
; COMPUTE_PGM_RSRC2:TGID_Z_EN: 0
; COMPUTE_PGM_RSRC2:TIDIG_COMP_CNT: 1
; COMPUTE_PGM_RSRC3_GFX90A:ACCUM_OFFSET: 5
; COMPUTE_PGM_RSRC3_GFX90A:TG_SPLIT: 0
	.section	.text._ZN12_GLOBAL__N_120softmax_warp_forwardIdddLi3ELb0ELb0ELi32EEEvPT0_PKT_iiiPKbib,"axG",@progbits,_ZN12_GLOBAL__N_120softmax_warp_forwardIdddLi3ELb0ELb0ELi32EEEvPT0_PKT_iiiPKbib,comdat
	.globl	_ZN12_GLOBAL__N_120softmax_warp_forwardIdddLi3ELb0ELb0ELi32EEEvPT0_PKT_iiiPKbib ; -- Begin function _ZN12_GLOBAL__N_120softmax_warp_forwardIdddLi3ELb0ELb0ELi32EEEvPT0_PKT_iiiPKbib
	.p2align	8
	.type	_ZN12_GLOBAL__N_120softmax_warp_forwardIdddLi3ELb0ELb0ELi32EEEvPT0_PKT_iiiPKbib,@function
_ZN12_GLOBAL__N_120softmax_warp_forwardIdddLi3ELb0ELb0ELi32EEEvPT0_PKT_iiiPKbib: ; @_ZN12_GLOBAL__N_120softmax_warp_forwardIdddLi3ELb0ELb0ELi32EEEvPT0_PKT_iiiPKbib
; %bb.0:
	s_load_dword s0, s[4:5], 0x3c
	s_load_dwordx8 s[8:15], s[4:5], 0x0
	v_bfe_u32 v1, v0, 10, 10
	v_and_b32_e32 v2, 0x3ff, v0
	s_waitcnt lgkmcnt(0)
	s_lshr_b32 s0, s0, 16
	s_mul_i32 s6, s6, s0
	v_add_lshl_u32 v1, s6, v1, 1
	v_sub_u32_e32 v14, s12, v1
	v_mad_u64_u32 v[0:1], s[0:1], v1, s13, v[2:3]
	v_ashrrev_i32_e32 v1, 31, v0
	v_lshlrev_b64 v[0:1], 3, v[0:1]
	v_mov_b32_e32 v3, s11
	v_add_co_u32_e32 v6, vcc, s10, v0
	v_addc_co_u32_e32 v7, vcc, v3, v1, vcc
	v_cmp_gt_i32_e64 s[0:1], s14, v2
	v_mov_b32_e32 v2, 0
	v_cmp_lt_i32_e32 vcc, 0, v14
	v_mov_b32_e32 v3, 0xfff00000
	s_and_b64 s[4:5], s[0:1], vcc
	v_pk_mov_b32 v[4:5], v[2:3], v[2:3] op_sel:[0,1]
	s_and_saveexec_b64 s[2:3], s[4:5]
	s_cbranch_execz .LBB361_2
; %bb.1:
	global_load_dwordx2 v[4:5], v[6:7], off
.LBB361_2:
	s_or_b64 exec, exec, s[2:3]
	v_cmp_lt_i32_e64 s[2:3], 1, v14
	s_and_b64 s[2:3], s[0:1], s[2:3]
	s_and_saveexec_b64 s[4:5], s[2:3]
	s_cbranch_execz .LBB361_4
; %bb.3:
	s_mov_b32 s15, 0
	s_lshl_b64 s[2:3], s[14:15], 3
	v_mov_b32_e32 v3, s3
	v_add_co_u32_e64 v2, s[2:3], s2, v6
	v_addc_co_u32_e64 v3, s[2:3], v7, v3, s[2:3]
	global_load_dwordx2 v[2:3], v[2:3], off
.LBB361_4:
	s_or_b64 exec, exec, s[4:5]
	v_mbcnt_lo_u32_b32 v6, -1, 0
	v_mbcnt_hi_u32_b32 v15, -1, v6
	v_and_b32_e32 v6, 0x78, v15
	v_add_u32_e32 v16, 8, v6
	v_xor_b32_e32 v6, 4, v15
	v_cmp_lt_i32_e64 s[2:3], v6, v16
	v_cndmask_b32_e64 v6, v15, v6, s[2:3]
	v_lshlrev_b32_e32 v18, 2, v6
	s_waitcnt vmcnt(0)
	ds_bpermute_b32 v6, v18, v4
	ds_bpermute_b32 v7, v18, v5
	v_xor_b32_e32 v10, 2, v15
	v_cmp_lt_i32_e64 s[4:5], v10, v16
	v_cndmask_b32_e64 v10, v15, v10, s[4:5]
	ds_bpermute_b32 v8, v18, v2
	s_waitcnt lgkmcnt(1)
	v_cmp_lt_f64_e64 s[2:3], v[4:5], v[6:7]
	ds_bpermute_b32 v9, v18, v3
	v_cndmask_b32_e64 v7, v5, v7, s[2:3]
	v_cndmask_b32_e64 v6, v4, v6, s[2:3]
	v_lshlrev_b32_e32 v19, 2, v10
	ds_bpermute_b32 v10, v19, v6
	ds_bpermute_b32 v11, v19, v7
	s_waitcnt lgkmcnt(2)
	v_cmp_lt_f64_e64 s[2:3], v[2:3], v[8:9]
	v_cndmask_b32_e64 v9, v3, v9, s[2:3]
	v_cndmask_b32_e64 v8, v2, v8, s[2:3]
	ds_bpermute_b32 v12, v19, v8
	s_waitcnt lgkmcnt(1)
	v_cmp_lt_f64_e64 s[2:3], v[6:7], v[10:11]
	ds_bpermute_b32 v13, v19, v9
	v_cndmask_b32_e64 v6, v6, v10, s[2:3]
	v_xor_b32_e32 v10, 1, v15
	v_cmp_lt_i32_e64 s[4:5], v10, v16
	v_cndmask_b32_e64 v10, v15, v10, s[4:5]
	v_cndmask_b32_e64 v7, v7, v11, s[2:3]
	v_lshlrev_b32_e32 v15, 2, v10
	ds_bpermute_b32 v10, v15, v6
	ds_bpermute_b32 v11, v15, v7
	s_waitcnt lgkmcnt(2)
	v_cmp_lt_f64_e64 s[2:3], v[8:9], v[12:13]
	v_cndmask_b32_e64 v9, v9, v13, s[2:3]
	v_cndmask_b32_e64 v8, v8, v12, s[2:3]
	ds_bpermute_b32 v12, v15, v8
	ds_bpermute_b32 v13, v15, v9
	s_waitcnt lgkmcnt(2)
	v_cmp_lt_f64_e64 s[2:3], v[6:7], v[10:11]
	v_cndmask_b32_e64 v7, v7, v11, s[2:3]
	v_cndmask_b32_e64 v6, v6, v10, s[2:3]
	s_mov_b32 s6, 0x652b82fe
	v_add_f64 v[4:5], v[4:5], -v[6:7]
	s_mov_b32 s7, 0x3ff71547
	s_waitcnt lgkmcnt(0)
	v_cmp_lt_f64_e64 s[2:3], v[8:9], v[12:13]
	v_mul_f64 v[6:7], v[4:5], s[6:7]
	s_mov_b32 s10, 0xfefa39ef
	v_cndmask_b32_e64 v9, v9, v13, s[2:3]
	v_cndmask_b32_e64 v8, v8, v12, s[2:3]
	v_rndne_f64_e32 v[6:7], v[6:7]
	s_mov_b32 s11, 0xbfe62e42
	s_mov_b32 s12, 0x3b39803f
	s_mov_b32 s2, 0xfca7ab0c
	v_fma_f64 v[10:11], s[10:11], v[6:7], v[4:5]
	s_mov_b32 s13, 0xbc7abc9e
	s_mov_b32 s3, 0x3e928af3
	;; [unrolled: 1-line block ×3, first 2 shown]
	v_fmac_f64_e32 v[10:11], s[12:13], v[6:7]
	s_mov_b32 s17, 0x3e5ade15
	v_pk_mov_b32 v[12:13], s[2:3], s[2:3] op_sel:[0,1]
	s_mov_b32 s18, 0x623fde64
	v_fma_f64 v[16:17], s[16:17], v[10:11], v[12:13]
	s_mov_b32 s19, 0x3ec71dee
	s_mov_b32 s20, 0x7c89e6b0
	v_fma_f64 v[16:17], v[10:11], v[16:17], s[18:19]
	s_mov_b32 s21, 0x3efa0199
	;; [unrolled: 3-line block ×8, first 2 shown]
	v_fma_f64 v[16:17], v[10:11], v[16:17], s[34:35]
	v_add_f64 v[2:3], v[2:3], -v[8:9]
	v_fma_f64 v[16:17], v[10:11], v[16:17], 1.0
	v_mul_f64 v[8:9], v[2:3], s[6:7]
	v_fma_f64 v[10:11], v[10:11], v[16:17], 1.0
	v_cvt_i32_f64_e32 v6, v[6:7]
	v_rndne_f64_e32 v[8:9], v[8:9]
	v_ldexp_f64 v[6:7], v[10:11], v6
	v_fma_f64 v[10:11], s[10:11], v[8:9], v[2:3]
	v_fmac_f64_e32 v[10:11], s[12:13], v[8:9]
	v_fmac_f64_e32 v[12:13], s[16:17], v[10:11]
	v_fma_f64 v[12:13], v[10:11], v[12:13], s[18:19]
	v_fma_f64 v[12:13], v[10:11], v[12:13], s[20:21]
	;; [unrolled: 1-line block ×6, first 2 shown]
	s_mov_b32 s36, 0
	s_mov_b32 s38, 0
	v_fma_f64 v[12:13], v[10:11], v[12:13], s[30:31]
	s_mov_b32 s37, 0x40900000
	s_mov_b32 s39, 0xc090cc00
	v_fma_f64 v[12:13], v[10:11], v[12:13], s[34:35]
	v_mov_b32_e32 v16, 0x7ff00000
	v_cmp_nlt_f64_e64 s[2:3], s[36:37], v[4:5]
	v_cmp_ngt_f64_e64 s[4:5], s[38:39], v[4:5]
	v_fma_f64 v[12:13], v[10:11], v[12:13], 1.0
	v_cndmask_b32_e64 v7, v16, v7, s[2:3]
	s_and_b64 s[2:3], s[4:5], s[2:3]
	v_fma_f64 v[10:11], v[10:11], v[12:13], 1.0
	v_cvt_i32_f64_e32 v8, v[8:9]
	v_cndmask_b32_e64 v5, 0, v7, s[4:5]
	v_cndmask_b32_e64 v4, 0, v6, s[2:3]
	v_ldexp_f64 v[8:9], v[10:11], v8
	v_cmp_nlt_f64_e64 s[2:3], s[36:37], v[2:3]
	v_cmp_ngt_f64_e64 s[4:5], s[38:39], v[2:3]
	v_cndmask_b32_e64 v9, v16, v9, s[2:3]
	s_and_b64 s[2:3], s[4:5], s[2:3]
	v_cndmask_b32_e64 v3, 0, v9, s[4:5]
	v_cndmask_b32_e64 v2, 0, v8, s[2:3]
	v_add_f64 v[6:7], v[4:5], 0
	v_add_f64 v[8:9], v[2:3], 0
	ds_bpermute_b32 v10, v18, v6
	ds_bpermute_b32 v11, v18, v7
	;; [unrolled: 1-line block ×4, first 2 shown]
	s_waitcnt lgkmcnt(2)
	v_add_f64 v[6:7], v[6:7], v[10:11]
	ds_bpermute_b32 v10, v19, v6
	s_waitcnt lgkmcnt(1)
	v_add_f64 v[8:9], v[8:9], v[12:13]
	ds_bpermute_b32 v11, v19, v7
	ds_bpermute_b32 v12, v19, v8
	;; [unrolled: 1-line block ×3, first 2 shown]
	s_waitcnt lgkmcnt(2)
	v_add_f64 v[10:11], v[6:7], v[10:11]
	s_waitcnt lgkmcnt(0)
	v_add_f64 v[6:7], v[8:9], v[12:13]
	ds_bpermute_b32 v12, v15, v10
	ds_bpermute_b32 v13, v15, v11
	;; [unrolled: 1-line block ×4, first 2 shown]
	s_and_saveexec_b64 s[2:3], vcc
	s_cbranch_execz .LBB361_10
; %bb.5:
	v_mov_b32_e32 v15, s9
	v_add_co_u32_e32 v0, vcc, s8, v0
	v_addc_co_u32_e32 v1, vcc, v15, v1, vcc
	s_and_saveexec_b64 s[2:3], s[0:1]
	s_cbranch_execz .LBB361_7
; %bb.6:
	s_waitcnt lgkmcnt(2)
	v_add_f64 v[10:11], v[10:11], v[12:13]
	v_div_scale_f64 v[12:13], s[4:5], v[10:11], v[10:11], v[4:5]
	v_rcp_f64_e32 v[16:17], v[12:13]
	v_div_scale_f64 v[18:19], vcc, v[4:5], v[10:11], v[4:5]
	v_fma_f64 v[20:21], -v[12:13], v[16:17], 1.0
	v_fmac_f64_e32 v[16:17], v[16:17], v[20:21]
	v_fma_f64 v[20:21], -v[12:13], v[16:17], 1.0
	v_fmac_f64_e32 v[16:17], v[16:17], v[20:21]
	v_mul_f64 v[20:21], v[18:19], v[16:17]
	v_fma_f64 v[12:13], -v[12:13], v[20:21], v[18:19]
	v_div_fmas_f64 v[12:13], v[12:13], v[16:17], v[20:21]
	v_div_fixup_f64 v[4:5], v[12:13], v[10:11], v[4:5]
	v_mov_b32_e32 v12, 0x7ff80000
	v_cmp_neq_f64_e32 vcc, 0, v[10:11]
	v_cndmask_b32_e32 v5, v12, v5, vcc
	v_cndmask_b32_e32 v4, 0, v4, vcc
	global_store_dwordx2 v[0:1], v[4:5], off
.LBB361_7:
	s_or_b64 exec, exec, s[2:3]
	v_cmp_ne_u32_e32 vcc, 1, v14
	s_and_b64 exec, exec, vcc
	s_cbranch_execz .LBB361_10
; %bb.8:
	s_and_b64 exec, exec, s[0:1]
	s_cbranch_execz .LBB361_10
; %bb.9:
	s_waitcnt lgkmcnt(0)
	v_add_f64 v[4:5], v[6:7], v[8:9]
	v_div_scale_f64 v[6:7], s[0:1], v[4:5], v[4:5], v[2:3]
	v_rcp_f64_e32 v[8:9], v[6:7]
	v_div_scale_f64 v[10:11], vcc, v[2:3], v[4:5], v[2:3]
	s_mov_b32 s15, 0
	v_fma_f64 v[12:13], -v[6:7], v[8:9], 1.0
	v_fmac_f64_e32 v[8:9], v[8:9], v[12:13]
	v_fma_f64 v[12:13], -v[6:7], v[8:9], 1.0
	v_fmac_f64_e32 v[8:9], v[8:9], v[12:13]
	v_mul_f64 v[12:13], v[10:11], v[8:9]
	v_fma_f64 v[6:7], -v[6:7], v[12:13], v[10:11]
	v_div_fmas_f64 v[6:7], v[6:7], v[8:9], v[12:13]
	s_lshl_b64 s[0:1], s[14:15], 3
	v_div_fixup_f64 v[2:3], v[6:7], v[4:5], v[2:3]
	v_mov_b32_e32 v6, s1
	v_add_co_u32_e32 v0, vcc, s0, v0
	v_addc_co_u32_e32 v1, vcc, v1, v6, vcc
	v_mov_b32_e32 v6, 0x7ff80000
	v_cmp_neq_f64_e32 vcc, 0, v[4:5]
	v_cndmask_b32_e32 v3, v6, v3, vcc
	v_cndmask_b32_e32 v2, 0, v2, vcc
	global_store_dwordx2 v[0:1], v[2:3], off
.LBB361_10:
	s_endpgm
	.section	.rodata,"a",@progbits
	.p2align	6, 0x0
	.amdhsa_kernel _ZN12_GLOBAL__N_120softmax_warp_forwardIdddLi3ELb0ELb0ELi32EEEvPT0_PKT_iiiPKbib
		.amdhsa_group_segment_fixed_size 0
		.amdhsa_private_segment_fixed_size 0
		.amdhsa_kernarg_size 304
		.amdhsa_user_sgpr_count 6
		.amdhsa_user_sgpr_private_segment_buffer 1
		.amdhsa_user_sgpr_dispatch_ptr 0
		.amdhsa_user_sgpr_queue_ptr 0
		.amdhsa_user_sgpr_kernarg_segment_ptr 1
		.amdhsa_user_sgpr_dispatch_id 0
		.amdhsa_user_sgpr_flat_scratch_init 0
		.amdhsa_user_sgpr_kernarg_preload_length 0
		.amdhsa_user_sgpr_kernarg_preload_offset 0
		.amdhsa_user_sgpr_private_segment_size 0
		.amdhsa_uses_dynamic_stack 0
		.amdhsa_system_sgpr_private_segment_wavefront_offset 0
		.amdhsa_system_sgpr_workgroup_id_x 1
		.amdhsa_system_sgpr_workgroup_id_y 0
		.amdhsa_system_sgpr_workgroup_id_z 0
		.amdhsa_system_sgpr_workgroup_info 0
		.amdhsa_system_vgpr_workitem_id 1
		.amdhsa_next_free_vgpr 22
		.amdhsa_next_free_sgpr 40
		.amdhsa_accum_offset 24
		.amdhsa_reserve_vcc 1
		.amdhsa_reserve_flat_scratch 0
		.amdhsa_float_round_mode_32 0
		.amdhsa_float_round_mode_16_64 0
		.amdhsa_float_denorm_mode_32 3
		.amdhsa_float_denorm_mode_16_64 3
		.amdhsa_dx10_clamp 1
		.amdhsa_ieee_mode 1
		.amdhsa_fp16_overflow 0
		.amdhsa_tg_split 0
		.amdhsa_exception_fp_ieee_invalid_op 0
		.amdhsa_exception_fp_denorm_src 0
		.amdhsa_exception_fp_ieee_div_zero 0
		.amdhsa_exception_fp_ieee_overflow 0
		.amdhsa_exception_fp_ieee_underflow 0
		.amdhsa_exception_fp_ieee_inexact 0
		.amdhsa_exception_int_div_zero 0
	.end_amdhsa_kernel
	.section	.text._ZN12_GLOBAL__N_120softmax_warp_forwardIdddLi3ELb0ELb0ELi32EEEvPT0_PKT_iiiPKbib,"axG",@progbits,_ZN12_GLOBAL__N_120softmax_warp_forwardIdddLi3ELb0ELb0ELi32EEEvPT0_PKT_iiiPKbib,comdat
.Lfunc_end361:
	.size	_ZN12_GLOBAL__N_120softmax_warp_forwardIdddLi3ELb0ELb0ELi32EEEvPT0_PKT_iiiPKbib, .Lfunc_end361-_ZN12_GLOBAL__N_120softmax_warp_forwardIdddLi3ELb0ELb0ELi32EEEvPT0_PKT_iiiPKbib
                                        ; -- End function
	.section	.AMDGPU.csdata,"",@progbits
; Kernel info:
; codeLenInByte = 1632
; NumSgprs: 44
; NumVgprs: 22
; NumAgprs: 0
; TotalNumVgprs: 22
; ScratchSize: 0
; MemoryBound: 0
; FloatMode: 240
; IeeeMode: 1
; LDSByteSize: 0 bytes/workgroup (compile time only)
; SGPRBlocks: 5
; VGPRBlocks: 2
; NumSGPRsForWavesPerEU: 44
; NumVGPRsForWavesPerEU: 22
; AccumOffset: 24
; Occupancy: 8
; WaveLimiterHint : 0
; COMPUTE_PGM_RSRC2:SCRATCH_EN: 0
; COMPUTE_PGM_RSRC2:USER_SGPR: 6
; COMPUTE_PGM_RSRC2:TRAP_HANDLER: 0
; COMPUTE_PGM_RSRC2:TGID_X_EN: 1
; COMPUTE_PGM_RSRC2:TGID_Y_EN: 0
; COMPUTE_PGM_RSRC2:TGID_Z_EN: 0
; COMPUTE_PGM_RSRC2:TIDIG_COMP_CNT: 1
; COMPUTE_PGM_RSRC3_GFX90A:ACCUM_OFFSET: 5
; COMPUTE_PGM_RSRC3_GFX90A:TG_SPLIT: 0
	.section	.text._ZN12_GLOBAL__N_120softmax_warp_forwardIdddLi4ELb0ELb0ELi64EEEvPT0_PKT_iiiPKbib,"axG",@progbits,_ZN12_GLOBAL__N_120softmax_warp_forwardIdddLi4ELb0ELb0ELi64EEEvPT0_PKT_iiiPKbib,comdat
	.globl	_ZN12_GLOBAL__N_120softmax_warp_forwardIdddLi4ELb0ELb0ELi64EEEvPT0_PKT_iiiPKbib ; -- Begin function _ZN12_GLOBAL__N_120softmax_warp_forwardIdddLi4ELb0ELb0ELi64EEEvPT0_PKT_iiiPKbib
	.p2align	8
	.type	_ZN12_GLOBAL__N_120softmax_warp_forwardIdddLi4ELb0ELb0ELi64EEEvPT0_PKT_iiiPKbib,@function
_ZN12_GLOBAL__N_120softmax_warp_forwardIdddLi4ELb0ELb0ELi64EEEvPT0_PKT_iiiPKbib: ; @_ZN12_GLOBAL__N_120softmax_warp_forwardIdddLi4ELb0ELb0ELi64EEEvPT0_PKT_iiiPKbib
; %bb.0:
	s_load_dword s0, s[4:5], 0x3c
	s_load_dwordx8 s[8:15], s[4:5], 0x0
	v_bfe_u32 v1, v0, 10, 10
	v_and_b32_e32 v2, 0x3ff, v0
	s_waitcnt lgkmcnt(0)
	s_lshr_b32 s0, s0, 16
	s_mul_i32 s6, s6, s0
	v_add_lshl_u32 v1, s6, v1, 1
	v_sub_u32_e32 v14, s12, v1
	v_mad_u64_u32 v[0:1], s[0:1], v1, s13, v[2:3]
	v_ashrrev_i32_e32 v1, 31, v0
	v_lshlrev_b64 v[0:1], 3, v[0:1]
	v_mov_b32_e32 v3, s11
	v_add_co_u32_e32 v6, vcc, s10, v0
	v_addc_co_u32_e32 v7, vcc, v3, v1, vcc
	v_cmp_gt_i32_e64 s[0:1], s14, v2
	v_mov_b32_e32 v2, 0
	v_cmp_lt_i32_e32 vcc, 0, v14
	v_mov_b32_e32 v3, 0xfff00000
	s_and_b64 s[4:5], s[0:1], vcc
	v_pk_mov_b32 v[4:5], v[2:3], v[2:3] op_sel:[0,1]
	s_and_saveexec_b64 s[2:3], s[4:5]
	s_cbranch_execz .LBB362_2
; %bb.1:
	global_load_dwordx2 v[4:5], v[6:7], off
.LBB362_2:
	s_or_b64 exec, exec, s[2:3]
	v_cmp_lt_i32_e64 s[2:3], 1, v14
	s_and_b64 s[2:3], s[0:1], s[2:3]
	s_and_saveexec_b64 s[4:5], s[2:3]
	s_cbranch_execz .LBB362_4
; %bb.3:
	s_mov_b32 s15, 0
	s_lshl_b64 s[2:3], s[14:15], 3
	v_mov_b32_e32 v3, s3
	v_add_co_u32_e64 v2, s[2:3], s2, v6
	v_addc_co_u32_e64 v3, s[2:3], v7, v3, s[2:3]
	global_load_dwordx2 v[2:3], v[2:3], off
.LBB362_4:
	s_or_b64 exec, exec, s[4:5]
	v_mbcnt_lo_u32_b32 v6, -1, 0
	v_mbcnt_hi_u32_b32 v15, -1, v6
	v_and_b32_e32 v6, 0x70, v15
	v_add_u32_e32 v16, 16, v6
	v_xor_b32_e32 v6, 8, v15
	v_cmp_lt_i32_e64 s[2:3], v6, v16
	v_cndmask_b32_e64 v6, v15, v6, s[2:3]
	v_lshlrev_b32_e32 v18, 2, v6
	s_waitcnt vmcnt(0)
	ds_bpermute_b32 v6, v18, v4
	ds_bpermute_b32 v7, v18, v5
	v_xor_b32_e32 v10, 4, v15
	v_cmp_lt_i32_e64 s[4:5], v10, v16
	v_cndmask_b32_e64 v10, v15, v10, s[4:5]
	ds_bpermute_b32 v8, v18, v2
	s_waitcnt lgkmcnt(1)
	v_cmp_lt_f64_e64 s[2:3], v[4:5], v[6:7]
	ds_bpermute_b32 v9, v18, v3
	v_cndmask_b32_e64 v7, v5, v7, s[2:3]
	v_cndmask_b32_e64 v6, v4, v6, s[2:3]
	v_lshlrev_b32_e32 v19, 2, v10
	ds_bpermute_b32 v10, v19, v6
	ds_bpermute_b32 v11, v19, v7
	s_waitcnt lgkmcnt(2)
	v_cmp_lt_f64_e64 s[2:3], v[2:3], v[8:9]
	v_cndmask_b32_e64 v9, v3, v9, s[2:3]
	v_cndmask_b32_e64 v8, v2, v8, s[2:3]
	ds_bpermute_b32 v12, v19, v8
	s_waitcnt lgkmcnt(1)
	v_cmp_lt_f64_e64 s[2:3], v[6:7], v[10:11]
	v_cndmask_b32_e64 v6, v6, v10, s[2:3]
	v_xor_b32_e32 v10, 2, v15
	v_cmp_lt_i32_e64 s[4:5], v10, v16
	v_cndmask_b32_e64 v10, v15, v10, s[4:5]
	ds_bpermute_b32 v13, v19, v9
	v_cndmask_b32_e64 v7, v7, v11, s[2:3]
	v_lshlrev_b32_e32 v20, 2, v10
	ds_bpermute_b32 v10, v20, v6
	ds_bpermute_b32 v11, v20, v7
	s_waitcnt lgkmcnt(2)
	v_cmp_lt_f64_e64 s[2:3], v[8:9], v[12:13]
	v_cndmask_b32_e64 v9, v9, v13, s[2:3]
	v_cndmask_b32_e64 v8, v8, v12, s[2:3]
	ds_bpermute_b32 v12, v20, v8
	s_waitcnt lgkmcnt(1)
	v_cmp_lt_f64_e64 s[2:3], v[6:7], v[10:11]
	ds_bpermute_b32 v13, v20, v9
	v_cndmask_b32_e64 v6, v6, v10, s[2:3]
	v_xor_b32_e32 v10, 1, v15
	v_cmp_lt_i32_e64 s[4:5], v10, v16
	v_cndmask_b32_e64 v10, v15, v10, s[4:5]
	v_cndmask_b32_e64 v7, v7, v11, s[2:3]
	v_lshlrev_b32_e32 v15, 2, v10
	ds_bpermute_b32 v10, v15, v6
	ds_bpermute_b32 v11, v15, v7
	s_waitcnt lgkmcnt(2)
	v_cmp_lt_f64_e64 s[2:3], v[8:9], v[12:13]
	v_cndmask_b32_e64 v9, v9, v13, s[2:3]
	v_cndmask_b32_e64 v8, v8, v12, s[2:3]
	ds_bpermute_b32 v12, v15, v8
	ds_bpermute_b32 v13, v15, v9
	s_waitcnt lgkmcnt(2)
	v_cmp_lt_f64_e64 s[2:3], v[6:7], v[10:11]
	v_cndmask_b32_e64 v7, v7, v11, s[2:3]
	v_cndmask_b32_e64 v6, v6, v10, s[2:3]
	s_mov_b32 s6, 0x652b82fe
	v_add_f64 v[4:5], v[4:5], -v[6:7]
	s_mov_b32 s7, 0x3ff71547
	s_waitcnt lgkmcnt(0)
	v_cmp_lt_f64_e64 s[2:3], v[8:9], v[12:13]
	v_mul_f64 v[6:7], v[4:5], s[6:7]
	s_mov_b32 s10, 0xfefa39ef
	v_cndmask_b32_e64 v9, v9, v13, s[2:3]
	v_cndmask_b32_e64 v8, v8, v12, s[2:3]
	v_rndne_f64_e32 v[6:7], v[6:7]
	s_mov_b32 s11, 0xbfe62e42
	s_mov_b32 s12, 0x3b39803f
	;; [unrolled: 1-line block ×3, first 2 shown]
	v_fma_f64 v[10:11], s[10:11], v[6:7], v[4:5]
	s_mov_b32 s13, 0xbc7abc9e
	s_mov_b32 s3, 0x3e928af3
	;; [unrolled: 1-line block ×3, first 2 shown]
	v_fmac_f64_e32 v[10:11], s[12:13], v[6:7]
	s_mov_b32 s17, 0x3e5ade15
	v_pk_mov_b32 v[12:13], s[2:3], s[2:3] op_sel:[0,1]
	s_mov_b32 s18, 0x623fde64
	v_fma_f64 v[16:17], s[16:17], v[10:11], v[12:13]
	s_mov_b32 s19, 0x3ec71dee
	s_mov_b32 s20, 0x7c89e6b0
	v_fma_f64 v[16:17], v[10:11], v[16:17], s[18:19]
	s_mov_b32 s21, 0x3efa0199
	;; [unrolled: 3-line block ×8, first 2 shown]
	v_fma_f64 v[16:17], v[10:11], v[16:17], s[34:35]
	v_add_f64 v[2:3], v[2:3], -v[8:9]
	v_fma_f64 v[16:17], v[10:11], v[16:17], 1.0
	v_mul_f64 v[8:9], v[2:3], s[6:7]
	v_fma_f64 v[10:11], v[10:11], v[16:17], 1.0
	v_cvt_i32_f64_e32 v6, v[6:7]
	v_rndne_f64_e32 v[8:9], v[8:9]
	v_ldexp_f64 v[6:7], v[10:11], v6
	v_fma_f64 v[10:11], s[10:11], v[8:9], v[2:3]
	v_fmac_f64_e32 v[10:11], s[12:13], v[8:9]
	v_fmac_f64_e32 v[12:13], s[16:17], v[10:11]
	v_fma_f64 v[12:13], v[10:11], v[12:13], s[18:19]
	v_fma_f64 v[12:13], v[10:11], v[12:13], s[20:21]
	v_fma_f64 v[12:13], v[10:11], v[12:13], s[22:23]
	v_fma_f64 v[12:13], v[10:11], v[12:13], s[24:25]
	v_fma_f64 v[12:13], v[10:11], v[12:13], s[26:27]
	v_fma_f64 v[12:13], v[10:11], v[12:13], s[28:29]
	s_mov_b32 s36, 0
	s_mov_b32 s38, 0
	v_fma_f64 v[12:13], v[10:11], v[12:13], s[30:31]
	s_mov_b32 s37, 0x40900000
	s_mov_b32 s39, 0xc090cc00
	v_fma_f64 v[12:13], v[10:11], v[12:13], s[34:35]
	v_mov_b32_e32 v16, 0x7ff00000
	v_cmp_nlt_f64_e64 s[2:3], s[36:37], v[4:5]
	v_cmp_ngt_f64_e64 s[4:5], s[38:39], v[4:5]
	v_fma_f64 v[12:13], v[10:11], v[12:13], 1.0
	v_cndmask_b32_e64 v7, v16, v7, s[2:3]
	s_and_b64 s[2:3], s[4:5], s[2:3]
	v_fma_f64 v[10:11], v[10:11], v[12:13], 1.0
	v_cvt_i32_f64_e32 v8, v[8:9]
	v_cndmask_b32_e64 v5, 0, v7, s[4:5]
	v_cndmask_b32_e64 v4, 0, v6, s[2:3]
	v_ldexp_f64 v[8:9], v[10:11], v8
	v_cmp_nlt_f64_e64 s[2:3], s[36:37], v[2:3]
	v_cmp_ngt_f64_e64 s[4:5], s[38:39], v[2:3]
	v_cndmask_b32_e64 v9, v16, v9, s[2:3]
	s_and_b64 s[2:3], s[4:5], s[2:3]
	v_cndmask_b32_e64 v3, 0, v9, s[4:5]
	v_cndmask_b32_e64 v2, 0, v8, s[2:3]
	v_add_f64 v[6:7], v[4:5], 0
	v_add_f64 v[8:9], v[2:3], 0
	ds_bpermute_b32 v10, v18, v6
	ds_bpermute_b32 v11, v18, v7
	;; [unrolled: 1-line block ×4, first 2 shown]
	s_waitcnt lgkmcnt(2)
	v_add_f64 v[6:7], v[6:7], v[10:11]
	ds_bpermute_b32 v10, v19, v6
	s_waitcnt lgkmcnt(1)
	v_add_f64 v[8:9], v[8:9], v[12:13]
	ds_bpermute_b32 v11, v19, v7
	ds_bpermute_b32 v12, v19, v8
	;; [unrolled: 1-line block ×3, first 2 shown]
	s_waitcnt lgkmcnt(2)
	v_add_f64 v[6:7], v[6:7], v[10:11]
	ds_bpermute_b32 v10, v20, v6
	s_waitcnt lgkmcnt(1)
	v_add_f64 v[8:9], v[8:9], v[12:13]
	ds_bpermute_b32 v11, v20, v7
	ds_bpermute_b32 v12, v20, v8
	;; [unrolled: 1-line block ×3, first 2 shown]
	s_waitcnt lgkmcnt(2)
	v_add_f64 v[10:11], v[6:7], v[10:11]
	s_waitcnt lgkmcnt(0)
	v_add_f64 v[6:7], v[8:9], v[12:13]
	ds_bpermute_b32 v12, v15, v10
	ds_bpermute_b32 v13, v15, v11
	;; [unrolled: 1-line block ×4, first 2 shown]
	s_and_saveexec_b64 s[2:3], vcc
	s_cbranch_execz .LBB362_10
; %bb.5:
	v_mov_b32_e32 v15, s9
	v_add_co_u32_e32 v0, vcc, s8, v0
	v_addc_co_u32_e32 v1, vcc, v15, v1, vcc
	s_and_saveexec_b64 s[2:3], s[0:1]
	s_cbranch_execz .LBB362_7
; %bb.6:
	s_waitcnt lgkmcnt(2)
	v_add_f64 v[10:11], v[10:11], v[12:13]
	v_div_scale_f64 v[12:13], s[4:5], v[10:11], v[10:11], v[4:5]
	v_rcp_f64_e32 v[16:17], v[12:13]
	v_div_scale_f64 v[18:19], vcc, v[4:5], v[10:11], v[4:5]
	v_fma_f64 v[20:21], -v[12:13], v[16:17], 1.0
	v_fmac_f64_e32 v[16:17], v[16:17], v[20:21]
	v_fma_f64 v[20:21], -v[12:13], v[16:17], 1.0
	v_fmac_f64_e32 v[16:17], v[16:17], v[20:21]
	v_mul_f64 v[20:21], v[18:19], v[16:17]
	v_fma_f64 v[12:13], -v[12:13], v[20:21], v[18:19]
	v_div_fmas_f64 v[12:13], v[12:13], v[16:17], v[20:21]
	v_div_fixup_f64 v[4:5], v[12:13], v[10:11], v[4:5]
	v_mov_b32_e32 v12, 0x7ff80000
	v_cmp_neq_f64_e32 vcc, 0, v[10:11]
	v_cndmask_b32_e32 v5, v12, v5, vcc
	v_cndmask_b32_e32 v4, 0, v4, vcc
	global_store_dwordx2 v[0:1], v[4:5], off
.LBB362_7:
	s_or_b64 exec, exec, s[2:3]
	v_cmp_ne_u32_e32 vcc, 1, v14
	s_and_b64 exec, exec, vcc
	s_cbranch_execz .LBB362_10
; %bb.8:
	s_and_b64 exec, exec, s[0:1]
	s_cbranch_execz .LBB362_10
; %bb.9:
	s_waitcnt lgkmcnt(0)
	v_add_f64 v[4:5], v[6:7], v[8:9]
	v_div_scale_f64 v[6:7], s[0:1], v[4:5], v[4:5], v[2:3]
	v_rcp_f64_e32 v[8:9], v[6:7]
	v_div_scale_f64 v[10:11], vcc, v[2:3], v[4:5], v[2:3]
	s_mov_b32 s15, 0
	v_fma_f64 v[12:13], -v[6:7], v[8:9], 1.0
	v_fmac_f64_e32 v[8:9], v[8:9], v[12:13]
	v_fma_f64 v[12:13], -v[6:7], v[8:9], 1.0
	v_fmac_f64_e32 v[8:9], v[8:9], v[12:13]
	v_mul_f64 v[12:13], v[10:11], v[8:9]
	v_fma_f64 v[6:7], -v[6:7], v[12:13], v[10:11]
	v_div_fmas_f64 v[6:7], v[6:7], v[8:9], v[12:13]
	s_lshl_b64 s[0:1], s[14:15], 3
	v_div_fixup_f64 v[2:3], v[6:7], v[4:5], v[2:3]
	v_mov_b32_e32 v6, s1
	v_add_co_u32_e32 v0, vcc, s0, v0
	v_addc_co_u32_e32 v1, vcc, v1, v6, vcc
	v_mov_b32_e32 v6, 0x7ff80000
	v_cmp_neq_f64_e32 vcc, 0, v[4:5]
	v_cndmask_b32_e32 v3, v6, v3, vcc
	v_cndmask_b32_e32 v2, 0, v2, vcc
	global_store_dwordx2 v[0:1], v[2:3], off
.LBB362_10:
	s_endpgm
	.section	.rodata,"a",@progbits
	.p2align	6, 0x0
	.amdhsa_kernel _ZN12_GLOBAL__N_120softmax_warp_forwardIdddLi4ELb0ELb0ELi64EEEvPT0_PKT_iiiPKbib
		.amdhsa_group_segment_fixed_size 0
		.amdhsa_private_segment_fixed_size 0
		.amdhsa_kernarg_size 304
		.amdhsa_user_sgpr_count 6
		.amdhsa_user_sgpr_private_segment_buffer 1
		.amdhsa_user_sgpr_dispatch_ptr 0
		.amdhsa_user_sgpr_queue_ptr 0
		.amdhsa_user_sgpr_kernarg_segment_ptr 1
		.amdhsa_user_sgpr_dispatch_id 0
		.amdhsa_user_sgpr_flat_scratch_init 0
		.amdhsa_user_sgpr_kernarg_preload_length 0
		.amdhsa_user_sgpr_kernarg_preload_offset 0
		.amdhsa_user_sgpr_private_segment_size 0
		.amdhsa_uses_dynamic_stack 0
		.amdhsa_system_sgpr_private_segment_wavefront_offset 0
		.amdhsa_system_sgpr_workgroup_id_x 1
		.amdhsa_system_sgpr_workgroup_id_y 0
		.amdhsa_system_sgpr_workgroup_id_z 0
		.amdhsa_system_sgpr_workgroup_info 0
		.amdhsa_system_vgpr_workitem_id 1
		.amdhsa_next_free_vgpr 22
		.amdhsa_next_free_sgpr 40
		.amdhsa_accum_offset 24
		.amdhsa_reserve_vcc 1
		.amdhsa_reserve_flat_scratch 0
		.amdhsa_float_round_mode_32 0
		.amdhsa_float_round_mode_16_64 0
		.amdhsa_float_denorm_mode_32 3
		.amdhsa_float_denorm_mode_16_64 3
		.amdhsa_dx10_clamp 1
		.amdhsa_ieee_mode 1
		.amdhsa_fp16_overflow 0
		.amdhsa_tg_split 0
		.amdhsa_exception_fp_ieee_invalid_op 0
		.amdhsa_exception_fp_denorm_src 0
		.amdhsa_exception_fp_ieee_div_zero 0
		.amdhsa_exception_fp_ieee_overflow 0
		.amdhsa_exception_fp_ieee_underflow 0
		.amdhsa_exception_fp_ieee_inexact 0
		.amdhsa_exception_int_div_zero 0
	.end_amdhsa_kernel
	.section	.text._ZN12_GLOBAL__N_120softmax_warp_forwardIdddLi4ELb0ELb0ELi64EEEvPT0_PKT_iiiPKbib,"axG",@progbits,_ZN12_GLOBAL__N_120softmax_warp_forwardIdddLi4ELb0ELb0ELi64EEEvPT0_PKT_iiiPKbib,comdat
.Lfunc_end362:
	.size	_ZN12_GLOBAL__N_120softmax_warp_forwardIdddLi4ELb0ELb0ELi64EEEvPT0_PKT_iiiPKbib, .Lfunc_end362-_ZN12_GLOBAL__N_120softmax_warp_forwardIdddLi4ELb0ELb0ELi64EEEvPT0_PKT_iiiPKbib
                                        ; -- End function
	.section	.AMDGPU.csdata,"",@progbits
; Kernel info:
; codeLenInByte = 1800
; NumSgprs: 44
; NumVgprs: 22
; NumAgprs: 0
; TotalNumVgprs: 22
; ScratchSize: 0
; MemoryBound: 0
; FloatMode: 240
; IeeeMode: 1
; LDSByteSize: 0 bytes/workgroup (compile time only)
; SGPRBlocks: 5
; VGPRBlocks: 2
; NumSGPRsForWavesPerEU: 44
; NumVGPRsForWavesPerEU: 22
; AccumOffset: 24
; Occupancy: 8
; WaveLimiterHint : 0
; COMPUTE_PGM_RSRC2:SCRATCH_EN: 0
; COMPUTE_PGM_RSRC2:USER_SGPR: 6
; COMPUTE_PGM_RSRC2:TRAP_HANDLER: 0
; COMPUTE_PGM_RSRC2:TGID_X_EN: 1
; COMPUTE_PGM_RSRC2:TGID_Y_EN: 0
; COMPUTE_PGM_RSRC2:TGID_Z_EN: 0
; COMPUTE_PGM_RSRC2:TIDIG_COMP_CNT: 1
; COMPUTE_PGM_RSRC3_GFX90A:ACCUM_OFFSET: 5
; COMPUTE_PGM_RSRC3_GFX90A:TG_SPLIT: 0
	.section	.text._ZN12_GLOBAL__N_120softmax_warp_forwardIdddLi4ELb0ELb0ELi32EEEvPT0_PKT_iiiPKbib,"axG",@progbits,_ZN12_GLOBAL__N_120softmax_warp_forwardIdddLi4ELb0ELb0ELi32EEEvPT0_PKT_iiiPKbib,comdat
	.globl	_ZN12_GLOBAL__N_120softmax_warp_forwardIdddLi4ELb0ELb0ELi32EEEvPT0_PKT_iiiPKbib ; -- Begin function _ZN12_GLOBAL__N_120softmax_warp_forwardIdddLi4ELb0ELb0ELi32EEEvPT0_PKT_iiiPKbib
	.p2align	8
	.type	_ZN12_GLOBAL__N_120softmax_warp_forwardIdddLi4ELb0ELb0ELi32EEEvPT0_PKT_iiiPKbib,@function
_ZN12_GLOBAL__N_120softmax_warp_forwardIdddLi4ELb0ELb0ELi32EEEvPT0_PKT_iiiPKbib: ; @_ZN12_GLOBAL__N_120softmax_warp_forwardIdddLi4ELb0ELb0ELi32EEEvPT0_PKT_iiiPKbib
; %bb.0:
	s_load_dword s0, s[4:5], 0x3c
	s_load_dwordx8 s[8:15], s[4:5], 0x0
	v_bfe_u32 v1, v0, 10, 10
	v_and_b32_e32 v2, 0x3ff, v0
	s_waitcnt lgkmcnt(0)
	s_lshr_b32 s0, s0, 16
	s_mul_i32 s6, s6, s0
	v_add_lshl_u32 v1, s6, v1, 1
	v_sub_u32_e32 v14, s12, v1
	v_mad_u64_u32 v[0:1], s[0:1], v1, s13, v[2:3]
	v_ashrrev_i32_e32 v1, 31, v0
	v_lshlrev_b64 v[0:1], 3, v[0:1]
	v_mov_b32_e32 v3, s11
	v_add_co_u32_e32 v6, vcc, s10, v0
	v_addc_co_u32_e32 v7, vcc, v3, v1, vcc
	v_cmp_gt_i32_e64 s[0:1], s14, v2
	v_mov_b32_e32 v2, 0
	v_cmp_lt_i32_e32 vcc, 0, v14
	v_mov_b32_e32 v3, 0xfff00000
	s_and_b64 s[4:5], s[0:1], vcc
	v_pk_mov_b32 v[4:5], v[2:3], v[2:3] op_sel:[0,1]
	s_and_saveexec_b64 s[2:3], s[4:5]
	s_cbranch_execz .LBB363_2
; %bb.1:
	global_load_dwordx2 v[4:5], v[6:7], off
.LBB363_2:
	s_or_b64 exec, exec, s[2:3]
	v_cmp_lt_i32_e64 s[2:3], 1, v14
	s_and_b64 s[2:3], s[0:1], s[2:3]
	s_and_saveexec_b64 s[4:5], s[2:3]
	s_cbranch_execz .LBB363_4
; %bb.3:
	s_mov_b32 s15, 0
	s_lshl_b64 s[2:3], s[14:15], 3
	v_mov_b32_e32 v3, s3
	v_add_co_u32_e64 v2, s[2:3], s2, v6
	v_addc_co_u32_e64 v3, s[2:3], v7, v3, s[2:3]
	global_load_dwordx2 v[2:3], v[2:3], off
.LBB363_4:
	s_or_b64 exec, exec, s[4:5]
	v_mbcnt_lo_u32_b32 v6, -1, 0
	v_mbcnt_hi_u32_b32 v15, -1, v6
	v_and_b32_e32 v6, 0x70, v15
	v_add_u32_e32 v16, 16, v6
	v_xor_b32_e32 v6, 8, v15
	v_cmp_lt_i32_e64 s[2:3], v6, v16
	v_cndmask_b32_e64 v6, v15, v6, s[2:3]
	v_lshlrev_b32_e32 v18, 2, v6
	s_waitcnt vmcnt(0)
	ds_bpermute_b32 v6, v18, v4
	ds_bpermute_b32 v7, v18, v5
	v_xor_b32_e32 v10, 4, v15
	v_cmp_lt_i32_e64 s[4:5], v10, v16
	v_cndmask_b32_e64 v10, v15, v10, s[4:5]
	ds_bpermute_b32 v8, v18, v2
	s_waitcnt lgkmcnt(1)
	v_cmp_lt_f64_e64 s[2:3], v[4:5], v[6:7]
	ds_bpermute_b32 v9, v18, v3
	v_cndmask_b32_e64 v7, v5, v7, s[2:3]
	v_cndmask_b32_e64 v6, v4, v6, s[2:3]
	v_lshlrev_b32_e32 v19, 2, v10
	ds_bpermute_b32 v10, v19, v6
	ds_bpermute_b32 v11, v19, v7
	s_waitcnt lgkmcnt(2)
	v_cmp_lt_f64_e64 s[2:3], v[2:3], v[8:9]
	v_cndmask_b32_e64 v9, v3, v9, s[2:3]
	v_cndmask_b32_e64 v8, v2, v8, s[2:3]
	ds_bpermute_b32 v12, v19, v8
	s_waitcnt lgkmcnt(1)
	v_cmp_lt_f64_e64 s[2:3], v[6:7], v[10:11]
	v_cndmask_b32_e64 v6, v6, v10, s[2:3]
	v_xor_b32_e32 v10, 2, v15
	v_cmp_lt_i32_e64 s[4:5], v10, v16
	v_cndmask_b32_e64 v10, v15, v10, s[4:5]
	ds_bpermute_b32 v13, v19, v9
	v_cndmask_b32_e64 v7, v7, v11, s[2:3]
	v_lshlrev_b32_e32 v20, 2, v10
	ds_bpermute_b32 v10, v20, v6
	ds_bpermute_b32 v11, v20, v7
	s_waitcnt lgkmcnt(2)
	v_cmp_lt_f64_e64 s[2:3], v[8:9], v[12:13]
	v_cndmask_b32_e64 v9, v9, v13, s[2:3]
	v_cndmask_b32_e64 v8, v8, v12, s[2:3]
	ds_bpermute_b32 v12, v20, v8
	s_waitcnt lgkmcnt(1)
	v_cmp_lt_f64_e64 s[2:3], v[6:7], v[10:11]
	ds_bpermute_b32 v13, v20, v9
	v_cndmask_b32_e64 v6, v6, v10, s[2:3]
	v_xor_b32_e32 v10, 1, v15
	v_cmp_lt_i32_e64 s[4:5], v10, v16
	v_cndmask_b32_e64 v10, v15, v10, s[4:5]
	v_cndmask_b32_e64 v7, v7, v11, s[2:3]
	v_lshlrev_b32_e32 v15, 2, v10
	ds_bpermute_b32 v10, v15, v6
	ds_bpermute_b32 v11, v15, v7
	s_waitcnt lgkmcnt(2)
	v_cmp_lt_f64_e64 s[2:3], v[8:9], v[12:13]
	v_cndmask_b32_e64 v9, v9, v13, s[2:3]
	v_cndmask_b32_e64 v8, v8, v12, s[2:3]
	ds_bpermute_b32 v12, v15, v8
	ds_bpermute_b32 v13, v15, v9
	s_waitcnt lgkmcnt(2)
	v_cmp_lt_f64_e64 s[2:3], v[6:7], v[10:11]
	v_cndmask_b32_e64 v7, v7, v11, s[2:3]
	v_cndmask_b32_e64 v6, v6, v10, s[2:3]
	s_mov_b32 s6, 0x652b82fe
	v_add_f64 v[4:5], v[4:5], -v[6:7]
	s_mov_b32 s7, 0x3ff71547
	s_waitcnt lgkmcnt(0)
	v_cmp_lt_f64_e64 s[2:3], v[8:9], v[12:13]
	v_mul_f64 v[6:7], v[4:5], s[6:7]
	s_mov_b32 s10, 0xfefa39ef
	v_cndmask_b32_e64 v9, v9, v13, s[2:3]
	v_cndmask_b32_e64 v8, v8, v12, s[2:3]
	v_rndne_f64_e32 v[6:7], v[6:7]
	s_mov_b32 s11, 0xbfe62e42
	s_mov_b32 s12, 0x3b39803f
	;; [unrolled: 1-line block ×3, first 2 shown]
	v_fma_f64 v[10:11], s[10:11], v[6:7], v[4:5]
	s_mov_b32 s13, 0xbc7abc9e
	s_mov_b32 s3, 0x3e928af3
	s_mov_b32 s16, 0x6a5dcb37
	v_fmac_f64_e32 v[10:11], s[12:13], v[6:7]
	s_mov_b32 s17, 0x3e5ade15
	v_pk_mov_b32 v[12:13], s[2:3], s[2:3] op_sel:[0,1]
	s_mov_b32 s18, 0x623fde64
	v_fma_f64 v[16:17], s[16:17], v[10:11], v[12:13]
	s_mov_b32 s19, 0x3ec71dee
	s_mov_b32 s20, 0x7c89e6b0
	v_fma_f64 v[16:17], v[10:11], v[16:17], s[18:19]
	s_mov_b32 s21, 0x3efa0199
	;; [unrolled: 3-line block ×8, first 2 shown]
	v_fma_f64 v[16:17], v[10:11], v[16:17], s[34:35]
	v_add_f64 v[2:3], v[2:3], -v[8:9]
	v_fma_f64 v[16:17], v[10:11], v[16:17], 1.0
	v_mul_f64 v[8:9], v[2:3], s[6:7]
	v_fma_f64 v[10:11], v[10:11], v[16:17], 1.0
	v_cvt_i32_f64_e32 v6, v[6:7]
	v_rndne_f64_e32 v[8:9], v[8:9]
	v_ldexp_f64 v[6:7], v[10:11], v6
	v_fma_f64 v[10:11], s[10:11], v[8:9], v[2:3]
	v_fmac_f64_e32 v[10:11], s[12:13], v[8:9]
	v_fmac_f64_e32 v[12:13], s[16:17], v[10:11]
	v_fma_f64 v[12:13], v[10:11], v[12:13], s[18:19]
	v_fma_f64 v[12:13], v[10:11], v[12:13], s[20:21]
	;; [unrolled: 1-line block ×6, first 2 shown]
	s_mov_b32 s36, 0
	s_mov_b32 s38, 0
	v_fma_f64 v[12:13], v[10:11], v[12:13], s[30:31]
	s_mov_b32 s37, 0x40900000
	s_mov_b32 s39, 0xc090cc00
	v_fma_f64 v[12:13], v[10:11], v[12:13], s[34:35]
	v_mov_b32_e32 v16, 0x7ff00000
	v_cmp_nlt_f64_e64 s[2:3], s[36:37], v[4:5]
	v_cmp_ngt_f64_e64 s[4:5], s[38:39], v[4:5]
	v_fma_f64 v[12:13], v[10:11], v[12:13], 1.0
	v_cndmask_b32_e64 v7, v16, v7, s[2:3]
	s_and_b64 s[2:3], s[4:5], s[2:3]
	v_fma_f64 v[10:11], v[10:11], v[12:13], 1.0
	v_cvt_i32_f64_e32 v8, v[8:9]
	v_cndmask_b32_e64 v5, 0, v7, s[4:5]
	v_cndmask_b32_e64 v4, 0, v6, s[2:3]
	v_ldexp_f64 v[8:9], v[10:11], v8
	v_cmp_nlt_f64_e64 s[2:3], s[36:37], v[2:3]
	v_cmp_ngt_f64_e64 s[4:5], s[38:39], v[2:3]
	v_cndmask_b32_e64 v9, v16, v9, s[2:3]
	s_and_b64 s[2:3], s[4:5], s[2:3]
	v_cndmask_b32_e64 v3, 0, v9, s[4:5]
	v_cndmask_b32_e64 v2, 0, v8, s[2:3]
	v_add_f64 v[6:7], v[4:5], 0
	v_add_f64 v[8:9], v[2:3], 0
	ds_bpermute_b32 v10, v18, v6
	ds_bpermute_b32 v11, v18, v7
	;; [unrolled: 1-line block ×4, first 2 shown]
	s_waitcnt lgkmcnt(2)
	v_add_f64 v[6:7], v[6:7], v[10:11]
	ds_bpermute_b32 v10, v19, v6
	s_waitcnt lgkmcnt(1)
	v_add_f64 v[8:9], v[8:9], v[12:13]
	ds_bpermute_b32 v11, v19, v7
	ds_bpermute_b32 v12, v19, v8
	ds_bpermute_b32 v13, v19, v9
	s_waitcnt lgkmcnt(2)
	v_add_f64 v[6:7], v[6:7], v[10:11]
	ds_bpermute_b32 v10, v20, v6
	s_waitcnt lgkmcnt(1)
	v_add_f64 v[8:9], v[8:9], v[12:13]
	ds_bpermute_b32 v11, v20, v7
	ds_bpermute_b32 v12, v20, v8
	;; [unrolled: 1-line block ×3, first 2 shown]
	s_waitcnt lgkmcnt(2)
	v_add_f64 v[10:11], v[6:7], v[10:11]
	s_waitcnt lgkmcnt(0)
	v_add_f64 v[6:7], v[8:9], v[12:13]
	ds_bpermute_b32 v12, v15, v10
	ds_bpermute_b32 v13, v15, v11
	;; [unrolled: 1-line block ×4, first 2 shown]
	s_and_saveexec_b64 s[2:3], vcc
	s_cbranch_execz .LBB363_10
; %bb.5:
	v_mov_b32_e32 v15, s9
	v_add_co_u32_e32 v0, vcc, s8, v0
	v_addc_co_u32_e32 v1, vcc, v15, v1, vcc
	s_and_saveexec_b64 s[2:3], s[0:1]
	s_cbranch_execz .LBB363_7
; %bb.6:
	s_waitcnt lgkmcnt(2)
	v_add_f64 v[10:11], v[10:11], v[12:13]
	v_div_scale_f64 v[12:13], s[4:5], v[10:11], v[10:11], v[4:5]
	v_rcp_f64_e32 v[16:17], v[12:13]
	v_div_scale_f64 v[18:19], vcc, v[4:5], v[10:11], v[4:5]
	v_fma_f64 v[20:21], -v[12:13], v[16:17], 1.0
	v_fmac_f64_e32 v[16:17], v[16:17], v[20:21]
	v_fma_f64 v[20:21], -v[12:13], v[16:17], 1.0
	v_fmac_f64_e32 v[16:17], v[16:17], v[20:21]
	v_mul_f64 v[20:21], v[18:19], v[16:17]
	v_fma_f64 v[12:13], -v[12:13], v[20:21], v[18:19]
	v_div_fmas_f64 v[12:13], v[12:13], v[16:17], v[20:21]
	v_div_fixup_f64 v[4:5], v[12:13], v[10:11], v[4:5]
	v_mov_b32_e32 v12, 0x7ff80000
	v_cmp_neq_f64_e32 vcc, 0, v[10:11]
	v_cndmask_b32_e32 v5, v12, v5, vcc
	v_cndmask_b32_e32 v4, 0, v4, vcc
	global_store_dwordx2 v[0:1], v[4:5], off
.LBB363_7:
	s_or_b64 exec, exec, s[2:3]
	v_cmp_ne_u32_e32 vcc, 1, v14
	s_and_b64 exec, exec, vcc
	s_cbranch_execz .LBB363_10
; %bb.8:
	s_and_b64 exec, exec, s[0:1]
	s_cbranch_execz .LBB363_10
; %bb.9:
	s_waitcnt lgkmcnt(0)
	v_add_f64 v[4:5], v[6:7], v[8:9]
	v_div_scale_f64 v[6:7], s[0:1], v[4:5], v[4:5], v[2:3]
	v_rcp_f64_e32 v[8:9], v[6:7]
	v_div_scale_f64 v[10:11], vcc, v[2:3], v[4:5], v[2:3]
	s_mov_b32 s15, 0
	v_fma_f64 v[12:13], -v[6:7], v[8:9], 1.0
	v_fmac_f64_e32 v[8:9], v[8:9], v[12:13]
	v_fma_f64 v[12:13], -v[6:7], v[8:9], 1.0
	v_fmac_f64_e32 v[8:9], v[8:9], v[12:13]
	v_mul_f64 v[12:13], v[10:11], v[8:9]
	v_fma_f64 v[6:7], -v[6:7], v[12:13], v[10:11]
	v_div_fmas_f64 v[6:7], v[6:7], v[8:9], v[12:13]
	s_lshl_b64 s[0:1], s[14:15], 3
	v_div_fixup_f64 v[2:3], v[6:7], v[4:5], v[2:3]
	v_mov_b32_e32 v6, s1
	v_add_co_u32_e32 v0, vcc, s0, v0
	v_addc_co_u32_e32 v1, vcc, v1, v6, vcc
	v_mov_b32_e32 v6, 0x7ff80000
	v_cmp_neq_f64_e32 vcc, 0, v[4:5]
	v_cndmask_b32_e32 v3, v6, v3, vcc
	v_cndmask_b32_e32 v2, 0, v2, vcc
	global_store_dwordx2 v[0:1], v[2:3], off
.LBB363_10:
	s_endpgm
	.section	.rodata,"a",@progbits
	.p2align	6, 0x0
	.amdhsa_kernel _ZN12_GLOBAL__N_120softmax_warp_forwardIdddLi4ELb0ELb0ELi32EEEvPT0_PKT_iiiPKbib
		.amdhsa_group_segment_fixed_size 0
		.amdhsa_private_segment_fixed_size 0
		.amdhsa_kernarg_size 304
		.amdhsa_user_sgpr_count 6
		.amdhsa_user_sgpr_private_segment_buffer 1
		.amdhsa_user_sgpr_dispatch_ptr 0
		.amdhsa_user_sgpr_queue_ptr 0
		.amdhsa_user_sgpr_kernarg_segment_ptr 1
		.amdhsa_user_sgpr_dispatch_id 0
		.amdhsa_user_sgpr_flat_scratch_init 0
		.amdhsa_user_sgpr_kernarg_preload_length 0
		.amdhsa_user_sgpr_kernarg_preload_offset 0
		.amdhsa_user_sgpr_private_segment_size 0
		.amdhsa_uses_dynamic_stack 0
		.amdhsa_system_sgpr_private_segment_wavefront_offset 0
		.amdhsa_system_sgpr_workgroup_id_x 1
		.amdhsa_system_sgpr_workgroup_id_y 0
		.amdhsa_system_sgpr_workgroup_id_z 0
		.amdhsa_system_sgpr_workgroup_info 0
		.amdhsa_system_vgpr_workitem_id 1
		.amdhsa_next_free_vgpr 22
		.amdhsa_next_free_sgpr 40
		.amdhsa_accum_offset 24
		.amdhsa_reserve_vcc 1
		.amdhsa_reserve_flat_scratch 0
		.amdhsa_float_round_mode_32 0
		.amdhsa_float_round_mode_16_64 0
		.amdhsa_float_denorm_mode_32 3
		.amdhsa_float_denorm_mode_16_64 3
		.amdhsa_dx10_clamp 1
		.amdhsa_ieee_mode 1
		.amdhsa_fp16_overflow 0
		.amdhsa_tg_split 0
		.amdhsa_exception_fp_ieee_invalid_op 0
		.amdhsa_exception_fp_denorm_src 0
		.amdhsa_exception_fp_ieee_div_zero 0
		.amdhsa_exception_fp_ieee_overflow 0
		.amdhsa_exception_fp_ieee_underflow 0
		.amdhsa_exception_fp_ieee_inexact 0
		.amdhsa_exception_int_div_zero 0
	.end_amdhsa_kernel
	.section	.text._ZN12_GLOBAL__N_120softmax_warp_forwardIdddLi4ELb0ELb0ELi32EEEvPT0_PKT_iiiPKbib,"axG",@progbits,_ZN12_GLOBAL__N_120softmax_warp_forwardIdddLi4ELb0ELb0ELi32EEEvPT0_PKT_iiiPKbib,comdat
.Lfunc_end363:
	.size	_ZN12_GLOBAL__N_120softmax_warp_forwardIdddLi4ELb0ELb0ELi32EEEvPT0_PKT_iiiPKbib, .Lfunc_end363-_ZN12_GLOBAL__N_120softmax_warp_forwardIdddLi4ELb0ELb0ELi32EEEvPT0_PKT_iiiPKbib
                                        ; -- End function
	.section	.AMDGPU.csdata,"",@progbits
; Kernel info:
; codeLenInByte = 1800
; NumSgprs: 44
; NumVgprs: 22
; NumAgprs: 0
; TotalNumVgprs: 22
; ScratchSize: 0
; MemoryBound: 0
; FloatMode: 240
; IeeeMode: 1
; LDSByteSize: 0 bytes/workgroup (compile time only)
; SGPRBlocks: 5
; VGPRBlocks: 2
; NumSGPRsForWavesPerEU: 44
; NumVGPRsForWavesPerEU: 22
; AccumOffset: 24
; Occupancy: 8
; WaveLimiterHint : 0
; COMPUTE_PGM_RSRC2:SCRATCH_EN: 0
; COMPUTE_PGM_RSRC2:USER_SGPR: 6
; COMPUTE_PGM_RSRC2:TRAP_HANDLER: 0
; COMPUTE_PGM_RSRC2:TGID_X_EN: 1
; COMPUTE_PGM_RSRC2:TGID_Y_EN: 0
; COMPUTE_PGM_RSRC2:TGID_Z_EN: 0
; COMPUTE_PGM_RSRC2:TIDIG_COMP_CNT: 1
; COMPUTE_PGM_RSRC3_GFX90A:ACCUM_OFFSET: 5
; COMPUTE_PGM_RSRC3_GFX90A:TG_SPLIT: 0
	.section	.text._ZN12_GLOBAL__N_120softmax_warp_forwardIdddLi5ELb0ELb0ELi64EEEvPT0_PKT_iiiPKbib,"axG",@progbits,_ZN12_GLOBAL__N_120softmax_warp_forwardIdddLi5ELb0ELb0ELi64EEEvPT0_PKT_iiiPKbib,comdat
	.globl	_ZN12_GLOBAL__N_120softmax_warp_forwardIdddLi5ELb0ELb0ELi64EEEvPT0_PKT_iiiPKbib ; -- Begin function _ZN12_GLOBAL__N_120softmax_warp_forwardIdddLi5ELb0ELb0ELi64EEEvPT0_PKT_iiiPKbib
	.p2align	8
	.type	_ZN12_GLOBAL__N_120softmax_warp_forwardIdddLi5ELb0ELb0ELi64EEEvPT0_PKT_iiiPKbib,@function
_ZN12_GLOBAL__N_120softmax_warp_forwardIdddLi5ELb0ELb0ELi64EEEvPT0_PKT_iiiPKbib: ; @_ZN12_GLOBAL__N_120softmax_warp_forwardIdddLi5ELb0ELb0ELi64EEEvPT0_PKT_iiiPKbib
; %bb.0:
	s_load_dword s0, s[4:5], 0x3c
	s_load_dwordx8 s[8:15], s[4:5], 0x0
	v_bfe_u32 v1, v0, 10, 10
	v_and_b32_e32 v2, 0x3ff, v0
	s_waitcnt lgkmcnt(0)
	s_lshr_b32 s0, s0, 16
	s_mul_i32 s6, s6, s0
	v_add_lshl_u32 v1, s6, v1, 1
	v_sub_u32_e32 v14, s12, v1
	v_mad_u64_u32 v[0:1], s[0:1], v1, s13, v[2:3]
	v_ashrrev_i32_e32 v1, 31, v0
	v_lshlrev_b64 v[0:1], 3, v[0:1]
	v_mov_b32_e32 v3, s11
	v_add_co_u32_e32 v6, vcc, s10, v0
	v_addc_co_u32_e32 v7, vcc, v3, v1, vcc
	v_cmp_gt_i32_e64 s[0:1], s14, v2
	v_mov_b32_e32 v2, 0
	v_cmp_lt_i32_e32 vcc, 0, v14
	v_mov_b32_e32 v3, 0xfff00000
	s_and_b64 s[4:5], s[0:1], vcc
	v_pk_mov_b32 v[4:5], v[2:3], v[2:3] op_sel:[0,1]
	s_and_saveexec_b64 s[2:3], s[4:5]
	s_cbranch_execz .LBB364_2
; %bb.1:
	global_load_dwordx2 v[4:5], v[6:7], off
.LBB364_2:
	s_or_b64 exec, exec, s[2:3]
	v_cmp_lt_i32_e64 s[2:3], 1, v14
	s_and_b64 s[2:3], s[0:1], s[2:3]
	s_and_saveexec_b64 s[4:5], s[2:3]
	s_cbranch_execz .LBB364_4
; %bb.3:
	s_mov_b32 s15, 0
	s_lshl_b64 s[2:3], s[14:15], 3
	v_mov_b32_e32 v3, s3
	v_add_co_u32_e64 v2, s[2:3], s2, v6
	v_addc_co_u32_e64 v3, s[2:3], v7, v3, s[2:3]
	global_load_dwordx2 v[2:3], v[2:3], off
.LBB364_4:
	s_or_b64 exec, exec, s[4:5]
	v_mbcnt_lo_u32_b32 v6, -1, 0
	v_mbcnt_hi_u32_b32 v7, -1, v6
	v_and_b32_e32 v6, 0x60, v7
	v_add_u32_e32 v15, 32, v6
	v_xor_b32_e32 v6, 16, v7
	v_cmp_lt_i32_e64 s[2:3], v6, v15
	v_cndmask_b32_e64 v6, v7, v6, s[2:3]
	v_lshlrev_b32_e32 v6, 2, v6
	s_waitcnt vmcnt(0)
	ds_bpermute_b32 v8, v6, v4
	ds_bpermute_b32 v9, v6, v5
	v_xor_b32_e32 v12, 8, v7
	v_cmp_lt_i32_e64 s[4:5], v12, v15
	v_cndmask_b32_e64 v12, v7, v12, s[4:5]
	ds_bpermute_b32 v10, v6, v2
	s_waitcnt lgkmcnt(1)
	v_cmp_lt_f64_e64 s[2:3], v[4:5], v[8:9]
	ds_bpermute_b32 v11, v6, v3
	v_cndmask_b32_e64 v9, v5, v9, s[2:3]
	v_cndmask_b32_e64 v8, v4, v8, s[2:3]
	v_lshlrev_b32_e32 v20, 2, v12
	ds_bpermute_b32 v12, v20, v8
	ds_bpermute_b32 v13, v20, v9
	s_waitcnt lgkmcnt(2)
	v_cmp_lt_f64_e64 s[2:3], v[2:3], v[10:11]
	v_cndmask_b32_e64 v11, v3, v11, s[2:3]
	v_cndmask_b32_e64 v10, v2, v10, s[2:3]
	ds_bpermute_b32 v16, v20, v10
	s_waitcnt lgkmcnt(1)
	v_cmp_lt_f64_e64 s[2:3], v[8:9], v[12:13]
	v_cndmask_b32_e64 v8, v8, v12, s[2:3]
	v_xor_b32_e32 v12, 4, v7
	v_cmp_lt_i32_e64 s[4:5], v12, v15
	v_cndmask_b32_e64 v12, v7, v12, s[4:5]
	ds_bpermute_b32 v17, v20, v11
	v_cndmask_b32_e64 v9, v9, v13, s[2:3]
	v_lshlrev_b32_e32 v21, 2, v12
	ds_bpermute_b32 v12, v21, v8
	ds_bpermute_b32 v13, v21, v9
	s_waitcnt lgkmcnt(2)
	v_cmp_lt_f64_e64 s[2:3], v[10:11], v[16:17]
	v_cndmask_b32_e64 v11, v11, v17, s[2:3]
	v_cndmask_b32_e64 v10, v10, v16, s[2:3]
	ds_bpermute_b32 v16, v21, v10
	s_waitcnt lgkmcnt(1)
	v_cmp_lt_f64_e64 s[2:3], v[8:9], v[12:13]
	v_cndmask_b32_e64 v8, v8, v12, s[2:3]
	v_xor_b32_e32 v12, 2, v7
	v_cmp_lt_i32_e64 s[4:5], v12, v15
	v_cndmask_b32_e64 v12, v7, v12, s[4:5]
	ds_bpermute_b32 v17, v21, v11
	v_cndmask_b32_e64 v9, v9, v13, s[2:3]
	v_lshlrev_b32_e32 v22, 2, v12
	ds_bpermute_b32 v12, v22, v8
	ds_bpermute_b32 v13, v22, v9
	s_waitcnt lgkmcnt(2)
	v_cmp_lt_f64_e64 s[2:3], v[10:11], v[16:17]
	v_cndmask_b32_e64 v11, v11, v17, s[2:3]
	v_cndmask_b32_e64 v10, v10, v16, s[2:3]
	ds_bpermute_b32 v16, v22, v10
	s_waitcnt lgkmcnt(1)
	v_cmp_lt_f64_e64 s[2:3], v[8:9], v[12:13]
	ds_bpermute_b32 v17, v22, v11
	v_cndmask_b32_e64 v8, v8, v12, s[2:3]
	v_xor_b32_e32 v12, 1, v7
	v_cmp_lt_i32_e64 s[4:5], v12, v15
	v_cndmask_b32_e64 v7, v7, v12, s[4:5]
	v_cndmask_b32_e64 v9, v9, v13, s[2:3]
	v_lshlrev_b32_e32 v15, 2, v7
	ds_bpermute_b32 v12, v15, v8
	ds_bpermute_b32 v13, v15, v9
	s_waitcnt lgkmcnt(2)
	v_cmp_lt_f64_e64 s[2:3], v[10:11], v[16:17]
	v_cndmask_b32_e64 v11, v11, v17, s[2:3]
	v_cndmask_b32_e64 v10, v10, v16, s[2:3]
	ds_bpermute_b32 v16, v15, v10
	ds_bpermute_b32 v17, v15, v11
	s_waitcnt lgkmcnt(2)
	v_cmp_lt_f64_e64 s[2:3], v[8:9], v[12:13]
	v_cndmask_b32_e64 v9, v9, v13, s[2:3]
	v_cndmask_b32_e64 v8, v8, v12, s[2:3]
	s_mov_b32 s6, 0x652b82fe
	v_add_f64 v[4:5], v[4:5], -v[8:9]
	s_mov_b32 s7, 0x3ff71547
	s_waitcnt lgkmcnt(0)
	v_cmp_lt_f64_e64 s[2:3], v[10:11], v[16:17]
	v_mul_f64 v[8:9], v[4:5], s[6:7]
	s_mov_b32 s10, 0xfefa39ef
	v_cndmask_b32_e64 v11, v11, v17, s[2:3]
	v_cndmask_b32_e64 v10, v10, v16, s[2:3]
	v_rndne_f64_e32 v[8:9], v[8:9]
	s_mov_b32 s11, 0xbfe62e42
	s_mov_b32 s12, 0x3b39803f
	;; [unrolled: 1-line block ×3, first 2 shown]
	v_fma_f64 v[12:13], s[10:11], v[8:9], v[4:5]
	s_mov_b32 s13, 0xbc7abc9e
	s_mov_b32 s3, 0x3e928af3
	;; [unrolled: 1-line block ×3, first 2 shown]
	v_fmac_f64_e32 v[12:13], s[12:13], v[8:9]
	s_mov_b32 s17, 0x3e5ade15
	v_pk_mov_b32 v[16:17], s[2:3], s[2:3] op_sel:[0,1]
	s_mov_b32 s18, 0x623fde64
	v_fma_f64 v[18:19], s[16:17], v[12:13], v[16:17]
	s_mov_b32 s19, 0x3ec71dee
	s_mov_b32 s20, 0x7c89e6b0
	v_fma_f64 v[18:19], v[12:13], v[18:19], s[18:19]
	s_mov_b32 s21, 0x3efa0199
	;; [unrolled: 3-line block ×8, first 2 shown]
	v_fma_f64 v[18:19], v[12:13], v[18:19], s[34:35]
	v_add_f64 v[2:3], v[2:3], -v[10:11]
	v_fma_f64 v[18:19], v[12:13], v[18:19], 1.0
	v_mul_f64 v[10:11], v[2:3], s[6:7]
	v_fma_f64 v[12:13], v[12:13], v[18:19], 1.0
	v_cvt_i32_f64_e32 v7, v[8:9]
	v_rndne_f64_e32 v[10:11], v[10:11]
	v_ldexp_f64 v[8:9], v[12:13], v7
	v_fma_f64 v[12:13], s[10:11], v[10:11], v[2:3]
	v_fmac_f64_e32 v[12:13], s[12:13], v[10:11]
	v_fmac_f64_e32 v[16:17], s[16:17], v[12:13]
	v_fma_f64 v[16:17], v[12:13], v[16:17], s[18:19]
	v_fma_f64 v[16:17], v[12:13], v[16:17], s[20:21]
	v_fma_f64 v[16:17], v[12:13], v[16:17], s[22:23]
	v_fma_f64 v[16:17], v[12:13], v[16:17], s[24:25]
	v_fma_f64 v[16:17], v[12:13], v[16:17], s[26:27]
	v_fma_f64 v[16:17], v[12:13], v[16:17], s[28:29]
	s_mov_b32 s36, 0
	s_mov_b32 s38, 0
	v_fma_f64 v[16:17], v[12:13], v[16:17], s[30:31]
	s_mov_b32 s37, 0x40900000
	s_mov_b32 s39, 0xc090cc00
	v_fma_f64 v[16:17], v[12:13], v[16:17], s[34:35]
	v_mov_b32_e32 v7, 0x7ff00000
	v_cmp_nlt_f64_e64 s[2:3], s[36:37], v[4:5]
	v_cmp_ngt_f64_e64 s[4:5], s[38:39], v[4:5]
	v_fma_f64 v[16:17], v[12:13], v[16:17], 1.0
	v_cndmask_b32_e64 v9, v7, v9, s[2:3]
	s_and_b64 s[2:3], s[4:5], s[2:3]
	v_fma_f64 v[12:13], v[12:13], v[16:17], 1.0
	v_cvt_i32_f64_e32 v10, v[10:11]
	v_cndmask_b32_e64 v5, 0, v9, s[4:5]
	v_cndmask_b32_e64 v4, 0, v8, s[2:3]
	v_ldexp_f64 v[10:11], v[12:13], v10
	v_cmp_nlt_f64_e64 s[2:3], s[36:37], v[2:3]
	v_cmp_ngt_f64_e64 s[4:5], s[38:39], v[2:3]
	v_cndmask_b32_e64 v7, v7, v11, s[2:3]
	s_and_b64 s[2:3], s[4:5], s[2:3]
	v_cndmask_b32_e64 v3, 0, v7, s[4:5]
	v_cndmask_b32_e64 v2, 0, v10, s[2:3]
	v_add_f64 v[8:9], v[4:5], 0
	v_add_f64 v[10:11], v[2:3], 0
	ds_bpermute_b32 v12, v6, v8
	ds_bpermute_b32 v13, v6, v9
	;; [unrolled: 1-line block ×4, first 2 shown]
	s_waitcnt lgkmcnt(2)
	v_add_f64 v[6:7], v[8:9], v[12:13]
	s_waitcnt lgkmcnt(0)
	v_add_f64 v[8:9], v[10:11], v[16:17]
	ds_bpermute_b32 v10, v20, v6
	ds_bpermute_b32 v11, v20, v7
	ds_bpermute_b32 v12, v20, v8
	ds_bpermute_b32 v13, v20, v9
	s_waitcnt lgkmcnt(2)
	v_add_f64 v[6:7], v[6:7], v[10:11]
	ds_bpermute_b32 v10, v21, v6
	s_waitcnt lgkmcnt(1)
	v_add_f64 v[8:9], v[8:9], v[12:13]
	ds_bpermute_b32 v11, v21, v7
	ds_bpermute_b32 v12, v21, v8
	;; [unrolled: 1-line block ×3, first 2 shown]
	s_waitcnt lgkmcnt(2)
	v_add_f64 v[6:7], v[6:7], v[10:11]
	ds_bpermute_b32 v10, v22, v6
	s_waitcnt lgkmcnt(1)
	v_add_f64 v[8:9], v[8:9], v[12:13]
	ds_bpermute_b32 v11, v22, v7
	ds_bpermute_b32 v12, v22, v8
	;; [unrolled: 1-line block ×3, first 2 shown]
	s_waitcnt lgkmcnt(2)
	v_add_f64 v[10:11], v[6:7], v[10:11]
	s_waitcnt lgkmcnt(0)
	v_add_f64 v[6:7], v[8:9], v[12:13]
	ds_bpermute_b32 v12, v15, v10
	ds_bpermute_b32 v13, v15, v11
	;; [unrolled: 1-line block ×4, first 2 shown]
	s_and_saveexec_b64 s[2:3], vcc
	s_cbranch_execz .LBB364_10
; %bb.5:
	v_mov_b32_e32 v15, s9
	v_add_co_u32_e32 v0, vcc, s8, v0
	v_addc_co_u32_e32 v1, vcc, v15, v1, vcc
	s_and_saveexec_b64 s[2:3], s[0:1]
	s_cbranch_execz .LBB364_7
; %bb.6:
	s_waitcnt lgkmcnt(2)
	v_add_f64 v[10:11], v[10:11], v[12:13]
	v_div_scale_f64 v[12:13], s[4:5], v[10:11], v[10:11], v[4:5]
	v_rcp_f64_e32 v[16:17], v[12:13]
	v_div_scale_f64 v[18:19], vcc, v[4:5], v[10:11], v[4:5]
	v_fma_f64 v[20:21], -v[12:13], v[16:17], 1.0
	v_fmac_f64_e32 v[16:17], v[16:17], v[20:21]
	v_fma_f64 v[20:21], -v[12:13], v[16:17], 1.0
	v_fmac_f64_e32 v[16:17], v[16:17], v[20:21]
	v_mul_f64 v[20:21], v[18:19], v[16:17]
	v_fma_f64 v[12:13], -v[12:13], v[20:21], v[18:19]
	v_div_fmas_f64 v[12:13], v[12:13], v[16:17], v[20:21]
	v_div_fixup_f64 v[4:5], v[12:13], v[10:11], v[4:5]
	v_mov_b32_e32 v12, 0x7ff80000
	v_cmp_neq_f64_e32 vcc, 0, v[10:11]
	v_cndmask_b32_e32 v5, v12, v5, vcc
	v_cndmask_b32_e32 v4, 0, v4, vcc
	global_store_dwordx2 v[0:1], v[4:5], off
.LBB364_7:
	s_or_b64 exec, exec, s[2:3]
	v_cmp_ne_u32_e32 vcc, 1, v14
	s_and_b64 exec, exec, vcc
	s_cbranch_execz .LBB364_10
; %bb.8:
	s_and_b64 exec, exec, s[0:1]
	s_cbranch_execz .LBB364_10
; %bb.9:
	s_waitcnt lgkmcnt(0)
	v_add_f64 v[4:5], v[6:7], v[8:9]
	v_div_scale_f64 v[6:7], s[0:1], v[4:5], v[4:5], v[2:3]
	v_rcp_f64_e32 v[8:9], v[6:7]
	v_div_scale_f64 v[10:11], vcc, v[2:3], v[4:5], v[2:3]
	s_mov_b32 s15, 0
	v_fma_f64 v[12:13], -v[6:7], v[8:9], 1.0
	v_fmac_f64_e32 v[8:9], v[8:9], v[12:13]
	v_fma_f64 v[12:13], -v[6:7], v[8:9], 1.0
	v_fmac_f64_e32 v[8:9], v[8:9], v[12:13]
	v_mul_f64 v[12:13], v[10:11], v[8:9]
	v_fma_f64 v[6:7], -v[6:7], v[12:13], v[10:11]
	v_div_fmas_f64 v[6:7], v[6:7], v[8:9], v[12:13]
	s_lshl_b64 s[0:1], s[14:15], 3
	v_div_fixup_f64 v[2:3], v[6:7], v[4:5], v[2:3]
	v_mov_b32_e32 v6, s1
	v_add_co_u32_e32 v0, vcc, s0, v0
	v_addc_co_u32_e32 v1, vcc, v1, v6, vcc
	v_mov_b32_e32 v6, 0x7ff80000
	v_cmp_neq_f64_e32 vcc, 0, v[4:5]
	v_cndmask_b32_e32 v3, v6, v3, vcc
	v_cndmask_b32_e32 v2, 0, v2, vcc
	global_store_dwordx2 v[0:1], v[2:3], off
.LBB364_10:
	s_endpgm
	.section	.rodata,"a",@progbits
	.p2align	6, 0x0
	.amdhsa_kernel _ZN12_GLOBAL__N_120softmax_warp_forwardIdddLi5ELb0ELb0ELi64EEEvPT0_PKT_iiiPKbib
		.amdhsa_group_segment_fixed_size 0
		.amdhsa_private_segment_fixed_size 0
		.amdhsa_kernarg_size 304
		.amdhsa_user_sgpr_count 6
		.amdhsa_user_sgpr_private_segment_buffer 1
		.amdhsa_user_sgpr_dispatch_ptr 0
		.amdhsa_user_sgpr_queue_ptr 0
		.amdhsa_user_sgpr_kernarg_segment_ptr 1
		.amdhsa_user_sgpr_dispatch_id 0
		.amdhsa_user_sgpr_flat_scratch_init 0
		.amdhsa_user_sgpr_kernarg_preload_length 0
		.amdhsa_user_sgpr_kernarg_preload_offset 0
		.amdhsa_user_sgpr_private_segment_size 0
		.amdhsa_uses_dynamic_stack 0
		.amdhsa_system_sgpr_private_segment_wavefront_offset 0
		.amdhsa_system_sgpr_workgroup_id_x 1
		.amdhsa_system_sgpr_workgroup_id_y 0
		.amdhsa_system_sgpr_workgroup_id_z 0
		.amdhsa_system_sgpr_workgroup_info 0
		.amdhsa_system_vgpr_workitem_id 1
		.amdhsa_next_free_vgpr 23
		.amdhsa_next_free_sgpr 40
		.amdhsa_accum_offset 24
		.amdhsa_reserve_vcc 1
		.amdhsa_reserve_flat_scratch 0
		.amdhsa_float_round_mode_32 0
		.amdhsa_float_round_mode_16_64 0
		.amdhsa_float_denorm_mode_32 3
		.amdhsa_float_denorm_mode_16_64 3
		.amdhsa_dx10_clamp 1
		.amdhsa_ieee_mode 1
		.amdhsa_fp16_overflow 0
		.amdhsa_tg_split 0
		.amdhsa_exception_fp_ieee_invalid_op 0
		.amdhsa_exception_fp_denorm_src 0
		.amdhsa_exception_fp_ieee_div_zero 0
		.amdhsa_exception_fp_ieee_overflow 0
		.amdhsa_exception_fp_ieee_underflow 0
		.amdhsa_exception_fp_ieee_inexact 0
		.amdhsa_exception_int_div_zero 0
	.end_amdhsa_kernel
	.section	.text._ZN12_GLOBAL__N_120softmax_warp_forwardIdddLi5ELb0ELb0ELi64EEEvPT0_PKT_iiiPKbib,"axG",@progbits,_ZN12_GLOBAL__N_120softmax_warp_forwardIdddLi5ELb0ELb0ELi64EEEvPT0_PKT_iiiPKbib,comdat
.Lfunc_end364:
	.size	_ZN12_GLOBAL__N_120softmax_warp_forwardIdddLi5ELb0ELb0ELi64EEEvPT0_PKT_iiiPKbib, .Lfunc_end364-_ZN12_GLOBAL__N_120softmax_warp_forwardIdddLi5ELb0ELb0ELi64EEEvPT0_PKT_iiiPKbib
                                        ; -- End function
	.section	.AMDGPU.csdata,"",@progbits
; Kernel info:
; codeLenInByte = 1968
; NumSgprs: 44
; NumVgprs: 23
; NumAgprs: 0
; TotalNumVgprs: 23
; ScratchSize: 0
; MemoryBound: 0
; FloatMode: 240
; IeeeMode: 1
; LDSByteSize: 0 bytes/workgroup (compile time only)
; SGPRBlocks: 5
; VGPRBlocks: 2
; NumSGPRsForWavesPerEU: 44
; NumVGPRsForWavesPerEU: 23
; AccumOffset: 24
; Occupancy: 8
; WaveLimiterHint : 0
; COMPUTE_PGM_RSRC2:SCRATCH_EN: 0
; COMPUTE_PGM_RSRC2:USER_SGPR: 6
; COMPUTE_PGM_RSRC2:TRAP_HANDLER: 0
; COMPUTE_PGM_RSRC2:TGID_X_EN: 1
; COMPUTE_PGM_RSRC2:TGID_Y_EN: 0
; COMPUTE_PGM_RSRC2:TGID_Z_EN: 0
; COMPUTE_PGM_RSRC2:TIDIG_COMP_CNT: 1
; COMPUTE_PGM_RSRC3_GFX90A:ACCUM_OFFSET: 5
; COMPUTE_PGM_RSRC3_GFX90A:TG_SPLIT: 0
	.section	.text._ZN12_GLOBAL__N_120softmax_warp_forwardIdddLi5ELb0ELb0ELi32EEEvPT0_PKT_iiiPKbib,"axG",@progbits,_ZN12_GLOBAL__N_120softmax_warp_forwardIdddLi5ELb0ELb0ELi32EEEvPT0_PKT_iiiPKbib,comdat
	.globl	_ZN12_GLOBAL__N_120softmax_warp_forwardIdddLi5ELb0ELb0ELi32EEEvPT0_PKT_iiiPKbib ; -- Begin function _ZN12_GLOBAL__N_120softmax_warp_forwardIdddLi5ELb0ELb0ELi32EEEvPT0_PKT_iiiPKbib
	.p2align	8
	.type	_ZN12_GLOBAL__N_120softmax_warp_forwardIdddLi5ELb0ELb0ELi32EEEvPT0_PKT_iiiPKbib,@function
_ZN12_GLOBAL__N_120softmax_warp_forwardIdddLi5ELb0ELb0ELi32EEEvPT0_PKT_iiiPKbib: ; @_ZN12_GLOBAL__N_120softmax_warp_forwardIdddLi5ELb0ELb0ELi32EEEvPT0_PKT_iiiPKbib
; %bb.0:
	s_load_dword s0, s[4:5], 0x3c
	s_load_dwordx8 s[8:15], s[4:5], 0x0
	v_bfe_u32 v1, v0, 10, 10
	v_and_b32_e32 v2, 0x3ff, v0
	s_waitcnt lgkmcnt(0)
	s_lshr_b32 s0, s0, 16
	s_mul_i32 s6, s6, s0
	v_add_lshl_u32 v1, s6, v1, 1
	v_sub_u32_e32 v14, s12, v1
	v_mad_u64_u32 v[0:1], s[0:1], v1, s13, v[2:3]
	v_ashrrev_i32_e32 v1, 31, v0
	v_lshlrev_b64 v[0:1], 3, v[0:1]
	v_mov_b32_e32 v3, s11
	v_add_co_u32_e32 v6, vcc, s10, v0
	v_addc_co_u32_e32 v7, vcc, v3, v1, vcc
	v_cmp_gt_i32_e64 s[0:1], s14, v2
	v_mov_b32_e32 v2, 0
	v_cmp_lt_i32_e32 vcc, 0, v14
	v_mov_b32_e32 v3, 0xfff00000
	s_and_b64 s[4:5], s[0:1], vcc
	v_pk_mov_b32 v[4:5], v[2:3], v[2:3] op_sel:[0,1]
	s_and_saveexec_b64 s[2:3], s[4:5]
	s_cbranch_execz .LBB365_2
; %bb.1:
	global_load_dwordx2 v[4:5], v[6:7], off
.LBB365_2:
	s_or_b64 exec, exec, s[2:3]
	v_cmp_lt_i32_e64 s[2:3], 1, v14
	s_and_b64 s[2:3], s[0:1], s[2:3]
	s_and_saveexec_b64 s[4:5], s[2:3]
	s_cbranch_execz .LBB365_4
; %bb.3:
	s_mov_b32 s15, 0
	s_lshl_b64 s[2:3], s[14:15], 3
	v_mov_b32_e32 v3, s3
	v_add_co_u32_e64 v2, s[2:3], s2, v6
	v_addc_co_u32_e64 v3, s[2:3], v7, v3, s[2:3]
	global_load_dwordx2 v[2:3], v[2:3], off
.LBB365_4:
	s_or_b64 exec, exec, s[4:5]
	v_mbcnt_lo_u32_b32 v6, -1, 0
	v_mbcnt_hi_u32_b32 v7, -1, v6
	v_and_b32_e32 v6, 0x60, v7
	v_add_u32_e32 v15, 32, v6
	v_xor_b32_e32 v6, 16, v7
	v_cmp_lt_i32_e64 s[2:3], v6, v15
	v_cndmask_b32_e64 v6, v7, v6, s[2:3]
	v_lshlrev_b32_e32 v6, 2, v6
	s_waitcnt vmcnt(0)
	ds_bpermute_b32 v8, v6, v4
	ds_bpermute_b32 v9, v6, v5
	v_xor_b32_e32 v12, 8, v7
	v_cmp_lt_i32_e64 s[4:5], v12, v15
	v_cndmask_b32_e64 v12, v7, v12, s[4:5]
	ds_bpermute_b32 v10, v6, v2
	s_waitcnt lgkmcnt(1)
	v_cmp_lt_f64_e64 s[2:3], v[4:5], v[8:9]
	ds_bpermute_b32 v11, v6, v3
	v_cndmask_b32_e64 v9, v5, v9, s[2:3]
	v_cndmask_b32_e64 v8, v4, v8, s[2:3]
	v_lshlrev_b32_e32 v20, 2, v12
	ds_bpermute_b32 v12, v20, v8
	ds_bpermute_b32 v13, v20, v9
	s_waitcnt lgkmcnt(2)
	v_cmp_lt_f64_e64 s[2:3], v[2:3], v[10:11]
	v_cndmask_b32_e64 v11, v3, v11, s[2:3]
	v_cndmask_b32_e64 v10, v2, v10, s[2:3]
	ds_bpermute_b32 v16, v20, v10
	s_waitcnt lgkmcnt(1)
	v_cmp_lt_f64_e64 s[2:3], v[8:9], v[12:13]
	v_cndmask_b32_e64 v8, v8, v12, s[2:3]
	v_xor_b32_e32 v12, 4, v7
	v_cmp_lt_i32_e64 s[4:5], v12, v15
	v_cndmask_b32_e64 v12, v7, v12, s[4:5]
	ds_bpermute_b32 v17, v20, v11
	v_cndmask_b32_e64 v9, v9, v13, s[2:3]
	v_lshlrev_b32_e32 v21, 2, v12
	ds_bpermute_b32 v12, v21, v8
	ds_bpermute_b32 v13, v21, v9
	s_waitcnt lgkmcnt(2)
	v_cmp_lt_f64_e64 s[2:3], v[10:11], v[16:17]
	v_cndmask_b32_e64 v11, v11, v17, s[2:3]
	v_cndmask_b32_e64 v10, v10, v16, s[2:3]
	ds_bpermute_b32 v16, v21, v10
	s_waitcnt lgkmcnt(1)
	v_cmp_lt_f64_e64 s[2:3], v[8:9], v[12:13]
	v_cndmask_b32_e64 v8, v8, v12, s[2:3]
	v_xor_b32_e32 v12, 2, v7
	v_cmp_lt_i32_e64 s[4:5], v12, v15
	v_cndmask_b32_e64 v12, v7, v12, s[4:5]
	ds_bpermute_b32 v17, v21, v11
	v_cndmask_b32_e64 v9, v9, v13, s[2:3]
	v_lshlrev_b32_e32 v22, 2, v12
	ds_bpermute_b32 v12, v22, v8
	ds_bpermute_b32 v13, v22, v9
	s_waitcnt lgkmcnt(2)
	v_cmp_lt_f64_e64 s[2:3], v[10:11], v[16:17]
	v_cndmask_b32_e64 v11, v11, v17, s[2:3]
	v_cndmask_b32_e64 v10, v10, v16, s[2:3]
	ds_bpermute_b32 v16, v22, v10
	s_waitcnt lgkmcnt(1)
	v_cmp_lt_f64_e64 s[2:3], v[8:9], v[12:13]
	ds_bpermute_b32 v17, v22, v11
	v_cndmask_b32_e64 v8, v8, v12, s[2:3]
	v_xor_b32_e32 v12, 1, v7
	v_cmp_lt_i32_e64 s[4:5], v12, v15
	v_cndmask_b32_e64 v7, v7, v12, s[4:5]
	v_cndmask_b32_e64 v9, v9, v13, s[2:3]
	v_lshlrev_b32_e32 v15, 2, v7
	ds_bpermute_b32 v12, v15, v8
	ds_bpermute_b32 v13, v15, v9
	s_waitcnt lgkmcnt(2)
	v_cmp_lt_f64_e64 s[2:3], v[10:11], v[16:17]
	v_cndmask_b32_e64 v11, v11, v17, s[2:3]
	v_cndmask_b32_e64 v10, v10, v16, s[2:3]
	ds_bpermute_b32 v16, v15, v10
	ds_bpermute_b32 v17, v15, v11
	s_waitcnt lgkmcnt(2)
	v_cmp_lt_f64_e64 s[2:3], v[8:9], v[12:13]
	v_cndmask_b32_e64 v9, v9, v13, s[2:3]
	v_cndmask_b32_e64 v8, v8, v12, s[2:3]
	s_mov_b32 s6, 0x652b82fe
	v_add_f64 v[4:5], v[4:5], -v[8:9]
	s_mov_b32 s7, 0x3ff71547
	s_waitcnt lgkmcnt(0)
	v_cmp_lt_f64_e64 s[2:3], v[10:11], v[16:17]
	v_mul_f64 v[8:9], v[4:5], s[6:7]
	s_mov_b32 s10, 0xfefa39ef
	v_cndmask_b32_e64 v11, v11, v17, s[2:3]
	v_cndmask_b32_e64 v10, v10, v16, s[2:3]
	v_rndne_f64_e32 v[8:9], v[8:9]
	s_mov_b32 s11, 0xbfe62e42
	s_mov_b32 s12, 0x3b39803f
	;; [unrolled: 1-line block ×3, first 2 shown]
	v_fma_f64 v[12:13], s[10:11], v[8:9], v[4:5]
	s_mov_b32 s13, 0xbc7abc9e
	s_mov_b32 s3, 0x3e928af3
	;; [unrolled: 1-line block ×3, first 2 shown]
	v_fmac_f64_e32 v[12:13], s[12:13], v[8:9]
	s_mov_b32 s17, 0x3e5ade15
	v_pk_mov_b32 v[16:17], s[2:3], s[2:3] op_sel:[0,1]
	s_mov_b32 s18, 0x623fde64
	v_fma_f64 v[18:19], s[16:17], v[12:13], v[16:17]
	s_mov_b32 s19, 0x3ec71dee
	s_mov_b32 s20, 0x7c89e6b0
	v_fma_f64 v[18:19], v[12:13], v[18:19], s[18:19]
	s_mov_b32 s21, 0x3efa0199
	;; [unrolled: 3-line block ×8, first 2 shown]
	v_fma_f64 v[18:19], v[12:13], v[18:19], s[34:35]
	v_add_f64 v[2:3], v[2:3], -v[10:11]
	v_fma_f64 v[18:19], v[12:13], v[18:19], 1.0
	v_mul_f64 v[10:11], v[2:3], s[6:7]
	v_fma_f64 v[12:13], v[12:13], v[18:19], 1.0
	v_cvt_i32_f64_e32 v7, v[8:9]
	v_rndne_f64_e32 v[10:11], v[10:11]
	v_ldexp_f64 v[8:9], v[12:13], v7
	v_fma_f64 v[12:13], s[10:11], v[10:11], v[2:3]
	v_fmac_f64_e32 v[12:13], s[12:13], v[10:11]
	v_fmac_f64_e32 v[16:17], s[16:17], v[12:13]
	v_fma_f64 v[16:17], v[12:13], v[16:17], s[18:19]
	v_fma_f64 v[16:17], v[12:13], v[16:17], s[20:21]
	;; [unrolled: 1-line block ×6, first 2 shown]
	s_mov_b32 s36, 0
	s_mov_b32 s38, 0
	v_fma_f64 v[16:17], v[12:13], v[16:17], s[30:31]
	s_mov_b32 s37, 0x40900000
	s_mov_b32 s39, 0xc090cc00
	v_fma_f64 v[16:17], v[12:13], v[16:17], s[34:35]
	v_mov_b32_e32 v7, 0x7ff00000
	v_cmp_nlt_f64_e64 s[2:3], s[36:37], v[4:5]
	v_cmp_ngt_f64_e64 s[4:5], s[38:39], v[4:5]
	v_fma_f64 v[16:17], v[12:13], v[16:17], 1.0
	v_cndmask_b32_e64 v9, v7, v9, s[2:3]
	s_and_b64 s[2:3], s[4:5], s[2:3]
	v_fma_f64 v[12:13], v[12:13], v[16:17], 1.0
	v_cvt_i32_f64_e32 v10, v[10:11]
	v_cndmask_b32_e64 v5, 0, v9, s[4:5]
	v_cndmask_b32_e64 v4, 0, v8, s[2:3]
	v_ldexp_f64 v[10:11], v[12:13], v10
	v_cmp_nlt_f64_e64 s[2:3], s[36:37], v[2:3]
	v_cmp_ngt_f64_e64 s[4:5], s[38:39], v[2:3]
	v_cndmask_b32_e64 v7, v7, v11, s[2:3]
	s_and_b64 s[2:3], s[4:5], s[2:3]
	v_cndmask_b32_e64 v3, 0, v7, s[4:5]
	v_cndmask_b32_e64 v2, 0, v10, s[2:3]
	v_add_f64 v[8:9], v[4:5], 0
	v_add_f64 v[10:11], v[2:3], 0
	ds_bpermute_b32 v12, v6, v8
	ds_bpermute_b32 v13, v6, v9
	ds_bpermute_b32 v16, v6, v10
	ds_bpermute_b32 v17, v6, v11
	s_waitcnt lgkmcnt(2)
	v_add_f64 v[6:7], v[8:9], v[12:13]
	s_waitcnt lgkmcnt(0)
	v_add_f64 v[8:9], v[10:11], v[16:17]
	ds_bpermute_b32 v10, v20, v6
	ds_bpermute_b32 v11, v20, v7
	;; [unrolled: 1-line block ×4, first 2 shown]
	s_waitcnt lgkmcnt(2)
	v_add_f64 v[6:7], v[6:7], v[10:11]
	ds_bpermute_b32 v10, v21, v6
	s_waitcnt lgkmcnt(1)
	v_add_f64 v[8:9], v[8:9], v[12:13]
	ds_bpermute_b32 v11, v21, v7
	ds_bpermute_b32 v12, v21, v8
	;; [unrolled: 1-line block ×3, first 2 shown]
	s_waitcnt lgkmcnt(2)
	v_add_f64 v[6:7], v[6:7], v[10:11]
	ds_bpermute_b32 v10, v22, v6
	s_waitcnt lgkmcnt(1)
	v_add_f64 v[8:9], v[8:9], v[12:13]
	ds_bpermute_b32 v11, v22, v7
	ds_bpermute_b32 v12, v22, v8
	;; [unrolled: 1-line block ×3, first 2 shown]
	s_waitcnt lgkmcnt(2)
	v_add_f64 v[10:11], v[6:7], v[10:11]
	s_waitcnt lgkmcnt(0)
	v_add_f64 v[6:7], v[8:9], v[12:13]
	ds_bpermute_b32 v12, v15, v10
	ds_bpermute_b32 v13, v15, v11
	;; [unrolled: 1-line block ×4, first 2 shown]
	s_and_saveexec_b64 s[2:3], vcc
	s_cbranch_execz .LBB365_10
; %bb.5:
	v_mov_b32_e32 v15, s9
	v_add_co_u32_e32 v0, vcc, s8, v0
	v_addc_co_u32_e32 v1, vcc, v15, v1, vcc
	s_and_saveexec_b64 s[2:3], s[0:1]
	s_cbranch_execz .LBB365_7
; %bb.6:
	s_waitcnt lgkmcnt(2)
	v_add_f64 v[10:11], v[10:11], v[12:13]
	v_div_scale_f64 v[12:13], s[4:5], v[10:11], v[10:11], v[4:5]
	v_rcp_f64_e32 v[16:17], v[12:13]
	v_div_scale_f64 v[18:19], vcc, v[4:5], v[10:11], v[4:5]
	v_fma_f64 v[20:21], -v[12:13], v[16:17], 1.0
	v_fmac_f64_e32 v[16:17], v[16:17], v[20:21]
	v_fma_f64 v[20:21], -v[12:13], v[16:17], 1.0
	v_fmac_f64_e32 v[16:17], v[16:17], v[20:21]
	v_mul_f64 v[20:21], v[18:19], v[16:17]
	v_fma_f64 v[12:13], -v[12:13], v[20:21], v[18:19]
	v_div_fmas_f64 v[12:13], v[12:13], v[16:17], v[20:21]
	v_div_fixup_f64 v[4:5], v[12:13], v[10:11], v[4:5]
	v_mov_b32_e32 v12, 0x7ff80000
	v_cmp_neq_f64_e32 vcc, 0, v[10:11]
	v_cndmask_b32_e32 v5, v12, v5, vcc
	v_cndmask_b32_e32 v4, 0, v4, vcc
	global_store_dwordx2 v[0:1], v[4:5], off
.LBB365_7:
	s_or_b64 exec, exec, s[2:3]
	v_cmp_ne_u32_e32 vcc, 1, v14
	s_and_b64 exec, exec, vcc
	s_cbranch_execz .LBB365_10
; %bb.8:
	s_and_b64 exec, exec, s[0:1]
	s_cbranch_execz .LBB365_10
; %bb.9:
	s_waitcnt lgkmcnt(0)
	v_add_f64 v[4:5], v[6:7], v[8:9]
	v_div_scale_f64 v[6:7], s[0:1], v[4:5], v[4:5], v[2:3]
	v_rcp_f64_e32 v[8:9], v[6:7]
	v_div_scale_f64 v[10:11], vcc, v[2:3], v[4:5], v[2:3]
	s_mov_b32 s15, 0
	v_fma_f64 v[12:13], -v[6:7], v[8:9], 1.0
	v_fmac_f64_e32 v[8:9], v[8:9], v[12:13]
	v_fma_f64 v[12:13], -v[6:7], v[8:9], 1.0
	v_fmac_f64_e32 v[8:9], v[8:9], v[12:13]
	v_mul_f64 v[12:13], v[10:11], v[8:9]
	v_fma_f64 v[6:7], -v[6:7], v[12:13], v[10:11]
	v_div_fmas_f64 v[6:7], v[6:7], v[8:9], v[12:13]
	s_lshl_b64 s[0:1], s[14:15], 3
	v_div_fixup_f64 v[2:3], v[6:7], v[4:5], v[2:3]
	v_mov_b32_e32 v6, s1
	v_add_co_u32_e32 v0, vcc, s0, v0
	v_addc_co_u32_e32 v1, vcc, v1, v6, vcc
	v_mov_b32_e32 v6, 0x7ff80000
	v_cmp_neq_f64_e32 vcc, 0, v[4:5]
	v_cndmask_b32_e32 v3, v6, v3, vcc
	v_cndmask_b32_e32 v2, 0, v2, vcc
	global_store_dwordx2 v[0:1], v[2:3], off
.LBB365_10:
	s_endpgm
	.section	.rodata,"a",@progbits
	.p2align	6, 0x0
	.amdhsa_kernel _ZN12_GLOBAL__N_120softmax_warp_forwardIdddLi5ELb0ELb0ELi32EEEvPT0_PKT_iiiPKbib
		.amdhsa_group_segment_fixed_size 0
		.amdhsa_private_segment_fixed_size 0
		.amdhsa_kernarg_size 304
		.amdhsa_user_sgpr_count 6
		.amdhsa_user_sgpr_private_segment_buffer 1
		.amdhsa_user_sgpr_dispatch_ptr 0
		.amdhsa_user_sgpr_queue_ptr 0
		.amdhsa_user_sgpr_kernarg_segment_ptr 1
		.amdhsa_user_sgpr_dispatch_id 0
		.amdhsa_user_sgpr_flat_scratch_init 0
		.amdhsa_user_sgpr_kernarg_preload_length 0
		.amdhsa_user_sgpr_kernarg_preload_offset 0
		.amdhsa_user_sgpr_private_segment_size 0
		.amdhsa_uses_dynamic_stack 0
		.amdhsa_system_sgpr_private_segment_wavefront_offset 0
		.amdhsa_system_sgpr_workgroup_id_x 1
		.amdhsa_system_sgpr_workgroup_id_y 0
		.amdhsa_system_sgpr_workgroup_id_z 0
		.amdhsa_system_sgpr_workgroup_info 0
		.amdhsa_system_vgpr_workitem_id 1
		.amdhsa_next_free_vgpr 23
		.amdhsa_next_free_sgpr 40
		.amdhsa_accum_offset 24
		.amdhsa_reserve_vcc 1
		.amdhsa_reserve_flat_scratch 0
		.amdhsa_float_round_mode_32 0
		.amdhsa_float_round_mode_16_64 0
		.amdhsa_float_denorm_mode_32 3
		.amdhsa_float_denorm_mode_16_64 3
		.amdhsa_dx10_clamp 1
		.amdhsa_ieee_mode 1
		.amdhsa_fp16_overflow 0
		.amdhsa_tg_split 0
		.amdhsa_exception_fp_ieee_invalid_op 0
		.amdhsa_exception_fp_denorm_src 0
		.amdhsa_exception_fp_ieee_div_zero 0
		.amdhsa_exception_fp_ieee_overflow 0
		.amdhsa_exception_fp_ieee_underflow 0
		.amdhsa_exception_fp_ieee_inexact 0
		.amdhsa_exception_int_div_zero 0
	.end_amdhsa_kernel
	.section	.text._ZN12_GLOBAL__N_120softmax_warp_forwardIdddLi5ELb0ELb0ELi32EEEvPT0_PKT_iiiPKbib,"axG",@progbits,_ZN12_GLOBAL__N_120softmax_warp_forwardIdddLi5ELb0ELb0ELi32EEEvPT0_PKT_iiiPKbib,comdat
.Lfunc_end365:
	.size	_ZN12_GLOBAL__N_120softmax_warp_forwardIdddLi5ELb0ELb0ELi32EEEvPT0_PKT_iiiPKbib, .Lfunc_end365-_ZN12_GLOBAL__N_120softmax_warp_forwardIdddLi5ELb0ELb0ELi32EEEvPT0_PKT_iiiPKbib
                                        ; -- End function
	.section	.AMDGPU.csdata,"",@progbits
; Kernel info:
; codeLenInByte = 1968
; NumSgprs: 44
; NumVgprs: 23
; NumAgprs: 0
; TotalNumVgprs: 23
; ScratchSize: 0
; MemoryBound: 0
; FloatMode: 240
; IeeeMode: 1
; LDSByteSize: 0 bytes/workgroup (compile time only)
; SGPRBlocks: 5
; VGPRBlocks: 2
; NumSGPRsForWavesPerEU: 44
; NumVGPRsForWavesPerEU: 23
; AccumOffset: 24
; Occupancy: 8
; WaveLimiterHint : 0
; COMPUTE_PGM_RSRC2:SCRATCH_EN: 0
; COMPUTE_PGM_RSRC2:USER_SGPR: 6
; COMPUTE_PGM_RSRC2:TRAP_HANDLER: 0
; COMPUTE_PGM_RSRC2:TGID_X_EN: 1
; COMPUTE_PGM_RSRC2:TGID_Y_EN: 0
; COMPUTE_PGM_RSRC2:TGID_Z_EN: 0
; COMPUTE_PGM_RSRC2:TIDIG_COMP_CNT: 1
; COMPUTE_PGM_RSRC3_GFX90A:ACCUM_OFFSET: 5
; COMPUTE_PGM_RSRC3_GFX90A:TG_SPLIT: 0
	.section	.text._ZN12_GLOBAL__N_120softmax_warp_forwardIdddLi6ELb0ELb0ELi64EEEvPT0_PKT_iiiPKbib,"axG",@progbits,_ZN12_GLOBAL__N_120softmax_warp_forwardIdddLi6ELb0ELb0ELi64EEEvPT0_PKT_iiiPKbib,comdat
	.globl	_ZN12_GLOBAL__N_120softmax_warp_forwardIdddLi6ELb0ELb0ELi64EEEvPT0_PKT_iiiPKbib ; -- Begin function _ZN12_GLOBAL__N_120softmax_warp_forwardIdddLi6ELb0ELb0ELi64EEEvPT0_PKT_iiiPKbib
	.p2align	8
	.type	_ZN12_GLOBAL__N_120softmax_warp_forwardIdddLi6ELb0ELb0ELi64EEEvPT0_PKT_iiiPKbib,@function
_ZN12_GLOBAL__N_120softmax_warp_forwardIdddLi6ELb0ELb0ELi64EEEvPT0_PKT_iiiPKbib: ; @_ZN12_GLOBAL__N_120softmax_warp_forwardIdddLi6ELb0ELb0ELi64EEEvPT0_PKT_iiiPKbib
; %bb.0:
	s_load_dword s0, s[4:5], 0x3c
	s_load_dwordx8 s[8:15], s[4:5], 0x0
	v_bfe_u32 v1, v0, 10, 10
	v_and_b32_e32 v2, 0x3ff, v0
	s_waitcnt lgkmcnt(0)
	s_lshr_b32 s0, s0, 16
	s_mul_i32 s6, s6, s0
	v_add_lshl_u32 v1, s6, v1, 1
	v_sub_u32_e32 v14, s12, v1
	v_mad_u64_u32 v[0:1], s[0:1], v1, s13, v[2:3]
	v_ashrrev_i32_e32 v1, 31, v0
	v_lshlrev_b64 v[0:1], 3, v[0:1]
	v_mov_b32_e32 v3, s11
	v_add_co_u32_e32 v6, vcc, s10, v0
	v_addc_co_u32_e32 v7, vcc, v3, v1, vcc
	v_cmp_gt_i32_e64 s[0:1], s14, v2
	v_mov_b32_e32 v2, 0
	v_cmp_lt_i32_e32 vcc, 0, v14
	v_mov_b32_e32 v3, 0xfff00000
	s_and_b64 s[4:5], s[0:1], vcc
	v_pk_mov_b32 v[4:5], v[2:3], v[2:3] op_sel:[0,1]
	s_and_saveexec_b64 s[2:3], s[4:5]
	s_cbranch_execz .LBB366_2
; %bb.1:
	global_load_dwordx2 v[4:5], v[6:7], off
.LBB366_2:
	s_or_b64 exec, exec, s[2:3]
	v_cmp_lt_i32_e64 s[2:3], 1, v14
	s_and_b64 s[2:3], s[0:1], s[2:3]
	s_and_saveexec_b64 s[4:5], s[2:3]
	s_cbranch_execz .LBB366_4
; %bb.3:
	s_mov_b32 s15, 0
	s_lshl_b64 s[2:3], s[14:15], 3
	v_mov_b32_e32 v3, s3
	v_add_co_u32_e64 v2, s[2:3], s2, v6
	v_addc_co_u32_e64 v3, s[2:3], v7, v3, s[2:3]
	global_load_dwordx2 v[2:3], v[2:3], off
.LBB366_4:
	s_or_b64 exec, exec, s[4:5]
	v_mbcnt_lo_u32_b32 v6, -1, 0
	v_mbcnt_hi_u32_b32 v15, -1, v6
	v_and_b32_e32 v6, 64, v15
	v_add_u32_e32 v20, 64, v6
	v_xor_b32_e32 v6, 32, v15
	v_cmp_lt_i32_e64 s[2:3], v6, v20
	v_cndmask_b32_e64 v6, v15, v6, s[2:3]
	v_lshlrev_b32_e32 v6, 2, v6
	s_waitcnt vmcnt(0)
	ds_bpermute_b32 v8, v6, v4
	ds_bpermute_b32 v9, v6, v5
	v_xor_b32_e32 v7, 16, v15
	v_cmp_lt_i32_e64 s[4:5], v7, v20
	v_cndmask_b32_e64 v7, v15, v7, s[4:5]
	ds_bpermute_b32 v10, v6, v2
	s_waitcnt lgkmcnt(1)
	v_cmp_lt_f64_e64 s[2:3], v[4:5], v[8:9]
	ds_bpermute_b32 v11, v6, v3
	v_cndmask_b32_e64 v9, v5, v9, s[2:3]
	v_cndmask_b32_e64 v8, v4, v8, s[2:3]
	v_lshlrev_b32_e32 v7, 2, v7
	ds_bpermute_b32 v12, v7, v8
	ds_bpermute_b32 v13, v7, v9
	s_waitcnt lgkmcnt(2)
	v_cmp_lt_f64_e64 s[2:3], v[2:3], v[10:11]
	v_cndmask_b32_e64 v11, v3, v11, s[2:3]
	v_cndmask_b32_e64 v10, v2, v10, s[2:3]
	ds_bpermute_b32 v16, v7, v10
	s_waitcnt lgkmcnt(1)
	v_cmp_lt_f64_e64 s[2:3], v[8:9], v[12:13]
	ds_bpermute_b32 v17, v7, v11
	v_cndmask_b32_e64 v12, v8, v12, s[2:3]
	v_xor_b32_e32 v8, 8, v15
	v_cmp_lt_i32_e64 s[4:5], v8, v20
	v_cndmask_b32_e64 v8, v15, v8, s[4:5]
	v_cndmask_b32_e64 v13, v9, v13, s[2:3]
	v_lshlrev_b32_e32 v8, 2, v8
	ds_bpermute_b32 v18, v8, v12
	ds_bpermute_b32 v19, v8, v13
	s_waitcnt lgkmcnt(2)
	v_cmp_lt_f64_e64 s[2:3], v[10:11], v[16:17]
	v_cndmask_b32_e64 v11, v11, v17, s[2:3]
	v_cndmask_b32_e64 v10, v10, v16, s[2:3]
	ds_bpermute_b32 v16, v8, v10
	ds_bpermute_b32 v17, v8, v11
	v_xor_b32_e32 v9, 4, v15
	v_cmp_lt_i32_e64 s[4:5], v9, v20
	s_waitcnt lgkmcnt(2)
	v_cmp_lt_f64_e64 s[2:3], v[12:13], v[18:19]
	v_cndmask_b32_e64 v9, v15, v9, s[4:5]
	v_cndmask_b32_e64 v13, v13, v19, s[2:3]
	v_cndmask_b32_e64 v12, v12, v18, s[2:3]
	v_lshlrev_b32_e32 v22, 2, v9
	ds_bpermute_b32 v18, v22, v12
	ds_bpermute_b32 v19, v22, v13
	s_waitcnt lgkmcnt(2)
	v_cmp_lt_f64_e64 s[2:3], v[10:11], v[16:17]
	v_cndmask_b32_e64 v11, v11, v17, s[2:3]
	v_cndmask_b32_e64 v10, v10, v16, s[2:3]
	ds_bpermute_b32 v16, v22, v10
	ds_bpermute_b32 v17, v22, v11
	v_xor_b32_e32 v9, 2, v15
	v_cmp_lt_i32_e64 s[4:5], v9, v20
	s_waitcnt lgkmcnt(2)
	v_cmp_lt_f64_e64 s[2:3], v[12:13], v[18:19]
	v_cndmask_b32_e64 v9, v15, v9, s[4:5]
	;; [unrolled: 16-line block ×3, first 2 shown]
	v_cndmask_b32_e64 v13, v13, v19, s[2:3]
	v_cndmask_b32_e64 v12, v12, v18, s[2:3]
	v_lshlrev_b32_e32 v15, 2, v9
	ds_bpermute_b32 v18, v15, v12
	ds_bpermute_b32 v19, v15, v13
	s_waitcnt lgkmcnt(2)
	v_cmp_lt_f64_e64 s[2:3], v[10:11], v[16:17]
	v_cndmask_b32_e64 v11, v11, v17, s[2:3]
	v_cndmask_b32_e64 v10, v10, v16, s[2:3]
	ds_bpermute_b32 v16, v15, v10
	ds_bpermute_b32 v17, v15, v11
	s_waitcnt lgkmcnt(2)
	v_cmp_lt_f64_e64 s[2:3], v[12:13], v[18:19]
	v_cndmask_b32_e64 v13, v13, v19, s[2:3]
	v_cndmask_b32_e64 v12, v12, v18, s[2:3]
	s_mov_b32 s6, 0x652b82fe
	v_add_f64 v[4:5], v[4:5], -v[12:13]
	s_mov_b32 s7, 0x3ff71547
	s_waitcnt lgkmcnt(0)
	v_cmp_lt_f64_e64 s[2:3], v[10:11], v[16:17]
	v_mul_f64 v[12:13], v[4:5], s[6:7]
	s_mov_b32 s10, 0xfefa39ef
	v_cndmask_b32_e64 v11, v11, v17, s[2:3]
	v_cndmask_b32_e64 v10, v10, v16, s[2:3]
	v_rndne_f64_e32 v[12:13], v[12:13]
	s_mov_b32 s11, 0xbfe62e42
	s_mov_b32 s12, 0x3b39803f
	;; [unrolled: 1-line block ×3, first 2 shown]
	v_fma_f64 v[16:17], s[10:11], v[12:13], v[4:5]
	s_mov_b32 s13, 0xbc7abc9e
	s_mov_b32 s3, 0x3e928af3
	s_mov_b32 s16, 0x6a5dcb37
	v_fmac_f64_e32 v[16:17], s[12:13], v[12:13]
	s_mov_b32 s17, 0x3e5ade15
	v_pk_mov_b32 v[18:19], s[2:3], s[2:3] op_sel:[0,1]
	s_mov_b32 s18, 0x623fde64
	v_fma_f64 v[20:21], s[16:17], v[16:17], v[18:19]
	s_mov_b32 s19, 0x3ec71dee
	s_mov_b32 s20, 0x7c89e6b0
	v_fma_f64 v[20:21], v[16:17], v[20:21], s[18:19]
	s_mov_b32 s21, 0x3efa0199
	;; [unrolled: 3-line block ×8, first 2 shown]
	v_fma_f64 v[20:21], v[16:17], v[20:21], s[34:35]
	v_add_f64 v[2:3], v[2:3], -v[10:11]
	v_fma_f64 v[20:21], v[16:17], v[20:21], 1.0
	v_mul_f64 v[10:11], v[2:3], s[6:7]
	v_fma_f64 v[16:17], v[16:17], v[20:21], 1.0
	v_cvt_i32_f64_e32 v9, v[12:13]
	v_rndne_f64_e32 v[10:11], v[10:11]
	v_ldexp_f64 v[12:13], v[16:17], v9
	v_fma_f64 v[16:17], s[10:11], v[10:11], v[2:3]
	v_fmac_f64_e32 v[16:17], s[12:13], v[10:11]
	v_fmac_f64_e32 v[18:19], s[16:17], v[16:17]
	v_fma_f64 v[18:19], v[16:17], v[18:19], s[18:19]
	v_fma_f64 v[18:19], v[16:17], v[18:19], s[20:21]
	;; [unrolled: 1-line block ×6, first 2 shown]
	s_mov_b32 s36, 0
	s_mov_b32 s38, 0
	v_fma_f64 v[18:19], v[16:17], v[18:19], s[30:31]
	s_mov_b32 s37, 0x40900000
	s_mov_b32 s39, 0xc090cc00
	v_fma_f64 v[18:19], v[16:17], v[18:19], s[34:35]
	v_mov_b32_e32 v9, 0x7ff00000
	v_cmp_nlt_f64_e64 s[2:3], s[36:37], v[4:5]
	v_cmp_ngt_f64_e64 s[4:5], s[38:39], v[4:5]
	v_fma_f64 v[18:19], v[16:17], v[18:19], 1.0
	v_cndmask_b32_e64 v13, v9, v13, s[2:3]
	s_and_b64 s[2:3], s[4:5], s[2:3]
	v_fma_f64 v[16:17], v[16:17], v[18:19], 1.0
	v_cvt_i32_f64_e32 v10, v[10:11]
	v_cndmask_b32_e64 v5, 0, v13, s[4:5]
	v_cndmask_b32_e64 v4, 0, v12, s[2:3]
	v_ldexp_f64 v[10:11], v[16:17], v10
	v_cmp_nlt_f64_e64 s[2:3], s[36:37], v[2:3]
	v_cmp_ngt_f64_e64 s[4:5], s[38:39], v[2:3]
	v_cndmask_b32_e64 v9, v9, v11, s[2:3]
	s_and_b64 s[2:3], s[4:5], s[2:3]
	v_cndmask_b32_e64 v3, 0, v9, s[4:5]
	v_cndmask_b32_e64 v2, 0, v10, s[2:3]
	v_add_f64 v[12:13], v[4:5], 0
	v_add_f64 v[10:11], v[2:3], 0
	ds_bpermute_b32 v16, v6, v12
	ds_bpermute_b32 v17, v6, v13
	;; [unrolled: 1-line block ×4, first 2 shown]
	s_waitcnt lgkmcnt(2)
	v_add_f64 v[12:13], v[12:13], v[16:17]
	ds_bpermute_b32 v16, v7, v12
	s_waitcnt lgkmcnt(1)
	v_add_f64 v[10:11], v[10:11], v[18:19]
	ds_bpermute_b32 v17, v7, v13
	ds_bpermute_b32 v6, v7, v10
	;; [unrolled: 1-line block ×3, first 2 shown]
	s_waitcnt lgkmcnt(2)
	v_add_f64 v[12:13], v[12:13], v[16:17]
	s_waitcnt lgkmcnt(0)
	v_add_f64 v[6:7], v[10:11], v[6:7]
	ds_bpermute_b32 v10, v8, v12
	ds_bpermute_b32 v11, v8, v13
	;; [unrolled: 1-line block ×4, first 2 shown]
	s_waitcnt lgkmcnt(2)
	v_add_f64 v[8:9], v[12:13], v[10:11]
	ds_bpermute_b32 v10, v22, v8
	s_waitcnt lgkmcnt(1)
	v_add_f64 v[6:7], v[6:7], v[16:17]
	ds_bpermute_b32 v11, v22, v9
	ds_bpermute_b32 v12, v22, v6
	ds_bpermute_b32 v13, v22, v7
	s_waitcnt lgkmcnt(2)
	v_add_f64 v[8:9], v[8:9], v[10:11]
	ds_bpermute_b32 v10, v23, v8
	s_waitcnt lgkmcnt(1)
	v_add_f64 v[6:7], v[6:7], v[12:13]
	ds_bpermute_b32 v11, v23, v9
	ds_bpermute_b32 v12, v23, v6
	;; [unrolled: 1-line block ×3, first 2 shown]
	s_waitcnt lgkmcnt(2)
	v_add_f64 v[10:11], v[8:9], v[10:11]
	s_waitcnt lgkmcnt(0)
	v_add_f64 v[6:7], v[6:7], v[12:13]
	ds_bpermute_b32 v12, v15, v10
	ds_bpermute_b32 v13, v15, v11
	;; [unrolled: 1-line block ×4, first 2 shown]
	s_and_saveexec_b64 s[2:3], vcc
	s_cbranch_execz .LBB366_10
; %bb.5:
	v_mov_b32_e32 v15, s9
	v_add_co_u32_e32 v0, vcc, s8, v0
	v_addc_co_u32_e32 v1, vcc, v15, v1, vcc
	s_and_saveexec_b64 s[2:3], s[0:1]
	s_cbranch_execz .LBB366_7
; %bb.6:
	s_waitcnt lgkmcnt(2)
	v_add_f64 v[10:11], v[10:11], v[12:13]
	v_div_scale_f64 v[12:13], s[4:5], v[10:11], v[10:11], v[4:5]
	v_rcp_f64_e32 v[16:17], v[12:13]
	v_div_scale_f64 v[18:19], vcc, v[4:5], v[10:11], v[4:5]
	v_fma_f64 v[20:21], -v[12:13], v[16:17], 1.0
	v_fmac_f64_e32 v[16:17], v[16:17], v[20:21]
	v_fma_f64 v[20:21], -v[12:13], v[16:17], 1.0
	v_fmac_f64_e32 v[16:17], v[16:17], v[20:21]
	v_mul_f64 v[20:21], v[18:19], v[16:17]
	v_fma_f64 v[12:13], -v[12:13], v[20:21], v[18:19]
	v_div_fmas_f64 v[12:13], v[12:13], v[16:17], v[20:21]
	v_div_fixup_f64 v[4:5], v[12:13], v[10:11], v[4:5]
	v_mov_b32_e32 v12, 0x7ff80000
	v_cmp_neq_f64_e32 vcc, 0, v[10:11]
	v_cndmask_b32_e32 v5, v12, v5, vcc
	v_cndmask_b32_e32 v4, 0, v4, vcc
	global_store_dwordx2 v[0:1], v[4:5], off
.LBB366_7:
	s_or_b64 exec, exec, s[2:3]
	v_cmp_ne_u32_e32 vcc, 1, v14
	s_and_b64 exec, exec, vcc
	s_cbranch_execz .LBB366_10
; %bb.8:
	s_and_b64 exec, exec, s[0:1]
	s_cbranch_execz .LBB366_10
; %bb.9:
	s_waitcnt lgkmcnt(0)
	v_add_f64 v[4:5], v[6:7], v[8:9]
	v_div_scale_f64 v[6:7], s[0:1], v[4:5], v[4:5], v[2:3]
	v_rcp_f64_e32 v[8:9], v[6:7]
	v_div_scale_f64 v[10:11], vcc, v[2:3], v[4:5], v[2:3]
	s_mov_b32 s15, 0
	v_fma_f64 v[12:13], -v[6:7], v[8:9], 1.0
	v_fmac_f64_e32 v[8:9], v[8:9], v[12:13]
	v_fma_f64 v[12:13], -v[6:7], v[8:9], 1.0
	v_fmac_f64_e32 v[8:9], v[8:9], v[12:13]
	v_mul_f64 v[12:13], v[10:11], v[8:9]
	v_fma_f64 v[6:7], -v[6:7], v[12:13], v[10:11]
	v_div_fmas_f64 v[6:7], v[6:7], v[8:9], v[12:13]
	s_lshl_b64 s[0:1], s[14:15], 3
	v_div_fixup_f64 v[2:3], v[6:7], v[4:5], v[2:3]
	v_mov_b32_e32 v6, s1
	v_add_co_u32_e32 v0, vcc, s0, v0
	v_addc_co_u32_e32 v1, vcc, v1, v6, vcc
	v_mov_b32_e32 v6, 0x7ff80000
	v_cmp_neq_f64_e32 vcc, 0, v[4:5]
	v_cndmask_b32_e32 v3, v6, v3, vcc
	v_cndmask_b32_e32 v2, 0, v2, vcc
	global_store_dwordx2 v[0:1], v[2:3], off
.LBB366_10:
	s_endpgm
	.section	.rodata,"a",@progbits
	.p2align	6, 0x0
	.amdhsa_kernel _ZN12_GLOBAL__N_120softmax_warp_forwardIdddLi6ELb0ELb0ELi64EEEvPT0_PKT_iiiPKbib
		.amdhsa_group_segment_fixed_size 0
		.amdhsa_private_segment_fixed_size 0
		.amdhsa_kernarg_size 304
		.amdhsa_user_sgpr_count 6
		.amdhsa_user_sgpr_private_segment_buffer 1
		.amdhsa_user_sgpr_dispatch_ptr 0
		.amdhsa_user_sgpr_queue_ptr 0
		.amdhsa_user_sgpr_kernarg_segment_ptr 1
		.amdhsa_user_sgpr_dispatch_id 0
		.amdhsa_user_sgpr_flat_scratch_init 0
		.amdhsa_user_sgpr_kernarg_preload_length 0
		.amdhsa_user_sgpr_kernarg_preload_offset 0
		.amdhsa_user_sgpr_private_segment_size 0
		.amdhsa_uses_dynamic_stack 0
		.amdhsa_system_sgpr_private_segment_wavefront_offset 0
		.amdhsa_system_sgpr_workgroup_id_x 1
		.amdhsa_system_sgpr_workgroup_id_y 0
		.amdhsa_system_sgpr_workgroup_id_z 0
		.amdhsa_system_sgpr_workgroup_info 0
		.amdhsa_system_vgpr_workitem_id 1
		.amdhsa_next_free_vgpr 24
		.amdhsa_next_free_sgpr 40
		.amdhsa_accum_offset 24
		.amdhsa_reserve_vcc 1
		.amdhsa_reserve_flat_scratch 0
		.amdhsa_float_round_mode_32 0
		.amdhsa_float_round_mode_16_64 0
		.amdhsa_float_denorm_mode_32 3
		.amdhsa_float_denorm_mode_16_64 3
		.amdhsa_dx10_clamp 1
		.amdhsa_ieee_mode 1
		.amdhsa_fp16_overflow 0
		.amdhsa_tg_split 0
		.amdhsa_exception_fp_ieee_invalid_op 0
		.amdhsa_exception_fp_denorm_src 0
		.amdhsa_exception_fp_ieee_div_zero 0
		.amdhsa_exception_fp_ieee_overflow 0
		.amdhsa_exception_fp_ieee_underflow 0
		.amdhsa_exception_fp_ieee_inexact 0
		.amdhsa_exception_int_div_zero 0
	.end_amdhsa_kernel
	.section	.text._ZN12_GLOBAL__N_120softmax_warp_forwardIdddLi6ELb0ELb0ELi64EEEvPT0_PKT_iiiPKbib,"axG",@progbits,_ZN12_GLOBAL__N_120softmax_warp_forwardIdddLi6ELb0ELb0ELi64EEEvPT0_PKT_iiiPKbib,comdat
.Lfunc_end366:
	.size	_ZN12_GLOBAL__N_120softmax_warp_forwardIdddLi6ELb0ELb0ELi64EEEvPT0_PKT_iiiPKbib, .Lfunc_end366-_ZN12_GLOBAL__N_120softmax_warp_forwardIdddLi6ELb0ELb0ELi64EEEvPT0_PKT_iiiPKbib
                                        ; -- End function
	.section	.AMDGPU.csdata,"",@progbits
; Kernel info:
; codeLenInByte = 2132
; NumSgprs: 44
; NumVgprs: 24
; NumAgprs: 0
; TotalNumVgprs: 24
; ScratchSize: 0
; MemoryBound: 0
; FloatMode: 240
; IeeeMode: 1
; LDSByteSize: 0 bytes/workgroup (compile time only)
; SGPRBlocks: 5
; VGPRBlocks: 2
; NumSGPRsForWavesPerEU: 44
; NumVGPRsForWavesPerEU: 24
; AccumOffset: 24
; Occupancy: 8
; WaveLimiterHint : 0
; COMPUTE_PGM_RSRC2:SCRATCH_EN: 0
; COMPUTE_PGM_RSRC2:USER_SGPR: 6
; COMPUTE_PGM_RSRC2:TRAP_HANDLER: 0
; COMPUTE_PGM_RSRC2:TGID_X_EN: 1
; COMPUTE_PGM_RSRC2:TGID_Y_EN: 0
; COMPUTE_PGM_RSRC2:TGID_Z_EN: 0
; COMPUTE_PGM_RSRC2:TIDIG_COMP_CNT: 1
; COMPUTE_PGM_RSRC3_GFX90A:ACCUM_OFFSET: 5
; COMPUTE_PGM_RSRC3_GFX90A:TG_SPLIT: 0
	.section	.text._ZN12_GLOBAL__N_120softmax_warp_forwardIdddLi6ELb0ELb0ELi32EEEvPT0_PKT_iiiPKbib,"axG",@progbits,_ZN12_GLOBAL__N_120softmax_warp_forwardIdddLi6ELb0ELb0ELi32EEEvPT0_PKT_iiiPKbib,comdat
	.globl	_ZN12_GLOBAL__N_120softmax_warp_forwardIdddLi6ELb0ELb0ELi32EEEvPT0_PKT_iiiPKbib ; -- Begin function _ZN12_GLOBAL__N_120softmax_warp_forwardIdddLi6ELb0ELb0ELi32EEEvPT0_PKT_iiiPKbib
	.p2align	8
	.type	_ZN12_GLOBAL__N_120softmax_warp_forwardIdddLi6ELb0ELb0ELi32EEEvPT0_PKT_iiiPKbib,@function
_ZN12_GLOBAL__N_120softmax_warp_forwardIdddLi6ELb0ELb0ELi32EEEvPT0_PKT_iiiPKbib: ; @_ZN12_GLOBAL__N_120softmax_warp_forwardIdddLi6ELb0ELb0ELi32EEEvPT0_PKT_iiiPKbib
; %bb.0:
	s_load_dword s0, s[4:5], 0x3c
	s_load_dwordx8 s[8:15], s[4:5], 0x0
	v_bfe_u32 v1, v0, 10, 10
	v_and_b32_e32 v2, 0x3ff, v0
	v_mov_b32_e32 v4, 0
	s_waitcnt lgkmcnt(0)
	s_lshr_b32 s0, s0, 16
	s_mul_i32 s6, s6, s0
	v_add_lshl_u32 v1, s6, v1, 1
	v_sub_u32_e32 v18, s12, v1
	v_mad_u64_u32 v[0:1], s[0:1], v1, s13, v[2:3]
	v_ashrrev_i32_e32 v1, 31, v0
	v_lshlrev_b64 v[0:1], 3, v[0:1]
	v_mov_b32_e32 v3, s11
	v_add_co_u32_e32 v10, vcc, s10, v0
	v_addc_co_u32_e32 v11, vcc, v3, v1, vcc
	v_cmp_lt_i32_e32 vcc, 0, v18
	v_cmp_gt_i32_e64 s[2:3], s14, v2
	v_mov_b32_e32 v5, 0xfff00000
	s_and_b64 s[4:5], vcc, s[2:3]
	v_pk_mov_b32 v[8:9], v[4:5], v[4:5] op_sel:[0,1]
	s_and_saveexec_b64 s[0:1], s[4:5]
	s_cbranch_execz .LBB367_2
; %bb.1:
	global_load_dwordx2 v[8:9], v[10:11], off
.LBB367_2:
	s_or_b64 exec, exec, s[0:1]
	v_add_u32_e32 v2, 32, v2
	v_cmp_gt_i32_e64 s[0:1], s14, v2
	s_and_b64 s[6:7], vcc, s[0:1]
	s_and_saveexec_b64 s[4:5], s[6:7]
	s_cbranch_execz .LBB367_4
; %bb.3:
	global_load_dwordx2 v[4:5], v[10:11], off offset:256
.LBB367_4:
	s_or_b64 exec, exec, s[4:5]
	v_mov_b32_e32 v2, 0
	v_cmp_lt_i32_e64 s[4:5], 1, v18
	v_mov_b32_e32 v3, 0xfff00000
	s_and_b64 s[6:7], s[4:5], s[2:3]
	v_pk_mov_b32 v[6:7], v[2:3], v[2:3] op_sel:[0,1]
	s_and_saveexec_b64 s[10:11], s[6:7]
	s_cbranch_execz .LBB367_6
; %bb.5:
	s_mov_b32 s15, 0
	s_lshl_b64 s[6:7], s[14:15], 3
	v_mov_b32_e32 v7, s7
	v_add_co_u32_e64 v6, s[6:7], s6, v10
	v_addc_co_u32_e64 v7, s[6:7], v11, v7, s[6:7]
	global_load_dwordx2 v[6:7], v[6:7], off
.LBB367_6:
	s_or_b64 exec, exec, s[10:11]
	s_and_b64 s[4:5], s[4:5], s[0:1]
	s_and_saveexec_b64 s[6:7], s[4:5]
	s_cbranch_execz .LBB367_8
; %bb.7:
	s_mov_b32 s15, 0
	s_lshl_b64 s[4:5], s[14:15], 3
	v_mov_b32_e32 v3, s5
	v_add_co_u32_e64 v2, s[4:5], s4, v10
	v_addc_co_u32_e64 v3, s[4:5], v11, v3, s[4:5]
	global_load_dwordx2 v[2:3], v[2:3], off offset:256
.LBB367_8:
	s_or_b64 exec, exec, s[6:7]
	v_mbcnt_lo_u32_b32 v12, -1, 0
	v_mbcnt_hi_u32_b32 v24, -1, v12
	v_and_b32_e32 v12, 0x60, v24
	v_add_u32_e32 v25, 32, v12
	v_xor_b32_e32 v12, 16, v24
	v_cmp_lt_i32_e64 s[6:7], v12, v25
	s_waitcnt vmcnt(0)
	v_cmp_gt_f64_e64 s[4:5], v[8:9], v[4:5]
	v_cndmask_b32_e64 v12, v24, v12, s[6:7]
	v_cndmask_b32_e64 v11, v5, v9, s[4:5]
	;; [unrolled: 1-line block ×3, first 2 shown]
	v_lshlrev_b32_e32 v16, 2, v12
	ds_bpermute_b32 v14, v16, v10
	ds_bpermute_b32 v15, v16, v11
	v_cmp_gt_f64_e64 s[4:5], v[6:7], v[2:3]
	v_cndmask_b32_e64 v13, v3, v7, s[4:5]
	v_cndmask_b32_e64 v12, v2, v6, s[4:5]
	ds_bpermute_b32 v20, v16, v12
	s_waitcnt lgkmcnt(1)
	v_cmp_lt_f64_e64 s[4:5], v[10:11], v[14:15]
	v_cndmask_b32_e64 v10, v10, v14, s[4:5]
	v_xor_b32_e32 v14, 8, v24
	v_cmp_lt_i32_e64 s[6:7], v14, v25
	v_cndmask_b32_e64 v14, v24, v14, s[6:7]
	ds_bpermute_b32 v21, v16, v13
	v_cndmask_b32_e64 v11, v11, v15, s[4:5]
	v_lshlrev_b32_e32 v17, 2, v14
	ds_bpermute_b32 v14, v17, v10
	ds_bpermute_b32 v15, v17, v11
	s_waitcnt lgkmcnt(2)
	v_cmp_lt_f64_e64 s[4:5], v[12:13], v[20:21]
	v_cndmask_b32_e64 v13, v13, v21, s[4:5]
	v_cndmask_b32_e64 v12, v12, v20, s[4:5]
	ds_bpermute_b32 v20, v17, v12
	s_waitcnt lgkmcnt(1)
	v_cmp_lt_f64_e64 s[4:5], v[10:11], v[14:15]
	v_cndmask_b32_e64 v10, v10, v14, s[4:5]
	v_xor_b32_e32 v14, 4, v24
	v_cmp_lt_i32_e64 s[6:7], v14, v25
	v_cndmask_b32_e64 v14, v24, v14, s[6:7]
	ds_bpermute_b32 v21, v17, v13
	v_cndmask_b32_e64 v11, v11, v15, s[4:5]
	v_lshlrev_b32_e32 v19, 2, v14
	ds_bpermute_b32 v14, v19, v10
	ds_bpermute_b32 v15, v19, v11
	s_waitcnt lgkmcnt(2)
	v_cmp_lt_f64_e64 s[4:5], v[12:13], v[20:21]
	;; [unrolled: 16-line block ×3, first 2 shown]
	v_cndmask_b32_e64 v13, v13, v23, s[4:5]
	v_cndmask_b32_e64 v12, v12, v22, s[4:5]
	ds_bpermute_b32 v22, v20, v12
	s_waitcnt lgkmcnt(1)
	v_cmp_lt_f64_e64 s[4:5], v[10:11], v[14:15]
	ds_bpermute_b32 v23, v20, v13
	v_cndmask_b32_e64 v10, v10, v14, s[4:5]
	v_xor_b32_e32 v14, 1, v24
	v_cmp_lt_i32_e64 s[6:7], v14, v25
	v_cndmask_b32_e64 v14, v24, v14, s[6:7]
	v_cndmask_b32_e64 v11, v11, v15, s[4:5]
	v_lshlrev_b32_e32 v21, 2, v14
	ds_bpermute_b32 v14, v21, v10
	ds_bpermute_b32 v15, v21, v11
	s_waitcnt lgkmcnt(2)
	v_cmp_lt_f64_e64 s[4:5], v[12:13], v[22:23]
	v_cndmask_b32_e64 v13, v13, v23, s[4:5]
	v_cndmask_b32_e64 v12, v12, v22, s[4:5]
	ds_bpermute_b32 v22, v21, v12
	ds_bpermute_b32 v23, v21, v13
	s_waitcnt lgkmcnt(2)
	v_cmp_lt_f64_e64 s[4:5], v[10:11], v[14:15]
	v_cndmask_b32_e64 v25, v11, v15, s[4:5]
	v_cndmask_b32_e64 v24, v10, v14, s[4:5]
	s_mov_b32 s10, 0x652b82fe
	v_add_f64 v[8:9], v[8:9], -v[24:25]
	s_mov_b32 s11, 0x3ff71547
	s_waitcnt lgkmcnt(0)
	v_cmp_lt_f64_e64 s[4:5], v[12:13], v[22:23]
	v_mul_f64 v[10:11], v[8:9], s[10:11]
	s_mov_b32 s12, 0xfefa39ef
	v_cndmask_b32_e64 v13, v13, v23, s[4:5]
	v_cndmask_b32_e64 v12, v12, v22, s[4:5]
	v_rndne_f64_e32 v[10:11], v[10:11]
	s_mov_b32 s13, 0xbfe62e42
	s_mov_b32 s16, 0x3b39803f
	;; [unrolled: 1-line block ×3, first 2 shown]
	v_fma_f64 v[22:23], s[12:13], v[10:11], v[8:9]
	s_mov_b32 s17, 0xbc7abc9e
	s_mov_b32 s5, 0x3e928af3
	;; [unrolled: 1-line block ×3, first 2 shown]
	v_fmac_f64_e32 v[22:23], s[16:17], v[10:11]
	s_mov_b32 s19, 0x3e5ade15
	v_pk_mov_b32 v[14:15], s[4:5], s[4:5] op_sel:[0,1]
	s_mov_b32 s20, 0x623fde64
	v_fma_f64 v[26:27], s[18:19], v[22:23], v[14:15]
	s_mov_b32 s21, 0x3ec71dee
	s_mov_b32 s22, 0x7c89e6b0
	v_fma_f64 v[26:27], v[22:23], v[26:27], s[20:21]
	s_mov_b32 s23, 0x3efa0199
	;; [unrolled: 3-line block ×5, first 2 shown]
	s_mov_b32 s30, 0x555502a1
	s_mov_b32 s38, 0
	;; [unrolled: 1-line block ×3, first 2 shown]
	v_fma_f64 v[26:27], v[22:23], v[26:27], s[28:29]
	s_mov_b32 s31, 0x3fa55555
	s_mov_b32 s34, 0x55555511
	;; [unrolled: 1-line block ×4, first 2 shown]
	v_add_f64 v[4:5], v[4:5], -v[24:25]
	v_fma_f64 v[26:27], v[22:23], v[26:27], s[30:31]
	s_mov_b32 s35, 0x3fc55555
	s_mov_b32 s36, 11
	v_cmp_nlt_f64_e64 s[4:5], s[38:39], v[8:9]
	v_cmp_ngt_f64_e64 s[6:7], s[40:41], v[8:9]
	v_mul_f64 v[8:9], v[4:5], s[10:11]
	v_fma_f64 v[26:27], v[22:23], v[26:27], s[34:35]
	s_mov_b32 s37, 0x3fe00000
	v_rndne_f64_e32 v[8:9], v[8:9]
	v_fma_f64 v[26:27], v[22:23], v[26:27], s[36:37]
	v_fma_f64 v[24:25], s[12:13], v[8:9], v[4:5]
	v_fma_f64 v[26:27], v[22:23], v[26:27], 1.0
	v_fmac_f64_e32 v[24:25], s[16:17], v[8:9]
	v_fma_f64 v[22:23], v[22:23], v[26:27], 1.0
	v_fma_f64 v[26:27], s[18:19], v[24:25], v[14:15]
	v_fma_f64 v[26:27], v[24:25], v[26:27], s[20:21]
	;; [unrolled: 1-line block ×5, first 2 shown]
	v_cvt_i32_f64_e32 v10, v[10:11]
	v_fma_f64 v[26:27], v[24:25], v[26:27], s[28:29]
	v_ldexp_f64 v[10:11], v[22:23], v10
	v_mov_b32_e32 v28, 0x7ff00000
	v_fma_f64 v[26:27], v[24:25], v[26:27], s[30:31]
	v_cndmask_b32_e64 v11, v28, v11, s[4:5]
	s_and_b64 s[4:5], s[6:7], s[4:5]
	v_fma_f64 v[26:27], v[24:25], v[26:27], s[34:35]
	v_cndmask_b32_e64 v11, 0, v11, s[6:7]
	v_cndmask_b32_e64 v10, 0, v10, s[4:5]
	v_fma_f64 v[26:27], v[24:25], v[26:27], s[36:37]
	v_cmp_nlt_f64_e64 s[4:5], s[38:39], v[4:5]
	v_cmp_ngt_f64_e64 s[6:7], s[40:41], v[4:5]
	v_add_f64 v[4:5], v[6:7], -v[12:13]
	v_fma_f64 v[26:27], v[24:25], v[26:27], 1.0
	v_mul_f64 v[6:7], v[4:5], s[10:11]
	v_fma_f64 v[24:25], v[24:25], v[26:27], 1.0
	v_cvt_i32_f64_e32 v8, v[8:9]
	v_rndne_f64_e32 v[6:7], v[6:7]
	v_ldexp_f64 v[8:9], v[24:25], v8
	v_fma_f64 v[24:25], s[12:13], v[6:7], v[4:5]
	v_fmac_f64_e32 v[24:25], s[16:17], v[6:7]
	v_fma_f64 v[26:27], s[18:19], v[24:25], v[14:15]
	v_fma_f64 v[26:27], v[24:25], v[26:27], s[20:21]
	;; [unrolled: 1-line block ×9, first 2 shown]
	v_add_f64 v[2:3], v[2:3], -v[12:13]
	v_fma_f64 v[26:27], v[24:25], v[26:27], 1.0
	v_mul_f64 v[12:13], v[2:3], s[10:11]
	v_fma_f64 v[24:25], v[24:25], v[26:27], 1.0
	v_cvt_i32_f64_e32 v6, v[6:7]
	v_rndne_f64_e32 v[12:13], v[12:13]
	v_ldexp_f64 v[6:7], v[24:25], v6
	v_fma_f64 v[24:25], s[12:13], v[12:13], v[2:3]
	v_fmac_f64_e32 v[24:25], s[16:17], v[12:13]
	v_fmac_f64_e32 v[14:15], s[18:19], v[24:25]
	v_fma_f64 v[14:15], v[24:25], v[14:15], s[20:21]
	v_fma_f64 v[14:15], v[24:25], v[14:15], s[22:23]
	;; [unrolled: 1-line block ×7, first 2 shown]
	v_cndmask_b32_e64 v9, v28, v9, s[4:5]
	s_and_b64 s[4:5], s[6:7], s[4:5]
	v_fma_f64 v[14:15], v[24:25], v[14:15], s[36:37]
	v_cndmask_b32_e64 v9, 0, v9, s[6:7]
	v_cndmask_b32_e64 v8, 0, v8, s[4:5]
	v_cmp_nlt_f64_e64 s[4:5], s[38:39], v[4:5]
	v_cmp_ngt_f64_e64 s[6:7], s[40:41], v[4:5]
	v_fma_f64 v[14:15], v[24:25], v[14:15], 1.0
	v_cndmask_b32_e64 v7, v28, v7, s[4:5]
	s_and_b64 s[4:5], s[6:7], s[4:5]
	v_fma_f64 v[14:15], v[24:25], v[14:15], 1.0
	v_cvt_i32_f64_e32 v12, v[12:13]
	v_cndmask_b32_e64 v5, 0, v7, s[6:7]
	v_cndmask_b32_e64 v4, 0, v6, s[4:5]
	v_ldexp_f64 v[12:13], v[14:15], v12
	v_cmp_nlt_f64_e64 s[4:5], s[38:39], v[2:3]
	v_cmp_ngt_f64_e64 s[6:7], s[40:41], v[2:3]
	v_cndmask_b32_e64 v13, v28, v13, s[4:5]
	s_and_b64 s[4:5], s[6:7], s[4:5]
	v_add_f64 v[22:23], v[10:11], 0
	v_add_f64 v[6:7], v[4:5], 0
	v_cndmask_b32_e64 v3, 0, v13, s[6:7]
	v_cndmask_b32_e64 v2, 0, v12, s[4:5]
	v_add_f64 v[22:23], v[22:23], v[8:9]
	v_add_f64 v[6:7], v[6:7], v[2:3]
	ds_bpermute_b32 v12, v16, v22
	ds_bpermute_b32 v13, v16, v23
	;; [unrolled: 1-line block ×4, first 2 shown]
	s_waitcnt lgkmcnt(2)
	v_add_f64 v[12:13], v[22:23], v[12:13]
	s_waitcnt lgkmcnt(0)
	v_add_f64 v[6:7], v[6:7], v[14:15]
	ds_bpermute_b32 v14, v17, v12
	ds_bpermute_b32 v15, v17, v13
	;; [unrolled: 1-line block ×4, first 2 shown]
	s_waitcnt lgkmcnt(2)
	v_add_f64 v[12:13], v[12:13], v[14:15]
	ds_bpermute_b32 v14, v19, v12
	s_waitcnt lgkmcnt(1)
	v_add_f64 v[6:7], v[6:7], v[16:17]
	ds_bpermute_b32 v15, v19, v13
	ds_bpermute_b32 v16, v19, v6
	;; [unrolled: 1-line block ×3, first 2 shown]
	s_waitcnt lgkmcnt(2)
	v_add_f64 v[12:13], v[12:13], v[14:15]
	ds_bpermute_b32 v14, v20, v12
	s_waitcnt lgkmcnt(1)
	v_add_f64 v[6:7], v[6:7], v[16:17]
	ds_bpermute_b32 v15, v20, v13
	ds_bpermute_b32 v16, v20, v6
	;; [unrolled: 1-line block ×3, first 2 shown]
	s_waitcnt lgkmcnt(2)
	v_add_f64 v[14:15], v[12:13], v[14:15]
	s_waitcnt lgkmcnt(0)
	v_add_f64 v[6:7], v[6:7], v[16:17]
	ds_bpermute_b32 v16, v21, v14
	ds_bpermute_b32 v17, v21, v15
	ds_bpermute_b32 v12, v21, v6
	ds_bpermute_b32 v13, v21, v7
	s_and_saveexec_b64 s[4:5], vcc
	s_cbranch_execz .LBB367_16
; %bb.9:
	v_mov_b32_e32 v19, s9
	v_add_co_u32_e32 v0, vcc, s8, v0
	v_addc_co_u32_e32 v1, vcc, v19, v1, vcc
	s_and_saveexec_b64 s[6:7], s[2:3]
	s_cbranch_execz .LBB367_12
; %bb.10:
	s_waitcnt lgkmcnt(2)
	v_add_f64 v[14:15], v[14:15], v[16:17]
	v_div_scale_f64 v[16:17], s[4:5], v[14:15], v[14:15], v[10:11]
	v_rcp_f64_e32 v[20:21], v[16:17]
	v_div_scale_f64 v[22:23], vcc, v[10:11], v[14:15], v[10:11]
	v_cmp_eq_f64_e64 s[4:5], 0, v[14:15]
	v_fma_f64 v[24:25], -v[16:17], v[20:21], 1.0
	v_fmac_f64_e32 v[20:21], v[20:21], v[24:25]
	v_fma_f64 v[24:25], -v[16:17], v[20:21], 1.0
	v_fmac_f64_e32 v[20:21], v[20:21], v[24:25]
	v_mul_f64 v[24:25], v[22:23], v[20:21]
	v_fma_f64 v[16:17], -v[16:17], v[24:25], v[22:23]
	v_div_fmas_f64 v[16:17], v[16:17], v[20:21], v[24:25]
	v_div_fixup_f64 v[16:17], v[16:17], v[14:15], v[10:11]
	v_mov_b32_e32 v10, 0x7ff80000
	v_cndmask_b32_e64 v17, v17, v10, s[4:5]
	v_cndmask_b32_e64 v16, v16, 0, s[4:5]
	global_store_dwordx2 v[0:1], v[16:17], off
	s_and_b64 exec, exec, s[0:1]
	s_cbranch_execz .LBB367_12
; %bb.11:
	v_div_scale_f64 v[16:17], s[8:9], v[14:15], v[14:15], v[8:9]
	v_rcp_f64_e32 v[20:21], v[16:17]
	v_div_scale_f64 v[22:23], vcc, v[8:9], v[14:15], v[8:9]
	v_fma_f64 v[24:25], -v[16:17], v[20:21], 1.0
	v_fmac_f64_e32 v[20:21], v[20:21], v[24:25]
	v_fma_f64 v[24:25], -v[16:17], v[20:21], 1.0
	v_fmac_f64_e32 v[20:21], v[20:21], v[24:25]
	v_mul_f64 v[24:25], v[22:23], v[20:21]
	v_fma_f64 v[16:17], -v[16:17], v[24:25], v[22:23]
	v_div_fmas_f64 v[16:17], v[16:17], v[20:21], v[24:25]
	v_div_fixup_f64 v[8:9], v[16:17], v[14:15], v[8:9]
	v_cndmask_b32_e64 v9, v9, v10, s[4:5]
	v_cndmask_b32_e64 v8, v8, 0, s[4:5]
	global_store_dwordx2 v[0:1], v[8:9], off offset:256
.LBB367_12:
	s_or_b64 exec, exec, s[6:7]
	v_cmp_ne_u32_e32 vcc, 1, v18
	s_and_b64 exec, exec, vcc
	s_cbranch_execz .LBB367_16
; %bb.13:
	s_and_b64 exec, exec, s[2:3]
	s_cbranch_execz .LBB367_16
; %bb.14:
	s_waitcnt lgkmcnt(0)
	v_add_f64 v[6:7], v[6:7], v[12:13]
	v_div_scale_f64 v[8:9], s[2:3], v[6:7], v[6:7], v[4:5]
	v_rcp_f64_e32 v[10:11], v[8:9]
	v_div_scale_f64 v[12:13], vcc, v[4:5], v[6:7], v[4:5]
	s_mov_b32 s15, 0
	v_fma_f64 v[14:15], -v[8:9], v[10:11], 1.0
	v_fmac_f64_e32 v[10:11], v[10:11], v[14:15]
	v_fma_f64 v[14:15], -v[8:9], v[10:11], 1.0
	v_fmac_f64_e32 v[10:11], v[10:11], v[14:15]
	v_mul_f64 v[14:15], v[12:13], v[10:11]
	v_fma_f64 v[8:9], -v[8:9], v[14:15], v[12:13]
	v_div_fmas_f64 v[8:9], v[8:9], v[10:11], v[14:15]
	s_lshl_b64 s[2:3], s[14:15], 3
	v_div_fixup_f64 v[8:9], v[8:9], v[6:7], v[4:5]
	v_mov_b32_e32 v4, s3
	v_add_co_u32_e32 v10, vcc, s2, v0
	v_addc_co_u32_e32 v11, vcc, v1, v4, vcc
	v_mov_b32_e32 v4, 0x7ff80000
	v_cmp_eq_f64_e64 s[2:3], 0, v[6:7]
	v_cndmask_b32_e64 v9, v9, v4, s[2:3]
	v_cndmask_b32_e64 v8, v8, 0, s[2:3]
	global_store_dwordx2 v[10:11], v[8:9], off
	s_and_b64 exec, exec, s[0:1]
	s_cbranch_execz .LBB367_16
; %bb.15:
	v_div_scale_f64 v[8:9], s[0:1], v[6:7], v[6:7], v[2:3]
	v_rcp_f64_e32 v[10:11], v[8:9]
	v_div_scale_f64 v[12:13], vcc, v[2:3], v[6:7], v[2:3]
	s_ashr_i32 s15, s14, 31
	v_fma_f64 v[14:15], -v[8:9], v[10:11], 1.0
	v_fmac_f64_e32 v[10:11], v[10:11], v[14:15]
	v_fma_f64 v[14:15], -v[8:9], v[10:11], 1.0
	v_fmac_f64_e32 v[10:11], v[10:11], v[14:15]
	v_mul_f64 v[14:15], v[12:13], v[10:11]
	v_fma_f64 v[8:9], -v[8:9], v[14:15], v[12:13]
	v_div_fmas_f64 v[8:9], v[8:9], v[10:11], v[14:15]
	s_lshl_b64 s[0:1], s[14:15], 3
	v_div_fixup_f64 v[2:3], v[8:9], v[6:7], v[2:3]
	v_mov_b32_e32 v5, s1
	v_add_co_u32_e32 v0, vcc, s0, v0
	v_addc_co_u32_e32 v1, vcc, v1, v5, vcc
	v_cndmask_b32_e64 v3, v3, v4, s[2:3]
	v_cndmask_b32_e64 v2, v2, 0, s[2:3]
	global_store_dwordx2 v[0:1], v[2:3], off offset:256
.LBB367_16:
	s_endpgm
	.section	.rodata,"a",@progbits
	.p2align	6, 0x0
	.amdhsa_kernel _ZN12_GLOBAL__N_120softmax_warp_forwardIdddLi6ELb0ELb0ELi32EEEvPT0_PKT_iiiPKbib
		.amdhsa_group_segment_fixed_size 0
		.amdhsa_private_segment_fixed_size 0
		.amdhsa_kernarg_size 304
		.amdhsa_user_sgpr_count 6
		.amdhsa_user_sgpr_private_segment_buffer 1
		.amdhsa_user_sgpr_dispatch_ptr 0
		.amdhsa_user_sgpr_queue_ptr 0
		.amdhsa_user_sgpr_kernarg_segment_ptr 1
		.amdhsa_user_sgpr_dispatch_id 0
		.amdhsa_user_sgpr_flat_scratch_init 0
		.amdhsa_user_sgpr_kernarg_preload_length 0
		.amdhsa_user_sgpr_kernarg_preload_offset 0
		.amdhsa_user_sgpr_private_segment_size 0
		.amdhsa_uses_dynamic_stack 0
		.amdhsa_system_sgpr_private_segment_wavefront_offset 0
		.amdhsa_system_sgpr_workgroup_id_x 1
		.amdhsa_system_sgpr_workgroup_id_y 0
		.amdhsa_system_sgpr_workgroup_id_z 0
		.amdhsa_system_sgpr_workgroup_info 0
		.amdhsa_system_vgpr_workitem_id 1
		.amdhsa_next_free_vgpr 29
		.amdhsa_next_free_sgpr 42
		.amdhsa_accum_offset 32
		.amdhsa_reserve_vcc 1
		.amdhsa_reserve_flat_scratch 0
		.amdhsa_float_round_mode_32 0
		.amdhsa_float_round_mode_16_64 0
		.amdhsa_float_denorm_mode_32 3
		.amdhsa_float_denorm_mode_16_64 3
		.amdhsa_dx10_clamp 1
		.amdhsa_ieee_mode 1
		.amdhsa_fp16_overflow 0
		.amdhsa_tg_split 0
		.amdhsa_exception_fp_ieee_invalid_op 0
		.amdhsa_exception_fp_denorm_src 0
		.amdhsa_exception_fp_ieee_div_zero 0
		.amdhsa_exception_fp_ieee_overflow 0
		.amdhsa_exception_fp_ieee_underflow 0
		.amdhsa_exception_fp_ieee_inexact 0
		.amdhsa_exception_int_div_zero 0
	.end_amdhsa_kernel
	.section	.text._ZN12_GLOBAL__N_120softmax_warp_forwardIdddLi6ELb0ELb0ELi32EEEvPT0_PKT_iiiPKbib,"axG",@progbits,_ZN12_GLOBAL__N_120softmax_warp_forwardIdddLi6ELb0ELb0ELi32EEEvPT0_PKT_iiiPKbib,comdat
.Lfunc_end367:
	.size	_ZN12_GLOBAL__N_120softmax_warp_forwardIdddLi6ELb0ELb0ELi32EEEvPT0_PKT_iiiPKbib, .Lfunc_end367-_ZN12_GLOBAL__N_120softmax_warp_forwardIdddLi6ELb0ELb0ELi32EEEvPT0_PKT_iiiPKbib
                                        ; -- End function
	.section	.AMDGPU.csdata,"",@progbits
; Kernel info:
; codeLenInByte = 2752
; NumSgprs: 46
; NumVgprs: 29
; NumAgprs: 0
; TotalNumVgprs: 29
; ScratchSize: 0
; MemoryBound: 0
; FloatMode: 240
; IeeeMode: 1
; LDSByteSize: 0 bytes/workgroup (compile time only)
; SGPRBlocks: 5
; VGPRBlocks: 3
; NumSGPRsForWavesPerEU: 46
; NumVGPRsForWavesPerEU: 29
; AccumOffset: 32
; Occupancy: 8
; WaveLimiterHint : 0
; COMPUTE_PGM_RSRC2:SCRATCH_EN: 0
; COMPUTE_PGM_RSRC2:USER_SGPR: 6
; COMPUTE_PGM_RSRC2:TRAP_HANDLER: 0
; COMPUTE_PGM_RSRC2:TGID_X_EN: 1
; COMPUTE_PGM_RSRC2:TGID_Y_EN: 0
; COMPUTE_PGM_RSRC2:TGID_Z_EN: 0
; COMPUTE_PGM_RSRC2:TIDIG_COMP_CNT: 1
; COMPUTE_PGM_RSRC3_GFX90A:ACCUM_OFFSET: 7
; COMPUTE_PGM_RSRC3_GFX90A:TG_SPLIT: 0
	.section	.text._ZN12_GLOBAL__N_120softmax_warp_forwardIdddLi7ELb0ELb0ELi64EEEvPT0_PKT_iiiPKbib,"axG",@progbits,_ZN12_GLOBAL__N_120softmax_warp_forwardIdddLi7ELb0ELb0ELi64EEEvPT0_PKT_iiiPKbib,comdat
	.globl	_ZN12_GLOBAL__N_120softmax_warp_forwardIdddLi7ELb0ELb0ELi64EEEvPT0_PKT_iiiPKbib ; -- Begin function _ZN12_GLOBAL__N_120softmax_warp_forwardIdddLi7ELb0ELb0ELi64EEEvPT0_PKT_iiiPKbib
	.p2align	8
	.type	_ZN12_GLOBAL__N_120softmax_warp_forwardIdddLi7ELb0ELb0ELi64EEEvPT0_PKT_iiiPKbib,@function
_ZN12_GLOBAL__N_120softmax_warp_forwardIdddLi7ELb0ELb0ELi64EEEvPT0_PKT_iiiPKbib: ; @_ZN12_GLOBAL__N_120softmax_warp_forwardIdddLi7ELb0ELb0ELi64EEEvPT0_PKT_iiiPKbib
; %bb.0:
	s_load_dword s0, s[4:5], 0x3c
	s_load_dwordx8 s[8:15], s[4:5], 0x0
	v_bfe_u32 v1, v0, 10, 10
	v_and_b32_e32 v2, 0x3ff, v0
	v_mov_b32_e32 v4, 0
	s_waitcnt lgkmcnt(0)
	s_lshr_b32 s0, s0, 16
	s_mul_i32 s6, s6, s0
	v_add_lshl_u32 v1, s6, v1, 1
	v_sub_u32_e32 v18, s12, v1
	v_mad_u64_u32 v[0:1], s[0:1], v1, s13, v[2:3]
	v_ashrrev_i32_e32 v1, 31, v0
	v_lshlrev_b64 v[0:1], 3, v[0:1]
	v_mov_b32_e32 v3, s11
	v_add_co_u32_e32 v10, vcc, s10, v0
	v_addc_co_u32_e32 v11, vcc, v3, v1, vcc
	v_cmp_lt_i32_e32 vcc, 0, v18
	v_cmp_gt_i32_e64 s[2:3], s14, v2
	v_mov_b32_e32 v5, 0xfff00000
	s_and_b64 s[4:5], vcc, s[2:3]
	v_pk_mov_b32 v[8:9], v[4:5], v[4:5] op_sel:[0,1]
	s_and_saveexec_b64 s[0:1], s[4:5]
	s_cbranch_execz .LBB368_2
; %bb.1:
	global_load_dwordx2 v[8:9], v[10:11], off
.LBB368_2:
	s_or_b64 exec, exec, s[0:1]
	v_add_u32_e32 v2, 64, v2
	v_cmp_gt_i32_e64 s[0:1], s14, v2
	s_and_b64 s[6:7], vcc, s[0:1]
	s_and_saveexec_b64 s[4:5], s[6:7]
	s_cbranch_execz .LBB368_4
; %bb.3:
	global_load_dwordx2 v[4:5], v[10:11], off offset:512
.LBB368_4:
	s_or_b64 exec, exec, s[4:5]
	v_mov_b32_e32 v2, 0
	v_cmp_lt_i32_e64 s[4:5], 1, v18
	v_mov_b32_e32 v3, 0xfff00000
	s_and_b64 s[6:7], s[4:5], s[2:3]
	v_pk_mov_b32 v[6:7], v[2:3], v[2:3] op_sel:[0,1]
	s_and_saveexec_b64 s[10:11], s[6:7]
	s_cbranch_execz .LBB368_6
; %bb.5:
	s_mov_b32 s15, 0
	s_lshl_b64 s[6:7], s[14:15], 3
	v_mov_b32_e32 v7, s7
	v_add_co_u32_e64 v6, s[6:7], s6, v10
	v_addc_co_u32_e64 v7, s[6:7], v11, v7, s[6:7]
	global_load_dwordx2 v[6:7], v[6:7], off
.LBB368_6:
	s_or_b64 exec, exec, s[10:11]
	s_and_b64 s[4:5], s[4:5], s[0:1]
	s_and_saveexec_b64 s[6:7], s[4:5]
	s_cbranch_execz .LBB368_8
; %bb.7:
	s_mov_b32 s15, 0
	s_lshl_b64 s[4:5], s[14:15], 3
	v_mov_b32_e32 v3, s5
	v_add_co_u32_e64 v2, s[4:5], s4, v10
	v_addc_co_u32_e64 v3, s[4:5], v11, v3, s[4:5]
	global_load_dwordx2 v[2:3], v[2:3], off offset:512
.LBB368_8:
	s_or_b64 exec, exec, s[6:7]
	v_mbcnt_lo_u32_b32 v12, -1, 0
	v_mbcnt_hi_u32_b32 v26, -1, v12
	v_and_b32_e32 v12, 64, v26
	v_add_u32_e32 v27, 64, v12
	v_xor_b32_e32 v12, 32, v26
	v_cmp_lt_i32_e64 s[6:7], v12, v27
	s_waitcnt vmcnt(0)
	v_cmp_gt_f64_e64 s[4:5], v[8:9], v[4:5]
	v_cndmask_b32_e64 v12, v26, v12, s[6:7]
	v_cndmask_b32_e64 v11, v5, v9, s[4:5]
	;; [unrolled: 1-line block ×3, first 2 shown]
	v_lshlrev_b32_e32 v16, 2, v12
	ds_bpermute_b32 v14, v16, v10
	ds_bpermute_b32 v15, v16, v11
	v_cmp_gt_f64_e64 s[4:5], v[6:7], v[2:3]
	v_cndmask_b32_e64 v13, v3, v7, s[4:5]
	v_cndmask_b32_e64 v12, v2, v6, s[4:5]
	ds_bpermute_b32 v20, v16, v12
	s_waitcnt lgkmcnt(1)
	v_cmp_lt_f64_e64 s[4:5], v[10:11], v[14:15]
	v_cndmask_b32_e64 v10, v10, v14, s[4:5]
	v_xor_b32_e32 v14, 16, v26
	v_cmp_lt_i32_e64 s[6:7], v14, v27
	v_cndmask_b32_e64 v14, v26, v14, s[6:7]
	ds_bpermute_b32 v21, v16, v13
	v_cndmask_b32_e64 v11, v11, v15, s[4:5]
	v_lshlrev_b32_e32 v17, 2, v14
	ds_bpermute_b32 v14, v17, v10
	ds_bpermute_b32 v15, v17, v11
	s_waitcnt lgkmcnt(2)
	v_cmp_lt_f64_e64 s[4:5], v[12:13], v[20:21]
	v_cndmask_b32_e64 v13, v13, v21, s[4:5]
	v_cndmask_b32_e64 v12, v12, v20, s[4:5]
	ds_bpermute_b32 v20, v17, v12
	s_waitcnt lgkmcnt(1)
	v_cmp_lt_f64_e64 s[4:5], v[10:11], v[14:15]
	v_cndmask_b32_e64 v10, v10, v14, s[4:5]
	v_xor_b32_e32 v14, 8, v26
	v_cmp_lt_i32_e64 s[6:7], v14, v27
	v_cndmask_b32_e64 v14, v26, v14, s[6:7]
	ds_bpermute_b32 v21, v17, v13
	v_cndmask_b32_e64 v11, v11, v15, s[4:5]
	v_lshlrev_b32_e32 v19, 2, v14
	ds_bpermute_b32 v14, v19, v10
	ds_bpermute_b32 v15, v19, v11
	s_waitcnt lgkmcnt(2)
	v_cmp_lt_f64_e64 s[4:5], v[12:13], v[20:21]
	;; [unrolled: 16-line block ×4, first 2 shown]
	v_cndmask_b32_e64 v13, v13, v23, s[4:5]
	v_cndmask_b32_e64 v12, v12, v22, s[4:5]
	ds_bpermute_b32 v24, v21, v12
	s_waitcnt lgkmcnt(1)
	v_cmp_lt_f64_e64 s[4:5], v[10:11], v[14:15]
	ds_bpermute_b32 v25, v21, v13
	v_cndmask_b32_e64 v10, v10, v14, s[4:5]
	v_xor_b32_e32 v14, 1, v26
	v_cmp_lt_i32_e64 s[6:7], v14, v27
	v_cndmask_b32_e64 v14, v26, v14, s[6:7]
	v_cndmask_b32_e64 v11, v11, v15, s[4:5]
	v_lshlrev_b32_e32 v22, 2, v14
	ds_bpermute_b32 v14, v22, v10
	ds_bpermute_b32 v15, v22, v11
	s_waitcnt lgkmcnt(2)
	v_cmp_lt_f64_e64 s[4:5], v[12:13], v[24:25]
	v_cndmask_b32_e64 v13, v13, v25, s[4:5]
	v_cndmask_b32_e64 v12, v12, v24, s[4:5]
	ds_bpermute_b32 v24, v22, v12
	ds_bpermute_b32 v25, v22, v13
	s_waitcnt lgkmcnt(2)
	v_cmp_lt_f64_e64 s[4:5], v[10:11], v[14:15]
	v_cndmask_b32_e64 v27, v11, v15, s[4:5]
	v_cndmask_b32_e64 v26, v10, v14, s[4:5]
	s_mov_b32 s10, 0x652b82fe
	v_add_f64 v[8:9], v[8:9], -v[26:27]
	s_mov_b32 s11, 0x3ff71547
	s_waitcnt lgkmcnt(0)
	v_cmp_lt_f64_e64 s[4:5], v[12:13], v[24:25]
	v_mul_f64 v[10:11], v[8:9], s[10:11]
	s_mov_b32 s12, 0xfefa39ef
	v_cndmask_b32_e64 v13, v13, v25, s[4:5]
	v_cndmask_b32_e64 v12, v12, v24, s[4:5]
	v_rndne_f64_e32 v[10:11], v[10:11]
	s_mov_b32 s13, 0xbfe62e42
	s_mov_b32 s16, 0x3b39803f
	;; [unrolled: 1-line block ×3, first 2 shown]
	v_fma_f64 v[24:25], s[12:13], v[10:11], v[8:9]
	s_mov_b32 s17, 0xbc7abc9e
	s_mov_b32 s5, 0x3e928af3
	;; [unrolled: 1-line block ×3, first 2 shown]
	v_fmac_f64_e32 v[24:25], s[16:17], v[10:11]
	s_mov_b32 s19, 0x3e5ade15
	v_pk_mov_b32 v[14:15], s[4:5], s[4:5] op_sel:[0,1]
	s_mov_b32 s20, 0x623fde64
	v_fma_f64 v[28:29], s[18:19], v[24:25], v[14:15]
	s_mov_b32 s21, 0x3ec71dee
	s_mov_b32 s22, 0x7c89e6b0
	v_fma_f64 v[28:29], v[24:25], v[28:29], s[20:21]
	s_mov_b32 s23, 0x3efa0199
	;; [unrolled: 3-line block ×5, first 2 shown]
	s_mov_b32 s30, 0x555502a1
	s_mov_b32 s38, 0
	;; [unrolled: 1-line block ×3, first 2 shown]
	v_fma_f64 v[28:29], v[24:25], v[28:29], s[28:29]
	s_mov_b32 s31, 0x3fa55555
	s_mov_b32 s34, 0x55555511
	;; [unrolled: 1-line block ×4, first 2 shown]
	v_add_f64 v[4:5], v[4:5], -v[26:27]
	v_fma_f64 v[28:29], v[24:25], v[28:29], s[30:31]
	s_mov_b32 s35, 0x3fc55555
	s_mov_b32 s36, 11
	v_cmp_nlt_f64_e64 s[4:5], s[38:39], v[8:9]
	v_cmp_ngt_f64_e64 s[6:7], s[40:41], v[8:9]
	v_mul_f64 v[8:9], v[4:5], s[10:11]
	v_fma_f64 v[28:29], v[24:25], v[28:29], s[34:35]
	s_mov_b32 s37, 0x3fe00000
	v_rndne_f64_e32 v[8:9], v[8:9]
	v_fma_f64 v[28:29], v[24:25], v[28:29], s[36:37]
	v_fma_f64 v[26:27], s[12:13], v[8:9], v[4:5]
	v_fma_f64 v[28:29], v[24:25], v[28:29], 1.0
	v_fmac_f64_e32 v[26:27], s[16:17], v[8:9]
	v_fma_f64 v[24:25], v[24:25], v[28:29], 1.0
	v_fma_f64 v[28:29], s[18:19], v[26:27], v[14:15]
	v_fma_f64 v[28:29], v[26:27], v[28:29], s[20:21]
	;; [unrolled: 1-line block ×5, first 2 shown]
	v_cvt_i32_f64_e32 v10, v[10:11]
	v_fma_f64 v[28:29], v[26:27], v[28:29], s[28:29]
	v_ldexp_f64 v[10:11], v[24:25], v10
	v_mov_b32_e32 v23, 0x7ff00000
	v_fma_f64 v[28:29], v[26:27], v[28:29], s[30:31]
	v_cndmask_b32_e64 v11, v23, v11, s[4:5]
	s_and_b64 s[4:5], s[6:7], s[4:5]
	v_fma_f64 v[28:29], v[26:27], v[28:29], s[34:35]
	v_cndmask_b32_e64 v11, 0, v11, s[6:7]
	v_cndmask_b32_e64 v10, 0, v10, s[4:5]
	v_fma_f64 v[28:29], v[26:27], v[28:29], s[36:37]
	v_cmp_nlt_f64_e64 s[4:5], s[38:39], v[4:5]
	v_cmp_ngt_f64_e64 s[6:7], s[40:41], v[4:5]
	v_add_f64 v[4:5], v[6:7], -v[12:13]
	v_fma_f64 v[28:29], v[26:27], v[28:29], 1.0
	v_mul_f64 v[6:7], v[4:5], s[10:11]
	v_fma_f64 v[26:27], v[26:27], v[28:29], 1.0
	v_cvt_i32_f64_e32 v8, v[8:9]
	v_rndne_f64_e32 v[6:7], v[6:7]
	v_ldexp_f64 v[8:9], v[26:27], v8
	v_fma_f64 v[26:27], s[12:13], v[6:7], v[4:5]
	v_fmac_f64_e32 v[26:27], s[16:17], v[6:7]
	v_fma_f64 v[28:29], s[18:19], v[26:27], v[14:15]
	v_fma_f64 v[28:29], v[26:27], v[28:29], s[20:21]
	v_fma_f64 v[28:29], v[26:27], v[28:29], s[22:23]
	v_fma_f64 v[28:29], v[26:27], v[28:29], s[24:25]
	v_fma_f64 v[28:29], v[26:27], v[28:29], s[26:27]
	v_fma_f64 v[28:29], v[26:27], v[28:29], s[28:29]
	v_fma_f64 v[28:29], v[26:27], v[28:29], s[30:31]
	v_fma_f64 v[28:29], v[26:27], v[28:29], s[34:35]
	v_fma_f64 v[28:29], v[26:27], v[28:29], s[36:37]
	v_add_f64 v[2:3], v[2:3], -v[12:13]
	v_fma_f64 v[28:29], v[26:27], v[28:29], 1.0
	v_mul_f64 v[12:13], v[2:3], s[10:11]
	v_fma_f64 v[26:27], v[26:27], v[28:29], 1.0
	v_cvt_i32_f64_e32 v6, v[6:7]
	v_rndne_f64_e32 v[12:13], v[12:13]
	v_ldexp_f64 v[6:7], v[26:27], v6
	v_fma_f64 v[26:27], s[12:13], v[12:13], v[2:3]
	v_fmac_f64_e32 v[26:27], s[16:17], v[12:13]
	v_fmac_f64_e32 v[14:15], s[18:19], v[26:27]
	v_fma_f64 v[14:15], v[26:27], v[14:15], s[20:21]
	v_fma_f64 v[14:15], v[26:27], v[14:15], s[22:23]
	;; [unrolled: 1-line block ×7, first 2 shown]
	v_cndmask_b32_e64 v9, v23, v9, s[4:5]
	s_and_b64 s[4:5], s[6:7], s[4:5]
	v_fma_f64 v[14:15], v[26:27], v[14:15], s[36:37]
	v_cndmask_b32_e64 v9, 0, v9, s[6:7]
	v_cndmask_b32_e64 v8, 0, v8, s[4:5]
	v_cmp_nlt_f64_e64 s[4:5], s[38:39], v[4:5]
	v_cmp_ngt_f64_e64 s[6:7], s[40:41], v[4:5]
	v_fma_f64 v[14:15], v[26:27], v[14:15], 1.0
	v_cndmask_b32_e64 v7, v23, v7, s[4:5]
	s_and_b64 s[4:5], s[6:7], s[4:5]
	v_fma_f64 v[14:15], v[26:27], v[14:15], 1.0
	v_cvt_i32_f64_e32 v12, v[12:13]
	v_cndmask_b32_e64 v5, 0, v7, s[6:7]
	v_cndmask_b32_e64 v4, 0, v6, s[4:5]
	v_ldexp_f64 v[12:13], v[14:15], v12
	v_cmp_nlt_f64_e64 s[4:5], s[38:39], v[2:3]
	v_cmp_ngt_f64_e64 s[6:7], s[40:41], v[2:3]
	v_cndmask_b32_e64 v13, v23, v13, s[4:5]
	s_and_b64 s[4:5], s[6:7], s[4:5]
	v_add_f64 v[24:25], v[10:11], 0
	v_add_f64 v[6:7], v[4:5], 0
	v_cndmask_b32_e64 v3, 0, v13, s[6:7]
	v_cndmask_b32_e64 v2, 0, v12, s[4:5]
	v_add_f64 v[24:25], v[24:25], v[8:9]
	v_add_f64 v[6:7], v[6:7], v[2:3]
	ds_bpermute_b32 v12, v16, v24
	ds_bpermute_b32 v13, v16, v25
	ds_bpermute_b32 v14, v16, v6
	ds_bpermute_b32 v15, v16, v7
	s_waitcnt lgkmcnt(2)
	v_add_f64 v[12:13], v[24:25], v[12:13]
	s_waitcnt lgkmcnt(0)
	v_add_f64 v[6:7], v[6:7], v[14:15]
	ds_bpermute_b32 v14, v17, v12
	ds_bpermute_b32 v15, v17, v13
	;; [unrolled: 1-line block ×4, first 2 shown]
	s_waitcnt lgkmcnt(2)
	v_add_f64 v[12:13], v[12:13], v[14:15]
	ds_bpermute_b32 v14, v19, v12
	s_waitcnt lgkmcnt(1)
	v_add_f64 v[6:7], v[6:7], v[16:17]
	ds_bpermute_b32 v15, v19, v13
	ds_bpermute_b32 v16, v19, v6
	ds_bpermute_b32 v17, v19, v7
	s_waitcnt lgkmcnt(2)
	v_add_f64 v[12:13], v[12:13], v[14:15]
	ds_bpermute_b32 v14, v20, v12
	s_waitcnt lgkmcnt(1)
	v_add_f64 v[6:7], v[6:7], v[16:17]
	ds_bpermute_b32 v15, v20, v13
	ds_bpermute_b32 v16, v20, v6
	ds_bpermute_b32 v17, v20, v7
	;; [unrolled: 8-line block ×3, first 2 shown]
	s_waitcnt lgkmcnt(2)
	v_add_f64 v[14:15], v[12:13], v[14:15]
	s_waitcnt lgkmcnt(0)
	v_add_f64 v[6:7], v[6:7], v[16:17]
	ds_bpermute_b32 v16, v22, v14
	ds_bpermute_b32 v17, v22, v15
	;; [unrolled: 1-line block ×4, first 2 shown]
	s_and_saveexec_b64 s[4:5], vcc
	s_cbranch_execz .LBB368_16
; %bb.9:
	v_mov_b32_e32 v19, s9
	v_add_co_u32_e32 v0, vcc, s8, v0
	v_addc_co_u32_e32 v1, vcc, v19, v1, vcc
	s_and_saveexec_b64 s[6:7], s[2:3]
	s_cbranch_execz .LBB368_12
; %bb.10:
	s_waitcnt lgkmcnt(2)
	v_add_f64 v[14:15], v[14:15], v[16:17]
	v_div_scale_f64 v[16:17], s[4:5], v[14:15], v[14:15], v[10:11]
	v_rcp_f64_e32 v[20:21], v[16:17]
	v_div_scale_f64 v[22:23], vcc, v[10:11], v[14:15], v[10:11]
	v_cmp_eq_f64_e64 s[4:5], 0, v[14:15]
	v_fma_f64 v[24:25], -v[16:17], v[20:21], 1.0
	v_fmac_f64_e32 v[20:21], v[20:21], v[24:25]
	v_fma_f64 v[24:25], -v[16:17], v[20:21], 1.0
	v_fmac_f64_e32 v[20:21], v[20:21], v[24:25]
	v_mul_f64 v[24:25], v[22:23], v[20:21]
	v_fma_f64 v[16:17], -v[16:17], v[24:25], v[22:23]
	v_div_fmas_f64 v[16:17], v[16:17], v[20:21], v[24:25]
	v_div_fixup_f64 v[16:17], v[16:17], v[14:15], v[10:11]
	v_mov_b32_e32 v10, 0x7ff80000
	v_cndmask_b32_e64 v17, v17, v10, s[4:5]
	v_cndmask_b32_e64 v16, v16, 0, s[4:5]
	global_store_dwordx2 v[0:1], v[16:17], off
	s_and_b64 exec, exec, s[0:1]
	s_cbranch_execz .LBB368_12
; %bb.11:
	v_div_scale_f64 v[16:17], s[8:9], v[14:15], v[14:15], v[8:9]
	v_rcp_f64_e32 v[20:21], v[16:17]
	v_div_scale_f64 v[22:23], vcc, v[8:9], v[14:15], v[8:9]
	v_fma_f64 v[24:25], -v[16:17], v[20:21], 1.0
	v_fmac_f64_e32 v[20:21], v[20:21], v[24:25]
	v_fma_f64 v[24:25], -v[16:17], v[20:21], 1.0
	v_fmac_f64_e32 v[20:21], v[20:21], v[24:25]
	v_mul_f64 v[24:25], v[22:23], v[20:21]
	v_fma_f64 v[16:17], -v[16:17], v[24:25], v[22:23]
	v_div_fmas_f64 v[16:17], v[16:17], v[20:21], v[24:25]
	v_div_fixup_f64 v[8:9], v[16:17], v[14:15], v[8:9]
	v_cndmask_b32_e64 v9, v9, v10, s[4:5]
	v_cndmask_b32_e64 v8, v8, 0, s[4:5]
	global_store_dwordx2 v[0:1], v[8:9], off offset:512
.LBB368_12:
	s_or_b64 exec, exec, s[6:7]
	v_cmp_ne_u32_e32 vcc, 1, v18
	s_and_b64 exec, exec, vcc
	s_cbranch_execz .LBB368_16
; %bb.13:
	s_and_b64 exec, exec, s[2:3]
	s_cbranch_execz .LBB368_16
; %bb.14:
	s_waitcnt lgkmcnt(0)
	v_add_f64 v[6:7], v[6:7], v[12:13]
	v_div_scale_f64 v[8:9], s[2:3], v[6:7], v[6:7], v[4:5]
	v_rcp_f64_e32 v[10:11], v[8:9]
	v_div_scale_f64 v[12:13], vcc, v[4:5], v[6:7], v[4:5]
	s_mov_b32 s15, 0
	v_fma_f64 v[14:15], -v[8:9], v[10:11], 1.0
	v_fmac_f64_e32 v[10:11], v[10:11], v[14:15]
	v_fma_f64 v[14:15], -v[8:9], v[10:11], 1.0
	v_fmac_f64_e32 v[10:11], v[10:11], v[14:15]
	v_mul_f64 v[14:15], v[12:13], v[10:11]
	v_fma_f64 v[8:9], -v[8:9], v[14:15], v[12:13]
	v_div_fmas_f64 v[8:9], v[8:9], v[10:11], v[14:15]
	s_lshl_b64 s[2:3], s[14:15], 3
	v_div_fixup_f64 v[8:9], v[8:9], v[6:7], v[4:5]
	v_mov_b32_e32 v4, s3
	v_add_co_u32_e32 v10, vcc, s2, v0
	v_addc_co_u32_e32 v11, vcc, v1, v4, vcc
	v_mov_b32_e32 v4, 0x7ff80000
	v_cmp_eq_f64_e64 s[2:3], 0, v[6:7]
	v_cndmask_b32_e64 v9, v9, v4, s[2:3]
	v_cndmask_b32_e64 v8, v8, 0, s[2:3]
	global_store_dwordx2 v[10:11], v[8:9], off
	s_and_b64 exec, exec, s[0:1]
	s_cbranch_execz .LBB368_16
; %bb.15:
	v_div_scale_f64 v[8:9], s[0:1], v[6:7], v[6:7], v[2:3]
	v_rcp_f64_e32 v[10:11], v[8:9]
	v_div_scale_f64 v[12:13], vcc, v[2:3], v[6:7], v[2:3]
	s_ashr_i32 s15, s14, 31
	v_fma_f64 v[14:15], -v[8:9], v[10:11], 1.0
	v_fmac_f64_e32 v[10:11], v[10:11], v[14:15]
	v_fma_f64 v[14:15], -v[8:9], v[10:11], 1.0
	v_fmac_f64_e32 v[10:11], v[10:11], v[14:15]
	v_mul_f64 v[14:15], v[12:13], v[10:11]
	v_fma_f64 v[8:9], -v[8:9], v[14:15], v[12:13]
	v_div_fmas_f64 v[8:9], v[8:9], v[10:11], v[14:15]
	s_lshl_b64 s[0:1], s[14:15], 3
	v_div_fixup_f64 v[2:3], v[8:9], v[6:7], v[2:3]
	v_mov_b32_e32 v5, s1
	v_add_co_u32_e32 v0, vcc, s0, v0
	v_addc_co_u32_e32 v1, vcc, v1, v5, vcc
	v_cndmask_b32_e64 v3, v3, v4, s[2:3]
	v_cndmask_b32_e64 v2, v2, 0, s[2:3]
	global_store_dwordx2 v[0:1], v[2:3], off offset:512
.LBB368_16:
	s_endpgm
	.section	.rodata,"a",@progbits
	.p2align	6, 0x0
	.amdhsa_kernel _ZN12_GLOBAL__N_120softmax_warp_forwardIdddLi7ELb0ELb0ELi64EEEvPT0_PKT_iiiPKbib
		.amdhsa_group_segment_fixed_size 0
		.amdhsa_private_segment_fixed_size 0
		.amdhsa_kernarg_size 304
		.amdhsa_user_sgpr_count 6
		.amdhsa_user_sgpr_private_segment_buffer 1
		.amdhsa_user_sgpr_dispatch_ptr 0
		.amdhsa_user_sgpr_queue_ptr 0
		.amdhsa_user_sgpr_kernarg_segment_ptr 1
		.amdhsa_user_sgpr_dispatch_id 0
		.amdhsa_user_sgpr_flat_scratch_init 0
		.amdhsa_user_sgpr_kernarg_preload_length 0
		.amdhsa_user_sgpr_kernarg_preload_offset 0
		.amdhsa_user_sgpr_private_segment_size 0
		.amdhsa_uses_dynamic_stack 0
		.amdhsa_system_sgpr_private_segment_wavefront_offset 0
		.amdhsa_system_sgpr_workgroup_id_x 1
		.amdhsa_system_sgpr_workgroup_id_y 0
		.amdhsa_system_sgpr_workgroup_id_z 0
		.amdhsa_system_sgpr_workgroup_info 0
		.amdhsa_system_vgpr_workitem_id 1
		.amdhsa_next_free_vgpr 30
		.amdhsa_next_free_sgpr 42
		.amdhsa_accum_offset 32
		.amdhsa_reserve_vcc 1
		.amdhsa_reserve_flat_scratch 0
		.amdhsa_float_round_mode_32 0
		.amdhsa_float_round_mode_16_64 0
		.amdhsa_float_denorm_mode_32 3
		.amdhsa_float_denorm_mode_16_64 3
		.amdhsa_dx10_clamp 1
		.amdhsa_ieee_mode 1
		.amdhsa_fp16_overflow 0
		.amdhsa_tg_split 0
		.amdhsa_exception_fp_ieee_invalid_op 0
		.amdhsa_exception_fp_denorm_src 0
		.amdhsa_exception_fp_ieee_div_zero 0
		.amdhsa_exception_fp_ieee_overflow 0
		.amdhsa_exception_fp_ieee_underflow 0
		.amdhsa_exception_fp_ieee_inexact 0
		.amdhsa_exception_int_div_zero 0
	.end_amdhsa_kernel
	.section	.text._ZN12_GLOBAL__N_120softmax_warp_forwardIdddLi7ELb0ELb0ELi64EEEvPT0_PKT_iiiPKbib,"axG",@progbits,_ZN12_GLOBAL__N_120softmax_warp_forwardIdddLi7ELb0ELb0ELi64EEEvPT0_PKT_iiiPKbib,comdat
.Lfunc_end368:
	.size	_ZN12_GLOBAL__N_120softmax_warp_forwardIdddLi7ELb0ELb0ELi64EEEvPT0_PKT_iiiPKbib, .Lfunc_end368-_ZN12_GLOBAL__N_120softmax_warp_forwardIdddLi7ELb0ELb0ELi64EEEvPT0_PKT_iiiPKbib
                                        ; -- End function
	.section	.AMDGPU.csdata,"",@progbits
; Kernel info:
; codeLenInByte = 2916
; NumSgprs: 46
; NumVgprs: 30
; NumAgprs: 0
; TotalNumVgprs: 30
; ScratchSize: 0
; MemoryBound: 0
; FloatMode: 240
; IeeeMode: 1
; LDSByteSize: 0 bytes/workgroup (compile time only)
; SGPRBlocks: 5
; VGPRBlocks: 3
; NumSGPRsForWavesPerEU: 46
; NumVGPRsForWavesPerEU: 30
; AccumOffset: 32
; Occupancy: 8
; WaveLimiterHint : 0
; COMPUTE_PGM_RSRC2:SCRATCH_EN: 0
; COMPUTE_PGM_RSRC2:USER_SGPR: 6
; COMPUTE_PGM_RSRC2:TRAP_HANDLER: 0
; COMPUTE_PGM_RSRC2:TGID_X_EN: 1
; COMPUTE_PGM_RSRC2:TGID_Y_EN: 0
; COMPUTE_PGM_RSRC2:TGID_Z_EN: 0
; COMPUTE_PGM_RSRC2:TIDIG_COMP_CNT: 1
; COMPUTE_PGM_RSRC3_GFX90A:ACCUM_OFFSET: 7
; COMPUTE_PGM_RSRC3_GFX90A:TG_SPLIT: 0
	.section	.text._ZN12_GLOBAL__N_120softmax_warp_forwardIdddLi7ELb0ELb0ELi32EEEvPT0_PKT_iiiPKbib,"axG",@progbits,_ZN12_GLOBAL__N_120softmax_warp_forwardIdddLi7ELb0ELb0ELi32EEEvPT0_PKT_iiiPKbib,comdat
	.globl	_ZN12_GLOBAL__N_120softmax_warp_forwardIdddLi7ELb0ELb0ELi32EEEvPT0_PKT_iiiPKbib ; -- Begin function _ZN12_GLOBAL__N_120softmax_warp_forwardIdddLi7ELb0ELb0ELi32EEEvPT0_PKT_iiiPKbib
	.p2align	8
	.type	_ZN12_GLOBAL__N_120softmax_warp_forwardIdddLi7ELb0ELb0ELi32EEEvPT0_PKT_iiiPKbib,@function
_ZN12_GLOBAL__N_120softmax_warp_forwardIdddLi7ELb0ELb0ELi32EEEvPT0_PKT_iiiPKbib: ; @_ZN12_GLOBAL__N_120softmax_warp_forwardIdddLi7ELb0ELb0ELi32EEEvPT0_PKT_iiiPKbib
; %bb.0:
	s_load_dword s0, s[4:5], 0x3c
	s_load_dwordx8 s[12:19], s[4:5], 0x0
	v_bfe_u32 v1, v0, 10, 10
	v_and_b32_e32 v2, 0x3ff, v0
	v_mov_b32_e32 v12, 0
	s_waitcnt lgkmcnt(0)
	s_lshr_b32 s0, s0, 16
	s_mul_i32 s6, s6, s0
	v_add_lshl_u32 v1, s6, v1, 1
	v_sub_u32_e32 v26, s16, v1
	v_mad_u64_u32 v[0:1], s[0:1], v1, s17, v[2:3]
	v_ashrrev_i32_e32 v1, 31, v0
	v_lshlrev_b64 v[0:1], 3, v[0:1]
	v_mov_b32_e32 v3, s15
	v_add_co_u32_e32 v18, vcc, s14, v0
	v_addc_co_u32_e32 v19, vcc, v3, v1, vcc
	v_cmp_lt_i32_e32 vcc, 0, v26
	v_cmp_gt_i32_e64 s[6:7], s18, v2
	v_mov_b32_e32 v13, 0xfff00000
	s_and_b64 s[2:3], vcc, s[6:7]
	v_pk_mov_b32 v[16:17], v[12:13], v[12:13] op_sel:[0,1]
	s_and_saveexec_b64 s[0:1], s[2:3]
	s_cbranch_execz .LBB369_2
; %bb.1:
	global_load_dwordx2 v[16:17], v[18:19], off
.LBB369_2:
	s_or_b64 exec, exec, s[0:1]
	v_add_u32_e32 v3, 32, v2
	v_cmp_gt_i32_e64 s[4:5], s18, v3
	s_and_b64 s[2:3], vcc, s[4:5]
	s_and_saveexec_b64 s[0:1], s[2:3]
	s_cbranch_execz .LBB369_4
; %bb.3:
	global_load_dwordx2 v[12:13], v[18:19], off offset:256
.LBB369_4:
	s_or_b64 exec, exec, s[0:1]
	v_add_u32_e32 v3, 64, v2
	v_mov_b32_e32 v8, 0
	v_cmp_gt_i32_e64 s[2:3], s18, v3
	v_mov_b32_e32 v9, 0xfff00000
	s_and_b64 s[8:9], vcc, s[2:3]
	v_pk_mov_b32 v[14:15], v[8:9], v[8:9] op_sel:[0,1]
	s_and_saveexec_b64 s[0:1], s[8:9]
	s_cbranch_execz .LBB369_6
; %bb.5:
	global_load_dwordx2 v[14:15], v[18:19], off offset:512
.LBB369_6:
	s_or_b64 exec, exec, s[0:1]
	v_add_u32_e32 v2, 0x60, v2
	v_cmp_gt_i32_e64 s[0:1], s18, v2
	s_and_b64 s[10:11], vcc, s[0:1]
	s_and_saveexec_b64 s[8:9], s[10:11]
	s_cbranch_execz .LBB369_8
; %bb.7:
	global_load_dwordx2 v[8:9], v[18:19], off offset:768
.LBB369_8:
	s_or_b64 exec, exec, s[8:9]
	v_mov_b32_e32 v4, 0
	v_cmp_lt_i32_e64 s[8:9], 1, v26
	v_mov_b32_e32 v5, 0xfff00000
	s_and_b64 s[10:11], s[8:9], s[6:7]
	v_pk_mov_b32 v[10:11], v[4:5], v[4:5] op_sel:[0,1]
	s_and_saveexec_b64 s[14:15], s[10:11]
	s_cbranch_execz .LBB369_10
; %bb.9:
	s_mov_b32 s19, 0
	s_lshl_b64 s[10:11], s[18:19], 3
	v_mov_b32_e32 v3, s11
	v_add_co_u32_e64 v2, s[10:11], s10, v18
	v_addc_co_u32_e64 v3, s[10:11], v19, v3, s[10:11]
	global_load_dwordx2 v[10:11], v[2:3], off
.LBB369_10:
	s_or_b64 exec, exec, s[14:15]
	s_and_b64 s[10:11], s[8:9], s[4:5]
	s_and_saveexec_b64 s[14:15], s[10:11]
	s_cbranch_execz .LBB369_12
; %bb.11:
	s_mov_b32 s19, 0
	s_lshl_b64 s[10:11], s[18:19], 3
	v_mov_b32_e32 v3, s11
	v_add_co_u32_e64 v2, s[10:11], s10, v18
	v_addc_co_u32_e64 v3, s[10:11], v19, v3, s[10:11]
	global_load_dwordx2 v[4:5], v[2:3], off offset:256
.LBB369_12:
	s_or_b64 exec, exec, s[14:15]
	v_mov_b32_e32 v2, 0
	v_mov_b32_e32 v3, 0xfff00000
	s_and_b64 s[10:11], s[8:9], s[2:3]
	v_pk_mov_b32 v[6:7], v[2:3], v[2:3] op_sel:[0,1]
	s_and_saveexec_b64 s[14:15], s[10:11]
	s_cbranch_execz .LBB369_14
; %bb.13:
	s_mov_b32 s19, 0
	s_lshl_b64 s[10:11], s[18:19], 3
	v_mov_b32_e32 v7, s11
	v_add_co_u32_e64 v6, s[10:11], s10, v18
	v_addc_co_u32_e64 v7, s[10:11], v19, v7, s[10:11]
	global_load_dwordx2 v[6:7], v[6:7], off offset:512
.LBB369_14:
	s_or_b64 exec, exec, s[14:15]
	s_and_b64 s[8:9], s[8:9], s[0:1]
	s_and_saveexec_b64 s[10:11], s[8:9]
	s_cbranch_execz .LBB369_16
; %bb.15:
	s_mov_b32 s19, 0
	s_lshl_b64 s[8:9], s[18:19], 3
	v_mov_b32_e32 v3, s9
	v_add_co_u32_e64 v2, s[8:9], s8, v18
	v_addc_co_u32_e64 v3, s[8:9], v19, v3, s[8:9]
	global_load_dwordx2 v[2:3], v[2:3], off offset:768
.LBB369_16:
	s_or_b64 exec, exec, s[10:11]
	v_mbcnt_lo_u32_b32 v22, -1, 0
	s_waitcnt vmcnt(0)
	v_cmp_gt_f64_e64 s[8:9], v[16:17], v[12:13]
	v_mbcnt_hi_u32_b32 v31, -1, v22
	v_cndmask_b32_e64 v19, v13, v17, s[8:9]
	v_cndmask_b32_e64 v18, v12, v16, s[8:9]
	v_and_b32_e32 v22, 0x60, v31
	v_cmp_gt_f64_e64 s[8:9], v[18:19], v[14:15]
	v_add_u32_e32 v32, 32, v22
	v_xor_b32_e32 v22, 16, v31
	v_cndmask_b32_e64 v19, v15, v19, s[8:9]
	v_cndmask_b32_e64 v18, v14, v18, s[8:9]
	v_cmp_lt_i32_e64 s[10:11], v22, v32
	v_cmp_gt_f64_e64 s[8:9], v[18:19], v[8:9]
	v_cndmask_b32_e64 v22, v31, v22, s[10:11]
	v_cndmask_b32_e64 v19, v9, v19, s[8:9]
	;; [unrolled: 1-line block ×3, first 2 shown]
	v_lshlrev_b32_e32 v27, 2, v22
	v_cmp_gt_f64_e64 s[8:9], v[10:11], v[4:5]
	ds_bpermute_b32 v22, v27, v18
	ds_bpermute_b32 v23, v27, v19
	v_cndmask_b32_e64 v21, v5, v11, s[8:9]
	v_cndmask_b32_e64 v20, v4, v10, s[8:9]
	v_cmp_gt_f64_e64 s[8:9], v[20:21], v[6:7]
	v_cndmask_b32_e64 v21, v7, v21, s[8:9]
	v_cndmask_b32_e64 v20, v6, v20, s[8:9]
	v_cmp_gt_f64_e64 s[8:9], v[20:21], v[2:3]
	v_cndmask_b32_e64 v21, v3, v21, s[8:9]
	v_cndmask_b32_e64 v20, v2, v20, s[8:9]
	s_waitcnt lgkmcnt(0)
	v_cmp_lt_f64_e64 s[8:9], v[18:19], v[22:23]
	v_cndmask_b32_e64 v18, v18, v22, s[8:9]
	v_xor_b32_e32 v22, 8, v31
	v_cmp_lt_i32_e64 s[10:11], v22, v32
	v_cndmask_b32_e64 v22, v31, v22, s[10:11]
	ds_bpermute_b32 v24, v27, v20
	ds_bpermute_b32 v25, v27, v21
	v_cndmask_b32_e64 v19, v19, v23, s[8:9]
	v_lshlrev_b32_e32 v28, 2, v22
	ds_bpermute_b32 v22, v28, v18
	ds_bpermute_b32 v23, v28, v19
	s_waitcnt lgkmcnt(2)
	v_cmp_lt_f64_e64 s[8:9], v[20:21], v[24:25]
	v_cndmask_b32_e64 v21, v21, v25, s[8:9]
	v_cndmask_b32_e64 v20, v20, v24, s[8:9]
	ds_bpermute_b32 v24, v28, v20
	s_waitcnt lgkmcnt(1)
	v_cmp_lt_f64_e64 s[8:9], v[18:19], v[22:23]
	v_cndmask_b32_e64 v18, v18, v22, s[8:9]
	v_xor_b32_e32 v22, 4, v31
	v_cmp_lt_i32_e64 s[10:11], v22, v32
	v_cndmask_b32_e64 v22, v31, v22, s[10:11]
	ds_bpermute_b32 v25, v28, v21
	v_cndmask_b32_e64 v19, v19, v23, s[8:9]
	v_lshlrev_b32_e32 v29, 2, v22
	ds_bpermute_b32 v22, v29, v18
	ds_bpermute_b32 v23, v29, v19
	s_waitcnt lgkmcnt(2)
	v_cmp_lt_f64_e64 s[8:9], v[20:21], v[24:25]
	v_cndmask_b32_e64 v21, v21, v25, s[8:9]
	v_cndmask_b32_e64 v20, v20, v24, s[8:9]
	ds_bpermute_b32 v24, v29, v20
	s_waitcnt lgkmcnt(1)
	v_cmp_lt_f64_e64 s[8:9], v[18:19], v[22:23]
	v_cndmask_b32_e64 v18, v18, v22, s[8:9]
	v_xor_b32_e32 v22, 2, v31
	v_cmp_lt_i32_e64 s[10:11], v22, v32
	v_cndmask_b32_e64 v22, v31, v22, s[10:11]
	ds_bpermute_b32 v25, v29, v21
	v_cndmask_b32_e64 v19, v19, v23, s[8:9]
	v_lshlrev_b32_e32 v30, 2, v22
	ds_bpermute_b32 v22, v30, v18
	ds_bpermute_b32 v23, v30, v19
	s_waitcnt lgkmcnt(2)
	v_cmp_lt_f64_e64 s[8:9], v[20:21], v[24:25]
	v_cndmask_b32_e64 v21, v21, v25, s[8:9]
	v_cndmask_b32_e64 v20, v20, v24, s[8:9]
	ds_bpermute_b32 v24, v30, v20
	s_waitcnt lgkmcnt(1)
	v_cmp_lt_f64_e64 s[8:9], v[18:19], v[22:23]
	ds_bpermute_b32 v25, v30, v21
	v_cndmask_b32_e64 v18, v18, v22, s[8:9]
	v_xor_b32_e32 v22, 1, v31
	v_cmp_lt_i32_e64 s[10:11], v22, v32
	v_cndmask_b32_e64 v22, v31, v22, s[10:11]
	v_cndmask_b32_e64 v19, v19, v23, s[8:9]
	v_lshlrev_b32_e32 v31, 2, v22
	ds_bpermute_b32 v22, v31, v18
	ds_bpermute_b32 v23, v31, v19
	s_waitcnt lgkmcnt(2)
	v_cmp_lt_f64_e64 s[8:9], v[20:21], v[24:25]
	v_cndmask_b32_e64 v21, v21, v25, s[8:9]
	v_cndmask_b32_e64 v20, v20, v24, s[8:9]
	ds_bpermute_b32 v32, v31, v20
	ds_bpermute_b32 v33, v31, v21
	s_waitcnt lgkmcnt(2)
	v_cmp_lt_f64_e64 s[8:9], v[18:19], v[22:23]
	v_cndmask_b32_e64 v25, v19, v23, s[8:9]
	v_cndmask_b32_e64 v24, v18, v22, s[8:9]
	s_mov_b32 s14, 0x652b82fe
	v_add_f64 v[16:17], v[16:17], -v[24:25]
	s_mov_b32 s15, 0x3ff71547
	s_waitcnt lgkmcnt(0)
	v_cmp_lt_f64_e64 s[8:9], v[20:21], v[32:33]
	v_mul_f64 v[18:19], v[16:17], s[14:15]
	s_mov_b32 s16, 0xfefa39ef
	v_cndmask_b32_e64 v21, v21, v33, s[8:9]
	v_cndmask_b32_e64 v20, v20, v32, s[8:9]
	v_rndne_f64_e32 v[18:19], v[18:19]
	s_mov_b32 s17, 0xbfe62e42
	s_mov_b32 s20, 0x3b39803f
	;; [unrolled: 1-line block ×3, first 2 shown]
	v_fma_f64 v[32:33], s[16:17], v[18:19], v[16:17]
	s_mov_b32 s21, 0xbc7abc9e
	s_mov_b32 s9, 0x3e928af3
	;; [unrolled: 1-line block ×3, first 2 shown]
	v_fmac_f64_e32 v[32:33], s[20:21], v[18:19]
	s_mov_b32 s23, 0x3e5ade15
	v_pk_mov_b32 v[22:23], s[8:9], s[8:9] op_sel:[0,1]
	s_mov_b32 s24, 0x623fde64
	v_fma_f64 v[34:35], s[22:23], v[32:33], v[22:23]
	s_mov_b32 s25, 0x3ec71dee
	s_mov_b32 s26, 0x7c89e6b0
	v_fma_f64 v[34:35], v[32:33], v[34:35], s[24:25]
	s_mov_b32 s27, 0x3efa0199
	;; [unrolled: 3-line block ×8, first 2 shown]
	v_fma_f64 v[34:35], v[32:33], v[34:35], s[40:41]
	v_fma_f64 v[34:35], v[32:33], v[34:35], 1.0
	v_fma_f64 v[32:33], v[32:33], v[34:35], 1.0
	v_cvt_i32_f64_e32 v18, v[18:19]
	v_add_f64 v[12:13], v[12:13], -v[24:25]
	v_ldexp_f64 v[18:19], v[32:33], v18
	v_mul_f64 v[32:33], v[12:13], s[14:15]
	v_rndne_f64_e32 v[32:33], v[32:33]
	v_fma_f64 v[34:35], s[16:17], v[32:33], v[12:13]
	v_fmac_f64_e32 v[34:35], s[20:21], v[32:33]
	v_fma_f64 v[36:37], s[22:23], v[34:35], v[22:23]
	v_fma_f64 v[36:37], v[34:35], v[36:37], s[24:25]
	;; [unrolled: 1-line block ×7, first 2 shown]
	s_mov_b32 s42, 0
	s_mov_b32 s44, 0
	v_fma_f64 v[36:37], v[34:35], v[36:37], s[38:39]
	s_mov_b32 s43, 0x40900000
	s_mov_b32 s45, 0xc090cc00
	v_fma_f64 v[36:37], v[34:35], v[36:37], s[40:41]
	v_mov_b32_e32 v38, 0x7ff00000
	v_cmp_nlt_f64_e64 s[8:9], s[42:43], v[16:17]
	v_cmp_ngt_f64_e64 s[10:11], s[44:45], v[16:17]
	v_fma_f64 v[36:37], v[34:35], v[36:37], 1.0
	v_cndmask_b32_e64 v19, v38, v19, s[8:9]
	s_and_b64 s[8:9], s[10:11], s[8:9]
	v_fma_f64 v[34:35], v[34:35], v[36:37], 1.0
	v_cvt_i32_f64_e32 v32, v[32:33]
	v_cndmask_b32_e64 v19, 0, v19, s[10:11]
	v_cndmask_b32_e64 v18, 0, v18, s[8:9]
	v_ldexp_f64 v[32:33], v[34:35], v32
	v_cmp_nlt_f64_e64 s[8:9], s[42:43], v[12:13]
	v_cmp_ngt_f64_e64 s[10:11], s[44:45], v[12:13]
	v_cndmask_b32_e64 v33, v38, v33, s[8:9]
	s_and_b64 s[8:9], s[10:11], s[8:9]
	v_add_f64 v[16:17], v[18:19], 0
	v_cndmask_b32_e64 v13, 0, v33, s[10:11]
	v_cndmask_b32_e64 v12, 0, v32, s[8:9]
	v_add_f64 v[14:15], v[14:15], -v[24:25]
	v_add_f64 v[32:33], v[16:17], v[12:13]
	v_mul_f64 v[16:17], v[14:15], s[14:15]
	v_rndne_f64_e32 v[16:17], v[16:17]
	v_fma_f64 v[34:35], s[16:17], v[16:17], v[14:15]
	v_fmac_f64_e32 v[34:35], s[20:21], v[16:17]
	v_fma_f64 v[36:37], s[22:23], v[34:35], v[22:23]
	v_fma_f64 v[36:37], v[34:35], v[36:37], s[24:25]
	;; [unrolled: 1-line block ×7, first 2 shown]
	v_add_f64 v[8:9], v[8:9], -v[24:25]
	v_fma_f64 v[36:37], v[34:35], v[36:37], s[38:39]
	v_cmp_nlt_f64_e64 s[8:9], s[42:43], v[14:15]
	v_cmp_ngt_f64_e64 s[10:11], s[44:45], v[14:15]
	v_mul_f64 v[14:15], v[8:9], s[14:15]
	v_fma_f64 v[36:37], v[34:35], v[36:37], s[40:41]
	v_rndne_f64_e32 v[14:15], v[14:15]
	v_fma_f64 v[36:37], v[34:35], v[36:37], 1.0
	v_fma_f64 v[24:25], s[16:17], v[14:15], v[8:9]
	v_fma_f64 v[34:35], v[34:35], v[36:37], 1.0
	v_cvt_i32_f64_e32 v16, v[16:17]
	v_fmac_f64_e32 v[24:25], s[20:21], v[14:15]
	v_ldexp_f64 v[16:17], v[34:35], v16
	v_fma_f64 v[34:35], s[22:23], v[24:25], v[22:23]
	v_fma_f64 v[34:35], v[24:25], v[34:35], s[24:25]
	;; [unrolled: 1-line block ×9, first 2 shown]
	v_fma_f64 v[34:35], v[24:25], v[34:35], 1.0
	v_cndmask_b32_e64 v17, v38, v17, s[8:9]
	s_and_b64 s[8:9], s[10:11], s[8:9]
	v_fma_f64 v[24:25], v[24:25], v[34:35], 1.0
	v_cvt_i32_f64_e32 v14, v[14:15]
	v_cndmask_b32_e64 v17, 0, v17, s[10:11]
	v_cndmask_b32_e64 v16, 0, v16, s[8:9]
	v_ldexp_f64 v[14:15], v[24:25], v14
	v_cmp_nlt_f64_e64 s[8:9], s[42:43], v[8:9]
	v_cmp_ngt_f64_e64 s[10:11], s[44:45], v[8:9]
	v_add_f64 v[8:9], v[10:11], -v[20:21]
	v_cndmask_b32_e64 v15, v38, v15, s[8:9]
	s_and_b64 s[8:9], s[10:11], s[8:9]
	v_mul_f64 v[10:11], v[8:9], s[14:15]
	v_add_f64 v[32:33], v[32:33], v[16:17]
	v_cndmask_b32_e64 v15, 0, v15, s[10:11]
	v_cndmask_b32_e64 v14, 0, v14, s[8:9]
	v_rndne_f64_e32 v[10:11], v[10:11]
	v_add_f64 v[24:25], v[32:33], v[14:15]
	v_fma_f64 v[32:33], s[16:17], v[10:11], v[8:9]
	v_fmac_f64_e32 v[32:33], s[20:21], v[10:11]
	v_fma_f64 v[34:35], s[22:23], v[32:33], v[22:23]
	v_fma_f64 v[34:35], v[32:33], v[34:35], s[24:25]
	;; [unrolled: 1-line block ×9, first 2 shown]
	v_fma_f64 v[34:35], v[32:33], v[34:35], 1.0
	v_fma_f64 v[32:33], v[32:33], v[34:35], 1.0
	v_cvt_i32_f64_e32 v10, v[10:11]
	v_add_f64 v[4:5], v[4:5], -v[20:21]
	v_ldexp_f64 v[10:11], v[32:33], v10
	v_mul_f64 v[32:33], v[4:5], s[14:15]
	v_rndne_f64_e32 v[32:33], v[32:33]
	v_fma_f64 v[34:35], s[16:17], v[32:33], v[4:5]
	v_fmac_f64_e32 v[34:35], s[20:21], v[32:33]
	v_fma_f64 v[36:37], s[22:23], v[34:35], v[22:23]
	v_fma_f64 v[36:37], v[34:35], v[36:37], s[24:25]
	;; [unrolled: 1-line block ×9, first 2 shown]
	v_cmp_nlt_f64_e64 s[8:9], s[42:43], v[8:9]
	v_cmp_ngt_f64_e64 s[10:11], s[44:45], v[8:9]
	v_fma_f64 v[36:37], v[34:35], v[36:37], 1.0
	v_cndmask_b32_e64 v11, v38, v11, s[8:9]
	s_and_b64 s[8:9], s[10:11], s[8:9]
	v_fma_f64 v[34:35], v[34:35], v[36:37], 1.0
	v_cvt_i32_f64_e32 v32, v[32:33]
	v_cndmask_b32_e64 v9, 0, v11, s[10:11]
	v_cndmask_b32_e64 v8, 0, v10, s[8:9]
	v_ldexp_f64 v[32:33], v[34:35], v32
	v_cmp_nlt_f64_e64 s[8:9], s[42:43], v[4:5]
	v_cmp_ngt_f64_e64 s[10:11], s[44:45], v[4:5]
	v_cndmask_b32_e64 v33, v38, v33, s[8:9]
	s_and_b64 s[8:9], s[10:11], s[8:9]
	v_add_f64 v[6:7], v[6:7], -v[20:21]
	v_cndmask_b32_e64 v5, 0, v33, s[10:11]
	v_cndmask_b32_e64 v4, 0, v32, s[8:9]
	v_mul_f64 v[32:33], v[6:7], s[14:15]
	v_rndne_f64_e32 v[32:33], v[32:33]
	v_fma_f64 v[34:35], s[16:17], v[32:33], v[6:7]
	v_fmac_f64_e32 v[34:35], s[20:21], v[32:33]
	v_fma_f64 v[36:37], s[22:23], v[34:35], v[22:23]
	v_fma_f64 v[36:37], v[34:35], v[36:37], s[24:25]
	;; [unrolled: 1-line block ×9, first 2 shown]
	v_fma_f64 v[36:37], v[34:35], v[36:37], 1.0
	v_fma_f64 v[34:35], v[34:35], v[36:37], 1.0
	v_cvt_i32_f64_e32 v32, v[32:33]
	v_add_f64 v[2:3], v[2:3], -v[20:21]
	v_ldexp_f64 v[32:33], v[34:35], v32
	v_cmp_nlt_f64_e64 s[8:9], s[42:43], v[6:7]
	v_cmp_ngt_f64_e64 s[10:11], s[44:45], v[6:7]
	v_mul_f64 v[20:21], v[2:3], s[14:15]
	v_cndmask_b32_e64 v33, v38, v33, s[8:9]
	s_and_b64 s[8:9], s[10:11], s[8:9]
	v_rndne_f64_e32 v[20:21], v[20:21]
	v_cndmask_b32_e64 v7, 0, v33, s[10:11]
	v_cndmask_b32_e64 v6, 0, v32, s[8:9]
	v_fma_f64 v[32:33], s[16:17], v[20:21], v[2:3]
	v_fmac_f64_e32 v[32:33], s[20:21], v[20:21]
	v_fmac_f64_e32 v[22:23], s[22:23], v[32:33]
	v_fma_f64 v[22:23], v[32:33], v[22:23], s[24:25]
	v_fma_f64 v[22:23], v[32:33], v[22:23], s[26:27]
	;; [unrolled: 1-line block ×8, first 2 shown]
	v_fma_f64 v[22:23], v[32:33], v[22:23], 1.0
	v_fma_f64 v[22:23], v[32:33], v[22:23], 1.0
	v_cvt_i32_f64_e32 v20, v[20:21]
	v_add_f64 v[10:11], v[8:9], 0
	v_ldexp_f64 v[20:21], v[22:23], v20
	v_cmp_nlt_f64_e64 s[8:9], s[42:43], v[2:3]
	v_cmp_ngt_f64_e64 s[10:11], s[44:45], v[2:3]
	v_add_f64 v[10:11], v[10:11], v[4:5]
	v_cndmask_b32_e64 v21, v38, v21, s[8:9]
	s_and_b64 s[8:9], s[10:11], s[8:9]
	v_add_f64 v[10:11], v[10:11], v[6:7]
	v_cndmask_b32_e64 v3, 0, v21, s[10:11]
	v_cndmask_b32_e64 v2, 0, v20, s[8:9]
	v_add_f64 v[10:11], v[10:11], v[2:3]
	ds_bpermute_b32 v20, v27, v24
	ds_bpermute_b32 v21, v27, v25
	;; [unrolled: 1-line block ×4, first 2 shown]
	s_waitcnt lgkmcnt(2)
	v_add_f64 v[20:21], v[24:25], v[20:21]
	s_waitcnt lgkmcnt(0)
	v_add_f64 v[10:11], v[10:11], v[22:23]
	ds_bpermute_b32 v22, v28, v20
	ds_bpermute_b32 v23, v28, v21
	;; [unrolled: 1-line block ×4, first 2 shown]
	s_waitcnt lgkmcnt(2)
	v_add_f64 v[20:21], v[20:21], v[22:23]
	ds_bpermute_b32 v22, v29, v20
	s_waitcnt lgkmcnt(1)
	v_add_f64 v[10:11], v[10:11], v[24:25]
	ds_bpermute_b32 v23, v29, v21
	ds_bpermute_b32 v24, v29, v10
	;; [unrolled: 1-line block ×3, first 2 shown]
	s_waitcnt lgkmcnt(2)
	v_add_f64 v[20:21], v[20:21], v[22:23]
	ds_bpermute_b32 v22, v30, v20
	s_waitcnt lgkmcnt(1)
	v_add_f64 v[10:11], v[10:11], v[24:25]
	ds_bpermute_b32 v23, v30, v21
	ds_bpermute_b32 v24, v30, v10
	;; [unrolled: 1-line block ×3, first 2 shown]
	s_waitcnt lgkmcnt(2)
	v_add_f64 v[22:23], v[20:21], v[22:23]
	s_waitcnt lgkmcnt(0)
	v_add_f64 v[10:11], v[10:11], v[24:25]
	ds_bpermute_b32 v24, v31, v22
	ds_bpermute_b32 v25, v31, v23
	;; [unrolled: 1-line block ×4, first 2 shown]
	s_and_saveexec_b64 s[8:9], vcc
	s_cbranch_execz .LBB369_28
; %bb.17:
	v_mov_b32_e32 v27, s13
	v_add_co_u32_e32 v0, vcc, s12, v0
	v_addc_co_u32_e32 v1, vcc, v27, v1, vcc
	s_and_saveexec_b64 s[10:11], s[6:7]
	s_cbranch_execz .LBB369_22
; %bb.18:
	s_waitcnt lgkmcnt(2)
	v_add_f64 v[22:23], v[22:23], v[24:25]
	v_div_scale_f64 v[24:25], s[8:9], v[22:23], v[22:23], v[18:19]
	v_rcp_f64_e32 v[28:29], v[24:25]
	v_div_scale_f64 v[30:31], vcc, v[18:19], v[22:23], v[18:19]
	v_cmp_eq_f64_e64 s[8:9], 0, v[22:23]
	v_fma_f64 v[32:33], -v[24:25], v[28:29], 1.0
	v_fmac_f64_e32 v[28:29], v[28:29], v[32:33]
	v_fma_f64 v[32:33], -v[24:25], v[28:29], 1.0
	v_fmac_f64_e32 v[28:29], v[28:29], v[32:33]
	v_mul_f64 v[32:33], v[30:31], v[28:29]
	v_fma_f64 v[24:25], -v[24:25], v[32:33], v[30:31]
	v_div_fmas_f64 v[24:25], v[24:25], v[28:29], v[32:33]
	v_div_fixup_f64 v[24:25], v[24:25], v[22:23], v[18:19]
	v_mov_b32_e32 v18, 0x7ff80000
	v_cndmask_b32_e64 v25, v25, v18, s[8:9]
	v_cndmask_b32_e64 v24, v24, 0, s[8:9]
	global_store_dwordx2 v[0:1], v[24:25], off
	s_and_b64 exec, exec, s[4:5]
	s_cbranch_execz .LBB369_22
; %bb.19:
	v_div_scale_f64 v[24:25], s[12:13], v[22:23], v[22:23], v[12:13]
	v_rcp_f64_e32 v[28:29], v[24:25]
	v_div_scale_f64 v[30:31], vcc, v[12:13], v[22:23], v[12:13]
	v_fma_f64 v[32:33], -v[24:25], v[28:29], 1.0
	v_fmac_f64_e32 v[28:29], v[28:29], v[32:33]
	v_fma_f64 v[32:33], -v[24:25], v[28:29], 1.0
	v_fmac_f64_e32 v[28:29], v[28:29], v[32:33]
	v_mul_f64 v[32:33], v[30:31], v[28:29]
	v_fma_f64 v[24:25], -v[24:25], v[32:33], v[30:31]
	v_div_fmas_f64 v[24:25], v[24:25], v[28:29], v[32:33]
	v_div_fixup_f64 v[12:13], v[24:25], v[22:23], v[12:13]
	v_cndmask_b32_e64 v13, v13, v18, s[8:9]
	v_cndmask_b32_e64 v12, v12, 0, s[8:9]
	global_store_dwordx2 v[0:1], v[12:13], off offset:256
	s_and_b64 exec, exec, s[2:3]
	s_cbranch_execz .LBB369_22
; %bb.20:
	v_div_scale_f64 v[12:13], s[12:13], v[22:23], v[22:23], v[16:17]
	v_rcp_f64_e32 v[18:19], v[12:13]
	v_div_scale_f64 v[24:25], vcc, v[16:17], v[22:23], v[16:17]
	v_fma_f64 v[28:29], -v[12:13], v[18:19], 1.0
	v_fmac_f64_e32 v[18:19], v[18:19], v[28:29]
	v_fma_f64 v[28:29], -v[12:13], v[18:19], 1.0
	v_fmac_f64_e32 v[18:19], v[18:19], v[28:29]
	v_mul_f64 v[28:29], v[24:25], v[18:19]
	v_fma_f64 v[12:13], -v[12:13], v[28:29], v[24:25]
	v_div_fmas_f64 v[12:13], v[12:13], v[18:19], v[28:29]
	v_div_fixup_f64 v[16:17], v[12:13], v[22:23], v[16:17]
	v_mov_b32_e32 v12, 0x7ff80000
	v_cndmask_b32_e64 v17, v17, v12, s[8:9]
	v_cndmask_b32_e64 v16, v16, 0, s[8:9]
	global_store_dwordx2 v[0:1], v[16:17], off offset:512
	s_and_b64 exec, exec, s[0:1]
	s_cbranch_execz .LBB369_22
; %bb.21:
	v_div_scale_f64 v[16:17], s[12:13], v[22:23], v[22:23], v[14:15]
	v_rcp_f64_e32 v[18:19], v[16:17]
	v_div_scale_f64 v[24:25], vcc, v[14:15], v[22:23], v[14:15]
	v_fma_f64 v[28:29], -v[16:17], v[18:19], 1.0
	v_fmac_f64_e32 v[18:19], v[18:19], v[28:29]
	v_fma_f64 v[28:29], -v[16:17], v[18:19], 1.0
	v_fmac_f64_e32 v[18:19], v[18:19], v[28:29]
	v_mul_f64 v[28:29], v[24:25], v[18:19]
	v_fma_f64 v[16:17], -v[16:17], v[28:29], v[24:25]
	v_div_fmas_f64 v[16:17], v[16:17], v[18:19], v[28:29]
	v_div_fixup_f64 v[14:15], v[16:17], v[22:23], v[14:15]
	v_cndmask_b32_e64 v13, v15, v12, s[8:9]
	v_cndmask_b32_e64 v12, v14, 0, s[8:9]
	global_store_dwordx2 v[0:1], v[12:13], off offset:768
.LBB369_22:
	s_or_b64 exec, exec, s[10:11]
	v_cmp_ne_u32_e32 vcc, 1, v26
	s_and_b64 exec, exec, vcc
	s_cbranch_execz .LBB369_28
; %bb.23:
	s_and_b64 exec, exec, s[6:7]
	s_cbranch_execz .LBB369_28
; %bb.24:
	s_waitcnt lgkmcnt(0)
	v_add_f64 v[10:11], v[10:11], v[20:21]
	v_div_scale_f64 v[12:13], s[6:7], v[10:11], v[10:11], v[8:9]
	v_rcp_f64_e32 v[14:15], v[12:13]
	v_div_scale_f64 v[16:17], vcc, v[8:9], v[10:11], v[8:9]
	s_ashr_i32 s19, s18, 31
	v_fma_f64 v[18:19], -v[12:13], v[14:15], 1.0
	v_fmac_f64_e32 v[14:15], v[14:15], v[18:19]
	v_fma_f64 v[18:19], -v[12:13], v[14:15], 1.0
	v_fmac_f64_e32 v[14:15], v[14:15], v[18:19]
	v_mul_f64 v[18:19], v[16:17], v[14:15]
	v_fma_f64 v[12:13], -v[12:13], v[18:19], v[16:17]
	v_div_fmas_f64 v[12:13], v[12:13], v[14:15], v[18:19]
	s_lshl_b64 s[6:7], s[18:19], 3
	v_div_fixup_f64 v[12:13], v[12:13], v[10:11], v[8:9]
	v_mov_b32_e32 v8, s7
	v_add_co_u32_e32 v0, vcc, s6, v0
	v_addc_co_u32_e32 v1, vcc, v1, v8, vcc
	v_mov_b32_e32 v8, 0x7ff80000
	v_cmp_eq_f64_e64 s[6:7], 0, v[10:11]
	v_cndmask_b32_e64 v13, v13, v8, s[6:7]
	v_cndmask_b32_e64 v12, v12, 0, s[6:7]
	global_store_dwordx2 v[0:1], v[12:13], off
	s_and_b64 exec, exec, s[4:5]
	s_cbranch_execz .LBB369_28
; %bb.25:
	v_div_scale_f64 v[12:13], s[4:5], v[10:11], v[10:11], v[4:5]
	v_rcp_f64_e32 v[14:15], v[12:13]
	v_div_scale_f64 v[16:17], vcc, v[4:5], v[10:11], v[4:5]
	v_fma_f64 v[18:19], -v[12:13], v[14:15], 1.0
	v_fmac_f64_e32 v[14:15], v[14:15], v[18:19]
	v_fma_f64 v[18:19], -v[12:13], v[14:15], 1.0
	v_fmac_f64_e32 v[14:15], v[14:15], v[18:19]
	v_mul_f64 v[18:19], v[16:17], v[14:15]
	v_fma_f64 v[12:13], -v[12:13], v[18:19], v[16:17]
	v_div_fmas_f64 v[12:13], v[12:13], v[14:15], v[18:19]
	v_div_fixup_f64 v[4:5], v[12:13], v[10:11], v[4:5]
	v_cndmask_b32_e64 v5, v5, v8, s[6:7]
	v_cndmask_b32_e64 v4, v4, 0, s[6:7]
	global_store_dwordx2 v[0:1], v[4:5], off offset:256
	s_and_b64 exec, exec, s[2:3]
	s_cbranch_execz .LBB369_28
; %bb.26:
	v_div_scale_f64 v[4:5], s[2:3], v[10:11], v[10:11], v[6:7]
	v_rcp_f64_e32 v[8:9], v[4:5]
	v_div_scale_f64 v[12:13], vcc, v[6:7], v[10:11], v[6:7]
	v_fma_f64 v[14:15], -v[4:5], v[8:9], 1.0
	v_fmac_f64_e32 v[8:9], v[8:9], v[14:15]
	v_fma_f64 v[14:15], -v[4:5], v[8:9], 1.0
	v_fmac_f64_e32 v[8:9], v[8:9], v[14:15]
	v_mul_f64 v[14:15], v[12:13], v[8:9]
	v_fma_f64 v[4:5], -v[4:5], v[14:15], v[12:13]
	v_div_fmas_f64 v[4:5], v[4:5], v[8:9], v[14:15]
	v_div_fixup_f64 v[6:7], v[4:5], v[10:11], v[6:7]
	v_mov_b32_e32 v4, 0x7ff80000
	v_cndmask_b32_e64 v7, v7, v4, s[6:7]
	v_cndmask_b32_e64 v6, v6, 0, s[6:7]
	global_store_dwordx2 v[0:1], v[6:7], off offset:512
	s_and_b64 exec, exec, s[0:1]
	s_cbranch_execz .LBB369_28
; %bb.27:
	v_div_scale_f64 v[6:7], s[0:1], v[10:11], v[10:11], v[2:3]
	v_rcp_f64_e32 v[8:9], v[6:7]
	v_div_scale_f64 v[12:13], vcc, v[2:3], v[10:11], v[2:3]
	v_fma_f64 v[14:15], -v[6:7], v[8:9], 1.0
	v_fmac_f64_e32 v[8:9], v[8:9], v[14:15]
	v_fma_f64 v[14:15], -v[6:7], v[8:9], 1.0
	v_fmac_f64_e32 v[8:9], v[8:9], v[14:15]
	v_mul_f64 v[14:15], v[12:13], v[8:9]
	v_fma_f64 v[6:7], -v[6:7], v[14:15], v[12:13]
	v_div_fmas_f64 v[6:7], v[6:7], v[8:9], v[14:15]
	v_div_fixup_f64 v[2:3], v[6:7], v[10:11], v[2:3]
	v_cndmask_b32_e64 v3, v3, v4, s[6:7]
	v_cndmask_b32_e64 v2, v2, 0, s[6:7]
	global_store_dwordx2 v[0:1], v[2:3], off offset:768
.LBB369_28:
	s_endpgm
	.section	.rodata,"a",@progbits
	.p2align	6, 0x0
	.amdhsa_kernel _ZN12_GLOBAL__N_120softmax_warp_forwardIdddLi7ELb0ELb0ELi32EEEvPT0_PKT_iiiPKbib
		.amdhsa_group_segment_fixed_size 0
		.amdhsa_private_segment_fixed_size 0
		.amdhsa_kernarg_size 304
		.amdhsa_user_sgpr_count 6
		.amdhsa_user_sgpr_private_segment_buffer 1
		.amdhsa_user_sgpr_dispatch_ptr 0
		.amdhsa_user_sgpr_queue_ptr 0
		.amdhsa_user_sgpr_kernarg_segment_ptr 1
		.amdhsa_user_sgpr_dispatch_id 0
		.amdhsa_user_sgpr_flat_scratch_init 0
		.amdhsa_user_sgpr_kernarg_preload_length 0
		.amdhsa_user_sgpr_kernarg_preload_offset 0
		.amdhsa_user_sgpr_private_segment_size 0
		.amdhsa_uses_dynamic_stack 0
		.amdhsa_system_sgpr_private_segment_wavefront_offset 0
		.amdhsa_system_sgpr_workgroup_id_x 1
		.amdhsa_system_sgpr_workgroup_id_y 0
		.amdhsa_system_sgpr_workgroup_id_z 0
		.amdhsa_system_sgpr_workgroup_info 0
		.amdhsa_system_vgpr_workitem_id 1
		.amdhsa_next_free_vgpr 39
		.amdhsa_next_free_sgpr 46
		.amdhsa_accum_offset 40
		.amdhsa_reserve_vcc 1
		.amdhsa_reserve_flat_scratch 0
		.amdhsa_float_round_mode_32 0
		.amdhsa_float_round_mode_16_64 0
		.amdhsa_float_denorm_mode_32 3
		.amdhsa_float_denorm_mode_16_64 3
		.amdhsa_dx10_clamp 1
		.amdhsa_ieee_mode 1
		.amdhsa_fp16_overflow 0
		.amdhsa_tg_split 0
		.amdhsa_exception_fp_ieee_invalid_op 0
		.amdhsa_exception_fp_denorm_src 0
		.amdhsa_exception_fp_ieee_div_zero 0
		.amdhsa_exception_fp_ieee_overflow 0
		.amdhsa_exception_fp_ieee_underflow 0
		.amdhsa_exception_fp_ieee_inexact 0
		.amdhsa_exception_int_div_zero 0
	.end_amdhsa_kernel
	.section	.text._ZN12_GLOBAL__N_120softmax_warp_forwardIdddLi7ELb0ELb0ELi32EEEvPT0_PKT_iiiPKbib,"axG",@progbits,_ZN12_GLOBAL__N_120softmax_warp_forwardIdddLi7ELb0ELb0ELi32EEEvPT0_PKT_iiiPKbib,comdat
.Lfunc_end369:
	.size	_ZN12_GLOBAL__N_120softmax_warp_forwardIdddLi7ELb0ELb0ELi32EEEvPT0_PKT_iiiPKbib, .Lfunc_end369-_ZN12_GLOBAL__N_120softmax_warp_forwardIdddLi7ELb0ELb0ELi32EEEvPT0_PKT_iiiPKbib
                                        ; -- End function
	.section	.AMDGPU.csdata,"",@progbits
; Kernel info:
; codeLenInByte = 4232
; NumSgprs: 50
; NumVgprs: 39
; NumAgprs: 0
; TotalNumVgprs: 39
; ScratchSize: 0
; MemoryBound: 0
; FloatMode: 240
; IeeeMode: 1
; LDSByteSize: 0 bytes/workgroup (compile time only)
; SGPRBlocks: 6
; VGPRBlocks: 4
; NumSGPRsForWavesPerEU: 50
; NumVGPRsForWavesPerEU: 39
; AccumOffset: 40
; Occupancy: 8
; WaveLimiterHint : 0
; COMPUTE_PGM_RSRC2:SCRATCH_EN: 0
; COMPUTE_PGM_RSRC2:USER_SGPR: 6
; COMPUTE_PGM_RSRC2:TRAP_HANDLER: 0
; COMPUTE_PGM_RSRC2:TGID_X_EN: 1
; COMPUTE_PGM_RSRC2:TGID_Y_EN: 0
; COMPUTE_PGM_RSRC2:TGID_Z_EN: 0
; COMPUTE_PGM_RSRC2:TIDIG_COMP_CNT: 1
; COMPUTE_PGM_RSRC3_GFX90A:ACCUM_OFFSET: 9
; COMPUTE_PGM_RSRC3_GFX90A:TG_SPLIT: 0
	.section	.text._ZN12_GLOBAL__N_120softmax_warp_forwardIdddLi8ELb0ELb0ELi64EEEvPT0_PKT_iiiPKbib,"axG",@progbits,_ZN12_GLOBAL__N_120softmax_warp_forwardIdddLi8ELb0ELb0ELi64EEEvPT0_PKT_iiiPKbib,comdat
	.globl	_ZN12_GLOBAL__N_120softmax_warp_forwardIdddLi8ELb0ELb0ELi64EEEvPT0_PKT_iiiPKbib ; -- Begin function _ZN12_GLOBAL__N_120softmax_warp_forwardIdddLi8ELb0ELb0ELi64EEEvPT0_PKT_iiiPKbib
	.p2align	8
	.type	_ZN12_GLOBAL__N_120softmax_warp_forwardIdddLi8ELb0ELb0ELi64EEEvPT0_PKT_iiiPKbib,@function
_ZN12_GLOBAL__N_120softmax_warp_forwardIdddLi8ELb0ELb0ELi64EEEvPT0_PKT_iiiPKbib: ; @_ZN12_GLOBAL__N_120softmax_warp_forwardIdddLi8ELb0ELb0ELi64EEEvPT0_PKT_iiiPKbib
; %bb.0:
	s_load_dword s0, s[4:5], 0x3c
	s_load_dwordx8 s[12:19], s[4:5], 0x0
	v_bfe_u32 v1, v0, 10, 10
	v_and_b32_e32 v12, 0x3ff, v0
	v_mov_b32_e32 v4, 0
	s_waitcnt lgkmcnt(0)
	s_lshr_b32 s0, s0, 16
	s_mul_i32 s6, s6, s0
	v_add_u32_e32 v1, s6, v1
	v_sub_u32_e32 v14, s16, v1
	v_mad_u64_u32 v[0:1], s[0:1], v1, s17, v[12:13]
	v_ashrrev_i32_e32 v1, 31, v0
	v_lshlrev_b64 v[0:1], 3, v[0:1]
	v_mov_b32_e32 v2, s15
	v_add_co_u32_e32 v8, vcc, s14, v0
	v_addc_co_u32_e32 v9, vcc, v2, v1, vcc
	v_cmp_lt_i32_e64 s[6:7], 0, v14
	v_cmp_gt_i32_e32 vcc, s18, v12
	v_mov_b32_e32 v5, 0xfff00000
	s_and_b64 s[2:3], s[6:7], vcc
	v_pk_mov_b32 v[10:11], v[4:5], v[4:5] op_sel:[0,1]
	s_and_saveexec_b64 s[0:1], s[2:3]
	s_cbranch_execz .LBB370_2
; %bb.1:
	global_load_dwordx2 v[10:11], v[8:9], off
.LBB370_2:
	s_or_b64 exec, exec, s[0:1]
	v_add_u32_e32 v2, 64, v12
	v_cmp_gt_i32_e64 s[4:5], s18, v2
	s_and_b64 s[2:3], s[6:7], s[4:5]
	s_and_saveexec_b64 s[0:1], s[2:3]
	s_cbranch_execz .LBB370_4
; %bb.3:
	global_load_dwordx2 v[4:5], v[8:9], off offset:512
.LBB370_4:
	s_or_b64 exec, exec, s[0:1]
	v_add_u32_e32 v2, 0x80, v12
	v_cmp_gt_i32_e64 s[2:3], s18, v2
	v_mov_b32_e32 v2, 0
	v_mov_b32_e32 v3, 0xfff00000
	s_and_b64 s[8:9], s[6:7], s[2:3]
	v_pk_mov_b32 v[6:7], v[2:3], v[2:3] op_sel:[0,1]
	s_and_saveexec_b64 s[0:1], s[8:9]
	s_cbranch_execz .LBB370_6
; %bb.5:
	global_load_dwordx2 v[6:7], v[8:9], off offset:1024
.LBB370_6:
	s_or_b64 exec, exec, s[0:1]
	v_add_u32_e32 v12, 0xc0, v12
	v_cmp_gt_i32_e64 s[0:1], s18, v12
	s_and_b64 s[8:9], s[6:7], s[0:1]
	s_and_saveexec_b64 s[6:7], s[8:9]
	s_cbranch_execz .LBB370_8
; %bb.7:
	global_load_dwordx2 v[2:3], v[8:9], off offset:1536
.LBB370_8:
	s_or_b64 exec, exec, s[6:7]
	s_waitcnt vmcnt(0)
	v_cmp_gt_f64_e64 s[6:7], v[10:11], v[4:5]
	v_cndmask_b32_e64 v9, v5, v11, s[6:7]
	v_cndmask_b32_e64 v8, v4, v10, s[6:7]
	v_mbcnt_lo_u32_b32 v12, -1, 0
	v_cmp_gt_f64_e64 s[6:7], v[8:9], v[6:7]
	v_mbcnt_hi_u32_b32 v17, -1, v12
	v_cndmask_b32_e64 v9, v7, v9, s[6:7]
	v_cndmask_b32_e64 v8, v6, v8, s[6:7]
	v_and_b32_e32 v12, 64, v17
	v_cmp_gt_f64_e64 s[6:7], v[8:9], v[2:3]
	v_add_u32_e32 v18, 64, v12
	v_xor_b32_e32 v12, 32, v17
	v_cndmask_b32_e64 v9, v3, v9, s[6:7]
	v_cndmask_b32_e64 v8, v2, v8, s[6:7]
	v_cmp_lt_i32_e64 s[6:7], v12, v18
	v_cndmask_b32_e64 v12, v17, v12, s[6:7]
	v_lshlrev_b32_e32 v15, 2, v12
	ds_bpermute_b32 v12, v15, v8
	ds_bpermute_b32 v13, v15, v9
	s_mov_b32 s10, 0x652b82fe
	s_mov_b32 s11, 0x3ff71547
	s_mov_b32 s14, 0xfefa39ef
	s_mov_b32 s15, 0xbfe62e42
	s_waitcnt lgkmcnt(0)
	v_cmp_lt_f64_e64 s[6:7], v[8:9], v[12:13]
	v_cndmask_b32_e64 v8, v8, v12, s[6:7]
	v_xor_b32_e32 v12, 16, v17
	v_cndmask_b32_e64 v9, v9, v13, s[6:7]
	v_cmp_lt_i32_e64 s[6:7], v12, v18
	v_cndmask_b32_e64 v12, v17, v12, s[6:7]
	v_lshlrev_b32_e32 v16, 2, v12
	ds_bpermute_b32 v12, v16, v8
	ds_bpermute_b32 v13, v16, v9
	s_mov_b32 s16, 0x3b39803f
	s_mov_b32 s17, 0xbc7abc9e
	s_mov_b32 s18, 0x6a5dcb37
	s_mov_b32 s19, 0x3e5ade15
	s_waitcnt lgkmcnt(0)
	v_cmp_lt_f64_e64 s[6:7], v[8:9], v[12:13]
	v_cndmask_b32_e64 v8, v8, v12, s[6:7]
	v_xor_b32_e32 v12, 8, v17
	;; [unrolled: 14-line block ×5, first 2 shown]
	v_cndmask_b32_e64 v9, v9, v13, s[6:7]
	v_cmp_lt_i32_e64 s[6:7], v12, v18
	v_cndmask_b32_e64 v12, v17, v12, s[6:7]
	v_lshlrev_b32_e32 v17, 2, v12
	ds_bpermute_b32 v12, v17, v8
	ds_bpermute_b32 v13, v17, v9
	s_mov_b32 s34, 0x55555511
	s_mov_b32 s35, 0x3fc55555
	;; [unrolled: 1-line block ×4, first 2 shown]
	s_waitcnt lgkmcnt(0)
	v_cmp_lt_f64_e64 s[6:7], v[8:9], v[12:13]
	v_cndmask_b32_e64 v9, v9, v13, s[6:7]
	v_cndmask_b32_e64 v8, v8, v12, s[6:7]
	v_add_f64 v[10:11], v[10:11], -v[8:9]
	v_mul_f64 v[12:13], v[10:11], s[10:11]
	v_rndne_f64_e32 v[18:19], v[12:13]
	s_mov_b32 s6, 0xfca7ab0c
	v_fma_f64 v[20:21], s[14:15], v[18:19], v[10:11]
	s_mov_b32 s7, 0x3e928af3
	v_fmac_f64_e32 v[20:21], s[16:17], v[18:19]
	v_pk_mov_b32 v[12:13], s[6:7], s[6:7] op_sel:[0,1]
	v_fma_f64 v[22:23], s[18:19], v[20:21], v[12:13]
	v_fma_f64 v[22:23], v[20:21], v[22:23], s[20:21]
	;; [unrolled: 1-line block ×9, first 2 shown]
	v_fma_f64 v[22:23], v[20:21], v[22:23], 1.0
	v_fma_f64 v[20:21], v[20:21], v[22:23], 1.0
	v_cvt_i32_f64_e32 v18, v[18:19]
	v_add_f64 v[4:5], v[4:5], -v[8:9]
	v_ldexp_f64 v[18:19], v[20:21], v18
	v_mul_f64 v[20:21], v[4:5], s[10:11]
	v_rndne_f64_e32 v[20:21], v[20:21]
	v_fma_f64 v[22:23], s[14:15], v[20:21], v[4:5]
	v_fmac_f64_e32 v[22:23], s[16:17], v[20:21]
	v_fma_f64 v[24:25], s[18:19], v[22:23], v[12:13]
	v_fma_f64 v[24:25], v[22:23], v[24:25], s[20:21]
	v_fma_f64 v[24:25], v[22:23], v[24:25], s[22:23]
	v_fma_f64 v[24:25], v[22:23], v[24:25], s[24:25]
	v_fma_f64 v[24:25], v[22:23], v[24:25], s[26:27]
	v_fma_f64 v[24:25], v[22:23], v[24:25], s[28:29]
	v_fma_f64 v[24:25], v[22:23], v[24:25], s[30:31]
	s_mov_b32 s38, 0
	s_mov_b32 s40, 0
	v_fma_f64 v[24:25], v[22:23], v[24:25], s[34:35]
	s_mov_b32 s39, 0x40900000
	s_mov_b32 s41, 0xc090cc00
	v_fma_f64 v[24:25], v[22:23], v[24:25], s[36:37]
	v_mov_b32_e32 v29, 0x7ff00000
	v_cmp_nlt_f64_e64 s[6:7], s[38:39], v[10:11]
	v_cmp_ngt_f64_e64 s[8:9], s[40:41], v[10:11]
	v_fma_f64 v[24:25], v[22:23], v[24:25], 1.0
	v_cndmask_b32_e64 v19, v29, v19, s[6:7]
	s_and_b64 s[6:7], s[8:9], s[6:7]
	v_fma_f64 v[22:23], v[22:23], v[24:25], 1.0
	v_cvt_i32_f64_e32 v20, v[20:21]
	v_cndmask_b32_e64 v11, 0, v19, s[8:9]
	v_cndmask_b32_e64 v10, 0, v18, s[6:7]
	v_ldexp_f64 v[20:21], v[22:23], v20
	v_cmp_nlt_f64_e64 s[6:7], s[38:39], v[4:5]
	v_cmp_ngt_f64_e64 s[8:9], s[40:41], v[4:5]
	v_cndmask_b32_e64 v21, v29, v21, s[6:7]
	s_and_b64 s[6:7], s[8:9], s[6:7]
	v_add_f64 v[6:7], v[6:7], -v[8:9]
	v_cndmask_b32_e64 v5, 0, v21, s[8:9]
	v_cndmask_b32_e64 v4, 0, v20, s[6:7]
	v_mul_f64 v[20:21], v[6:7], s[10:11]
	v_rndne_f64_e32 v[20:21], v[20:21]
	v_fma_f64 v[22:23], s[14:15], v[20:21], v[6:7]
	v_fmac_f64_e32 v[22:23], s[16:17], v[20:21]
	v_fma_f64 v[24:25], s[18:19], v[22:23], v[12:13]
	v_fma_f64 v[24:25], v[22:23], v[24:25], s[20:21]
	;; [unrolled: 1-line block ×9, first 2 shown]
	v_fma_f64 v[24:25], v[22:23], v[24:25], 1.0
	v_fma_f64 v[22:23], v[22:23], v[24:25], 1.0
	v_cvt_i32_f64_e32 v20, v[20:21]
	v_add_f64 v[2:3], v[2:3], -v[8:9]
	v_ldexp_f64 v[20:21], v[22:23], v20
	v_cmp_nlt_f64_e64 s[6:7], s[38:39], v[6:7]
	v_cmp_ngt_f64_e64 s[8:9], s[40:41], v[6:7]
	v_mul_f64 v[8:9], v[2:3], s[10:11]
	v_cndmask_b32_e64 v21, v29, v21, s[6:7]
	s_and_b64 s[6:7], s[8:9], s[6:7]
	v_rndne_f64_e32 v[8:9], v[8:9]
	v_cndmask_b32_e64 v7, 0, v21, s[8:9]
	v_cndmask_b32_e64 v6, 0, v20, s[6:7]
	v_fma_f64 v[20:21], s[14:15], v[8:9], v[2:3]
	v_fmac_f64_e32 v[20:21], s[16:17], v[8:9]
	v_fmac_f64_e32 v[12:13], s[18:19], v[20:21]
	v_fma_f64 v[12:13], v[20:21], v[12:13], s[20:21]
	v_fma_f64 v[12:13], v[20:21], v[12:13], s[22:23]
	v_fma_f64 v[12:13], v[20:21], v[12:13], s[24:25]
	v_fma_f64 v[12:13], v[20:21], v[12:13], s[26:27]
	v_fma_f64 v[12:13], v[20:21], v[12:13], s[28:29]
	v_fma_f64 v[12:13], v[20:21], v[12:13], s[30:31]
	v_fma_f64 v[12:13], v[20:21], v[12:13], s[34:35]
	v_fma_f64 v[12:13], v[20:21], v[12:13], s[36:37]
	v_fma_f64 v[12:13], v[20:21], v[12:13], 1.0
	v_fma_f64 v[12:13], v[20:21], v[12:13], 1.0
	v_cvt_i32_f64_e32 v8, v[8:9]
	v_add_f64 v[18:19], v[10:11], 0
	v_ldexp_f64 v[8:9], v[12:13], v8
	v_cmp_nlt_f64_e64 s[6:7], s[38:39], v[2:3]
	v_cmp_ngt_f64_e64 s[8:9], s[40:41], v[2:3]
	v_add_f64 v[18:19], v[18:19], v[4:5]
	v_cndmask_b32_e64 v9, v29, v9, s[6:7]
	s_and_b64 s[6:7], s[8:9], s[6:7]
	v_add_f64 v[18:19], v[18:19], v[6:7]
	v_cndmask_b32_e64 v3, 0, v9, s[8:9]
	v_cndmask_b32_e64 v2, 0, v8, s[6:7]
	v_add_f64 v[8:9], v[18:19], v[2:3]
	ds_bpermute_b32 v12, v15, v8
	ds_bpermute_b32 v13, v15, v9
	v_cmp_lt_i32_e64 s[6:7], 0, v14
	s_waitcnt lgkmcnt(0)
	v_add_f64 v[8:9], v[8:9], v[12:13]
	ds_bpermute_b32 v12, v16, v8
	ds_bpermute_b32 v13, v16, v9
	s_waitcnt lgkmcnt(0)
	v_add_f64 v[8:9], v[8:9], v[12:13]
	ds_bpermute_b32 v12, v26, v8
	ds_bpermute_b32 v13, v26, v9
	;; [unrolled: 4-line block ×5, first 2 shown]
	s_and_saveexec_b64 s[8:9], s[6:7]
	s_cbranch_execz .LBB370_14
; %bb.9:
	s_and_b64 exec, exec, vcc
	s_cbranch_execz .LBB370_14
; %bb.10:
	s_waitcnt lgkmcnt(0)
	v_add_f64 v[8:9], v[8:9], v[12:13]
	v_div_scale_f64 v[12:13], s[6:7], v[8:9], v[8:9], v[10:11]
	v_rcp_f64_e32 v[14:15], v[12:13]
	v_mov_b32_e32 v16, s13
	v_add_co_u32_e32 v0, vcc, s12, v0
	v_addc_co_u32_e32 v1, vcc, v16, v1, vcc
	v_fma_f64 v[16:17], -v[12:13], v[14:15], 1.0
	v_fmac_f64_e32 v[14:15], v[14:15], v[16:17]
	v_fma_f64 v[16:17], -v[12:13], v[14:15], 1.0
	v_fmac_f64_e32 v[14:15], v[14:15], v[16:17]
	v_div_scale_f64 v[16:17], vcc, v[10:11], v[8:9], v[10:11]
	v_mul_f64 v[18:19], v[16:17], v[14:15]
	v_fma_f64 v[12:13], -v[12:13], v[18:19], v[16:17]
	v_cmp_eq_f64_e64 s[6:7], 0, v[8:9]
	s_nop 0
	v_div_fmas_f64 v[12:13], v[12:13], v[14:15], v[18:19]
	v_div_fixup_f64 v[12:13], v[12:13], v[8:9], v[10:11]
	v_mov_b32_e32 v10, 0x7ff80000
	v_cndmask_b32_e64 v13, v13, v10, s[6:7]
	v_cndmask_b32_e64 v12, v12, 0, s[6:7]
	global_store_dwordx2 v[0:1], v[12:13], off
	s_and_b64 exec, exec, s[4:5]
	s_cbranch_execz .LBB370_14
; %bb.11:
	v_div_scale_f64 v[12:13], s[4:5], v[8:9], v[8:9], v[4:5]
	v_rcp_f64_e32 v[14:15], v[12:13]
	v_div_scale_f64 v[16:17], vcc, v[4:5], v[8:9], v[4:5]
	v_fma_f64 v[18:19], -v[12:13], v[14:15], 1.0
	v_fmac_f64_e32 v[14:15], v[14:15], v[18:19]
	v_fma_f64 v[18:19], -v[12:13], v[14:15], 1.0
	v_fmac_f64_e32 v[14:15], v[14:15], v[18:19]
	v_mul_f64 v[18:19], v[16:17], v[14:15]
	v_fma_f64 v[12:13], -v[12:13], v[18:19], v[16:17]
	v_div_fmas_f64 v[12:13], v[12:13], v[14:15], v[18:19]
	v_div_fixup_f64 v[4:5], v[12:13], v[8:9], v[4:5]
	v_cndmask_b32_e64 v5, v5, v10, s[6:7]
	v_cndmask_b32_e64 v4, v4, 0, s[6:7]
	global_store_dwordx2 v[0:1], v[4:5], off offset:512
	s_and_b64 exec, exec, s[2:3]
	s_cbranch_execz .LBB370_14
; %bb.12:
	v_div_scale_f64 v[4:5], s[2:3], v[8:9], v[8:9], v[6:7]
	v_rcp_f64_e32 v[10:11], v[4:5]
	v_div_scale_f64 v[12:13], vcc, v[6:7], v[8:9], v[6:7]
	v_fma_f64 v[14:15], -v[4:5], v[10:11], 1.0
	v_fmac_f64_e32 v[10:11], v[10:11], v[14:15]
	v_fma_f64 v[14:15], -v[4:5], v[10:11], 1.0
	v_fmac_f64_e32 v[10:11], v[10:11], v[14:15]
	v_mul_f64 v[14:15], v[12:13], v[10:11]
	v_fma_f64 v[4:5], -v[4:5], v[14:15], v[12:13]
	v_div_fmas_f64 v[4:5], v[4:5], v[10:11], v[14:15]
	v_div_fixup_f64 v[6:7], v[4:5], v[8:9], v[6:7]
	v_mov_b32_e32 v4, 0x7ff80000
	v_cndmask_b32_e64 v7, v7, v4, s[6:7]
	v_cndmask_b32_e64 v6, v6, 0, s[6:7]
	global_store_dwordx2 v[0:1], v[6:7], off offset:1024
	s_and_b64 exec, exec, s[0:1]
	s_cbranch_execz .LBB370_14
; %bb.13:
	v_div_scale_f64 v[6:7], s[0:1], v[8:9], v[8:9], v[2:3]
	v_rcp_f64_e32 v[10:11], v[6:7]
	v_div_scale_f64 v[12:13], vcc, v[2:3], v[8:9], v[2:3]
	v_fma_f64 v[14:15], -v[6:7], v[10:11], 1.0
	v_fmac_f64_e32 v[10:11], v[10:11], v[14:15]
	v_fma_f64 v[14:15], -v[6:7], v[10:11], 1.0
	v_fmac_f64_e32 v[10:11], v[10:11], v[14:15]
	v_mul_f64 v[14:15], v[12:13], v[10:11]
	v_fma_f64 v[6:7], -v[6:7], v[14:15], v[12:13]
	v_div_fmas_f64 v[6:7], v[6:7], v[10:11], v[14:15]
	v_div_fixup_f64 v[2:3], v[6:7], v[8:9], v[2:3]
	v_cndmask_b32_e64 v3, v3, v4, s[6:7]
	v_cndmask_b32_e64 v2, v2, 0, s[6:7]
	global_store_dwordx2 v[0:1], v[2:3], off offset:1536
.LBB370_14:
	s_endpgm
	.section	.rodata,"a",@progbits
	.p2align	6, 0x0
	.amdhsa_kernel _ZN12_GLOBAL__N_120softmax_warp_forwardIdddLi8ELb0ELb0ELi64EEEvPT0_PKT_iiiPKbib
		.amdhsa_group_segment_fixed_size 0
		.amdhsa_private_segment_fixed_size 0
		.amdhsa_kernarg_size 304
		.amdhsa_user_sgpr_count 6
		.amdhsa_user_sgpr_private_segment_buffer 1
		.amdhsa_user_sgpr_dispatch_ptr 0
		.amdhsa_user_sgpr_queue_ptr 0
		.amdhsa_user_sgpr_kernarg_segment_ptr 1
		.amdhsa_user_sgpr_dispatch_id 0
		.amdhsa_user_sgpr_flat_scratch_init 0
		.amdhsa_user_sgpr_kernarg_preload_length 0
		.amdhsa_user_sgpr_kernarg_preload_offset 0
		.amdhsa_user_sgpr_private_segment_size 0
		.amdhsa_uses_dynamic_stack 0
		.amdhsa_system_sgpr_private_segment_wavefront_offset 0
		.amdhsa_system_sgpr_workgroup_id_x 1
		.amdhsa_system_sgpr_workgroup_id_y 0
		.amdhsa_system_sgpr_workgroup_id_z 0
		.amdhsa_system_sgpr_workgroup_info 0
		.amdhsa_system_vgpr_workitem_id 1
		.amdhsa_next_free_vgpr 30
		.amdhsa_next_free_sgpr 42
		.amdhsa_accum_offset 32
		.amdhsa_reserve_vcc 1
		.amdhsa_reserve_flat_scratch 0
		.amdhsa_float_round_mode_32 0
		.amdhsa_float_round_mode_16_64 0
		.amdhsa_float_denorm_mode_32 3
		.amdhsa_float_denorm_mode_16_64 3
		.amdhsa_dx10_clamp 1
		.amdhsa_ieee_mode 1
		.amdhsa_fp16_overflow 0
		.amdhsa_tg_split 0
		.amdhsa_exception_fp_ieee_invalid_op 0
		.amdhsa_exception_fp_denorm_src 0
		.amdhsa_exception_fp_ieee_div_zero 0
		.amdhsa_exception_fp_ieee_overflow 0
		.amdhsa_exception_fp_ieee_underflow 0
		.amdhsa_exception_fp_ieee_inexact 0
		.amdhsa_exception_int_div_zero 0
	.end_amdhsa_kernel
	.section	.text._ZN12_GLOBAL__N_120softmax_warp_forwardIdddLi8ELb0ELb0ELi64EEEvPT0_PKT_iiiPKbib,"axG",@progbits,_ZN12_GLOBAL__N_120softmax_warp_forwardIdddLi8ELb0ELb0ELi64EEEvPT0_PKT_iiiPKbib,comdat
.Lfunc_end370:
	.size	_ZN12_GLOBAL__N_120softmax_warp_forwardIdddLi8ELb0ELb0ELi64EEEvPT0_PKT_iiiPKbib, .Lfunc_end370-_ZN12_GLOBAL__N_120softmax_warp_forwardIdddLi8ELb0ELb0ELi64EEEvPT0_PKT_iiiPKbib
                                        ; -- End function
	.section	.AMDGPU.csdata,"",@progbits
; Kernel info:
; codeLenInByte = 2420
; NumSgprs: 46
; NumVgprs: 30
; NumAgprs: 0
; TotalNumVgprs: 30
; ScratchSize: 0
; MemoryBound: 0
; FloatMode: 240
; IeeeMode: 1
; LDSByteSize: 0 bytes/workgroup (compile time only)
; SGPRBlocks: 5
; VGPRBlocks: 3
; NumSGPRsForWavesPerEU: 46
; NumVGPRsForWavesPerEU: 30
; AccumOffset: 32
; Occupancy: 8
; WaveLimiterHint : 0
; COMPUTE_PGM_RSRC2:SCRATCH_EN: 0
; COMPUTE_PGM_RSRC2:USER_SGPR: 6
; COMPUTE_PGM_RSRC2:TRAP_HANDLER: 0
; COMPUTE_PGM_RSRC2:TGID_X_EN: 1
; COMPUTE_PGM_RSRC2:TGID_Y_EN: 0
; COMPUTE_PGM_RSRC2:TGID_Z_EN: 0
; COMPUTE_PGM_RSRC2:TIDIG_COMP_CNT: 1
; COMPUTE_PGM_RSRC3_GFX90A:ACCUM_OFFSET: 7
; COMPUTE_PGM_RSRC3_GFX90A:TG_SPLIT: 0
	.section	.text._ZN12_GLOBAL__N_120softmax_warp_forwardIdddLi8ELb0ELb0ELi32EEEvPT0_PKT_iiiPKbib,"axG",@progbits,_ZN12_GLOBAL__N_120softmax_warp_forwardIdddLi8ELb0ELb0ELi32EEEvPT0_PKT_iiiPKbib,comdat
	.globl	_ZN12_GLOBAL__N_120softmax_warp_forwardIdddLi8ELb0ELb0ELi32EEEvPT0_PKT_iiiPKbib ; -- Begin function _ZN12_GLOBAL__N_120softmax_warp_forwardIdddLi8ELb0ELb0ELi32EEEvPT0_PKT_iiiPKbib
	.p2align	8
	.type	_ZN12_GLOBAL__N_120softmax_warp_forwardIdddLi8ELb0ELb0ELi32EEEvPT0_PKT_iiiPKbib,@function
_ZN12_GLOBAL__N_120softmax_warp_forwardIdddLi8ELb0ELb0ELi32EEEvPT0_PKT_iiiPKbib: ; @_ZN12_GLOBAL__N_120softmax_warp_forwardIdddLi8ELb0ELb0ELi32EEEvPT0_PKT_iiiPKbib
; %bb.0:
	s_load_dword s0, s[4:5], 0x3c
	s_load_dwordx8 s[20:27], s[4:5], 0x0
	v_bfe_u32 v1, v0, 10, 10
	v_and_b32_e32 v20, 0x3ff, v0
	v_mov_b32_e32 v12, 0
	s_waitcnt lgkmcnt(0)
	s_lshr_b32 s0, s0, 16
	s_mul_i32 s6, s6, s0
	v_add_u32_e32 v1, s6, v1
	v_sub_u32_e32 v22, s24, v1
	v_mad_u64_u32 v[0:1], s[0:1], v1, s25, v[20:21]
	v_ashrrev_i32_e32 v1, 31, v0
	v_lshlrev_b64 v[0:1], 3, v[0:1]
	v_mov_b32_e32 v2, s23
	v_add_co_u32_e32 v16, vcc, s22, v0
	v_addc_co_u32_e32 v17, vcc, v2, v1, vcc
	v_cmp_lt_i32_e64 s[14:15], 0, v22
	v_cmp_gt_i32_e32 vcc, s26, v20
	v_mov_b32_e32 v13, 0xfff00000
	s_and_b64 s[2:3], s[14:15], vcc
	v_pk_mov_b32 v[18:19], v[12:13], v[12:13] op_sel:[0,1]
	s_and_saveexec_b64 s[0:1], s[2:3]
	s_cbranch_execz .LBB371_2
; %bb.1:
	global_load_dwordx2 v[18:19], v[16:17], off
.LBB371_2:
	s_or_b64 exec, exec, s[0:1]
	v_add_u32_e32 v2, 32, v20
	v_cmp_gt_i32_e64 s[12:13], s26, v2
	s_and_b64 s[2:3], s[14:15], s[12:13]
	s_and_saveexec_b64 s[0:1], s[2:3]
	s_cbranch_execz .LBB371_4
; %bb.3:
	global_load_dwordx2 v[12:13], v[16:17], off offset:256
.LBB371_4:
	s_or_b64 exec, exec, s[0:1]
	v_add_u32_e32 v2, 64, v20
	v_mov_b32_e32 v8, 0
	v_cmp_gt_i32_e64 s[10:11], s26, v2
	v_mov_b32_e32 v9, 0xfff00000
	s_and_b64 s[2:3], s[14:15], s[10:11]
	v_pk_mov_b32 v[14:15], v[8:9], v[8:9] op_sel:[0,1]
	s_and_saveexec_b64 s[0:1], s[2:3]
	s_cbranch_execz .LBB371_6
; %bb.5:
	global_load_dwordx2 v[14:15], v[16:17], off offset:512
.LBB371_6:
	s_or_b64 exec, exec, s[0:1]
	v_add_u32_e32 v2, 0x60, v20
	v_cmp_gt_i32_e64 s[8:9], s26, v2
	s_and_b64 s[2:3], s[14:15], s[8:9]
	s_and_saveexec_b64 s[0:1], s[2:3]
	s_cbranch_execz .LBB371_8
; %bb.7:
	global_load_dwordx2 v[8:9], v[16:17], off offset:768
.LBB371_8:
	s_or_b64 exec, exec, s[0:1]
	v_add_u32_e32 v2, 0x80, v20
	v_mov_b32_e32 v4, 0
	v_cmp_gt_i32_e64 s[6:7], s26, v2
	v_mov_b32_e32 v5, 0xfff00000
	s_and_b64 s[2:3], s[14:15], s[6:7]
	v_pk_mov_b32 v[10:11], v[4:5], v[4:5] op_sel:[0,1]
	s_and_saveexec_b64 s[0:1], s[2:3]
	s_cbranch_execz .LBB371_10
; %bb.9:
	global_load_dwordx2 v[10:11], v[16:17], off offset:1024
.LBB371_10:
	s_or_b64 exec, exec, s[0:1]
	v_add_u32_e32 v2, 0xa0, v20
	v_cmp_gt_i32_e64 s[4:5], s26, v2
	s_and_b64 s[2:3], s[14:15], s[4:5]
	s_and_saveexec_b64 s[0:1], s[2:3]
	s_cbranch_execz .LBB371_12
; %bb.11:
	global_load_dwordx2 v[4:5], v[16:17], off offset:1280
.LBB371_12:
	s_or_b64 exec, exec, s[0:1]
	v_add_u32_e32 v2, 0xc0, v20
	v_cmp_gt_i32_e64 s[2:3], s26, v2
	v_mov_b32_e32 v2, 0
	v_mov_b32_e32 v3, 0xfff00000
	s_and_b64 s[16:17], s[14:15], s[2:3]
	v_pk_mov_b32 v[6:7], v[2:3], v[2:3] op_sel:[0,1]
	s_and_saveexec_b64 s[0:1], s[16:17]
	s_cbranch_execz .LBB371_14
; %bb.13:
	global_load_dwordx2 v[6:7], v[16:17], off offset:1536
.LBB371_14:
	s_or_b64 exec, exec, s[0:1]
	v_add_u32_e32 v20, 0xe0, v20
	v_cmp_gt_i32_e64 s[0:1], s26, v20
	s_and_b64 s[16:17], s[14:15], s[0:1]
	s_and_saveexec_b64 s[14:15], s[16:17]
	s_cbranch_execz .LBB371_16
; %bb.15:
	global_load_dwordx2 v[2:3], v[16:17], off offset:1792
.LBB371_16:
	s_or_b64 exec, exec, s[14:15]
	s_waitcnt vmcnt(0)
	v_cmp_gt_f64_e64 s[14:15], v[18:19], v[12:13]
	v_cndmask_b32_e64 v17, v13, v19, s[14:15]
	v_cndmask_b32_e64 v16, v12, v18, s[14:15]
	v_cmp_gt_f64_e64 s[14:15], v[16:17], v[14:15]
	v_cndmask_b32_e64 v17, v15, v17, s[14:15]
	v_cndmask_b32_e64 v16, v14, v16, s[14:15]
	;; [unrolled: 3-line block ×5, first 2 shown]
	v_mbcnt_lo_u32_b32 v20, -1, 0
	v_cmp_gt_f64_e64 s[14:15], v[16:17], v[6:7]
	v_mbcnt_hi_u32_b32 v27, -1, v20
	v_cndmask_b32_e64 v17, v7, v17, s[14:15]
	v_cndmask_b32_e64 v16, v6, v16, s[14:15]
	v_and_b32_e32 v20, 0x60, v27
	v_cmp_gt_f64_e64 s[14:15], v[16:17], v[2:3]
	v_add_u32_e32 v28, 32, v20
	v_xor_b32_e32 v20, 16, v27
	v_cndmask_b32_e64 v17, v3, v17, s[14:15]
	v_cndmask_b32_e64 v16, v2, v16, s[14:15]
	v_cmp_lt_i32_e64 s[14:15], v20, v28
	v_cndmask_b32_e64 v20, v27, v20, s[14:15]
	v_lshlrev_b32_e32 v23, 2, v20
	ds_bpermute_b32 v20, v23, v16
	ds_bpermute_b32 v21, v23, v17
	s_mov_b32 s18, 0x652b82fe
	s_mov_b32 s19, 0x3ff71547
	s_mov_b32 s22, 0xfefa39ef
	s_mov_b32 s23, 0xbfe62e42
	s_waitcnt lgkmcnt(0)
	v_cmp_lt_f64_e64 s[14:15], v[16:17], v[20:21]
	v_cndmask_b32_e64 v16, v16, v20, s[14:15]
	v_xor_b32_e32 v20, 8, v27
	v_cndmask_b32_e64 v17, v17, v21, s[14:15]
	v_cmp_lt_i32_e64 s[14:15], v20, v28
	v_cndmask_b32_e64 v20, v27, v20, s[14:15]
	v_lshlrev_b32_e32 v24, 2, v20
	ds_bpermute_b32 v20, v24, v16
	ds_bpermute_b32 v21, v24, v17
	s_mov_b32 s24, 0x3b39803f
	s_mov_b32 s25, 0xbc7abc9e
	s_mov_b32 s26, 0x6a5dcb37
	s_mov_b32 s27, 0x3e5ade15
	s_waitcnt lgkmcnt(0)
	v_cmp_lt_f64_e64 s[14:15], v[16:17], v[20:21]
	v_cndmask_b32_e64 v16, v16, v20, s[14:15]
	v_xor_b32_e32 v20, 4, v27
	;; [unrolled: 14-line block ×4, first 2 shown]
	v_cndmask_b32_e64 v17, v17, v21, s[14:15]
	v_cmp_lt_i32_e64 s[14:15], v20, v28
	v_cndmask_b32_e64 v20, v27, v20, s[14:15]
	v_lshlrev_b32_e32 v27, 2, v20
	ds_bpermute_b32 v20, v27, v16
	ds_bpermute_b32 v21, v27, v17
	s_mov_b32 s38, 0x11122322
	s_mov_b32 s39, 0x3f811111
	;; [unrolled: 1-line block ×4, first 2 shown]
	s_waitcnt lgkmcnt(0)
	v_cmp_lt_f64_e64 s[14:15], v[16:17], v[20:21]
	v_cndmask_b32_e64 v17, v17, v21, s[14:15]
	v_cndmask_b32_e64 v16, v16, v20, s[14:15]
	v_add_f64 v[18:19], v[18:19], -v[16:17]
	v_mul_f64 v[20:21], v[18:19], s[18:19]
	v_rndne_f64_e32 v[28:29], v[20:21]
	s_mov_b32 s14, 0xfca7ab0c
	v_fma_f64 v[30:31], s[22:23], v[28:29], v[18:19]
	s_mov_b32 s15, 0x3e928af3
	v_fmac_f64_e32 v[30:31], s[24:25], v[28:29]
	v_pk_mov_b32 v[20:21], s[14:15], s[14:15] op_sel:[0,1]
	v_fma_f64 v[32:33], s[26:27], v[30:31], v[20:21]
	v_fma_f64 v[32:33], v[30:31], v[32:33], s[28:29]
	v_fma_f64 v[32:33], v[30:31], v[32:33], s[30:31]
	v_fma_f64 v[32:33], v[30:31], v[32:33], s[34:35]
	v_fma_f64 v[32:33], v[30:31], v[32:33], s[36:37]
	v_fma_f64 v[32:33], v[30:31], v[32:33], s[38:39]
	s_mov_b32 s42, 0x55555511
	v_fma_f64 v[32:33], v[30:31], v[32:33], s[40:41]
	s_mov_b32 s43, 0x3fc55555
	s_mov_b32 s44, 11
	v_fma_f64 v[32:33], v[30:31], v[32:33], s[42:43]
	s_mov_b32 s45, 0x3fe00000
	v_fma_f64 v[32:33], v[30:31], v[32:33], s[44:45]
	v_fma_f64 v[32:33], v[30:31], v[32:33], 1.0
	v_fma_f64 v[30:31], v[30:31], v[32:33], 1.0
	v_cvt_i32_f64_e32 v28, v[28:29]
	v_add_f64 v[12:13], v[12:13], -v[16:17]
	v_ldexp_f64 v[28:29], v[30:31], v28
	v_mul_f64 v[30:31], v[12:13], s[18:19]
	v_rndne_f64_e32 v[30:31], v[30:31]
	v_fma_f64 v[32:33], s[22:23], v[30:31], v[12:13]
	v_fmac_f64_e32 v[32:33], s[24:25], v[30:31]
	v_fma_f64 v[34:35], s[26:27], v[32:33], v[20:21]
	v_fma_f64 v[34:35], v[32:33], v[34:35], s[28:29]
	;; [unrolled: 1-line block ×7, first 2 shown]
	s_mov_b32 s46, 0
	s_mov_b32 s48, 0
	v_fma_f64 v[34:35], v[32:33], v[34:35], s[42:43]
	s_mov_b32 s47, 0x40900000
	s_mov_b32 s49, 0xc090cc00
	v_fma_f64 v[34:35], v[32:33], v[34:35], s[44:45]
	v_mov_b32_e32 v36, 0x7ff00000
	v_cmp_nlt_f64_e64 s[14:15], s[46:47], v[18:19]
	v_cmp_ngt_f64_e64 s[16:17], s[48:49], v[18:19]
	v_fma_f64 v[34:35], v[32:33], v[34:35], 1.0
	v_cndmask_b32_e64 v29, v36, v29, s[14:15]
	s_and_b64 s[14:15], s[16:17], s[14:15]
	v_fma_f64 v[32:33], v[32:33], v[34:35], 1.0
	v_cvt_i32_f64_e32 v30, v[30:31]
	v_cndmask_b32_e64 v19, 0, v29, s[16:17]
	v_cndmask_b32_e64 v18, 0, v28, s[14:15]
	v_ldexp_f64 v[30:31], v[32:33], v30
	v_cmp_nlt_f64_e64 s[14:15], s[46:47], v[12:13]
	v_cmp_ngt_f64_e64 s[16:17], s[48:49], v[12:13]
	v_cndmask_b32_e64 v31, v36, v31, s[14:15]
	s_and_b64 s[14:15], s[16:17], s[14:15]
	v_add_f64 v[14:15], v[14:15], -v[16:17]
	v_cndmask_b32_e64 v13, 0, v31, s[16:17]
	v_cndmask_b32_e64 v12, 0, v30, s[14:15]
	v_mul_f64 v[30:31], v[14:15], s[18:19]
	v_rndne_f64_e32 v[30:31], v[30:31]
	v_fma_f64 v[32:33], s[22:23], v[30:31], v[14:15]
	v_fmac_f64_e32 v[32:33], s[24:25], v[30:31]
	v_fma_f64 v[34:35], s[26:27], v[32:33], v[20:21]
	v_fma_f64 v[34:35], v[32:33], v[34:35], s[28:29]
	v_fma_f64 v[34:35], v[32:33], v[34:35], s[30:31]
	v_fma_f64 v[34:35], v[32:33], v[34:35], s[34:35]
	v_fma_f64 v[34:35], v[32:33], v[34:35], s[36:37]
	v_fma_f64 v[34:35], v[32:33], v[34:35], s[38:39]
	v_fma_f64 v[34:35], v[32:33], v[34:35], s[40:41]
	v_fma_f64 v[34:35], v[32:33], v[34:35], s[42:43]
	v_fma_f64 v[34:35], v[32:33], v[34:35], s[44:45]
	v_fma_f64 v[34:35], v[32:33], v[34:35], 1.0
	v_fma_f64 v[32:33], v[32:33], v[34:35], 1.0
	v_cvt_i32_f64_e32 v30, v[30:31]
	v_ldexp_f64 v[30:31], v[32:33], v30
	v_cmp_nlt_f64_e64 s[14:15], s[46:47], v[14:15]
	v_cmp_ngt_f64_e64 s[16:17], s[48:49], v[14:15]
	v_cndmask_b32_e64 v31, v36, v31, s[14:15]
	s_and_b64 s[14:15], s[16:17], s[14:15]
	v_add_f64 v[8:9], v[8:9], -v[16:17]
	v_cndmask_b32_e64 v15, 0, v31, s[16:17]
	v_cndmask_b32_e64 v14, 0, v30, s[14:15]
	v_mul_f64 v[30:31], v[8:9], s[18:19]
	v_rndne_f64_e32 v[30:31], v[30:31]
	v_fma_f64 v[32:33], s[22:23], v[30:31], v[8:9]
	v_fmac_f64_e32 v[32:33], s[24:25], v[30:31]
	v_fma_f64 v[34:35], s[26:27], v[32:33], v[20:21]
	v_fma_f64 v[34:35], v[32:33], v[34:35], s[28:29]
	v_fma_f64 v[34:35], v[32:33], v[34:35], s[30:31]
	v_fma_f64 v[34:35], v[32:33], v[34:35], s[34:35]
	v_fma_f64 v[34:35], v[32:33], v[34:35], s[36:37]
	v_fma_f64 v[34:35], v[32:33], v[34:35], s[38:39]
	v_fma_f64 v[34:35], v[32:33], v[34:35], s[40:41]
	v_fma_f64 v[34:35], v[32:33], v[34:35], s[42:43]
	v_fma_f64 v[34:35], v[32:33], v[34:35], s[44:45]
	v_fma_f64 v[34:35], v[32:33], v[34:35], 1.0
	v_fma_f64 v[32:33], v[32:33], v[34:35], 1.0
	v_cvt_i32_f64_e32 v30, v[30:31]
	v_ldexp_f64 v[30:31], v[32:33], v30
	v_cmp_nlt_f64_e64 s[14:15], s[46:47], v[8:9]
	v_cmp_ngt_f64_e64 s[16:17], s[48:49], v[8:9]
	v_cndmask_b32_e64 v31, v36, v31, s[14:15]
	s_and_b64 s[14:15], s[16:17], s[14:15]
	v_add_f64 v[10:11], v[10:11], -v[16:17]
	v_cndmask_b32_e64 v9, 0, v31, s[16:17]
	v_cndmask_b32_e64 v8, 0, v30, s[14:15]
	v_mul_f64 v[30:31], v[10:11], s[18:19]
	v_rndne_f64_e32 v[30:31], v[30:31]
	v_fma_f64 v[32:33], s[22:23], v[30:31], v[10:11]
	v_fmac_f64_e32 v[32:33], s[24:25], v[30:31]
	v_fma_f64 v[34:35], s[26:27], v[32:33], v[20:21]
	v_fma_f64 v[34:35], v[32:33], v[34:35], s[28:29]
	v_fma_f64 v[34:35], v[32:33], v[34:35], s[30:31]
	v_fma_f64 v[34:35], v[32:33], v[34:35], s[34:35]
	v_fma_f64 v[34:35], v[32:33], v[34:35], s[36:37]
	v_fma_f64 v[34:35], v[32:33], v[34:35], s[38:39]
	v_fma_f64 v[34:35], v[32:33], v[34:35], s[40:41]
	v_fma_f64 v[34:35], v[32:33], v[34:35], s[42:43]
	v_fma_f64 v[34:35], v[32:33], v[34:35], s[44:45]
	v_fma_f64 v[34:35], v[32:33], v[34:35], 1.0
	v_fma_f64 v[32:33], v[32:33], v[34:35], 1.0
	v_cvt_i32_f64_e32 v30, v[30:31]
	v_ldexp_f64 v[30:31], v[32:33], v30
	v_cmp_nlt_f64_e64 s[14:15], s[46:47], v[10:11]
	v_cmp_ngt_f64_e64 s[16:17], s[48:49], v[10:11]
	v_cndmask_b32_e64 v31, v36, v31, s[14:15]
	s_and_b64 s[14:15], s[16:17], s[14:15]
	v_add_f64 v[4:5], v[4:5], -v[16:17]
	v_cndmask_b32_e64 v11, 0, v31, s[16:17]
	v_cndmask_b32_e64 v10, 0, v30, s[14:15]
	v_mul_f64 v[30:31], v[4:5], s[18:19]
	v_rndne_f64_e32 v[30:31], v[30:31]
	v_fma_f64 v[32:33], s[22:23], v[30:31], v[4:5]
	v_fmac_f64_e32 v[32:33], s[24:25], v[30:31]
	v_fma_f64 v[34:35], s[26:27], v[32:33], v[20:21]
	v_fma_f64 v[34:35], v[32:33], v[34:35], s[28:29]
	v_fma_f64 v[34:35], v[32:33], v[34:35], s[30:31]
	v_fma_f64 v[34:35], v[32:33], v[34:35], s[34:35]
	v_fma_f64 v[34:35], v[32:33], v[34:35], s[36:37]
	v_fma_f64 v[34:35], v[32:33], v[34:35], s[38:39]
	v_fma_f64 v[34:35], v[32:33], v[34:35], s[40:41]
	v_fma_f64 v[34:35], v[32:33], v[34:35], s[42:43]
	v_fma_f64 v[34:35], v[32:33], v[34:35], s[44:45]
	v_fma_f64 v[34:35], v[32:33], v[34:35], 1.0
	v_fma_f64 v[32:33], v[32:33], v[34:35], 1.0
	v_cvt_i32_f64_e32 v30, v[30:31]
	v_ldexp_f64 v[30:31], v[32:33], v30
	v_cmp_nlt_f64_e64 s[14:15], s[46:47], v[4:5]
	v_cmp_ngt_f64_e64 s[16:17], s[48:49], v[4:5]
	v_cndmask_b32_e64 v31, v36, v31, s[14:15]
	s_and_b64 s[14:15], s[16:17], s[14:15]
	v_add_f64 v[6:7], v[6:7], -v[16:17]
	v_cndmask_b32_e64 v5, 0, v31, s[16:17]
	v_cndmask_b32_e64 v4, 0, v30, s[14:15]
	v_mul_f64 v[30:31], v[6:7], s[18:19]
	v_rndne_f64_e32 v[30:31], v[30:31]
	v_fma_f64 v[32:33], s[22:23], v[30:31], v[6:7]
	v_fmac_f64_e32 v[32:33], s[24:25], v[30:31]
	v_fma_f64 v[34:35], s[26:27], v[32:33], v[20:21]
	v_fma_f64 v[34:35], v[32:33], v[34:35], s[28:29]
	v_fma_f64 v[34:35], v[32:33], v[34:35], s[30:31]
	v_fma_f64 v[34:35], v[32:33], v[34:35], s[34:35]
	v_fma_f64 v[34:35], v[32:33], v[34:35], s[36:37]
	v_fma_f64 v[34:35], v[32:33], v[34:35], s[38:39]
	v_fma_f64 v[34:35], v[32:33], v[34:35], s[40:41]
	v_fma_f64 v[34:35], v[32:33], v[34:35], s[42:43]
	v_fma_f64 v[34:35], v[32:33], v[34:35], s[44:45]
	v_fma_f64 v[34:35], v[32:33], v[34:35], 1.0
	v_fma_f64 v[32:33], v[32:33], v[34:35], 1.0
	v_cvt_i32_f64_e32 v30, v[30:31]
	v_add_f64 v[2:3], v[2:3], -v[16:17]
	v_ldexp_f64 v[30:31], v[32:33], v30
	v_cmp_nlt_f64_e64 s[14:15], s[46:47], v[6:7]
	v_cmp_ngt_f64_e64 s[16:17], s[48:49], v[6:7]
	v_mul_f64 v[16:17], v[2:3], s[18:19]
	v_cndmask_b32_e64 v31, v36, v31, s[14:15]
	s_and_b64 s[14:15], s[16:17], s[14:15]
	v_rndne_f64_e32 v[16:17], v[16:17]
	v_cndmask_b32_e64 v7, 0, v31, s[16:17]
	v_cndmask_b32_e64 v6, 0, v30, s[14:15]
	v_fma_f64 v[30:31], s[22:23], v[16:17], v[2:3]
	v_fmac_f64_e32 v[30:31], s[24:25], v[16:17]
	v_fmac_f64_e32 v[20:21], s[26:27], v[30:31]
	v_fma_f64 v[20:21], v[30:31], v[20:21], s[28:29]
	v_fma_f64 v[20:21], v[30:31], v[20:21], s[30:31]
	;; [unrolled: 1-line block ×6, first 2 shown]
	v_add_f64 v[28:29], v[18:19], 0
	v_fma_f64 v[20:21], v[30:31], v[20:21], s[42:43]
	v_add_f64 v[28:29], v[28:29], v[12:13]
	v_fma_f64 v[20:21], v[30:31], v[20:21], s[44:45]
	v_add_f64 v[28:29], v[28:29], v[14:15]
	v_fma_f64 v[20:21], v[30:31], v[20:21], 1.0
	v_add_f64 v[28:29], v[28:29], v[8:9]
	v_fma_f64 v[20:21], v[30:31], v[20:21], 1.0
	v_cvt_i32_f64_e32 v16, v[16:17]
	v_add_f64 v[28:29], v[28:29], v[10:11]
	v_ldexp_f64 v[16:17], v[20:21], v16
	v_cmp_nlt_f64_e64 s[14:15], s[46:47], v[2:3]
	v_cmp_ngt_f64_e64 s[16:17], s[48:49], v[2:3]
	v_add_f64 v[28:29], v[28:29], v[4:5]
	v_cndmask_b32_e64 v17, v36, v17, s[14:15]
	s_and_b64 s[14:15], s[16:17], s[14:15]
	v_add_f64 v[28:29], v[28:29], v[6:7]
	v_cndmask_b32_e64 v3, 0, v17, s[16:17]
	v_cndmask_b32_e64 v2, 0, v16, s[14:15]
	v_add_f64 v[16:17], v[28:29], v[2:3]
	ds_bpermute_b32 v20, v23, v16
	ds_bpermute_b32 v21, v23, v17
	v_cmp_lt_i32_e64 s[14:15], 0, v22
	s_waitcnt lgkmcnt(0)
	v_add_f64 v[16:17], v[16:17], v[20:21]
	ds_bpermute_b32 v20, v24, v16
	ds_bpermute_b32 v21, v24, v17
	s_waitcnt lgkmcnt(0)
	v_add_f64 v[16:17], v[16:17], v[20:21]
	ds_bpermute_b32 v20, v25, v16
	ds_bpermute_b32 v21, v25, v17
	;; [unrolled: 4-line block ×4, first 2 shown]
	s_and_saveexec_b64 s[16:17], s[14:15]
	s_cbranch_execz .LBB371_26
; %bb.17:
	s_and_b64 exec, exec, vcc
	s_cbranch_execz .LBB371_26
; %bb.18:
	s_waitcnt lgkmcnt(0)
	v_add_f64 v[16:17], v[16:17], v[20:21]
	v_div_scale_f64 v[20:21], s[14:15], v[16:17], v[16:17], v[18:19]
	v_rcp_f64_e32 v[22:23], v[20:21]
	v_mov_b32_e32 v24, s21
	v_add_co_u32_e32 v0, vcc, s20, v0
	v_addc_co_u32_e32 v1, vcc, v24, v1, vcc
	v_fma_f64 v[24:25], -v[20:21], v[22:23], 1.0
	v_fmac_f64_e32 v[22:23], v[22:23], v[24:25]
	v_fma_f64 v[24:25], -v[20:21], v[22:23], 1.0
	v_fmac_f64_e32 v[22:23], v[22:23], v[24:25]
	v_div_scale_f64 v[24:25], vcc, v[18:19], v[16:17], v[18:19]
	v_mul_f64 v[26:27], v[24:25], v[22:23]
	v_fma_f64 v[20:21], -v[20:21], v[26:27], v[24:25]
	v_cmp_eq_f64_e64 s[14:15], 0, v[16:17]
	s_nop 0
	v_div_fmas_f64 v[20:21], v[20:21], v[22:23], v[26:27]
	v_div_fixup_f64 v[20:21], v[20:21], v[16:17], v[18:19]
	v_mov_b32_e32 v18, 0x7ff80000
	v_cndmask_b32_e64 v21, v21, v18, s[14:15]
	v_cndmask_b32_e64 v20, v20, 0, s[14:15]
	global_store_dwordx2 v[0:1], v[20:21], off
	s_and_b64 exec, exec, s[12:13]
	s_cbranch_execz .LBB371_26
; %bb.19:
	v_div_scale_f64 v[20:21], s[12:13], v[16:17], v[16:17], v[12:13]
	v_rcp_f64_e32 v[22:23], v[20:21]
	v_div_scale_f64 v[24:25], vcc, v[12:13], v[16:17], v[12:13]
	v_fma_f64 v[26:27], -v[20:21], v[22:23], 1.0
	v_fmac_f64_e32 v[22:23], v[22:23], v[26:27]
	v_fma_f64 v[26:27], -v[20:21], v[22:23], 1.0
	v_fmac_f64_e32 v[22:23], v[22:23], v[26:27]
	v_mul_f64 v[26:27], v[24:25], v[22:23]
	v_fma_f64 v[20:21], -v[20:21], v[26:27], v[24:25]
	v_div_fmas_f64 v[20:21], v[20:21], v[22:23], v[26:27]
	v_div_fixup_f64 v[12:13], v[20:21], v[16:17], v[12:13]
	v_cndmask_b32_e64 v13, v13, v18, s[14:15]
	v_cndmask_b32_e64 v12, v12, 0, s[14:15]
	global_store_dwordx2 v[0:1], v[12:13], off offset:256
	s_and_b64 exec, exec, s[10:11]
	s_cbranch_execz .LBB371_26
; %bb.20:
	v_div_scale_f64 v[12:13], s[10:11], v[16:17], v[16:17], v[14:15]
	v_rcp_f64_e32 v[18:19], v[12:13]
	v_div_scale_f64 v[20:21], vcc, v[14:15], v[16:17], v[14:15]
	v_fma_f64 v[22:23], -v[12:13], v[18:19], 1.0
	v_fmac_f64_e32 v[18:19], v[18:19], v[22:23]
	v_fma_f64 v[22:23], -v[12:13], v[18:19], 1.0
	v_fmac_f64_e32 v[18:19], v[18:19], v[22:23]
	v_mul_f64 v[22:23], v[20:21], v[18:19]
	v_fma_f64 v[12:13], -v[12:13], v[22:23], v[20:21]
	v_div_fmas_f64 v[12:13], v[12:13], v[18:19], v[22:23]
	v_div_fixup_f64 v[14:15], v[12:13], v[16:17], v[14:15]
	v_mov_b32_e32 v12, 0x7ff80000
	v_cndmask_b32_e64 v15, v15, v12, s[14:15]
	v_cndmask_b32_e64 v14, v14, 0, s[14:15]
	global_store_dwordx2 v[0:1], v[14:15], off offset:512
	s_and_b64 exec, exec, s[8:9]
	s_cbranch_execz .LBB371_26
; %bb.21:
	v_div_scale_f64 v[14:15], s[8:9], v[16:17], v[16:17], v[8:9]
	v_rcp_f64_e32 v[18:19], v[14:15]
	v_div_scale_f64 v[20:21], vcc, v[8:9], v[16:17], v[8:9]
	v_fma_f64 v[22:23], -v[14:15], v[18:19], 1.0
	v_fmac_f64_e32 v[18:19], v[18:19], v[22:23]
	v_fma_f64 v[22:23], -v[14:15], v[18:19], 1.0
	v_fmac_f64_e32 v[18:19], v[18:19], v[22:23]
	v_mul_f64 v[22:23], v[20:21], v[18:19]
	v_fma_f64 v[14:15], -v[14:15], v[22:23], v[20:21]
	v_div_fmas_f64 v[14:15], v[14:15], v[18:19], v[22:23]
	v_div_fixup_f64 v[8:9], v[14:15], v[16:17], v[8:9]
	v_cndmask_b32_e64 v9, v9, v12, s[14:15]
	v_cndmask_b32_e64 v8, v8, 0, s[14:15]
	global_store_dwordx2 v[0:1], v[8:9], off offset:768
	s_and_b64 exec, exec, s[6:7]
	s_cbranch_execz .LBB371_26
; %bb.22:
	v_div_scale_f64 v[8:9], s[6:7], v[16:17], v[16:17], v[10:11]
	v_rcp_f64_e32 v[12:13], v[8:9]
	v_div_scale_f64 v[14:15], vcc, v[10:11], v[16:17], v[10:11]
	v_fma_f64 v[18:19], -v[8:9], v[12:13], 1.0
	v_fmac_f64_e32 v[12:13], v[12:13], v[18:19]
	v_fma_f64 v[18:19], -v[8:9], v[12:13], 1.0
	v_fmac_f64_e32 v[12:13], v[12:13], v[18:19]
	v_mul_f64 v[18:19], v[14:15], v[12:13]
	v_fma_f64 v[8:9], -v[8:9], v[18:19], v[14:15]
	v_div_fmas_f64 v[8:9], v[8:9], v[12:13], v[18:19]
	v_div_fixup_f64 v[10:11], v[8:9], v[16:17], v[10:11]
	v_mov_b32_e32 v8, 0x7ff80000
	v_cndmask_b32_e64 v11, v11, v8, s[14:15]
	v_cndmask_b32_e64 v10, v10, 0, s[14:15]
	global_store_dwordx2 v[0:1], v[10:11], off offset:1024
	;; [unrolled: 35-line block ×3, first 2 shown]
	s_and_b64 exec, exec, s[0:1]
	s_cbranch_execz .LBB371_26
; %bb.25:
	v_div_scale_f64 v[6:7], s[0:1], v[16:17], v[16:17], v[2:3]
	v_rcp_f64_e32 v[8:9], v[6:7]
	v_div_scale_f64 v[10:11], vcc, v[2:3], v[16:17], v[2:3]
	v_fma_f64 v[12:13], -v[6:7], v[8:9], 1.0
	v_fmac_f64_e32 v[8:9], v[8:9], v[12:13]
	v_fma_f64 v[12:13], -v[6:7], v[8:9], 1.0
	v_fmac_f64_e32 v[8:9], v[8:9], v[12:13]
	v_mul_f64 v[12:13], v[10:11], v[8:9]
	v_fma_f64 v[6:7], -v[6:7], v[12:13], v[10:11]
	v_div_fmas_f64 v[6:7], v[6:7], v[8:9], v[12:13]
	v_div_fixup_f64 v[2:3], v[6:7], v[16:17], v[2:3]
	v_cndmask_b32_e64 v3, v3, v4, s[14:15]
	v_cndmask_b32_e64 v2, v2, 0, s[14:15]
	global_store_dwordx2 v[0:1], v[2:3], off offset:1792
.LBB371_26:
	s_endpgm
	.section	.rodata,"a",@progbits
	.p2align	6, 0x0
	.amdhsa_kernel _ZN12_GLOBAL__N_120softmax_warp_forwardIdddLi8ELb0ELb0ELi32EEEvPT0_PKT_iiiPKbib
		.amdhsa_group_segment_fixed_size 0
		.amdhsa_private_segment_fixed_size 0
		.amdhsa_kernarg_size 304
		.amdhsa_user_sgpr_count 6
		.amdhsa_user_sgpr_private_segment_buffer 1
		.amdhsa_user_sgpr_dispatch_ptr 0
		.amdhsa_user_sgpr_queue_ptr 0
		.amdhsa_user_sgpr_kernarg_segment_ptr 1
		.amdhsa_user_sgpr_dispatch_id 0
		.amdhsa_user_sgpr_flat_scratch_init 0
		.amdhsa_user_sgpr_kernarg_preload_length 0
		.amdhsa_user_sgpr_kernarg_preload_offset 0
		.amdhsa_user_sgpr_private_segment_size 0
		.amdhsa_uses_dynamic_stack 0
		.amdhsa_system_sgpr_private_segment_wavefront_offset 0
		.amdhsa_system_sgpr_workgroup_id_x 1
		.amdhsa_system_sgpr_workgroup_id_y 0
		.amdhsa_system_sgpr_workgroup_id_z 0
		.amdhsa_system_sgpr_workgroup_info 0
		.amdhsa_system_vgpr_workitem_id 1
		.amdhsa_next_free_vgpr 37
		.amdhsa_next_free_sgpr 50
		.amdhsa_accum_offset 40
		.amdhsa_reserve_vcc 1
		.amdhsa_reserve_flat_scratch 0
		.amdhsa_float_round_mode_32 0
		.amdhsa_float_round_mode_16_64 0
		.amdhsa_float_denorm_mode_32 3
		.amdhsa_float_denorm_mode_16_64 3
		.amdhsa_dx10_clamp 1
		.amdhsa_ieee_mode 1
		.amdhsa_fp16_overflow 0
		.amdhsa_tg_split 0
		.amdhsa_exception_fp_ieee_invalid_op 0
		.amdhsa_exception_fp_denorm_src 0
		.amdhsa_exception_fp_ieee_div_zero 0
		.amdhsa_exception_fp_ieee_overflow 0
		.amdhsa_exception_fp_ieee_underflow 0
		.amdhsa_exception_fp_ieee_inexact 0
		.amdhsa_exception_int_div_zero 0
	.end_amdhsa_kernel
	.section	.text._ZN12_GLOBAL__N_120softmax_warp_forwardIdddLi8ELb0ELb0ELi32EEEvPT0_PKT_iiiPKbib,"axG",@progbits,_ZN12_GLOBAL__N_120softmax_warp_forwardIdddLi8ELb0ELb0ELi32EEEvPT0_PKT_iiiPKbib,comdat
.Lfunc_end371:
	.size	_ZN12_GLOBAL__N_120softmax_warp_forwardIdddLi8ELb0ELb0ELi32EEEvPT0_PKT_iiiPKbib, .Lfunc_end371-_ZN12_GLOBAL__N_120softmax_warp_forwardIdddLi8ELb0ELb0ELi32EEEvPT0_PKT_iiiPKbib
                                        ; -- End function
	.section	.AMDGPU.csdata,"",@progbits
; Kernel info:
; codeLenInByte = 3804
; NumSgprs: 54
; NumVgprs: 37
; NumAgprs: 0
; TotalNumVgprs: 37
; ScratchSize: 0
; MemoryBound: 0
; FloatMode: 240
; IeeeMode: 1
; LDSByteSize: 0 bytes/workgroup (compile time only)
; SGPRBlocks: 6
; VGPRBlocks: 4
; NumSGPRsForWavesPerEU: 54
; NumVGPRsForWavesPerEU: 37
; AccumOffset: 40
; Occupancy: 8
; WaveLimiterHint : 0
; COMPUTE_PGM_RSRC2:SCRATCH_EN: 0
; COMPUTE_PGM_RSRC2:USER_SGPR: 6
; COMPUTE_PGM_RSRC2:TRAP_HANDLER: 0
; COMPUTE_PGM_RSRC2:TGID_X_EN: 1
; COMPUTE_PGM_RSRC2:TGID_Y_EN: 0
; COMPUTE_PGM_RSRC2:TGID_Z_EN: 0
; COMPUTE_PGM_RSRC2:TIDIG_COMP_CNT: 1
; COMPUTE_PGM_RSRC3_GFX90A:ACCUM_OFFSET: 9
; COMPUTE_PGM_RSRC3_GFX90A:TG_SPLIT: 0
	.section	.text._ZN12_GLOBAL__N_120softmax_warp_forwardIdddLi9ELb0ELb0ELi64EEEvPT0_PKT_iiiPKbib,"axG",@progbits,_ZN12_GLOBAL__N_120softmax_warp_forwardIdddLi9ELb0ELb0ELi64EEEvPT0_PKT_iiiPKbib,comdat
	.globl	_ZN12_GLOBAL__N_120softmax_warp_forwardIdddLi9ELb0ELb0ELi64EEEvPT0_PKT_iiiPKbib ; -- Begin function _ZN12_GLOBAL__N_120softmax_warp_forwardIdddLi9ELb0ELb0ELi64EEEvPT0_PKT_iiiPKbib
	.p2align	8
	.type	_ZN12_GLOBAL__N_120softmax_warp_forwardIdddLi9ELb0ELb0ELi64EEEvPT0_PKT_iiiPKbib,@function
_ZN12_GLOBAL__N_120softmax_warp_forwardIdddLi9ELb0ELb0ELi64EEEvPT0_PKT_iiiPKbib: ; @_ZN12_GLOBAL__N_120softmax_warp_forwardIdddLi9ELb0ELb0ELi64EEEvPT0_PKT_iiiPKbib
; %bb.0:
	s_load_dword s0, s[4:5], 0x3c
	s_load_dwordx8 s[20:27], s[4:5], 0x0
	v_bfe_u32 v1, v0, 10, 10
	v_and_b32_e32 v20, 0x3ff, v0
	v_mov_b32_e32 v12, 0
	s_waitcnt lgkmcnt(0)
	s_lshr_b32 s0, s0, 16
	s_mul_i32 s6, s6, s0
	v_add_u32_e32 v1, s6, v1
	v_sub_u32_e32 v22, s24, v1
	v_mad_u64_u32 v[0:1], s[0:1], v1, s25, v[20:21]
	v_ashrrev_i32_e32 v1, 31, v0
	v_lshlrev_b64 v[0:1], 3, v[0:1]
	v_mov_b32_e32 v2, s23
	v_add_co_u32_e32 v16, vcc, s22, v0
	v_addc_co_u32_e32 v17, vcc, v2, v1, vcc
	v_cmp_lt_i32_e64 s[14:15], 0, v22
	v_cmp_gt_i32_e32 vcc, s26, v20
	v_mov_b32_e32 v13, 0xfff00000
	s_and_b64 s[2:3], s[14:15], vcc
	v_pk_mov_b32 v[18:19], v[12:13], v[12:13] op_sel:[0,1]
	s_and_saveexec_b64 s[0:1], s[2:3]
	s_cbranch_execz .LBB372_2
; %bb.1:
	global_load_dwordx2 v[18:19], v[16:17], off
.LBB372_2:
	s_or_b64 exec, exec, s[0:1]
	v_add_u32_e32 v2, 64, v20
	v_cmp_gt_i32_e64 s[12:13], s26, v2
	s_and_b64 s[2:3], s[14:15], s[12:13]
	s_and_saveexec_b64 s[0:1], s[2:3]
	s_cbranch_execz .LBB372_4
; %bb.3:
	global_load_dwordx2 v[12:13], v[16:17], off offset:512
.LBB372_4:
	s_or_b64 exec, exec, s[0:1]
	v_add_u32_e32 v2, 0x80, v20
	v_mov_b32_e32 v8, 0
	v_cmp_gt_i32_e64 s[10:11], s26, v2
	v_mov_b32_e32 v9, 0xfff00000
	s_and_b64 s[2:3], s[14:15], s[10:11]
	v_pk_mov_b32 v[14:15], v[8:9], v[8:9] op_sel:[0,1]
	s_and_saveexec_b64 s[0:1], s[2:3]
	s_cbranch_execz .LBB372_6
; %bb.5:
	global_load_dwordx2 v[14:15], v[16:17], off offset:1024
.LBB372_6:
	s_or_b64 exec, exec, s[0:1]
	v_add_u32_e32 v2, 0xc0, v20
	v_cmp_gt_i32_e64 s[8:9], s26, v2
	s_and_b64 s[2:3], s[14:15], s[8:9]
	s_and_saveexec_b64 s[0:1], s[2:3]
	s_cbranch_execz .LBB372_8
; %bb.7:
	global_load_dwordx2 v[8:9], v[16:17], off offset:1536
.LBB372_8:
	s_or_b64 exec, exec, s[0:1]
	v_add_u32_e32 v2, 0x100, v20
	v_mov_b32_e32 v4, 0
	v_cmp_gt_i32_e64 s[6:7], s26, v2
	v_mov_b32_e32 v5, 0xfff00000
	s_and_b64 s[2:3], s[14:15], s[6:7]
	v_pk_mov_b32 v[10:11], v[4:5], v[4:5] op_sel:[0,1]
	s_and_saveexec_b64 s[0:1], s[2:3]
	s_cbranch_execz .LBB372_10
; %bb.9:
	global_load_dwordx2 v[10:11], v[16:17], off offset:2048
.LBB372_10:
	s_or_b64 exec, exec, s[0:1]
	v_add_u32_e32 v2, 0x140, v20
	v_cmp_gt_i32_e64 s[4:5], s26, v2
	s_and_b64 s[2:3], s[14:15], s[4:5]
	s_and_saveexec_b64 s[0:1], s[2:3]
	s_cbranch_execz .LBB372_12
; %bb.11:
	global_load_dwordx2 v[4:5], v[16:17], off offset:2560
.LBB372_12:
	s_or_b64 exec, exec, s[0:1]
	v_add_u32_e32 v2, 0x180, v20
	v_cmp_gt_i32_e64 s[2:3], s26, v2
	v_mov_b32_e32 v2, 0
	v_mov_b32_e32 v3, 0xfff00000
	s_and_b64 s[16:17], s[14:15], s[2:3]
	v_pk_mov_b32 v[6:7], v[2:3], v[2:3] op_sel:[0,1]
	s_and_saveexec_b64 s[0:1], s[16:17]
	s_cbranch_execz .LBB372_14
; %bb.13:
	global_load_dwordx2 v[6:7], v[16:17], off offset:3072
.LBB372_14:
	s_or_b64 exec, exec, s[0:1]
	v_add_u32_e32 v20, 0x1c0, v20
	v_cmp_gt_i32_e64 s[0:1], s26, v20
	s_and_b64 s[16:17], s[14:15], s[0:1]
	s_and_saveexec_b64 s[14:15], s[16:17]
	s_cbranch_execz .LBB372_16
; %bb.15:
	global_load_dwordx2 v[2:3], v[16:17], off offset:3584
.LBB372_16:
	s_or_b64 exec, exec, s[14:15]
	s_waitcnt vmcnt(0)
	v_cmp_gt_f64_e64 s[14:15], v[18:19], v[12:13]
	v_cndmask_b32_e64 v17, v13, v19, s[14:15]
	v_cndmask_b32_e64 v16, v12, v18, s[14:15]
	v_cmp_gt_f64_e64 s[14:15], v[16:17], v[14:15]
	v_cndmask_b32_e64 v17, v15, v17, s[14:15]
	v_cndmask_b32_e64 v16, v14, v16, s[14:15]
	;; [unrolled: 3-line block ×5, first 2 shown]
	v_mbcnt_lo_u32_b32 v20, -1, 0
	v_cmp_gt_f64_e64 s[14:15], v[16:17], v[6:7]
	v_mbcnt_hi_u32_b32 v28, -1, v20
	v_cndmask_b32_e64 v17, v7, v17, s[14:15]
	v_cndmask_b32_e64 v16, v6, v16, s[14:15]
	v_and_b32_e32 v20, 64, v28
	v_cmp_gt_f64_e64 s[14:15], v[16:17], v[2:3]
	v_add_u32_e32 v29, 64, v20
	v_xor_b32_e32 v20, 32, v28
	v_cndmask_b32_e64 v17, v3, v17, s[14:15]
	v_cndmask_b32_e64 v16, v2, v16, s[14:15]
	v_cmp_lt_i32_e64 s[14:15], v20, v29
	v_cndmask_b32_e64 v20, v28, v20, s[14:15]
	v_lshlrev_b32_e32 v23, 2, v20
	ds_bpermute_b32 v20, v23, v16
	ds_bpermute_b32 v21, v23, v17
	s_mov_b32 s18, 0x652b82fe
	s_mov_b32 s19, 0x3ff71547
	s_mov_b32 s22, 0xfefa39ef
	s_mov_b32 s23, 0xbfe62e42
	s_waitcnt lgkmcnt(0)
	v_cmp_lt_f64_e64 s[14:15], v[16:17], v[20:21]
	v_cndmask_b32_e64 v16, v16, v20, s[14:15]
	v_xor_b32_e32 v20, 16, v28
	v_cndmask_b32_e64 v17, v17, v21, s[14:15]
	v_cmp_lt_i32_e64 s[14:15], v20, v29
	v_cndmask_b32_e64 v20, v28, v20, s[14:15]
	v_lshlrev_b32_e32 v24, 2, v20
	ds_bpermute_b32 v20, v24, v16
	ds_bpermute_b32 v21, v24, v17
	s_mov_b32 s24, 0x3b39803f
	s_mov_b32 s25, 0xbc7abc9e
	s_mov_b32 s26, 0x6a5dcb37
	s_mov_b32 s27, 0x3e5ade15
	s_waitcnt lgkmcnt(0)
	v_cmp_lt_f64_e64 s[14:15], v[16:17], v[20:21]
	v_cndmask_b32_e64 v16, v16, v20, s[14:15]
	v_xor_b32_e32 v20, 8, v28
	;; [unrolled: 14-line block ×5, first 2 shown]
	v_cndmask_b32_e64 v17, v17, v21, s[14:15]
	v_cmp_lt_i32_e64 s[14:15], v20, v29
	v_cndmask_b32_e64 v20, v28, v20, s[14:15]
	v_lshlrev_b32_e32 v28, 2, v20
	ds_bpermute_b32 v20, v28, v16
	ds_bpermute_b32 v21, v28, v17
	s_mov_b32 s42, 0x55555511
	s_mov_b32 s43, 0x3fc55555
	;; [unrolled: 1-line block ×4, first 2 shown]
	s_waitcnt lgkmcnt(0)
	v_cmp_lt_f64_e64 s[14:15], v[16:17], v[20:21]
	v_cndmask_b32_e64 v17, v17, v21, s[14:15]
	v_cndmask_b32_e64 v16, v16, v20, s[14:15]
	v_add_f64 v[18:19], v[18:19], -v[16:17]
	v_mul_f64 v[20:21], v[18:19], s[18:19]
	v_rndne_f64_e32 v[30:31], v[20:21]
	s_mov_b32 s14, 0xfca7ab0c
	v_fma_f64 v[32:33], s[22:23], v[30:31], v[18:19]
	s_mov_b32 s15, 0x3e928af3
	v_fmac_f64_e32 v[32:33], s[24:25], v[30:31]
	v_pk_mov_b32 v[20:21], s[14:15], s[14:15] op_sel:[0,1]
	v_fma_f64 v[34:35], s[26:27], v[32:33], v[20:21]
	v_fma_f64 v[34:35], v[32:33], v[34:35], s[28:29]
	;; [unrolled: 1-line block ×9, first 2 shown]
	v_fma_f64 v[34:35], v[32:33], v[34:35], 1.0
	v_fma_f64 v[32:33], v[32:33], v[34:35], 1.0
	v_cvt_i32_f64_e32 v29, v[30:31]
	v_add_f64 v[12:13], v[12:13], -v[16:17]
	v_ldexp_f64 v[30:31], v[32:33], v29
	v_mul_f64 v[32:33], v[12:13], s[18:19]
	v_rndne_f64_e32 v[32:33], v[32:33]
	v_fma_f64 v[34:35], s[22:23], v[32:33], v[12:13]
	v_fmac_f64_e32 v[34:35], s[24:25], v[32:33]
	v_fma_f64 v[36:37], s[26:27], v[34:35], v[20:21]
	v_fma_f64 v[36:37], v[34:35], v[36:37], s[28:29]
	;; [unrolled: 1-line block ×7, first 2 shown]
	s_mov_b32 s46, 0
	s_mov_b32 s48, 0
	v_fma_f64 v[36:37], v[34:35], v[36:37], s[42:43]
	s_mov_b32 s47, 0x40900000
	s_mov_b32 s49, 0xc090cc00
	v_fma_f64 v[36:37], v[34:35], v[36:37], s[44:45]
	v_mov_b32_e32 v29, 0x7ff00000
	v_cmp_nlt_f64_e64 s[14:15], s[46:47], v[18:19]
	v_cmp_ngt_f64_e64 s[16:17], s[48:49], v[18:19]
	v_fma_f64 v[36:37], v[34:35], v[36:37], 1.0
	v_cndmask_b32_e64 v31, v29, v31, s[14:15]
	s_and_b64 s[14:15], s[16:17], s[14:15]
	v_fma_f64 v[34:35], v[34:35], v[36:37], 1.0
	v_cvt_i32_f64_e32 v32, v[32:33]
	v_cndmask_b32_e64 v19, 0, v31, s[16:17]
	v_cndmask_b32_e64 v18, 0, v30, s[14:15]
	v_ldexp_f64 v[32:33], v[34:35], v32
	v_cmp_nlt_f64_e64 s[14:15], s[46:47], v[12:13]
	v_cmp_ngt_f64_e64 s[16:17], s[48:49], v[12:13]
	v_cndmask_b32_e64 v33, v29, v33, s[14:15]
	s_and_b64 s[14:15], s[16:17], s[14:15]
	v_add_f64 v[14:15], v[14:15], -v[16:17]
	v_cndmask_b32_e64 v13, 0, v33, s[16:17]
	v_cndmask_b32_e64 v12, 0, v32, s[14:15]
	v_mul_f64 v[32:33], v[14:15], s[18:19]
	v_rndne_f64_e32 v[32:33], v[32:33]
	v_fma_f64 v[34:35], s[22:23], v[32:33], v[14:15]
	v_fmac_f64_e32 v[34:35], s[24:25], v[32:33]
	v_fma_f64 v[36:37], s[26:27], v[34:35], v[20:21]
	v_fma_f64 v[36:37], v[34:35], v[36:37], s[28:29]
	v_fma_f64 v[36:37], v[34:35], v[36:37], s[30:31]
	v_fma_f64 v[36:37], v[34:35], v[36:37], s[34:35]
	v_fma_f64 v[36:37], v[34:35], v[36:37], s[36:37]
	v_fma_f64 v[36:37], v[34:35], v[36:37], s[38:39]
	v_fma_f64 v[36:37], v[34:35], v[36:37], s[40:41]
	v_fma_f64 v[36:37], v[34:35], v[36:37], s[42:43]
	v_fma_f64 v[36:37], v[34:35], v[36:37], s[44:45]
	v_fma_f64 v[36:37], v[34:35], v[36:37], 1.0
	v_fma_f64 v[34:35], v[34:35], v[36:37], 1.0
	v_cvt_i32_f64_e32 v32, v[32:33]
	v_ldexp_f64 v[32:33], v[34:35], v32
	v_cmp_nlt_f64_e64 s[14:15], s[46:47], v[14:15]
	v_cmp_ngt_f64_e64 s[16:17], s[48:49], v[14:15]
	v_cndmask_b32_e64 v33, v29, v33, s[14:15]
	s_and_b64 s[14:15], s[16:17], s[14:15]
	v_add_f64 v[8:9], v[8:9], -v[16:17]
	v_cndmask_b32_e64 v15, 0, v33, s[16:17]
	v_cndmask_b32_e64 v14, 0, v32, s[14:15]
	v_mul_f64 v[32:33], v[8:9], s[18:19]
	v_rndne_f64_e32 v[32:33], v[32:33]
	v_fma_f64 v[34:35], s[22:23], v[32:33], v[8:9]
	v_fmac_f64_e32 v[34:35], s[24:25], v[32:33]
	v_fma_f64 v[36:37], s[26:27], v[34:35], v[20:21]
	v_fma_f64 v[36:37], v[34:35], v[36:37], s[28:29]
	v_fma_f64 v[36:37], v[34:35], v[36:37], s[30:31]
	v_fma_f64 v[36:37], v[34:35], v[36:37], s[34:35]
	v_fma_f64 v[36:37], v[34:35], v[36:37], s[36:37]
	v_fma_f64 v[36:37], v[34:35], v[36:37], s[38:39]
	v_fma_f64 v[36:37], v[34:35], v[36:37], s[40:41]
	v_fma_f64 v[36:37], v[34:35], v[36:37], s[42:43]
	v_fma_f64 v[36:37], v[34:35], v[36:37], s[44:45]
	v_fma_f64 v[36:37], v[34:35], v[36:37], 1.0
	v_fma_f64 v[34:35], v[34:35], v[36:37], 1.0
	v_cvt_i32_f64_e32 v32, v[32:33]
	v_ldexp_f64 v[32:33], v[34:35], v32
	v_cmp_nlt_f64_e64 s[14:15], s[46:47], v[8:9]
	v_cmp_ngt_f64_e64 s[16:17], s[48:49], v[8:9]
	v_cndmask_b32_e64 v33, v29, v33, s[14:15]
	s_and_b64 s[14:15], s[16:17], s[14:15]
	v_add_f64 v[10:11], v[10:11], -v[16:17]
	v_cndmask_b32_e64 v9, 0, v33, s[16:17]
	v_cndmask_b32_e64 v8, 0, v32, s[14:15]
	v_mul_f64 v[32:33], v[10:11], s[18:19]
	v_rndne_f64_e32 v[32:33], v[32:33]
	v_fma_f64 v[34:35], s[22:23], v[32:33], v[10:11]
	v_fmac_f64_e32 v[34:35], s[24:25], v[32:33]
	v_fma_f64 v[36:37], s[26:27], v[34:35], v[20:21]
	v_fma_f64 v[36:37], v[34:35], v[36:37], s[28:29]
	v_fma_f64 v[36:37], v[34:35], v[36:37], s[30:31]
	v_fma_f64 v[36:37], v[34:35], v[36:37], s[34:35]
	v_fma_f64 v[36:37], v[34:35], v[36:37], s[36:37]
	v_fma_f64 v[36:37], v[34:35], v[36:37], s[38:39]
	v_fma_f64 v[36:37], v[34:35], v[36:37], s[40:41]
	v_fma_f64 v[36:37], v[34:35], v[36:37], s[42:43]
	v_fma_f64 v[36:37], v[34:35], v[36:37], s[44:45]
	v_fma_f64 v[36:37], v[34:35], v[36:37], 1.0
	v_fma_f64 v[34:35], v[34:35], v[36:37], 1.0
	v_cvt_i32_f64_e32 v32, v[32:33]
	v_ldexp_f64 v[32:33], v[34:35], v32
	v_cmp_nlt_f64_e64 s[14:15], s[46:47], v[10:11]
	v_cmp_ngt_f64_e64 s[16:17], s[48:49], v[10:11]
	v_cndmask_b32_e64 v33, v29, v33, s[14:15]
	s_and_b64 s[14:15], s[16:17], s[14:15]
	v_add_f64 v[4:5], v[4:5], -v[16:17]
	v_cndmask_b32_e64 v11, 0, v33, s[16:17]
	v_cndmask_b32_e64 v10, 0, v32, s[14:15]
	v_mul_f64 v[32:33], v[4:5], s[18:19]
	v_rndne_f64_e32 v[32:33], v[32:33]
	v_fma_f64 v[34:35], s[22:23], v[32:33], v[4:5]
	v_fmac_f64_e32 v[34:35], s[24:25], v[32:33]
	v_fma_f64 v[36:37], s[26:27], v[34:35], v[20:21]
	v_fma_f64 v[36:37], v[34:35], v[36:37], s[28:29]
	v_fma_f64 v[36:37], v[34:35], v[36:37], s[30:31]
	v_fma_f64 v[36:37], v[34:35], v[36:37], s[34:35]
	v_fma_f64 v[36:37], v[34:35], v[36:37], s[36:37]
	v_fma_f64 v[36:37], v[34:35], v[36:37], s[38:39]
	v_fma_f64 v[36:37], v[34:35], v[36:37], s[40:41]
	v_fma_f64 v[36:37], v[34:35], v[36:37], s[42:43]
	v_fma_f64 v[36:37], v[34:35], v[36:37], s[44:45]
	v_fma_f64 v[36:37], v[34:35], v[36:37], 1.0
	v_fma_f64 v[34:35], v[34:35], v[36:37], 1.0
	v_cvt_i32_f64_e32 v32, v[32:33]
	v_ldexp_f64 v[32:33], v[34:35], v32
	v_cmp_nlt_f64_e64 s[14:15], s[46:47], v[4:5]
	v_cmp_ngt_f64_e64 s[16:17], s[48:49], v[4:5]
	v_cndmask_b32_e64 v33, v29, v33, s[14:15]
	s_and_b64 s[14:15], s[16:17], s[14:15]
	v_add_f64 v[6:7], v[6:7], -v[16:17]
	v_cndmask_b32_e64 v5, 0, v33, s[16:17]
	v_cndmask_b32_e64 v4, 0, v32, s[14:15]
	v_mul_f64 v[32:33], v[6:7], s[18:19]
	v_rndne_f64_e32 v[32:33], v[32:33]
	v_fma_f64 v[34:35], s[22:23], v[32:33], v[6:7]
	v_fmac_f64_e32 v[34:35], s[24:25], v[32:33]
	v_fma_f64 v[36:37], s[26:27], v[34:35], v[20:21]
	v_fma_f64 v[36:37], v[34:35], v[36:37], s[28:29]
	v_fma_f64 v[36:37], v[34:35], v[36:37], s[30:31]
	v_fma_f64 v[36:37], v[34:35], v[36:37], s[34:35]
	v_fma_f64 v[36:37], v[34:35], v[36:37], s[36:37]
	v_fma_f64 v[36:37], v[34:35], v[36:37], s[38:39]
	v_fma_f64 v[36:37], v[34:35], v[36:37], s[40:41]
	v_fma_f64 v[36:37], v[34:35], v[36:37], s[42:43]
	v_fma_f64 v[36:37], v[34:35], v[36:37], s[44:45]
	v_fma_f64 v[36:37], v[34:35], v[36:37], 1.0
	v_fma_f64 v[34:35], v[34:35], v[36:37], 1.0
	v_cvt_i32_f64_e32 v32, v[32:33]
	v_add_f64 v[2:3], v[2:3], -v[16:17]
	v_ldexp_f64 v[32:33], v[34:35], v32
	v_cmp_nlt_f64_e64 s[14:15], s[46:47], v[6:7]
	v_cmp_ngt_f64_e64 s[16:17], s[48:49], v[6:7]
	v_mul_f64 v[16:17], v[2:3], s[18:19]
	v_cndmask_b32_e64 v33, v29, v33, s[14:15]
	s_and_b64 s[14:15], s[16:17], s[14:15]
	v_rndne_f64_e32 v[16:17], v[16:17]
	v_cndmask_b32_e64 v7, 0, v33, s[16:17]
	v_cndmask_b32_e64 v6, 0, v32, s[14:15]
	v_fma_f64 v[32:33], s[22:23], v[16:17], v[2:3]
	v_fmac_f64_e32 v[32:33], s[24:25], v[16:17]
	v_fmac_f64_e32 v[20:21], s[26:27], v[32:33]
	v_fma_f64 v[20:21], v[32:33], v[20:21], s[28:29]
	v_fma_f64 v[20:21], v[32:33], v[20:21], s[30:31]
	;; [unrolled: 1-line block ×6, first 2 shown]
	v_add_f64 v[30:31], v[18:19], 0
	v_fma_f64 v[20:21], v[32:33], v[20:21], s[42:43]
	v_add_f64 v[30:31], v[30:31], v[12:13]
	v_fma_f64 v[20:21], v[32:33], v[20:21], s[44:45]
	v_add_f64 v[30:31], v[30:31], v[14:15]
	v_fma_f64 v[20:21], v[32:33], v[20:21], 1.0
	v_add_f64 v[30:31], v[30:31], v[8:9]
	v_fma_f64 v[20:21], v[32:33], v[20:21], 1.0
	v_cvt_i32_f64_e32 v16, v[16:17]
	v_add_f64 v[30:31], v[30:31], v[10:11]
	v_ldexp_f64 v[16:17], v[20:21], v16
	v_cmp_nlt_f64_e64 s[14:15], s[46:47], v[2:3]
	v_cmp_ngt_f64_e64 s[16:17], s[48:49], v[2:3]
	v_add_f64 v[30:31], v[30:31], v[4:5]
	v_cndmask_b32_e64 v17, v29, v17, s[14:15]
	s_and_b64 s[14:15], s[16:17], s[14:15]
	v_add_f64 v[30:31], v[30:31], v[6:7]
	v_cndmask_b32_e64 v3, 0, v17, s[16:17]
	v_cndmask_b32_e64 v2, 0, v16, s[14:15]
	v_add_f64 v[16:17], v[30:31], v[2:3]
	ds_bpermute_b32 v20, v23, v16
	ds_bpermute_b32 v21, v23, v17
	v_cmp_lt_i32_e64 s[14:15], 0, v22
	s_waitcnt lgkmcnt(0)
	v_add_f64 v[16:17], v[16:17], v[20:21]
	ds_bpermute_b32 v20, v24, v16
	ds_bpermute_b32 v21, v24, v17
	s_waitcnt lgkmcnt(0)
	v_add_f64 v[16:17], v[16:17], v[20:21]
	ds_bpermute_b32 v20, v25, v16
	ds_bpermute_b32 v21, v25, v17
	;; [unrolled: 4-line block ×5, first 2 shown]
	s_and_saveexec_b64 s[16:17], s[14:15]
	s_cbranch_execz .LBB372_26
; %bb.17:
	s_and_b64 exec, exec, vcc
	s_cbranch_execz .LBB372_26
; %bb.18:
	s_waitcnt lgkmcnt(0)
	v_add_f64 v[16:17], v[16:17], v[20:21]
	v_div_scale_f64 v[20:21], s[14:15], v[16:17], v[16:17], v[18:19]
	v_rcp_f64_e32 v[22:23], v[20:21]
	v_mov_b32_e32 v24, s21
	v_add_co_u32_e32 v0, vcc, s20, v0
	v_addc_co_u32_e32 v1, vcc, v24, v1, vcc
	v_fma_f64 v[24:25], -v[20:21], v[22:23], 1.0
	v_fmac_f64_e32 v[22:23], v[22:23], v[24:25]
	v_fma_f64 v[24:25], -v[20:21], v[22:23], 1.0
	v_fmac_f64_e32 v[22:23], v[22:23], v[24:25]
	v_div_scale_f64 v[24:25], vcc, v[18:19], v[16:17], v[18:19]
	v_mul_f64 v[26:27], v[24:25], v[22:23]
	v_fma_f64 v[20:21], -v[20:21], v[26:27], v[24:25]
	v_cmp_eq_f64_e64 s[14:15], 0, v[16:17]
	s_nop 0
	v_div_fmas_f64 v[20:21], v[20:21], v[22:23], v[26:27]
	v_div_fixup_f64 v[20:21], v[20:21], v[16:17], v[18:19]
	v_mov_b32_e32 v18, 0x7ff80000
	v_cndmask_b32_e64 v21, v21, v18, s[14:15]
	v_cndmask_b32_e64 v20, v20, 0, s[14:15]
	global_store_dwordx2 v[0:1], v[20:21], off
	s_and_b64 exec, exec, s[12:13]
	s_cbranch_execz .LBB372_26
; %bb.19:
	v_div_scale_f64 v[20:21], s[12:13], v[16:17], v[16:17], v[12:13]
	v_rcp_f64_e32 v[22:23], v[20:21]
	v_div_scale_f64 v[24:25], vcc, v[12:13], v[16:17], v[12:13]
	v_fma_f64 v[26:27], -v[20:21], v[22:23], 1.0
	v_fmac_f64_e32 v[22:23], v[22:23], v[26:27]
	v_fma_f64 v[26:27], -v[20:21], v[22:23], 1.0
	v_fmac_f64_e32 v[22:23], v[22:23], v[26:27]
	v_mul_f64 v[26:27], v[24:25], v[22:23]
	v_fma_f64 v[20:21], -v[20:21], v[26:27], v[24:25]
	v_div_fmas_f64 v[20:21], v[20:21], v[22:23], v[26:27]
	v_div_fixup_f64 v[12:13], v[20:21], v[16:17], v[12:13]
	v_cndmask_b32_e64 v13, v13, v18, s[14:15]
	v_cndmask_b32_e64 v12, v12, 0, s[14:15]
	global_store_dwordx2 v[0:1], v[12:13], off offset:512
	s_and_b64 exec, exec, s[10:11]
	s_cbranch_execz .LBB372_26
; %bb.20:
	v_div_scale_f64 v[12:13], s[10:11], v[16:17], v[16:17], v[14:15]
	v_rcp_f64_e32 v[18:19], v[12:13]
	v_div_scale_f64 v[20:21], vcc, v[14:15], v[16:17], v[14:15]
	v_fma_f64 v[22:23], -v[12:13], v[18:19], 1.0
	v_fmac_f64_e32 v[18:19], v[18:19], v[22:23]
	v_fma_f64 v[22:23], -v[12:13], v[18:19], 1.0
	v_fmac_f64_e32 v[18:19], v[18:19], v[22:23]
	v_mul_f64 v[22:23], v[20:21], v[18:19]
	v_fma_f64 v[12:13], -v[12:13], v[22:23], v[20:21]
	v_div_fmas_f64 v[12:13], v[12:13], v[18:19], v[22:23]
	v_div_fixup_f64 v[14:15], v[12:13], v[16:17], v[14:15]
	v_mov_b32_e32 v12, 0x7ff80000
	v_cndmask_b32_e64 v15, v15, v12, s[14:15]
	v_cndmask_b32_e64 v14, v14, 0, s[14:15]
	global_store_dwordx2 v[0:1], v[14:15], off offset:1024
	s_and_b64 exec, exec, s[8:9]
	s_cbranch_execz .LBB372_26
; %bb.21:
	v_div_scale_f64 v[14:15], s[8:9], v[16:17], v[16:17], v[8:9]
	v_rcp_f64_e32 v[18:19], v[14:15]
	v_div_scale_f64 v[20:21], vcc, v[8:9], v[16:17], v[8:9]
	v_fma_f64 v[22:23], -v[14:15], v[18:19], 1.0
	v_fmac_f64_e32 v[18:19], v[18:19], v[22:23]
	v_fma_f64 v[22:23], -v[14:15], v[18:19], 1.0
	v_fmac_f64_e32 v[18:19], v[18:19], v[22:23]
	v_mul_f64 v[22:23], v[20:21], v[18:19]
	v_fma_f64 v[14:15], -v[14:15], v[22:23], v[20:21]
	v_div_fmas_f64 v[14:15], v[14:15], v[18:19], v[22:23]
	v_div_fixup_f64 v[8:9], v[14:15], v[16:17], v[8:9]
	v_cndmask_b32_e64 v9, v9, v12, s[14:15]
	v_cndmask_b32_e64 v8, v8, 0, s[14:15]
	global_store_dwordx2 v[0:1], v[8:9], off offset:1536
	s_and_b64 exec, exec, s[6:7]
	s_cbranch_execz .LBB372_26
; %bb.22:
	v_div_scale_f64 v[8:9], s[6:7], v[16:17], v[16:17], v[10:11]
	v_rcp_f64_e32 v[12:13], v[8:9]
	v_div_scale_f64 v[14:15], vcc, v[10:11], v[16:17], v[10:11]
	v_fma_f64 v[18:19], -v[8:9], v[12:13], 1.0
	v_fmac_f64_e32 v[12:13], v[12:13], v[18:19]
	v_fma_f64 v[18:19], -v[8:9], v[12:13], 1.0
	v_fmac_f64_e32 v[12:13], v[12:13], v[18:19]
	v_mul_f64 v[18:19], v[14:15], v[12:13]
	v_fma_f64 v[8:9], -v[8:9], v[18:19], v[14:15]
	v_div_fmas_f64 v[8:9], v[8:9], v[12:13], v[18:19]
	v_div_fixup_f64 v[10:11], v[8:9], v[16:17], v[10:11]
	v_mov_b32_e32 v8, 0x7ff80000
	v_cndmask_b32_e64 v11, v11, v8, s[14:15]
	v_cndmask_b32_e64 v10, v10, 0, s[14:15]
	global_store_dwordx2 v[0:1], v[10:11], off offset:2048
	;; [unrolled: 35-line block ×3, first 2 shown]
	s_and_b64 exec, exec, s[0:1]
	s_cbranch_execz .LBB372_26
; %bb.25:
	v_div_scale_f64 v[6:7], s[0:1], v[16:17], v[16:17], v[2:3]
	v_rcp_f64_e32 v[8:9], v[6:7]
	v_div_scale_f64 v[10:11], vcc, v[2:3], v[16:17], v[2:3]
	v_fma_f64 v[12:13], -v[6:7], v[8:9], 1.0
	v_fmac_f64_e32 v[8:9], v[8:9], v[12:13]
	v_fma_f64 v[12:13], -v[6:7], v[8:9], 1.0
	v_fmac_f64_e32 v[8:9], v[8:9], v[12:13]
	v_mul_f64 v[12:13], v[10:11], v[8:9]
	v_fma_f64 v[6:7], -v[6:7], v[12:13], v[10:11]
	v_div_fmas_f64 v[6:7], v[6:7], v[8:9], v[12:13]
	v_div_fixup_f64 v[2:3], v[6:7], v[16:17], v[2:3]
	v_cndmask_b32_e64 v3, v3, v4, s[14:15]
	v_cndmask_b32_e64 v2, v2, 0, s[14:15]
	global_store_dwordx2 v[0:1], v[2:3], off offset:3584
.LBB372_26:
	s_endpgm
	.section	.rodata,"a",@progbits
	.p2align	6, 0x0
	.amdhsa_kernel _ZN12_GLOBAL__N_120softmax_warp_forwardIdddLi9ELb0ELb0ELi64EEEvPT0_PKT_iiiPKbib
		.amdhsa_group_segment_fixed_size 0
		.amdhsa_private_segment_fixed_size 0
		.amdhsa_kernarg_size 304
		.amdhsa_user_sgpr_count 6
		.amdhsa_user_sgpr_private_segment_buffer 1
		.amdhsa_user_sgpr_dispatch_ptr 0
		.amdhsa_user_sgpr_queue_ptr 0
		.amdhsa_user_sgpr_kernarg_segment_ptr 1
		.amdhsa_user_sgpr_dispatch_id 0
		.amdhsa_user_sgpr_flat_scratch_init 0
		.amdhsa_user_sgpr_kernarg_preload_length 0
		.amdhsa_user_sgpr_kernarg_preload_offset 0
		.amdhsa_user_sgpr_private_segment_size 0
		.amdhsa_uses_dynamic_stack 0
		.amdhsa_system_sgpr_private_segment_wavefront_offset 0
		.amdhsa_system_sgpr_workgroup_id_x 1
		.amdhsa_system_sgpr_workgroup_id_y 0
		.amdhsa_system_sgpr_workgroup_id_z 0
		.amdhsa_system_sgpr_workgroup_info 0
		.amdhsa_system_vgpr_workitem_id 1
		.amdhsa_next_free_vgpr 38
		.amdhsa_next_free_sgpr 50
		.amdhsa_accum_offset 40
		.amdhsa_reserve_vcc 1
		.amdhsa_reserve_flat_scratch 0
		.amdhsa_float_round_mode_32 0
		.amdhsa_float_round_mode_16_64 0
		.amdhsa_float_denorm_mode_32 3
		.amdhsa_float_denorm_mode_16_64 3
		.amdhsa_dx10_clamp 1
		.amdhsa_ieee_mode 1
		.amdhsa_fp16_overflow 0
		.amdhsa_tg_split 0
		.amdhsa_exception_fp_ieee_invalid_op 0
		.amdhsa_exception_fp_denorm_src 0
		.amdhsa_exception_fp_ieee_div_zero 0
		.amdhsa_exception_fp_ieee_overflow 0
		.amdhsa_exception_fp_ieee_underflow 0
		.amdhsa_exception_fp_ieee_inexact 0
		.amdhsa_exception_int_div_zero 0
	.end_amdhsa_kernel
	.section	.text._ZN12_GLOBAL__N_120softmax_warp_forwardIdddLi9ELb0ELb0ELi64EEEvPT0_PKT_iiiPKbib,"axG",@progbits,_ZN12_GLOBAL__N_120softmax_warp_forwardIdddLi9ELb0ELb0ELi64EEEvPT0_PKT_iiiPKbib,comdat
.Lfunc_end372:
	.size	_ZN12_GLOBAL__N_120softmax_warp_forwardIdddLi9ELb0ELb0ELi64EEEvPT0_PKT_iiiPKbib, .Lfunc_end372-_ZN12_GLOBAL__N_120softmax_warp_forwardIdddLi9ELb0ELb0ELi64EEEvPT0_PKT_iiiPKbib
                                        ; -- End function
	.section	.AMDGPU.csdata,"",@progbits
; Kernel info:
; codeLenInByte = 3900
; NumSgprs: 54
; NumVgprs: 38
; NumAgprs: 0
; TotalNumVgprs: 38
; ScratchSize: 0
; MemoryBound: 0
; FloatMode: 240
; IeeeMode: 1
; LDSByteSize: 0 bytes/workgroup (compile time only)
; SGPRBlocks: 6
; VGPRBlocks: 4
; NumSGPRsForWavesPerEU: 54
; NumVGPRsForWavesPerEU: 38
; AccumOffset: 40
; Occupancy: 8
; WaveLimiterHint : 0
; COMPUTE_PGM_RSRC2:SCRATCH_EN: 0
; COMPUTE_PGM_RSRC2:USER_SGPR: 6
; COMPUTE_PGM_RSRC2:TRAP_HANDLER: 0
; COMPUTE_PGM_RSRC2:TGID_X_EN: 1
; COMPUTE_PGM_RSRC2:TGID_Y_EN: 0
; COMPUTE_PGM_RSRC2:TGID_Z_EN: 0
; COMPUTE_PGM_RSRC2:TIDIG_COMP_CNT: 1
; COMPUTE_PGM_RSRC3_GFX90A:ACCUM_OFFSET: 9
; COMPUTE_PGM_RSRC3_GFX90A:TG_SPLIT: 0
	.section	.text._ZN12_GLOBAL__N_120softmax_warp_forwardIdddLi9ELb0ELb0ELi32EEEvPT0_PKT_iiiPKbib,"axG",@progbits,_ZN12_GLOBAL__N_120softmax_warp_forwardIdddLi9ELb0ELb0ELi32EEEvPT0_PKT_iiiPKbib,comdat
	.globl	_ZN12_GLOBAL__N_120softmax_warp_forwardIdddLi9ELb0ELb0ELi32EEEvPT0_PKT_iiiPKbib ; -- Begin function _ZN12_GLOBAL__N_120softmax_warp_forwardIdddLi9ELb0ELb0ELi32EEEvPT0_PKT_iiiPKbib
	.p2align	8
	.type	_ZN12_GLOBAL__N_120softmax_warp_forwardIdddLi9ELb0ELb0ELi32EEEvPT0_PKT_iiiPKbib,@function
_ZN12_GLOBAL__N_120softmax_warp_forwardIdddLi9ELb0ELb0ELi32EEEvPT0_PKT_iiiPKbib: ; @_ZN12_GLOBAL__N_120softmax_warp_forwardIdddLi9ELb0ELb0ELi32EEEvPT0_PKT_iiiPKbib
; %bb.0:
	s_load_dword s0, s[4:5], 0x3c
	s_load_dwordx8 s[36:43], s[4:5], 0x0
	v_bfe_u32 v1, v0, 10, 10
	v_and_b32_e32 v36, 0x3ff, v0
	v_mov_b32_e32 v26, 0
	s_waitcnt lgkmcnt(0)
	s_lshr_b32 s0, s0, 16
	s_mul_i32 s6, s6, s0
	v_add_u32_e32 v1, s6, v1
	v_sub_u32_e32 v38, s40, v1
	v_mad_u64_u32 v[0:1], s[0:1], v1, s41, v[36:37]
	v_ashrrev_i32_e32 v1, 31, v0
	v_lshlrev_b64 v[0:1], 3, v[0:1]
	v_mov_b32_e32 v2, s39
	v_add_co_u32_e32 v24, vcc, s38, v0
	v_addc_co_u32_e32 v25, vcc, v2, v1, vcc
	v_cmp_lt_i32_e64 s[30:31], 0, v38
	v_cmp_gt_i32_e32 vcc, s42, v36
	v_mov_b32_e32 v27, 0xfff00000
	s_and_b64 s[2:3], s[30:31], vcc
	v_pk_mov_b32 v[32:33], v[26:27], v[26:27] op_sel:[0,1]
	s_and_saveexec_b64 s[0:1], s[2:3]
	s_cbranch_execz .LBB373_2
; %bb.1:
	global_load_dwordx2 v[32:33], v[24:25], off
.LBB373_2:
	s_or_b64 exec, exec, s[0:1]
	v_add_u32_e32 v2, 32, v36
	v_cmp_gt_i32_e64 s[28:29], s42, v2
	s_and_b64 s[2:3], s[30:31], s[28:29]
	s_and_saveexec_b64 s[0:1], s[2:3]
	s_cbranch_execz .LBB373_4
; %bb.3:
	global_load_dwordx2 v[26:27], v[24:25], off offset:256
.LBB373_4:
	s_or_b64 exec, exec, s[0:1]
	v_add_u32_e32 v2, 64, v36
	v_mov_b32_e32 v28, 0
	v_cmp_gt_i32_e64 s[26:27], s42, v2
	v_mov_b32_e32 v29, 0xfff00000
	s_and_b64 s[2:3], s[30:31], s[26:27]
	v_pk_mov_b32 v[30:31], v[28:29], v[28:29] op_sel:[0,1]
	s_and_saveexec_b64 s[0:1], s[2:3]
	s_cbranch_execz .LBB373_6
; %bb.5:
	global_load_dwordx2 v[30:31], v[24:25], off offset:512
.LBB373_6:
	s_or_b64 exec, exec, s[0:1]
	v_add_u32_e32 v2, 0x60, v36
	v_cmp_gt_i32_e64 s[24:25], s42, v2
	s_and_b64 s[2:3], s[30:31], s[24:25]
	s_and_saveexec_b64 s[0:1], s[2:3]
	s_cbranch_execz .LBB373_8
; %bb.7:
	global_load_dwordx2 v[28:29], v[24:25], off offset:768
.LBB373_8:
	s_or_b64 exec, exec, s[0:1]
	v_add_u32_e32 v2, 0x80, v36
	v_mov_b32_e32 v20, 0
	v_cmp_gt_i32_e64 s[22:23], s42, v2
	v_mov_b32_e32 v21, 0xfff00000
	s_and_b64 s[2:3], s[30:31], s[22:23]
	v_pk_mov_b32 v[34:35], v[20:21], v[20:21] op_sel:[0,1]
	s_and_saveexec_b64 s[0:1], s[2:3]
	s_cbranch_execz .LBB373_10
; %bb.9:
	global_load_dwordx2 v[34:35], v[24:25], off offset:1024
.LBB373_10:
	;; [unrolled: 21-line block ×6, first 2 shown]
	s_or_b64 exec, exec, s[0:1]
	v_add_u32_e32 v2, 0x1a0, v36
	v_cmp_gt_i32_e64 s[4:5], s42, v2
	s_and_b64 s[2:3], s[30:31], s[4:5]
	s_and_saveexec_b64 s[0:1], s[2:3]
	s_cbranch_execz .LBB373_28
; %bb.27:
	global_load_dwordx2 v[4:5], v[24:25], off offset:3328
.LBB373_28:
	s_or_b64 exec, exec, s[0:1]
	v_add_u32_e32 v2, 0x1c0, v36
	v_cmp_gt_i32_e64 s[2:3], s42, v2
	v_mov_b32_e32 v2, 0
	v_mov_b32_e32 v3, 0xfff00000
	s_and_b64 s[34:35], s[30:31], s[2:3]
	v_pk_mov_b32 v[6:7], v[2:3], v[2:3] op_sel:[0,1]
	s_and_saveexec_b64 s[0:1], s[34:35]
	s_cbranch_execz .LBB373_30
; %bb.29:
	global_load_dwordx2 v[6:7], v[24:25], off offset:3584
.LBB373_30:
	s_or_b64 exec, exec, s[0:1]
	v_add_u32_e32 v36, 0x1e0, v36
	v_cmp_gt_i32_e64 s[0:1], s42, v36
	s_and_b64 s[34:35], s[30:31], s[0:1]
	s_and_saveexec_b64 s[30:31], s[34:35]
	s_cbranch_execz .LBB373_32
; %bb.31:
	global_load_dwordx2 v[2:3], v[24:25], off offset:3840
.LBB373_32:
	s_or_b64 exec, exec, s[30:31]
	s_waitcnt vmcnt(0)
	v_cmp_gt_f64_e64 s[30:31], v[32:33], v[26:27]
	v_cndmask_b32_e64 v25, v27, v33, s[30:31]
	v_cndmask_b32_e64 v24, v26, v32, s[30:31]
	v_cmp_gt_f64_e64 s[30:31], v[24:25], v[30:31]
	v_cndmask_b32_e64 v25, v31, v25, s[30:31]
	v_cndmask_b32_e64 v24, v30, v24, s[30:31]
	;; [unrolled: 3-line block ×13, first 2 shown]
	v_mbcnt_lo_u32_b32 v36, -1, 0
	v_cmp_gt_f64_e64 s[30:31], v[24:25], v[6:7]
	v_mbcnt_hi_u32_b32 v43, -1, v36
	v_cndmask_b32_e64 v25, v7, v25, s[30:31]
	v_cndmask_b32_e64 v24, v6, v24, s[30:31]
	v_and_b32_e32 v36, 0x60, v43
	v_cmp_gt_f64_e64 s[30:31], v[24:25], v[2:3]
	v_add_u32_e32 v44, 32, v36
	v_xor_b32_e32 v36, 16, v43
	v_cndmask_b32_e64 v25, v3, v25, s[30:31]
	v_cndmask_b32_e64 v24, v2, v24, s[30:31]
	v_cmp_lt_i32_e64 s[30:31], v36, v44
	v_cndmask_b32_e64 v36, v43, v36, s[30:31]
	v_lshlrev_b32_e32 v39, 2, v36
	ds_bpermute_b32 v36, v39, v24
	ds_bpermute_b32 v37, v39, v25
	s_mov_b32 s38, 0x652b82fe
	s_mov_b32 s39, 0x3ff71547
	s_mov_b32 s40, 0xfefa39ef
	s_mov_b32 s41, 0xbfe62e42
	s_waitcnt lgkmcnt(0)
	v_cmp_lt_f64_e64 s[30:31], v[24:25], v[36:37]
	v_cndmask_b32_e64 v24, v24, v36, s[30:31]
	v_xor_b32_e32 v36, 8, v43
	v_cndmask_b32_e64 v25, v25, v37, s[30:31]
	v_cmp_lt_i32_e64 s[30:31], v36, v44
	v_cndmask_b32_e64 v36, v43, v36, s[30:31]
	v_lshlrev_b32_e32 v40, 2, v36
	ds_bpermute_b32 v36, v40, v24
	ds_bpermute_b32 v37, v40, v25
	s_mov_b32 s42, 0x3b39803f
	s_mov_b32 s43, 0xbc7abc9e
	s_mov_b32 s44, 0x6a5dcb37
	s_mov_b32 s45, 0x3e5ade15
	s_waitcnt lgkmcnt(0)
	v_cmp_lt_f64_e64 s[30:31], v[24:25], v[36:37]
	v_cndmask_b32_e64 v24, v24, v36, s[30:31]
	v_xor_b32_e32 v36, 4, v43
	;; [unrolled: 14-line block ×4, first 2 shown]
	v_cndmask_b32_e64 v25, v25, v37, s[30:31]
	v_cmp_lt_i32_e64 s[30:31], v36, v44
	v_cndmask_b32_e64 v36, v43, v36, s[30:31]
	v_lshlrev_b32_e32 v43, 2, v36
	ds_bpermute_b32 v36, v43, v24
	ds_bpermute_b32 v37, v43, v25
	s_mov_b32 s54, 0x11122322
	s_mov_b32 s55, 0x3f811111
	;; [unrolled: 1-line block ×4, first 2 shown]
	s_waitcnt lgkmcnt(0)
	v_cmp_lt_f64_e64 s[30:31], v[24:25], v[36:37]
	v_cndmask_b32_e64 v25, v25, v37, s[30:31]
	v_cndmask_b32_e64 v24, v24, v36, s[30:31]
	v_add_f64 v[32:33], v[32:33], -v[24:25]
	v_mul_f64 v[36:37], v[32:33], s[38:39]
	v_rndne_f64_e32 v[44:45], v[36:37]
	s_mov_b32 s30, 0xfca7ab0c
	v_fma_f64 v[46:47], s[40:41], v[44:45], v[32:33]
	s_mov_b32 s31, 0x3e928af3
	v_fmac_f64_e32 v[46:47], s[42:43], v[44:45]
	v_pk_mov_b32 v[36:37], s[30:31], s[30:31] op_sel:[0,1]
	v_fma_f64 v[48:49], s[44:45], v[46:47], v[36:37]
	v_fma_f64 v[48:49], v[46:47], v[48:49], s[46:47]
	;; [unrolled: 1-line block ×6, first 2 shown]
	s_mov_b32 s58, 0x55555511
	v_fma_f64 v[48:49], v[46:47], v[48:49], s[56:57]
	s_mov_b32 s59, 0x3fc55555
	s_mov_b32 s60, 11
	v_fma_f64 v[48:49], v[46:47], v[48:49], s[58:59]
	s_mov_b32 s61, 0x3fe00000
	v_fma_f64 v[48:49], v[46:47], v[48:49], s[60:61]
	v_fma_f64 v[48:49], v[46:47], v[48:49], 1.0
	v_add_f64 v[26:27], v[26:27], -v[24:25]
	v_fma_f64 v[46:47], v[46:47], v[48:49], 1.0
	v_mul_f64 v[48:49], v[26:27], s[38:39]
	v_rndne_f64_e32 v[48:49], v[48:49]
	v_fma_f64 v[50:51], s[40:41], v[48:49], v[26:27]
	v_fmac_f64_e32 v[50:51], s[42:43], v[48:49]
	v_fma_f64 v[52:53], s[44:45], v[50:51], v[36:37]
	v_fma_f64 v[52:53], v[50:51], v[52:53], s[46:47]
	;; [unrolled: 1-line block ×6, first 2 shown]
	s_mov_b32 s62, 0
	v_fma_f64 v[52:53], v[50:51], v[52:53], s[56:57]
	v_cvt_i32_f64_e32 v44, v[44:45]
	s_mov_b32 s63, 0x40900000
	s_mov_b32 s64, 0
	v_fma_f64 v[52:53], v[50:51], v[52:53], s[58:59]
	v_ldexp_f64 v[46:47], v[46:47], v44
	v_mov_b32_e32 v44, 0x7ff00000
	v_cmp_nlt_f64_e64 s[30:31], s[62:63], v[32:33]
	s_mov_b32 s65, 0xc090cc00
	v_fma_f64 v[52:53], v[50:51], v[52:53], s[60:61]
	v_cndmask_b32_e64 v45, v44, v47, s[30:31]
	v_cmp_ngt_f64_e64 s[34:35], s[64:65], v[32:33]
	v_fma_f64 v[52:53], v[50:51], v[52:53], 1.0
	v_cndmask_b32_e64 v33, 0, v45, s[34:35]
	s_and_b64 s[30:31], s[34:35], s[30:31]
	v_fma_f64 v[50:51], v[50:51], v[52:53], 1.0
	v_cvt_i32_f64_e32 v45, v[48:49]
	v_cndmask_b32_e64 v32, 0, v46, s[30:31]
	v_ldexp_f64 v[48:49], v[50:51], v45
	v_cmp_nlt_f64_e64 s[30:31], s[62:63], v[26:27]
	v_cmp_ngt_f64_e64 s[34:35], s[64:65], v[26:27]
	v_cndmask_b32_e64 v45, v44, v49, s[30:31]
	s_and_b64 s[30:31], s[34:35], s[30:31]
	v_add_f64 v[30:31], v[30:31], -v[24:25]
	v_cndmask_b32_e64 v26, 0, v48, s[30:31]
	v_mul_f64 v[48:49], v[30:31], s[38:39]
	v_rndne_f64_e32 v[48:49], v[48:49]
	v_fma_f64 v[50:51], s[40:41], v[48:49], v[30:31]
	v_fmac_f64_e32 v[50:51], s[42:43], v[48:49]
	v_fma_f64 v[52:53], s[44:45], v[50:51], v[36:37]
	v_fma_f64 v[52:53], v[50:51], v[52:53], s[46:47]
	v_fma_f64 v[52:53], v[50:51], v[52:53], s[48:49]
	v_fma_f64 v[52:53], v[50:51], v[52:53], s[50:51]
	v_fma_f64 v[52:53], v[50:51], v[52:53], s[52:53]
	v_fma_f64 v[52:53], v[50:51], v[52:53], s[54:55]
	v_fma_f64 v[52:53], v[50:51], v[52:53], s[56:57]
	v_fma_f64 v[52:53], v[50:51], v[52:53], s[58:59]
	v_fma_f64 v[52:53], v[50:51], v[52:53], s[60:61]
	v_fma_f64 v[52:53], v[50:51], v[52:53], 1.0
	v_cndmask_b32_e64 v27, 0, v45, s[34:35]
	v_fma_f64 v[50:51], v[50:51], v[52:53], 1.0
	v_cvt_i32_f64_e32 v45, v[48:49]
	v_ldexp_f64 v[48:49], v[50:51], v45
	v_cmp_nlt_f64_e64 s[30:31], s[62:63], v[30:31]
	v_cmp_ngt_f64_e64 s[34:35], s[64:65], v[30:31]
	v_cndmask_b32_e64 v45, v44, v49, s[30:31]
	s_and_b64 s[30:31], s[34:35], s[30:31]
	v_add_f64 v[28:29], v[28:29], -v[24:25]
	v_cndmask_b32_e64 v30, 0, v48, s[30:31]
	v_mul_f64 v[48:49], v[28:29], s[38:39]
	v_rndne_f64_e32 v[48:49], v[48:49]
	v_fma_f64 v[50:51], s[40:41], v[48:49], v[28:29]
	v_fmac_f64_e32 v[50:51], s[42:43], v[48:49]
	v_fma_f64 v[52:53], s[44:45], v[50:51], v[36:37]
	v_fma_f64 v[52:53], v[50:51], v[52:53], s[46:47]
	v_fma_f64 v[52:53], v[50:51], v[52:53], s[48:49]
	v_fma_f64 v[52:53], v[50:51], v[52:53], s[50:51]
	v_fma_f64 v[52:53], v[50:51], v[52:53], s[52:53]
	v_fma_f64 v[52:53], v[50:51], v[52:53], s[54:55]
	v_fma_f64 v[52:53], v[50:51], v[52:53], s[56:57]
	v_fma_f64 v[52:53], v[50:51], v[52:53], s[58:59]
	v_fma_f64 v[52:53], v[50:51], v[52:53], s[60:61]
	v_fma_f64 v[52:53], v[50:51], v[52:53], 1.0
	v_cndmask_b32_e64 v31, 0, v45, s[34:35]
	v_fma_f64 v[50:51], v[50:51], v[52:53], 1.0
	v_cvt_i32_f64_e32 v45, v[48:49]
	;; [unrolled: 24-line block ×13, first 2 shown]
	v_add_f64 v[2:3], v[2:3], -v[24:25]
	v_ldexp_f64 v[48:49], v[50:51], v45
	v_cmp_nlt_f64_e64 s[30:31], s[62:63], v[6:7]
	v_cmp_ngt_f64_e64 s[34:35], s[64:65], v[6:7]
	v_mul_f64 v[24:25], v[2:3], s[38:39]
	v_cndmask_b32_e64 v45, v44, v49, s[30:31]
	s_and_b64 s[30:31], s[34:35], s[30:31]
	v_rndne_f64_e32 v[24:25], v[24:25]
	v_cndmask_b32_e64 v6, 0, v48, s[30:31]
	v_fma_f64 v[48:49], s[40:41], v[24:25], v[2:3]
	v_add_f64 v[46:47], v[32:33], 0
	v_fmac_f64_e32 v[48:49], s[42:43], v[24:25]
	v_add_f64 v[46:47], v[46:47], v[26:27]
	v_fmac_f64_e32 v[36:37], s[44:45], v[48:49]
	v_add_f64 v[46:47], v[46:47], v[30:31]
	v_fma_f64 v[36:37], v[48:49], v[36:37], s[46:47]
	v_add_f64 v[46:47], v[46:47], v[28:29]
	v_fma_f64 v[36:37], v[48:49], v[36:37], s[48:49]
	;; [unrolled: 2-line block ×8, first 2 shown]
	v_add_f64 v[46:47], v[46:47], v[14:15]
	v_fma_f64 v[36:37], v[48:49], v[36:37], 1.0
	v_add_f64 v[46:47], v[46:47], v[8:9]
	v_fma_f64 v[36:37], v[48:49], v[36:37], 1.0
	v_cvt_i32_f64_e32 v24, v[24:25]
	v_add_f64 v[46:47], v[46:47], v[10:11]
	v_cndmask_b32_e64 v7, 0, v45, s[34:35]
	v_ldexp_f64 v[24:25], v[36:37], v24
	v_cmp_nlt_f64_e64 s[30:31], s[62:63], v[2:3]
	v_cmp_ngt_f64_e64 s[34:35], s[64:65], v[2:3]
	v_add_f64 v[46:47], v[46:47], v[4:5]
	v_cndmask_b32_e64 v25, v44, v25, s[30:31]
	s_and_b64 s[30:31], s[34:35], s[30:31]
	v_add_f64 v[46:47], v[46:47], v[6:7]
	v_cndmask_b32_e64 v3, 0, v25, s[34:35]
	v_cndmask_b32_e64 v2, 0, v24, s[30:31]
	v_add_f64 v[24:25], v[46:47], v[2:3]
	ds_bpermute_b32 v36, v39, v24
	ds_bpermute_b32 v37, v39, v25
	v_cmp_lt_i32_e64 s[30:31], 0, v38
	s_waitcnt lgkmcnt(0)
	v_add_f64 v[24:25], v[24:25], v[36:37]
	ds_bpermute_b32 v36, v40, v24
	ds_bpermute_b32 v37, v40, v25
	s_waitcnt lgkmcnt(0)
	v_add_f64 v[24:25], v[24:25], v[36:37]
	ds_bpermute_b32 v36, v41, v24
	ds_bpermute_b32 v37, v41, v25
	;; [unrolled: 4-line block ×4, first 2 shown]
	s_and_saveexec_b64 s[34:35], s[30:31]
	s_cbranch_execz .LBB373_50
; %bb.33:
	s_and_b64 exec, exec, vcc
	s_cbranch_execz .LBB373_50
; %bb.34:
	s_waitcnt lgkmcnt(0)
	v_add_f64 v[24:25], v[24:25], v[36:37]
	v_div_scale_f64 v[36:37], s[30:31], v[24:25], v[24:25], v[32:33]
	v_rcp_f64_e32 v[38:39], v[36:37]
	v_mov_b32_e32 v40, s37
	v_add_co_u32_e32 v0, vcc, s36, v0
	v_addc_co_u32_e32 v1, vcc, v40, v1, vcc
	v_fma_f64 v[40:41], -v[36:37], v[38:39], 1.0
	v_fmac_f64_e32 v[38:39], v[38:39], v[40:41]
	v_fma_f64 v[40:41], -v[36:37], v[38:39], 1.0
	v_fmac_f64_e32 v[38:39], v[38:39], v[40:41]
	v_div_scale_f64 v[40:41], vcc, v[32:33], v[24:25], v[32:33]
	v_mul_f64 v[42:43], v[40:41], v[38:39]
	v_fma_f64 v[36:37], -v[36:37], v[42:43], v[40:41]
	v_cmp_eq_f64_e64 s[30:31], 0, v[24:25]
	s_nop 0
	v_div_fmas_f64 v[36:37], v[36:37], v[38:39], v[42:43]
	v_div_fixup_f64 v[36:37], v[36:37], v[24:25], v[32:33]
	v_mov_b32_e32 v32, 0x7ff80000
	v_cndmask_b32_e64 v37, v37, v32, s[30:31]
	v_cndmask_b32_e64 v36, v36, 0, s[30:31]
	global_store_dwordx2 v[0:1], v[36:37], off
	s_and_b64 exec, exec, s[28:29]
	s_cbranch_execz .LBB373_50
; %bb.35:
	v_div_scale_f64 v[36:37], s[28:29], v[24:25], v[24:25], v[26:27]
	v_rcp_f64_e32 v[38:39], v[36:37]
	v_div_scale_f64 v[40:41], vcc, v[26:27], v[24:25], v[26:27]
	v_fma_f64 v[42:43], -v[36:37], v[38:39], 1.0
	v_fmac_f64_e32 v[38:39], v[38:39], v[42:43]
	v_fma_f64 v[42:43], -v[36:37], v[38:39], 1.0
	v_fmac_f64_e32 v[38:39], v[38:39], v[42:43]
	v_mul_f64 v[42:43], v[40:41], v[38:39]
	v_fma_f64 v[36:37], -v[36:37], v[42:43], v[40:41]
	v_div_fmas_f64 v[36:37], v[36:37], v[38:39], v[42:43]
	v_div_fixup_f64 v[26:27], v[36:37], v[24:25], v[26:27]
	v_cndmask_b32_e64 v27, v27, v32, s[30:31]
	v_cndmask_b32_e64 v26, v26, 0, s[30:31]
	global_store_dwordx2 v[0:1], v[26:27], off offset:256
	s_and_b64 exec, exec, s[26:27]
	s_cbranch_execz .LBB373_50
; %bb.36:
	v_div_scale_f64 v[26:27], s[26:27], v[24:25], v[24:25], v[30:31]
	v_rcp_f64_e32 v[32:33], v[26:27]
	v_div_scale_f64 v[36:37], vcc, v[30:31], v[24:25], v[30:31]
	v_fma_f64 v[38:39], -v[26:27], v[32:33], 1.0
	v_fmac_f64_e32 v[32:33], v[32:33], v[38:39]
	v_fma_f64 v[38:39], -v[26:27], v[32:33], 1.0
	v_fmac_f64_e32 v[32:33], v[32:33], v[38:39]
	v_mul_f64 v[38:39], v[36:37], v[32:33]
	v_fma_f64 v[26:27], -v[26:27], v[38:39], v[36:37]
	v_div_fmas_f64 v[26:27], v[26:27], v[32:33], v[38:39]
	v_div_fixup_f64 v[30:31], v[26:27], v[24:25], v[30:31]
	v_mov_b32_e32 v26, 0x7ff80000
	v_cndmask_b32_e64 v31, v31, v26, s[30:31]
	v_cndmask_b32_e64 v30, v30, 0, s[30:31]
	global_store_dwordx2 v[0:1], v[30:31], off offset:512
	s_and_b64 exec, exec, s[24:25]
	s_cbranch_execz .LBB373_50
; %bb.37:
	v_div_scale_f64 v[30:31], s[24:25], v[24:25], v[24:25], v[28:29]
	v_rcp_f64_e32 v[32:33], v[30:31]
	v_div_scale_f64 v[36:37], vcc, v[28:29], v[24:25], v[28:29]
	v_fma_f64 v[38:39], -v[30:31], v[32:33], 1.0
	v_fmac_f64_e32 v[32:33], v[32:33], v[38:39]
	v_fma_f64 v[38:39], -v[30:31], v[32:33], 1.0
	v_fmac_f64_e32 v[32:33], v[32:33], v[38:39]
	v_mul_f64 v[38:39], v[36:37], v[32:33]
	v_fma_f64 v[30:31], -v[30:31], v[38:39], v[36:37]
	v_div_fmas_f64 v[30:31], v[30:31], v[32:33], v[38:39]
	v_div_fixup_f64 v[28:29], v[30:31], v[24:25], v[28:29]
	v_cndmask_b32_e64 v27, v29, v26, s[30:31]
	v_cndmask_b32_e64 v26, v28, 0, s[30:31]
	global_store_dwordx2 v[0:1], v[26:27], off offset:768
	s_and_b64 exec, exec, s[22:23]
	s_cbranch_execz .LBB373_50
; %bb.38:
	v_div_scale_f64 v[26:27], s[22:23], v[24:25], v[24:25], v[34:35]
	v_rcp_f64_e32 v[28:29], v[26:27]
	v_div_scale_f64 v[30:31], vcc, v[34:35], v[24:25], v[34:35]
	v_fma_f64 v[32:33], -v[26:27], v[28:29], 1.0
	v_fmac_f64_e32 v[28:29], v[28:29], v[32:33]
	v_fma_f64 v[32:33], -v[26:27], v[28:29], 1.0
	v_fmac_f64_e32 v[28:29], v[28:29], v[32:33]
	v_mul_f64 v[32:33], v[30:31], v[28:29]
	v_fma_f64 v[26:27], -v[26:27], v[32:33], v[30:31]
	v_div_fmas_f64 v[26:27], v[26:27], v[28:29], v[32:33]
	v_div_fixup_f64 v[28:29], v[26:27], v[24:25], v[34:35]
	v_mov_b32_e32 v26, 0x7ff80000
	v_cndmask_b32_e64 v29, v29, v26, s[30:31]
	v_cndmask_b32_e64 v28, v28, 0, s[30:31]
	global_store_dwordx2 v[0:1], v[28:29], off offset:1024
	s_and_b64 exec, exec, s[20:21]
	s_cbranch_execz .LBB373_50
; %bb.39:
	v_div_scale_f64 v[28:29], s[20:21], v[24:25], v[24:25], v[20:21]
	v_rcp_f64_e32 v[30:31], v[28:29]
	v_div_scale_f64 v[32:33], vcc, v[20:21], v[24:25], v[20:21]
	v_fma_f64 v[34:35], -v[28:29], v[30:31], 1.0
	v_fmac_f64_e32 v[30:31], v[30:31], v[34:35]
	v_fma_f64 v[34:35], -v[28:29], v[30:31], 1.0
	v_fmac_f64_e32 v[30:31], v[30:31], v[34:35]
	v_mul_f64 v[34:35], v[32:33], v[30:31]
	v_fma_f64 v[28:29], -v[28:29], v[34:35], v[32:33]
	v_div_fmas_f64 v[28:29], v[28:29], v[30:31], v[34:35]
	v_div_fixup_f64 v[20:21], v[28:29], v[24:25], v[20:21]
	v_cndmask_b32_e64 v21, v21, v26, s[30:31]
	v_cndmask_b32_e64 v20, v20, 0, s[30:31]
	global_store_dwordx2 v[0:1], v[20:21], off offset:1280
	s_and_b64 exec, exec, s[18:19]
	s_cbranch_execz .LBB373_50
; %bb.40:
	v_div_scale_f64 v[20:21], s[18:19], v[24:25], v[24:25], v[22:23]
	v_rcp_f64_e32 v[26:27], v[20:21]
	v_div_scale_f64 v[28:29], vcc, v[22:23], v[24:25], v[22:23]
	v_fma_f64 v[30:31], -v[20:21], v[26:27], 1.0
	v_fmac_f64_e32 v[26:27], v[26:27], v[30:31]
	v_fma_f64 v[30:31], -v[20:21], v[26:27], 1.0
	v_fmac_f64_e32 v[26:27], v[26:27], v[30:31]
	v_mul_f64 v[30:31], v[28:29], v[26:27]
	v_fma_f64 v[20:21], -v[20:21], v[30:31], v[28:29]
	v_div_fmas_f64 v[20:21], v[20:21], v[26:27], v[30:31]
	v_div_fixup_f64 v[22:23], v[20:21], v[24:25], v[22:23]
	v_mov_b32_e32 v20, 0x7ff80000
	v_cndmask_b32_e64 v23, v23, v20, s[30:31]
	v_cndmask_b32_e64 v22, v22, 0, s[30:31]
	global_store_dwordx2 v[0:1], v[22:23], off offset:1536
	s_and_b64 exec, exec, s[16:17]
	s_cbranch_execz .LBB373_50
; %bb.41:
	v_div_scale_f64 v[22:23], s[16:17], v[24:25], v[24:25], v[16:17]
	v_rcp_f64_e32 v[26:27], v[22:23]
	v_div_scale_f64 v[28:29], vcc, v[16:17], v[24:25], v[16:17]
	v_fma_f64 v[30:31], -v[22:23], v[26:27], 1.0
	v_fmac_f64_e32 v[26:27], v[26:27], v[30:31]
	v_fma_f64 v[30:31], -v[22:23], v[26:27], 1.0
	v_fmac_f64_e32 v[26:27], v[26:27], v[30:31]
	v_mul_f64 v[30:31], v[28:29], v[26:27]
	v_fma_f64 v[22:23], -v[22:23], v[30:31], v[28:29]
	v_div_fmas_f64 v[22:23], v[22:23], v[26:27], v[30:31]
	v_div_fixup_f64 v[16:17], v[22:23], v[24:25], v[16:17]
	v_cndmask_b32_e64 v17, v17, v20, s[30:31]
	v_cndmask_b32_e64 v16, v16, 0, s[30:31]
	global_store_dwordx2 v[0:1], v[16:17], off offset:1792
	s_and_b64 exec, exec, s[14:15]
	s_cbranch_execz .LBB373_50
; %bb.42:
	v_div_scale_f64 v[16:17], s[14:15], v[24:25], v[24:25], v[18:19]
	v_rcp_f64_e32 v[20:21], v[16:17]
	v_div_scale_f64 v[22:23], vcc, v[18:19], v[24:25], v[18:19]
	v_fma_f64 v[26:27], -v[16:17], v[20:21], 1.0
	v_fmac_f64_e32 v[20:21], v[20:21], v[26:27]
	v_fma_f64 v[26:27], -v[16:17], v[20:21], 1.0
	v_fmac_f64_e32 v[20:21], v[20:21], v[26:27]
	v_mul_f64 v[26:27], v[22:23], v[20:21]
	v_fma_f64 v[16:17], -v[16:17], v[26:27], v[22:23]
	v_div_fmas_f64 v[16:17], v[16:17], v[20:21], v[26:27]
	v_div_fixup_f64 v[18:19], v[16:17], v[24:25], v[18:19]
	v_mov_b32_e32 v16, 0x7ff80000
	v_cndmask_b32_e64 v19, v19, v16, s[30:31]
	v_cndmask_b32_e64 v18, v18, 0, s[30:31]
	global_store_dwordx2 v[0:1], v[18:19], off offset:2048
	s_and_b64 exec, exec, s[12:13]
	s_cbranch_execz .LBB373_50
; %bb.43:
	v_div_scale_f64 v[18:19], s[12:13], v[24:25], v[24:25], v[12:13]
	v_rcp_f64_e32 v[20:21], v[18:19]
	v_div_scale_f64 v[22:23], vcc, v[12:13], v[24:25], v[12:13]
	v_fma_f64 v[26:27], -v[18:19], v[20:21], 1.0
	v_fmac_f64_e32 v[20:21], v[20:21], v[26:27]
	v_fma_f64 v[26:27], -v[18:19], v[20:21], 1.0
	v_fmac_f64_e32 v[20:21], v[20:21], v[26:27]
	v_mul_f64 v[26:27], v[22:23], v[20:21]
	v_fma_f64 v[18:19], -v[18:19], v[26:27], v[22:23]
	v_div_fmas_f64 v[18:19], v[18:19], v[20:21], v[26:27]
	v_div_fixup_f64 v[12:13], v[18:19], v[24:25], v[12:13]
	v_cndmask_b32_e64 v13, v13, v16, s[30:31]
	v_cndmask_b32_e64 v12, v12, 0, s[30:31]
	global_store_dwordx2 v[0:1], v[12:13], off offset:2304
	s_and_b64 exec, exec, s[10:11]
	s_cbranch_execz .LBB373_50
; %bb.44:
	v_div_scale_f64 v[12:13], s[10:11], v[24:25], v[24:25], v[14:15]
	v_rcp_f64_e32 v[16:17], v[12:13]
	v_div_scale_f64 v[18:19], vcc, v[14:15], v[24:25], v[14:15]
	v_fma_f64 v[20:21], -v[12:13], v[16:17], 1.0
	v_fmac_f64_e32 v[16:17], v[16:17], v[20:21]
	v_fma_f64 v[20:21], -v[12:13], v[16:17], 1.0
	v_fmac_f64_e32 v[16:17], v[16:17], v[20:21]
	v_mul_f64 v[20:21], v[18:19], v[16:17]
	v_fma_f64 v[12:13], -v[12:13], v[20:21], v[18:19]
	v_div_fmas_f64 v[12:13], v[12:13], v[16:17], v[20:21]
	v_div_fixup_f64 v[14:15], v[12:13], v[24:25], v[14:15]
	v_mov_b32_e32 v12, 0x7ff80000
	v_cndmask_b32_e64 v15, v15, v12, s[30:31]
	v_cndmask_b32_e64 v14, v14, 0, s[30:31]
	global_store_dwordx2 v[0:1], v[14:15], off offset:2560
	s_and_b64 exec, exec, s[8:9]
	s_cbranch_execz .LBB373_50
; %bb.45:
	v_div_scale_f64 v[14:15], s[8:9], v[24:25], v[24:25], v[8:9]
	v_rcp_f64_e32 v[16:17], v[14:15]
	v_div_scale_f64 v[18:19], vcc, v[8:9], v[24:25], v[8:9]
	v_fma_f64 v[20:21], -v[14:15], v[16:17], 1.0
	v_fmac_f64_e32 v[16:17], v[16:17], v[20:21]
	v_fma_f64 v[20:21], -v[14:15], v[16:17], 1.0
	v_fmac_f64_e32 v[16:17], v[16:17], v[20:21]
	v_mul_f64 v[20:21], v[18:19], v[16:17]
	v_fma_f64 v[14:15], -v[14:15], v[20:21], v[18:19]
	v_div_fmas_f64 v[14:15], v[14:15], v[16:17], v[20:21]
	v_div_fixup_f64 v[8:9], v[14:15], v[24:25], v[8:9]
	v_cndmask_b32_e64 v9, v9, v12, s[30:31]
	v_cndmask_b32_e64 v8, v8, 0, s[30:31]
	global_store_dwordx2 v[0:1], v[8:9], off offset:2816
	s_and_b64 exec, exec, s[6:7]
	s_cbranch_execz .LBB373_50
; %bb.46:
	v_div_scale_f64 v[8:9], s[6:7], v[24:25], v[24:25], v[10:11]
	v_rcp_f64_e32 v[12:13], v[8:9]
	v_div_scale_f64 v[14:15], vcc, v[10:11], v[24:25], v[10:11]
	v_fma_f64 v[16:17], -v[8:9], v[12:13], 1.0
	v_fmac_f64_e32 v[12:13], v[12:13], v[16:17]
	v_fma_f64 v[16:17], -v[8:9], v[12:13], 1.0
	v_fmac_f64_e32 v[12:13], v[12:13], v[16:17]
	v_mul_f64 v[16:17], v[14:15], v[12:13]
	v_fma_f64 v[8:9], -v[8:9], v[16:17], v[14:15]
	v_div_fmas_f64 v[8:9], v[8:9], v[12:13], v[16:17]
	v_div_fixup_f64 v[10:11], v[8:9], v[24:25], v[10:11]
	v_mov_b32_e32 v8, 0x7ff80000
	v_cndmask_b32_e64 v11, v11, v8, s[30:31]
	v_cndmask_b32_e64 v10, v10, 0, s[30:31]
	global_store_dwordx2 v[0:1], v[10:11], off offset:3072
	s_and_b64 exec, exec, s[4:5]
	s_cbranch_execz .LBB373_50
; %bb.47:
	v_div_scale_f64 v[10:11], s[4:5], v[24:25], v[24:25], v[4:5]
	v_rcp_f64_e32 v[12:13], v[10:11]
	v_div_scale_f64 v[14:15], vcc, v[4:5], v[24:25], v[4:5]
	v_fma_f64 v[16:17], -v[10:11], v[12:13], 1.0
	v_fmac_f64_e32 v[12:13], v[12:13], v[16:17]
	v_fma_f64 v[16:17], -v[10:11], v[12:13], 1.0
	v_fmac_f64_e32 v[12:13], v[12:13], v[16:17]
	v_mul_f64 v[16:17], v[14:15], v[12:13]
	v_fma_f64 v[10:11], -v[10:11], v[16:17], v[14:15]
	v_div_fmas_f64 v[10:11], v[10:11], v[12:13], v[16:17]
	v_div_fixup_f64 v[4:5], v[10:11], v[24:25], v[4:5]
	v_cndmask_b32_e64 v5, v5, v8, s[30:31]
	v_cndmask_b32_e64 v4, v4, 0, s[30:31]
	global_store_dwordx2 v[0:1], v[4:5], off offset:3328
	s_and_b64 exec, exec, s[2:3]
	s_cbranch_execz .LBB373_50
; %bb.48:
	v_div_scale_f64 v[4:5], s[2:3], v[24:25], v[24:25], v[6:7]
	v_rcp_f64_e32 v[8:9], v[4:5]
	v_div_scale_f64 v[10:11], vcc, v[6:7], v[24:25], v[6:7]
	v_fma_f64 v[12:13], -v[4:5], v[8:9], 1.0
	v_fmac_f64_e32 v[8:9], v[8:9], v[12:13]
	v_fma_f64 v[12:13], -v[4:5], v[8:9], 1.0
	v_fmac_f64_e32 v[8:9], v[8:9], v[12:13]
	v_mul_f64 v[12:13], v[10:11], v[8:9]
	v_fma_f64 v[4:5], -v[4:5], v[12:13], v[10:11]
	v_div_fmas_f64 v[4:5], v[4:5], v[8:9], v[12:13]
	v_div_fixup_f64 v[6:7], v[4:5], v[24:25], v[6:7]
	v_mov_b32_e32 v4, 0x7ff80000
	v_cndmask_b32_e64 v7, v7, v4, s[30:31]
	v_cndmask_b32_e64 v6, v6, 0, s[30:31]
	global_store_dwordx2 v[0:1], v[6:7], off offset:3584
	s_and_b64 exec, exec, s[0:1]
	s_cbranch_execz .LBB373_50
; %bb.49:
	v_div_scale_f64 v[6:7], s[0:1], v[24:25], v[24:25], v[2:3]
	v_rcp_f64_e32 v[8:9], v[6:7]
	v_div_scale_f64 v[10:11], vcc, v[2:3], v[24:25], v[2:3]
	v_fma_f64 v[12:13], -v[6:7], v[8:9], 1.0
	v_fmac_f64_e32 v[8:9], v[8:9], v[12:13]
	v_fma_f64 v[12:13], -v[6:7], v[8:9], 1.0
	v_fmac_f64_e32 v[8:9], v[8:9], v[12:13]
	v_mul_f64 v[12:13], v[10:11], v[8:9]
	v_fma_f64 v[6:7], -v[6:7], v[12:13], v[10:11]
	v_div_fmas_f64 v[6:7], v[6:7], v[8:9], v[12:13]
	v_div_fixup_f64 v[2:3], v[6:7], v[24:25], v[2:3]
	v_cndmask_b32_e64 v3, v3, v4, s[30:31]
	v_cndmask_b32_e64 v2, v2, 0, s[30:31]
	global_store_dwordx2 v[0:1], v[2:3], off offset:3840
.LBB373_50:
	s_endpgm
	.section	.rodata,"a",@progbits
	.p2align	6, 0x0
	.amdhsa_kernel _ZN12_GLOBAL__N_120softmax_warp_forwardIdddLi9ELb0ELb0ELi32EEEvPT0_PKT_iiiPKbib
		.amdhsa_group_segment_fixed_size 0
		.amdhsa_private_segment_fixed_size 0
		.amdhsa_kernarg_size 304
		.amdhsa_user_sgpr_count 6
		.amdhsa_user_sgpr_private_segment_buffer 1
		.amdhsa_user_sgpr_dispatch_ptr 0
		.amdhsa_user_sgpr_queue_ptr 0
		.amdhsa_user_sgpr_kernarg_segment_ptr 1
		.amdhsa_user_sgpr_dispatch_id 0
		.amdhsa_user_sgpr_flat_scratch_init 0
		.amdhsa_user_sgpr_kernarg_preload_length 0
		.amdhsa_user_sgpr_kernarg_preload_offset 0
		.amdhsa_user_sgpr_private_segment_size 0
		.amdhsa_uses_dynamic_stack 0
		.amdhsa_system_sgpr_private_segment_wavefront_offset 0
		.amdhsa_system_sgpr_workgroup_id_x 1
		.amdhsa_system_sgpr_workgroup_id_y 0
		.amdhsa_system_sgpr_workgroup_id_z 0
		.amdhsa_system_sgpr_workgroup_info 0
		.amdhsa_system_vgpr_workitem_id 1
		.amdhsa_next_free_vgpr 54
		.amdhsa_next_free_sgpr 66
		.amdhsa_accum_offset 56
		.amdhsa_reserve_vcc 1
		.amdhsa_reserve_flat_scratch 0
		.amdhsa_float_round_mode_32 0
		.amdhsa_float_round_mode_16_64 0
		.amdhsa_float_denorm_mode_32 3
		.amdhsa_float_denorm_mode_16_64 3
		.amdhsa_dx10_clamp 1
		.amdhsa_ieee_mode 1
		.amdhsa_fp16_overflow 0
		.amdhsa_tg_split 0
		.amdhsa_exception_fp_ieee_invalid_op 0
		.amdhsa_exception_fp_denorm_src 0
		.amdhsa_exception_fp_ieee_div_zero 0
		.amdhsa_exception_fp_ieee_overflow 0
		.amdhsa_exception_fp_ieee_underflow 0
		.amdhsa_exception_fp_ieee_inexact 0
		.amdhsa_exception_int_div_zero 0
	.end_amdhsa_kernel
	.section	.text._ZN12_GLOBAL__N_120softmax_warp_forwardIdddLi9ELb0ELb0ELi32EEEvPT0_PKT_iiiPKbib,"axG",@progbits,_ZN12_GLOBAL__N_120softmax_warp_forwardIdddLi9ELb0ELb0ELi32EEEvPT0_PKT_iiiPKbib,comdat
.Lfunc_end373:
	.size	_ZN12_GLOBAL__N_120softmax_warp_forwardIdddLi9ELb0ELb0ELi32EEEvPT0_PKT_iiiPKbib, .Lfunc_end373-_ZN12_GLOBAL__N_120softmax_warp_forwardIdddLi9ELb0ELb0ELi32EEEvPT0_PKT_iiiPKbib
                                        ; -- End function
	.section	.AMDGPU.csdata,"",@progbits
; Kernel info:
; codeLenInByte = 6764
; NumSgprs: 70
; NumVgprs: 54
; NumAgprs: 0
; TotalNumVgprs: 54
; ScratchSize: 0
; MemoryBound: 0
; FloatMode: 240
; IeeeMode: 1
; LDSByteSize: 0 bytes/workgroup (compile time only)
; SGPRBlocks: 8
; VGPRBlocks: 6
; NumSGPRsForWavesPerEU: 70
; NumVGPRsForWavesPerEU: 54
; AccumOffset: 56
; Occupancy: 8
; WaveLimiterHint : 0
; COMPUTE_PGM_RSRC2:SCRATCH_EN: 0
; COMPUTE_PGM_RSRC2:USER_SGPR: 6
; COMPUTE_PGM_RSRC2:TRAP_HANDLER: 0
; COMPUTE_PGM_RSRC2:TGID_X_EN: 1
; COMPUTE_PGM_RSRC2:TGID_Y_EN: 0
; COMPUTE_PGM_RSRC2:TGID_Z_EN: 0
; COMPUTE_PGM_RSRC2:TIDIG_COMP_CNT: 1
; COMPUTE_PGM_RSRC3_GFX90A:ACCUM_OFFSET: 13
; COMPUTE_PGM_RSRC3_GFX90A:TG_SPLIT: 0
	.section	.text._ZN12_GLOBAL__N_120softmax_warp_forwardIdddLi10ELb0ELb0ELi64EEEvPT0_PKT_iiiPKbib,"axG",@progbits,_ZN12_GLOBAL__N_120softmax_warp_forwardIdddLi10ELb0ELb0ELi64EEEvPT0_PKT_iiiPKbib,comdat
	.globl	_ZN12_GLOBAL__N_120softmax_warp_forwardIdddLi10ELb0ELb0ELi64EEEvPT0_PKT_iiiPKbib ; -- Begin function _ZN12_GLOBAL__N_120softmax_warp_forwardIdddLi10ELb0ELb0ELi64EEEvPT0_PKT_iiiPKbib
	.p2align	8
	.type	_ZN12_GLOBAL__N_120softmax_warp_forwardIdddLi10ELb0ELb0ELi64EEEvPT0_PKT_iiiPKbib,@function
_ZN12_GLOBAL__N_120softmax_warp_forwardIdddLi10ELb0ELb0ELi64EEEvPT0_PKT_iiiPKbib: ; @_ZN12_GLOBAL__N_120softmax_warp_forwardIdddLi10ELb0ELb0ELi64EEEvPT0_PKT_iiiPKbib
; %bb.0:
	s_load_dword s0, s[4:5], 0x3c
	s_load_dwordx8 s[36:43], s[4:5], 0x0
	v_bfe_u32 v1, v0, 10, 10
	v_and_b32_e32 v36, 0x3ff, v0
	v_mov_b32_e32 v28, 0
	s_waitcnt lgkmcnt(0)
	s_lshr_b32 s0, s0, 16
	s_mul_i32 s6, s6, s0
	v_add_u32_e32 v1, s6, v1
	v_sub_u32_e32 v40, s40, v1
	v_mad_u64_u32 v[0:1], s[0:1], v1, s41, v[36:37]
	v_ashrrev_i32_e32 v1, 31, v0
	v_lshlrev_b64 v[0:1], 3, v[0:1]
	v_mov_b32_e32 v2, s39
	v_add_co_u32_e32 v32, vcc, s38, v0
	v_cmp_lt_i32_e64 s[34:35], 0, v40
	v_cmp_gt_i32_e64 s[30:31], s42, v36
	v_mov_b32_e32 v29, 0xfff00000
	v_addc_co_u32_e32 v33, vcc, v2, v1, vcc
	s_and_b64 s[2:3], s[34:35], s[30:31]
	v_pk_mov_b32 v[34:35], v[28:29], v[28:29] op_sel:[0,1]
	s_and_saveexec_b64 s[0:1], s[2:3]
	s_cbranch_execz .LBB374_2
; %bb.1:
	global_load_dwordx2 v[34:35], v[32:33], off
.LBB374_2:
	s_or_b64 exec, exec, s[0:1]
	v_add_u32_e32 v2, 64, v36
	v_cmp_gt_i32_e64 s[28:29], s42, v2
	s_and_b64 s[2:3], s[34:35], s[28:29]
	s_and_saveexec_b64 s[0:1], s[2:3]
	s_cbranch_execz .LBB374_4
; %bb.3:
	global_load_dwordx2 v[28:29], v[32:33], off offset:512
.LBB374_4:
	s_or_b64 exec, exec, s[0:1]
	v_add_u32_e32 v2, 0x80, v36
	v_mov_b32_e32 v24, 0
	v_cmp_gt_i32_e64 s[26:27], s42, v2
	v_mov_b32_e32 v25, 0xfff00000
	s_and_b64 s[2:3], s[34:35], s[26:27]
	v_pk_mov_b32 v[30:31], v[24:25], v[24:25] op_sel:[0,1]
	s_and_saveexec_b64 s[0:1], s[2:3]
	s_cbranch_execz .LBB374_6
; %bb.5:
	global_load_dwordx2 v[30:31], v[32:33], off offset:1024
.LBB374_6:
	s_or_b64 exec, exec, s[0:1]
	v_add_u32_e32 v2, 0xc0, v36
	v_cmp_gt_i32_e64 s[24:25], s42, v2
	s_and_b64 s[2:3], s[34:35], s[24:25]
	s_and_saveexec_b64 s[0:1], s[2:3]
	s_cbranch_execz .LBB374_8
; %bb.7:
	global_load_dwordx2 v[24:25], v[32:33], off offset:1536
.LBB374_8:
	s_or_b64 exec, exec, s[0:1]
	v_add_u32_e32 v2, 0x100, v36
	v_mov_b32_e32 v20, 0
	v_cmp_gt_i32_e64 s[22:23], s42, v2
	v_mov_b32_e32 v21, 0xfff00000
	s_and_b64 s[2:3], s[34:35], s[22:23]
	v_pk_mov_b32 v[26:27], v[20:21], v[20:21] op_sel:[0,1]
	s_and_saveexec_b64 s[0:1], s[2:3]
	s_cbranch_execz .LBB374_10
; %bb.9:
	global_load_dwordx2 v[26:27], v[32:33], off offset:2048
.LBB374_10:
	;; [unrolled: 21-line block ×3, first 2 shown]
	s_or_b64 exec, exec, s[0:1]
	v_add_u32_e32 v2, 0x1c0, v36
	v_cmp_gt_i32_e64 s[16:17], s42, v2
	s_and_b64 s[2:3], s[34:35], s[16:17]
	s_and_saveexec_b64 s[0:1], s[2:3]
	s_cbranch_execz .LBB374_16
; %bb.15:
	global_load_dwordx2 v[16:17], v[32:33], off offset:3584
.LBB374_16:
	s_or_b64 exec, exec, s[0:1]
	v_add_u32_e32 v2, 0x200, v36
	v_mov_b32_e32 v12, 0
	v_cmp_gt_i32_e64 s[14:15], s42, v2
	v_mov_b32_e32 v13, 0xfff00000
	s_and_b64 s[2:3], s[34:35], s[14:15]
	v_pk_mov_b32 v[18:19], v[12:13], v[12:13] op_sel:[0,1]
	s_and_saveexec_b64 s[0:1], s[2:3]
	s_cbranch_execz .LBB374_18
; %bb.17:
	v_add_co_u32_e32 v2, vcc, 0x1000, v32
	v_addc_co_u32_e32 v3, vcc, 0, v33, vcc
	global_load_dwordx2 v[18:19], v[2:3], off
.LBB374_18:
	s_or_b64 exec, exec, s[0:1]
	v_add_u32_e32 v2, 0x240, v36
	v_cmp_gt_i32_e64 s[12:13], s42, v2
	s_and_b64 s[2:3], s[34:35], s[12:13]
	s_and_saveexec_b64 s[0:1], s[2:3]
	s_cbranch_execz .LBB374_20
; %bb.19:
	v_add_co_u32_e32 v2, vcc, 0x1000, v32
	v_addc_co_u32_e32 v3, vcc, 0, v33, vcc
	global_load_dwordx2 v[12:13], v[2:3], off offset:512
.LBB374_20:
	s_or_b64 exec, exec, s[0:1]
	v_add_u32_e32 v2, 0x280, v36
	v_mov_b32_e32 v8, 0
	v_cmp_gt_i32_e64 s[10:11], s42, v2
	v_mov_b32_e32 v9, 0xfff00000
	s_and_b64 s[2:3], s[34:35], s[10:11]
	v_pk_mov_b32 v[14:15], v[8:9], v[8:9] op_sel:[0,1]
	s_and_saveexec_b64 s[0:1], s[2:3]
	s_cbranch_execz .LBB374_22
; %bb.21:
	v_add_co_u32_e32 v2, vcc, 0x1000, v32
	v_addc_co_u32_e32 v3, vcc, 0, v33, vcc
	global_load_dwordx2 v[14:15], v[2:3], off offset:1024
.LBB374_22:
	s_or_b64 exec, exec, s[0:1]
	v_add_u32_e32 v2, 0x2c0, v36
	v_cmp_gt_i32_e64 s[8:9], s42, v2
	s_and_b64 s[2:3], s[34:35], s[8:9]
	s_and_saveexec_b64 s[0:1], s[2:3]
	s_cbranch_execz .LBB374_24
; %bb.23:
	v_add_co_u32_e32 v2, vcc, 0x1000, v32
	v_addc_co_u32_e32 v3, vcc, 0, v33, vcc
	global_load_dwordx2 v[8:9], v[2:3], off offset:1536
.LBB374_24:
	s_or_b64 exec, exec, s[0:1]
	v_add_u32_e32 v2, 0x300, v36
	v_mov_b32_e32 v4, 0
	v_cmp_gt_i32_e64 s[6:7], s42, v2
	v_mov_b32_e32 v5, 0xfff00000
	s_and_b64 s[2:3], s[34:35], s[6:7]
	v_pk_mov_b32 v[10:11], v[4:5], v[4:5] op_sel:[0,1]
	s_and_saveexec_b64 s[0:1], s[2:3]
	s_cbranch_execz .LBB374_26
; %bb.25:
	v_add_co_u32_e32 v2, vcc, 0x1000, v32
	v_addc_co_u32_e32 v3, vcc, 0, v33, vcc
	global_load_dwordx2 v[10:11], v[2:3], off offset:2048
.LBB374_26:
	s_or_b64 exec, exec, s[0:1]
	v_add_u32_e32 v2, 0x340, v36
	v_cmp_gt_i32_e64 s[4:5], s42, v2
	s_and_b64 s[2:3], s[34:35], s[4:5]
	s_and_saveexec_b64 s[0:1], s[2:3]
	s_cbranch_execz .LBB374_28
; %bb.27:
	v_add_co_u32_e32 v2, vcc, 0x1000, v32
	v_addc_co_u32_e32 v3, vcc, 0, v33, vcc
	global_load_dwordx2 v[4:5], v[2:3], off offset:2560
.LBB374_28:
	s_or_b64 exec, exec, s[0:1]
	v_add_u32_e32 v2, 0x380, v36
	v_cmp_gt_i32_e64 s[2:3], s42, v2
	v_mov_b32_e32 v2, 0
	v_mov_b32_e32 v3, 0xfff00000
	s_and_b64 s[38:39], s[34:35], s[2:3]
	v_pk_mov_b32 v[6:7], v[2:3], v[2:3] op_sel:[0,1]
	s_and_saveexec_b64 s[0:1], s[38:39]
	s_cbranch_execz .LBB374_30
; %bb.29:
	v_add_co_u32_e32 v6, vcc, 0x1000, v32
	v_addc_co_u32_e32 v7, vcc, 0, v33, vcc
	global_load_dwordx2 v[6:7], v[6:7], off offset:3072
.LBB374_30:
	s_or_b64 exec, exec, s[0:1]
	v_add_u32_e32 v36, 0x3c0, v36
	v_cmp_gt_i32_e64 s[0:1], s42, v36
	s_and_b64 s[38:39], s[34:35], s[0:1]
	s_and_saveexec_b64 s[34:35], s[38:39]
	s_cbranch_execz .LBB374_32
; %bb.31:
	v_add_co_u32_e32 v2, vcc, 0x1000, v32
	v_addc_co_u32_e32 v3, vcc, 0, v33, vcc
	global_load_dwordx2 v[2:3], v[2:3], off offset:3584
.LBB374_32:
	s_or_b64 exec, exec, s[34:35]
	s_waitcnt vmcnt(0)
	v_cmp_gt_f64_e32 vcc, v[34:35], v[28:29]
	v_cndmask_b32_e32 v33, v29, v35, vcc
	v_cndmask_b32_e32 v32, v28, v34, vcc
	v_cmp_gt_f64_e32 vcc, v[32:33], v[30:31]
	v_cndmask_b32_e32 v33, v31, v33, vcc
	v_cndmask_b32_e32 v32, v30, v32, vcc
	;; [unrolled: 3-line block ×13, first 2 shown]
	v_mbcnt_lo_u32_b32 v36, -1, 0
	v_cmp_gt_f64_e32 vcc, v[32:33], v[6:7]
	v_mbcnt_hi_u32_b32 v38, -1, v36
	v_cndmask_b32_e32 v33, v7, v33, vcc
	v_cndmask_b32_e32 v32, v6, v32, vcc
	v_and_b32_e32 v36, 64, v38
	v_cmp_gt_f64_e32 vcc, v[32:33], v[2:3]
	v_add_u32_e32 v39, 64, v36
	v_xor_b32_e32 v36, 32, v38
	v_cndmask_b32_e32 v33, v3, v33, vcc
	v_cndmask_b32_e32 v32, v2, v32, vcc
	v_cmp_lt_i32_e32 vcc, v36, v39
	v_cndmask_b32_e32 v36, v38, v36, vcc
	v_lshlrev_b32_e32 v41, 2, v36
	ds_bpermute_b32 v36, v41, v32
	ds_bpermute_b32 v37, v41, v33
	s_mov_b32 s38, 0x652b82fe
	s_mov_b32 s39, 0x3ff71547
	s_mov_b32 s40, 0xfefa39ef
	s_mov_b32 s41, 0xbfe62e42
	s_waitcnt lgkmcnt(0)
	v_cmp_lt_f64_e32 vcc, v[32:33], v[36:37]
	v_cndmask_b32_e32 v32, v32, v36, vcc
	v_xor_b32_e32 v36, 16, v38
	v_cndmask_b32_e32 v33, v33, v37, vcc
	v_cmp_lt_i32_e32 vcc, v36, v39
	v_cndmask_b32_e32 v36, v38, v36, vcc
	v_lshlrev_b32_e32 v42, 2, v36
	ds_bpermute_b32 v36, v42, v32
	ds_bpermute_b32 v37, v42, v33
	s_mov_b32 s42, 0x3b39803f
	s_mov_b32 s34, 0xfca7ab0c
	s_mov_b32 s43, 0xbc7abc9e
	s_mov_b32 s35, 0x3e928af3
	s_waitcnt lgkmcnt(0)
	v_cmp_lt_f64_e32 vcc, v[32:33], v[36:37]
	v_cndmask_b32_e32 v32, v32, v36, vcc
	v_xor_b32_e32 v36, 8, v38
	;; [unrolled: 14-line block ×5, first 2 shown]
	v_cndmask_b32_e32 v33, v33, v37, vcc
	v_cmp_lt_i32_e32 vcc, v36, v39
	v_cndmask_b32_e32 v36, v38, v36, vcc
	v_lshlrev_b32_e32 v46, 2, v36
	ds_bpermute_b32 v36, v46, v32
	ds_bpermute_b32 v37, v46, v33
	v_pk_mov_b32 v[38:39], s[34:35], s[34:35] op_sel:[0,1]
	s_mov_b32 s56, 0x555502a1
	s_mov_b32 s57, 0x3fa55555
	s_mov_b32 s58, 0x55555511
	s_waitcnt lgkmcnt(0)
	v_cmp_lt_f64_e32 vcc, v[32:33], v[36:37]
	v_cndmask_b32_e32 v33, v33, v37, vcc
	v_cndmask_b32_e32 v32, v32, v36, vcc
	v_add_f64 v[34:35], v[34:35], -v[32:33]
	v_mul_f64 v[36:37], v[34:35], s[38:39]
	v_rndne_f64_e32 v[36:37], v[36:37]
	v_fma_f64 v[48:49], s[40:41], v[36:37], v[34:35]
	v_fmac_f64_e32 v[48:49], s[42:43], v[36:37]
	v_fma_f64 v[50:51], s[44:45], v[48:49], v[38:39]
	v_fma_f64 v[50:51], v[48:49], v[50:51], s[46:47]
	v_fma_f64 v[50:51], v[48:49], v[50:51], s[48:49]
	v_fma_f64 v[50:51], v[48:49], v[50:51], s[50:51]
	v_fma_f64 v[50:51], v[48:49], v[50:51], s[52:53]
	v_fma_f64 v[50:51], v[48:49], v[50:51], s[54:55]
	v_fma_f64 v[50:51], v[48:49], v[50:51], s[56:57]
	s_mov_b32 s59, 0x3fc55555
	s_mov_b32 s60, 11
	v_fma_f64 v[50:51], v[48:49], v[50:51], s[58:59]
	s_mov_b32 s61, 0x3fe00000
	v_fma_f64 v[50:51], v[48:49], v[50:51], s[60:61]
	v_fma_f64 v[50:51], v[48:49], v[50:51], 1.0
	v_fma_f64 v[48:49], v[48:49], v[50:51], 1.0
	v_cvt_i32_f64_e32 v36, v[36:37]
	v_add_f64 v[28:29], v[28:29], -v[32:33]
	v_ldexp_f64 v[36:37], v[48:49], v36
	v_mul_f64 v[48:49], v[28:29], s[38:39]
	v_rndne_f64_e32 v[48:49], v[48:49]
	v_fma_f64 v[50:51], s[40:41], v[48:49], v[28:29]
	v_fmac_f64_e32 v[50:51], s[42:43], v[48:49]
	v_fma_f64 v[52:53], s[44:45], v[50:51], v[38:39]
	v_fma_f64 v[52:53], v[50:51], v[52:53], s[46:47]
	;; [unrolled: 1-line block ×7, first 2 shown]
	s_mov_b32 s62, 0
	s_mov_b32 s64, 0
	v_fma_f64 v[52:53], v[50:51], v[52:53], s[58:59]
	s_mov_b32 s63, 0x40900000
	s_mov_b32 s65, 0xc090cc00
	v_fma_f64 v[52:53], v[50:51], v[52:53], s[60:61]
	v_mov_b32_e32 v47, 0x7ff00000
	v_cmp_nlt_f64_e32 vcc, s[62:63], v[34:35]
	v_cmp_ngt_f64_e64 s[34:35], s[64:65], v[34:35]
	v_fma_f64 v[52:53], v[50:51], v[52:53], 1.0
	v_cndmask_b32_e32 v37, v47, v37, vcc
	s_and_b64 vcc, s[34:35], vcc
	v_fma_f64 v[50:51], v[50:51], v[52:53], 1.0
	v_cvt_i32_f64_e32 v48, v[48:49]
	v_cndmask_b32_e64 v35, 0, v37, s[34:35]
	v_cndmask_b32_e32 v34, 0, v36, vcc
	v_ldexp_f64 v[48:49], v[50:51], v48
	v_cmp_nlt_f64_e32 vcc, s[62:63], v[28:29]
	v_cmp_ngt_f64_e64 s[34:35], s[64:65], v[28:29]
	v_cndmask_b32_e32 v49, v47, v49, vcc
	s_and_b64 vcc, s[34:35], vcc
	v_add_f64 v[30:31], v[30:31], -v[32:33]
	v_cndmask_b32_e64 v29, 0, v49, s[34:35]
	v_cndmask_b32_e32 v28, 0, v48, vcc
	v_mul_f64 v[48:49], v[30:31], s[38:39]
	v_rndne_f64_e32 v[48:49], v[48:49]
	v_fma_f64 v[50:51], s[40:41], v[48:49], v[30:31]
	v_fmac_f64_e32 v[50:51], s[42:43], v[48:49]
	v_fma_f64 v[52:53], s[44:45], v[50:51], v[38:39]
	v_fma_f64 v[52:53], v[50:51], v[52:53], s[46:47]
	v_fma_f64 v[52:53], v[50:51], v[52:53], s[48:49]
	v_fma_f64 v[52:53], v[50:51], v[52:53], s[50:51]
	v_fma_f64 v[52:53], v[50:51], v[52:53], s[52:53]
	v_fma_f64 v[52:53], v[50:51], v[52:53], s[54:55]
	v_fma_f64 v[52:53], v[50:51], v[52:53], s[56:57]
	v_fma_f64 v[52:53], v[50:51], v[52:53], s[58:59]
	v_fma_f64 v[52:53], v[50:51], v[52:53], s[60:61]
	v_fma_f64 v[52:53], v[50:51], v[52:53], 1.0
	v_fma_f64 v[50:51], v[50:51], v[52:53], 1.0
	v_cvt_i32_f64_e32 v48, v[48:49]
	v_ldexp_f64 v[48:49], v[50:51], v48
	v_cmp_nlt_f64_e32 vcc, s[62:63], v[30:31]
	v_cmp_ngt_f64_e64 s[34:35], s[64:65], v[30:31]
	v_cndmask_b32_e32 v49, v47, v49, vcc
	s_and_b64 vcc, s[34:35], vcc
	v_add_f64 v[24:25], v[24:25], -v[32:33]
	v_cndmask_b32_e64 v31, 0, v49, s[34:35]
	v_cndmask_b32_e32 v30, 0, v48, vcc
	v_mul_f64 v[48:49], v[24:25], s[38:39]
	v_rndne_f64_e32 v[48:49], v[48:49]
	v_fma_f64 v[50:51], s[40:41], v[48:49], v[24:25]
	v_fmac_f64_e32 v[50:51], s[42:43], v[48:49]
	v_fma_f64 v[52:53], s[44:45], v[50:51], v[38:39]
	v_fma_f64 v[52:53], v[50:51], v[52:53], s[46:47]
	v_fma_f64 v[52:53], v[50:51], v[52:53], s[48:49]
	v_fma_f64 v[52:53], v[50:51], v[52:53], s[50:51]
	v_fma_f64 v[52:53], v[50:51], v[52:53], s[52:53]
	v_fma_f64 v[52:53], v[50:51], v[52:53], s[54:55]
	v_fma_f64 v[52:53], v[50:51], v[52:53], s[56:57]
	v_fma_f64 v[52:53], v[50:51], v[52:53], s[58:59]
	v_fma_f64 v[52:53], v[50:51], v[52:53], s[60:61]
	v_fma_f64 v[52:53], v[50:51], v[52:53], 1.0
	v_fma_f64 v[50:51], v[50:51], v[52:53], 1.0
	v_cvt_i32_f64_e32 v48, v[48:49]
	;; [unrolled: 24-line block ×3, first 2 shown]
	v_ldexp_f64 v[48:49], v[50:51], v48
	v_cmp_nlt_f64_e32 vcc, s[62:63], v[26:27]
	v_cmp_ngt_f64_e64 s[34:35], s[64:65], v[26:27]
	v_cndmask_b32_e32 v49, v47, v49, vcc
	s_and_b64 vcc, s[34:35], vcc
	v_add_f64 v[20:21], v[20:21], -v[32:33]
	v_cndmask_b32_e64 v27, 0, v49, s[34:35]
	v_cndmask_b32_e32 v26, 0, v48, vcc
	v_mul_f64 v[48:49], v[20:21], s[38:39]
	v_rndne_f64_e32 v[48:49], v[48:49]
	v_fma_f64 v[50:51], s[40:41], v[48:49], v[20:21]
	v_fmac_f64_e32 v[50:51], s[42:43], v[48:49]
	v_fma_f64 v[52:53], s[44:45], v[50:51], v[38:39]
	v_fma_f64 v[52:53], v[50:51], v[52:53], s[46:47]
	v_fma_f64 v[52:53], v[50:51], v[52:53], s[48:49]
	v_fma_f64 v[52:53], v[50:51], v[52:53], s[50:51]
	v_fma_f64 v[52:53], v[50:51], v[52:53], s[52:53]
	v_fma_f64 v[52:53], v[50:51], v[52:53], s[54:55]
	v_fma_f64 v[52:53], v[50:51], v[52:53], s[56:57]
	v_fma_f64 v[52:53], v[50:51], v[52:53], s[58:59]
	v_fma_f64 v[52:53], v[50:51], v[52:53], s[60:61]
	v_add_f64 v[36:37], v[34:35], 0
	v_fma_f64 v[52:53], v[50:51], v[52:53], 1.0
	v_add_f64 v[36:37], v[36:37], v[28:29]
	v_fma_f64 v[50:51], v[50:51], v[52:53], 1.0
	v_cvt_i32_f64_e32 v48, v[48:49]
	v_add_f64 v[36:37], v[36:37], v[30:31]
	v_ldexp_f64 v[48:49], v[50:51], v48
	v_cmp_nlt_f64_e32 vcc, s[62:63], v[20:21]
	v_cmp_ngt_f64_e64 s[34:35], s[64:65], v[20:21]
	v_add_f64 v[36:37], v[36:37], v[24:25]
	v_cndmask_b32_e32 v49, v47, v49, vcc
	s_and_b64 vcc, s[34:35], vcc
	v_add_f64 v[36:37], v[36:37], v[26:27]
	v_cndmask_b32_e64 v21, 0, v49, s[34:35]
	v_cndmask_b32_e32 v20, 0, v48, vcc
	v_add_f64 v[22:23], v[22:23], -v[32:33]
	v_add_f64 v[48:49], v[36:37], v[20:21]
	v_mul_f64 v[36:37], v[22:23], s[38:39]
	v_rndne_f64_e32 v[36:37], v[36:37]
	v_fma_f64 v[50:51], s[40:41], v[36:37], v[22:23]
	v_fmac_f64_e32 v[50:51], s[42:43], v[36:37]
	v_fma_f64 v[52:53], s[44:45], v[50:51], v[38:39]
	v_fma_f64 v[52:53], v[50:51], v[52:53], s[46:47]
	;; [unrolled: 1-line block ×9, first 2 shown]
	v_add_f64 v[16:17], v[16:17], -v[32:33]
	v_fma_f64 v[52:53], v[50:51], v[52:53], 1.0
	v_cmp_nlt_f64_e32 vcc, s[62:63], v[22:23]
	v_cmp_ngt_f64_e64 s[34:35], s[64:65], v[22:23]
	v_mul_f64 v[22:23], v[16:17], s[38:39]
	v_fma_f64 v[50:51], v[50:51], v[52:53], 1.0
	v_cvt_i32_f64_e32 v36, v[36:37]
	v_rndne_f64_e32 v[22:23], v[22:23]
	v_ldexp_f64 v[36:37], v[50:51], v36
	v_fma_f64 v[50:51], s[40:41], v[22:23], v[16:17]
	v_fmac_f64_e32 v[50:51], s[42:43], v[22:23]
	v_fma_f64 v[52:53], s[44:45], v[50:51], v[38:39]
	v_fma_f64 v[52:53], v[50:51], v[52:53], s[46:47]
	;; [unrolled: 1-line block ×9, first 2 shown]
	v_fma_f64 v[52:53], v[50:51], v[52:53], 1.0
	v_cndmask_b32_e32 v37, v47, v37, vcc
	s_and_b64 vcc, s[34:35], vcc
	v_fma_f64 v[50:51], v[50:51], v[52:53], 1.0
	v_cvt_i32_f64_e32 v22, v[22:23]
	v_cndmask_b32_e64 v37, 0, v37, s[34:35]
	v_cndmask_b32_e32 v36, 0, v36, vcc
	v_ldexp_f64 v[22:23], v[50:51], v22
	v_cmp_nlt_f64_e32 vcc, s[62:63], v[16:17]
	v_cmp_ngt_f64_e64 s[34:35], s[64:65], v[16:17]
	v_cndmask_b32_e32 v23, v47, v23, vcc
	s_and_b64 vcc, s[34:35], vcc
	v_add_f64 v[48:49], v[48:49], v[36:37]
	v_cndmask_b32_e64 v23, 0, v23, s[34:35]
	v_cndmask_b32_e32 v22, 0, v22, vcc
	v_add_f64 v[18:19], v[18:19], -v[32:33]
	v_add_f64 v[16:17], v[48:49], v[22:23]
	v_mul_f64 v[48:49], v[18:19], s[38:39]
	v_rndne_f64_e32 v[48:49], v[48:49]
	v_fma_f64 v[50:51], s[40:41], v[48:49], v[18:19]
	v_fmac_f64_e32 v[50:51], s[42:43], v[48:49]
	v_fma_f64 v[52:53], s[44:45], v[50:51], v[38:39]
	v_fma_f64 v[52:53], v[50:51], v[52:53], s[46:47]
	v_fma_f64 v[52:53], v[50:51], v[52:53], s[48:49]
	v_fma_f64 v[52:53], v[50:51], v[52:53], s[50:51]
	v_fma_f64 v[52:53], v[50:51], v[52:53], s[52:53]
	v_fma_f64 v[52:53], v[50:51], v[52:53], s[54:55]
	v_fma_f64 v[52:53], v[50:51], v[52:53], s[56:57]
	v_fma_f64 v[52:53], v[50:51], v[52:53], s[58:59]
	v_fma_f64 v[52:53], v[50:51], v[52:53], s[60:61]
	v_fma_f64 v[52:53], v[50:51], v[52:53], 1.0
	v_fma_f64 v[50:51], v[50:51], v[52:53], 1.0
	v_cvt_i32_f64_e32 v48, v[48:49]
	v_ldexp_f64 v[48:49], v[50:51], v48
	v_cmp_nlt_f64_e32 vcc, s[62:63], v[18:19]
	v_cmp_ngt_f64_e64 s[34:35], s[64:65], v[18:19]
	v_cndmask_b32_e32 v49, v47, v49, vcc
	s_and_b64 vcc, s[34:35], vcc
	v_cndmask_b32_e64 v19, 0, v49, s[34:35]
	v_cndmask_b32_e32 v18, 0, v48, vcc
	v_add_f64 v[12:13], v[12:13], -v[32:33]
	v_add_f64 v[48:49], v[16:17], v[18:19]
	v_mul_f64 v[16:17], v[12:13], s[38:39]
	v_rndne_f64_e32 v[16:17], v[16:17]
	v_fma_f64 v[50:51], s[40:41], v[16:17], v[12:13]
	v_fmac_f64_e32 v[50:51], s[42:43], v[16:17]
	v_fma_f64 v[52:53], s[44:45], v[50:51], v[38:39]
	v_fma_f64 v[52:53], v[50:51], v[52:53], s[46:47]
	v_fma_f64 v[52:53], v[50:51], v[52:53], s[48:49]
	v_fma_f64 v[52:53], v[50:51], v[52:53], s[50:51]
	v_fma_f64 v[52:53], v[50:51], v[52:53], s[52:53]
	v_fma_f64 v[52:53], v[50:51], v[52:53], s[54:55]
	v_fma_f64 v[52:53], v[50:51], v[52:53], s[56:57]
	v_fma_f64 v[52:53], v[50:51], v[52:53], s[58:59]
	v_fma_f64 v[52:53], v[50:51], v[52:53], s[60:61]
	v_fma_f64 v[52:53], v[50:51], v[52:53], 1.0
	v_fma_f64 v[50:51], v[50:51], v[52:53], 1.0
	v_cvt_i32_f64_e32 v16, v[16:17]
	v_ldexp_f64 v[16:17], v[50:51], v16
	v_cmp_nlt_f64_e32 vcc, s[62:63], v[12:13]
	v_cmp_ngt_f64_e64 s[34:35], s[64:65], v[12:13]
	v_cndmask_b32_e32 v17, v47, v17, vcc
	s_and_b64 vcc, s[34:35], vcc
	;; [unrolled: 25-line block ×5, first 2 shown]
	v_cndmask_b32_e64 v11, 0, v49, s[34:35]
	v_cndmask_b32_e32 v10, 0, v48, vcc
	v_add_f64 v[4:5], v[4:5], -v[32:33]
	v_add_f64 v[48:49], v[8:9], v[10:11]
	v_mul_f64 v[8:9], v[4:5], s[38:39]
	v_rndne_f64_e32 v[8:9], v[8:9]
	v_fma_f64 v[50:51], s[40:41], v[8:9], v[4:5]
	v_fmac_f64_e32 v[50:51], s[42:43], v[8:9]
	v_fma_f64 v[52:53], s[44:45], v[50:51], v[38:39]
	v_fma_f64 v[52:53], v[50:51], v[52:53], s[46:47]
	v_fma_f64 v[52:53], v[50:51], v[52:53], s[48:49]
	v_fma_f64 v[52:53], v[50:51], v[52:53], s[50:51]
	v_fma_f64 v[52:53], v[50:51], v[52:53], s[52:53]
	v_fma_f64 v[52:53], v[50:51], v[52:53], s[54:55]
	v_fma_f64 v[52:53], v[50:51], v[52:53], s[56:57]
	v_fma_f64 v[52:53], v[50:51], v[52:53], s[58:59]
	v_fma_f64 v[52:53], v[50:51], v[52:53], s[60:61]
	v_cmp_nlt_f64_e32 vcc, s[62:63], v[4:5]
	v_cmp_ngt_f64_e64 s[34:35], s[64:65], v[4:5]
	v_add_f64 v[4:5], v[6:7], -v[32:33]
	v_fma_f64 v[52:53], v[50:51], v[52:53], 1.0
	v_mul_f64 v[6:7], v[4:5], s[38:39]
	v_fma_f64 v[50:51], v[50:51], v[52:53], 1.0
	v_cvt_i32_f64_e32 v8, v[8:9]
	v_rndne_f64_e32 v[6:7], v[6:7]
	v_ldexp_f64 v[8:9], v[50:51], v8
	v_fma_f64 v[50:51], s[40:41], v[6:7], v[4:5]
	v_fmac_f64_e32 v[50:51], s[42:43], v[6:7]
	v_fma_f64 v[52:53], s[44:45], v[50:51], v[38:39]
	v_fma_f64 v[52:53], v[50:51], v[52:53], s[46:47]
	v_fma_f64 v[52:53], v[50:51], v[52:53], s[48:49]
	v_fma_f64 v[52:53], v[50:51], v[52:53], s[50:51]
	v_fma_f64 v[52:53], v[50:51], v[52:53], s[52:53]
	v_fma_f64 v[52:53], v[50:51], v[52:53], s[54:55]
	v_fma_f64 v[52:53], v[50:51], v[52:53], s[56:57]
	v_fma_f64 v[52:53], v[50:51], v[52:53], s[58:59]
	v_fma_f64 v[52:53], v[50:51], v[52:53], s[60:61]
	v_fma_f64 v[52:53], v[50:51], v[52:53], 1.0
	v_cndmask_b32_e32 v9, v47, v9, vcc
	s_and_b64 vcc, s[34:35], vcc
	v_fma_f64 v[50:51], v[50:51], v[52:53], 1.0
	v_cvt_i32_f64_e32 v6, v[6:7]
	v_cndmask_b32_e64 v9, 0, v9, s[34:35]
	v_cndmask_b32_e32 v8, 0, v8, vcc
	v_ldexp_f64 v[6:7], v[50:51], v6
	v_cmp_nlt_f64_e32 vcc, s[62:63], v[4:5]
	v_cmp_ngt_f64_e64 s[34:35], s[64:65], v[4:5]
	v_add_f64 v[2:3], v[2:3], -v[32:33]
	v_cndmask_b32_e32 v7, v47, v7, vcc
	s_and_b64 vcc, s[34:35], vcc
	v_mul_f64 v[32:33], v[2:3], s[38:39]
	v_add_f64 v[48:49], v[48:49], v[8:9]
	v_cndmask_b32_e64 v5, 0, v7, s[34:35]
	v_cndmask_b32_e32 v4, 0, v6, vcc
	v_rndne_f64_e32 v[32:33], v[32:33]
	v_add_f64 v[6:7], v[48:49], v[4:5]
	v_fma_f64 v[48:49], s[40:41], v[32:33], v[2:3]
	v_fmac_f64_e32 v[48:49], s[42:43], v[32:33]
	v_fmac_f64_e32 v[38:39], s[44:45], v[48:49]
	v_fma_f64 v[38:39], v[48:49], v[38:39], s[46:47]
	v_fma_f64 v[38:39], v[48:49], v[38:39], s[48:49]
	;; [unrolled: 1-line block ×8, first 2 shown]
	v_fma_f64 v[38:39], v[48:49], v[38:39], 1.0
	v_fma_f64 v[38:39], v[48:49], v[38:39], 1.0
	v_cvt_i32_f64_e32 v32, v[32:33]
	v_ldexp_f64 v[32:33], v[38:39], v32
	v_cmp_nlt_f64_e32 vcc, s[62:63], v[2:3]
	v_cmp_ngt_f64_e64 s[34:35], s[64:65], v[2:3]
	v_cndmask_b32_e32 v33, v47, v33, vcc
	s_and_b64 vcc, s[34:35], vcc
	v_cndmask_b32_e64 v3, 0, v33, s[34:35]
	v_cndmask_b32_e32 v2, 0, v32, vcc
	v_add_f64 v[6:7], v[6:7], v[2:3]
	ds_bpermute_b32 v32, v41, v6
	ds_bpermute_b32 v33, v41, v7
	v_cmp_lt_i32_e32 vcc, 0, v40
	s_waitcnt lgkmcnt(0)
	v_add_f64 v[6:7], v[6:7], v[32:33]
	ds_bpermute_b32 v32, v42, v6
	ds_bpermute_b32 v33, v42, v7
	s_waitcnt lgkmcnt(0)
	v_add_f64 v[6:7], v[6:7], v[32:33]
	ds_bpermute_b32 v32, v43, v6
	ds_bpermute_b32 v33, v43, v7
	;; [unrolled: 4-line block ×5, first 2 shown]
	s_and_saveexec_b64 s[34:35], vcc
	s_cbranch_execz .LBB374_50
; %bb.33:
	s_and_b64 exec, exec, s[30:31]
	s_cbranch_execz .LBB374_50
; %bb.34:
	s_waitcnt lgkmcnt(0)
	v_add_f64 v[6:7], v[6:7], v[32:33]
	v_div_scale_f64 v[32:33], s[30:31], v[6:7], v[6:7], v[34:35]
	v_rcp_f64_e32 v[38:39], v[32:33]
	v_mov_b32_e32 v40, s37
	v_add_co_u32_e32 v0, vcc, s36, v0
	v_addc_co_u32_e32 v1, vcc, v40, v1, vcc
	v_fma_f64 v[40:41], -v[32:33], v[38:39], 1.0
	v_fmac_f64_e32 v[38:39], v[38:39], v[40:41]
	v_fma_f64 v[40:41], -v[32:33], v[38:39], 1.0
	v_fmac_f64_e32 v[38:39], v[38:39], v[40:41]
	v_div_scale_f64 v[40:41], vcc, v[34:35], v[6:7], v[34:35]
	v_mul_f64 v[42:43], v[40:41], v[38:39]
	v_fma_f64 v[32:33], -v[32:33], v[42:43], v[40:41]
	v_cmp_eq_f64_e64 s[30:31], 0, v[6:7]
	s_nop 0
	v_div_fmas_f64 v[32:33], v[32:33], v[38:39], v[42:43]
	v_div_fixup_f64 v[34:35], v[32:33], v[6:7], v[34:35]
	v_mov_b32_e32 v32, 0x7ff80000
	v_cndmask_b32_e64 v35, v35, v32, s[30:31]
	v_cndmask_b32_e64 v34, v34, 0, s[30:31]
	global_store_dwordx2 v[0:1], v[34:35], off
	s_and_b64 exec, exec, s[28:29]
	s_cbranch_execz .LBB374_50
; %bb.35:
	v_div_scale_f64 v[34:35], s[28:29], v[6:7], v[6:7], v[28:29]
	v_rcp_f64_e32 v[38:39], v[34:35]
	v_div_scale_f64 v[40:41], vcc, v[28:29], v[6:7], v[28:29]
	v_fma_f64 v[42:43], -v[34:35], v[38:39], 1.0
	v_fmac_f64_e32 v[38:39], v[38:39], v[42:43]
	v_fma_f64 v[42:43], -v[34:35], v[38:39], 1.0
	v_fmac_f64_e32 v[38:39], v[38:39], v[42:43]
	v_mul_f64 v[42:43], v[40:41], v[38:39]
	v_fma_f64 v[34:35], -v[34:35], v[42:43], v[40:41]
	v_div_fmas_f64 v[34:35], v[34:35], v[38:39], v[42:43]
	v_div_fixup_f64 v[28:29], v[34:35], v[6:7], v[28:29]
	v_cndmask_b32_e64 v29, v29, v32, s[30:31]
	v_cndmask_b32_e64 v28, v28, 0, s[30:31]
	global_store_dwordx2 v[0:1], v[28:29], off offset:512
	s_and_b64 exec, exec, s[26:27]
	s_cbranch_execz .LBB374_50
; %bb.36:
	v_div_scale_f64 v[28:29], s[26:27], v[6:7], v[6:7], v[30:31]
	v_rcp_f64_e32 v[32:33], v[28:29]
	v_div_scale_f64 v[34:35], vcc, v[30:31], v[6:7], v[30:31]
	v_fma_f64 v[38:39], -v[28:29], v[32:33], 1.0
	v_fmac_f64_e32 v[32:33], v[32:33], v[38:39]
	v_fma_f64 v[38:39], -v[28:29], v[32:33], 1.0
	v_fmac_f64_e32 v[32:33], v[32:33], v[38:39]
	v_mul_f64 v[38:39], v[34:35], v[32:33]
	v_fma_f64 v[28:29], -v[28:29], v[38:39], v[34:35]
	v_div_fmas_f64 v[28:29], v[28:29], v[32:33], v[38:39]
	v_div_fixup_f64 v[30:31], v[28:29], v[6:7], v[30:31]
	v_mov_b32_e32 v28, 0x7ff80000
	v_cndmask_b32_e64 v31, v31, v28, s[30:31]
	v_cndmask_b32_e64 v30, v30, 0, s[30:31]
	global_store_dwordx2 v[0:1], v[30:31], off offset:1024
	s_and_b64 exec, exec, s[24:25]
	s_cbranch_execz .LBB374_50
; %bb.37:
	v_div_scale_f64 v[30:31], s[24:25], v[6:7], v[6:7], v[24:25]
	v_rcp_f64_e32 v[32:33], v[30:31]
	v_div_scale_f64 v[34:35], vcc, v[24:25], v[6:7], v[24:25]
	v_fma_f64 v[38:39], -v[30:31], v[32:33], 1.0
	v_fmac_f64_e32 v[32:33], v[32:33], v[38:39]
	v_fma_f64 v[38:39], -v[30:31], v[32:33], 1.0
	v_fmac_f64_e32 v[32:33], v[32:33], v[38:39]
	v_mul_f64 v[38:39], v[34:35], v[32:33]
	v_fma_f64 v[30:31], -v[30:31], v[38:39], v[34:35]
	v_div_fmas_f64 v[30:31], v[30:31], v[32:33], v[38:39]
	v_div_fixup_f64 v[24:25], v[30:31], v[6:7], v[24:25]
	v_cndmask_b32_e64 v25, v25, v28, s[30:31]
	v_cndmask_b32_e64 v24, v24, 0, s[30:31]
	global_store_dwordx2 v[0:1], v[24:25], off offset:1536
	s_and_b64 exec, exec, s[22:23]
	s_cbranch_execz .LBB374_50
; %bb.38:
	v_div_scale_f64 v[24:25], s[22:23], v[6:7], v[6:7], v[26:27]
	v_rcp_f64_e32 v[28:29], v[24:25]
	v_div_scale_f64 v[30:31], vcc, v[26:27], v[6:7], v[26:27]
	v_fma_f64 v[32:33], -v[24:25], v[28:29], 1.0
	v_fmac_f64_e32 v[28:29], v[28:29], v[32:33]
	v_fma_f64 v[32:33], -v[24:25], v[28:29], 1.0
	v_fmac_f64_e32 v[28:29], v[28:29], v[32:33]
	v_mul_f64 v[32:33], v[30:31], v[28:29]
	v_fma_f64 v[24:25], -v[24:25], v[32:33], v[30:31]
	v_div_fmas_f64 v[24:25], v[24:25], v[28:29], v[32:33]
	v_div_fixup_f64 v[26:27], v[24:25], v[6:7], v[26:27]
	v_mov_b32_e32 v24, 0x7ff80000
	v_cndmask_b32_e64 v27, v27, v24, s[30:31]
	v_cndmask_b32_e64 v26, v26, 0, s[30:31]
	global_store_dwordx2 v[0:1], v[26:27], off offset:2048
	;; [unrolled: 35-line block ×3, first 2 shown]
	s_and_b64 exec, exec, s[16:17]
	s_cbranch_execz .LBB374_50
; %bb.41:
	v_div_scale_f64 v[24:25], s[16:17], v[6:7], v[6:7], v[22:23]
	v_rcp_f64_e32 v[26:27], v[24:25]
	v_div_scale_f64 v[28:29], vcc, v[22:23], v[6:7], v[22:23]
	v_fma_f64 v[30:31], -v[24:25], v[26:27], 1.0
	v_fmac_f64_e32 v[26:27], v[26:27], v[30:31]
	v_fma_f64 v[30:31], -v[24:25], v[26:27], 1.0
	v_fmac_f64_e32 v[26:27], v[26:27], v[30:31]
	v_mul_f64 v[30:31], v[28:29], v[26:27]
	v_fma_f64 v[24:25], -v[24:25], v[30:31], v[28:29]
	v_div_fmas_f64 v[24:25], v[24:25], v[26:27], v[30:31]
	v_div_fixup_f64 v[22:23], v[24:25], v[6:7], v[22:23]
	v_cndmask_b32_e64 v21, v23, v20, s[30:31]
	v_cndmask_b32_e64 v20, v22, 0, s[30:31]
	global_store_dwordx2 v[0:1], v[20:21], off offset:3584
	s_and_b64 exec, exec, s[14:15]
	s_cbranch_execz .LBB374_50
; %bb.42:
	v_div_scale_f64 v[20:21], s[14:15], v[6:7], v[6:7], v[18:19]
	v_rcp_f64_e32 v[22:23], v[20:21]
	v_div_scale_f64 v[24:25], vcc, v[18:19], v[6:7], v[18:19]
	v_fma_f64 v[26:27], -v[20:21], v[22:23], 1.0
	v_fmac_f64_e32 v[22:23], v[22:23], v[26:27]
	v_fma_f64 v[26:27], -v[20:21], v[22:23], 1.0
	v_fmac_f64_e32 v[22:23], v[22:23], v[26:27]
	v_mul_f64 v[26:27], v[24:25], v[22:23]
	v_fma_f64 v[20:21], -v[20:21], v[26:27], v[24:25]
	v_div_fmas_f64 v[20:21], v[20:21], v[22:23], v[26:27]
	v_div_fixup_f64 v[20:21], v[20:21], v[6:7], v[18:19]
	v_mov_b32_e32 v18, 0x7ff80000
	v_add_co_u32_e32 v22, vcc, 0x1000, v0
	v_cndmask_b32_e64 v21, v21, v18, s[30:31]
	v_cndmask_b32_e64 v20, v20, 0, s[30:31]
	v_addc_co_u32_e32 v23, vcc, 0, v1, vcc
	global_store_dwordx2 v[22:23], v[20:21], off
	s_and_b64 exec, exec, s[12:13]
	s_cbranch_execz .LBB374_50
; %bb.43:
	v_div_scale_f64 v[20:21], s[12:13], v[6:7], v[6:7], v[16:17]
	v_rcp_f64_e32 v[22:23], v[20:21]
	v_div_scale_f64 v[24:25], vcc, v[16:17], v[6:7], v[16:17]
	v_fma_f64 v[26:27], -v[20:21], v[22:23], 1.0
	v_fmac_f64_e32 v[22:23], v[22:23], v[26:27]
	v_fma_f64 v[26:27], -v[20:21], v[22:23], 1.0
	v_fmac_f64_e32 v[22:23], v[22:23], v[26:27]
	v_mul_f64 v[26:27], v[24:25], v[22:23]
	v_fma_f64 v[20:21], -v[20:21], v[26:27], v[24:25]
	v_div_fmas_f64 v[20:21], v[20:21], v[22:23], v[26:27]
	v_div_fixup_f64 v[16:17], v[20:21], v[6:7], v[16:17]
	v_cndmask_b32_e64 v17, v17, v18, s[30:31]
	v_add_co_u32_e32 v18, vcc, 0x1000, v0
	v_cndmask_b32_e64 v16, v16, 0, s[30:31]
	v_addc_co_u32_e32 v19, vcc, 0, v1, vcc
	global_store_dwordx2 v[18:19], v[16:17], off offset:512
	s_and_b64 exec, exec, s[10:11]
	s_cbranch_execz .LBB374_50
; %bb.44:
	v_div_scale_f64 v[16:17], s[10:11], v[6:7], v[6:7], v[14:15]
	v_rcp_f64_e32 v[18:19], v[16:17]
	v_div_scale_f64 v[20:21], vcc, v[14:15], v[6:7], v[14:15]
	v_fma_f64 v[22:23], -v[16:17], v[18:19], 1.0
	v_fmac_f64_e32 v[18:19], v[18:19], v[22:23]
	v_fma_f64 v[22:23], -v[16:17], v[18:19], 1.0
	v_fmac_f64_e32 v[18:19], v[18:19], v[22:23]
	v_mul_f64 v[22:23], v[20:21], v[18:19]
	v_fma_f64 v[16:17], -v[16:17], v[22:23], v[20:21]
	v_div_fmas_f64 v[16:17], v[16:17], v[18:19], v[22:23]
	v_div_fixup_f64 v[16:17], v[16:17], v[6:7], v[14:15]
	v_mov_b32_e32 v14, 0x7ff80000
	v_add_co_u32_e32 v18, vcc, 0x1000, v0
	v_cndmask_b32_e64 v17, v17, v14, s[30:31]
	v_cndmask_b32_e64 v16, v16, 0, s[30:31]
	v_addc_co_u32_e32 v19, vcc, 0, v1, vcc
	global_store_dwordx2 v[18:19], v[16:17], off offset:1024
	s_and_b64 exec, exec, s[8:9]
	s_cbranch_execz .LBB374_50
; %bb.45:
	v_div_scale_f64 v[16:17], s[8:9], v[6:7], v[6:7], v[12:13]
	v_rcp_f64_e32 v[18:19], v[16:17]
	v_div_scale_f64 v[20:21], vcc, v[12:13], v[6:7], v[12:13]
	v_fma_f64 v[22:23], -v[16:17], v[18:19], 1.0
	v_fmac_f64_e32 v[18:19], v[18:19], v[22:23]
	v_fma_f64 v[22:23], -v[16:17], v[18:19], 1.0
	v_fmac_f64_e32 v[18:19], v[18:19], v[22:23]
	v_mul_f64 v[22:23], v[20:21], v[18:19]
	v_fma_f64 v[16:17], -v[16:17], v[22:23], v[20:21]
	v_div_fmas_f64 v[16:17], v[16:17], v[18:19], v[22:23]
	v_div_fixup_f64 v[12:13], v[16:17], v[6:7], v[12:13]
	v_cndmask_b32_e64 v13, v13, v14, s[30:31]
	v_add_co_u32_e32 v14, vcc, 0x1000, v0
	v_cndmask_b32_e64 v12, v12, 0, s[30:31]
	v_addc_co_u32_e32 v15, vcc, 0, v1, vcc
	global_store_dwordx2 v[14:15], v[12:13], off offset:1536
	s_and_b64 exec, exec, s[6:7]
	s_cbranch_execz .LBB374_50
; %bb.46:
	v_div_scale_f64 v[12:13], s[6:7], v[6:7], v[6:7], v[10:11]
	v_rcp_f64_e32 v[14:15], v[12:13]
	v_div_scale_f64 v[16:17], vcc, v[10:11], v[6:7], v[10:11]
	v_fma_f64 v[18:19], -v[12:13], v[14:15], 1.0
	v_fmac_f64_e32 v[14:15], v[14:15], v[18:19]
	v_fma_f64 v[18:19], -v[12:13], v[14:15], 1.0
	v_fmac_f64_e32 v[14:15], v[14:15], v[18:19]
	v_mul_f64 v[18:19], v[16:17], v[14:15]
	v_fma_f64 v[12:13], -v[12:13], v[18:19], v[16:17]
	v_div_fmas_f64 v[12:13], v[12:13], v[14:15], v[18:19]
	v_div_fixup_f64 v[12:13], v[12:13], v[6:7], v[10:11]
	v_mov_b32_e32 v10, 0x7ff80000
	v_add_co_u32_e32 v14, vcc, 0x1000, v0
	v_cndmask_b32_e64 v13, v13, v10, s[30:31]
	v_cndmask_b32_e64 v12, v12, 0, s[30:31]
	v_addc_co_u32_e32 v15, vcc, 0, v1, vcc
	global_store_dwordx2 v[14:15], v[12:13], off offset:2048
	;; [unrolled: 39-line block ×3, first 2 shown]
	s_and_b64 exec, exec, s[0:1]
	s_cbranch_execz .LBB374_50
; %bb.49:
	v_div_scale_f64 v[8:9], s[0:1], v[6:7], v[6:7], v[2:3]
	v_rcp_f64_e32 v[10:11], v[8:9]
	v_div_scale_f64 v[12:13], vcc, v[2:3], v[6:7], v[2:3]
	v_fma_f64 v[14:15], -v[8:9], v[10:11], 1.0
	v_fmac_f64_e32 v[10:11], v[10:11], v[14:15]
	v_fma_f64 v[14:15], -v[8:9], v[10:11], 1.0
	v_fmac_f64_e32 v[10:11], v[10:11], v[14:15]
	v_mul_f64 v[14:15], v[12:13], v[10:11]
	v_fma_f64 v[8:9], -v[8:9], v[14:15], v[12:13]
	v_div_fmas_f64 v[8:9], v[8:9], v[10:11], v[14:15]
	v_div_fixup_f64 v[2:3], v[8:9], v[6:7], v[2:3]
	v_add_co_u32_e32 v0, vcc, 0x1000, v0
	v_cndmask_b32_e64 v3, v3, v4, s[30:31]
	v_cndmask_b32_e64 v2, v2, 0, s[30:31]
	v_addc_co_u32_e32 v1, vcc, 0, v1, vcc
	global_store_dwordx2 v[0:1], v[2:3], off offset:3584
.LBB374_50:
	s_endpgm
	.section	.rodata,"a",@progbits
	.p2align	6, 0x0
	.amdhsa_kernel _ZN12_GLOBAL__N_120softmax_warp_forwardIdddLi10ELb0ELb0ELi64EEEvPT0_PKT_iiiPKbib
		.amdhsa_group_segment_fixed_size 0
		.amdhsa_private_segment_fixed_size 0
		.amdhsa_kernarg_size 304
		.amdhsa_user_sgpr_count 6
		.amdhsa_user_sgpr_private_segment_buffer 1
		.amdhsa_user_sgpr_dispatch_ptr 0
		.amdhsa_user_sgpr_queue_ptr 0
		.amdhsa_user_sgpr_kernarg_segment_ptr 1
		.amdhsa_user_sgpr_dispatch_id 0
		.amdhsa_user_sgpr_flat_scratch_init 0
		.amdhsa_user_sgpr_kernarg_preload_length 0
		.amdhsa_user_sgpr_kernarg_preload_offset 0
		.amdhsa_user_sgpr_private_segment_size 0
		.amdhsa_uses_dynamic_stack 0
		.amdhsa_system_sgpr_private_segment_wavefront_offset 0
		.amdhsa_system_sgpr_workgroup_id_x 1
		.amdhsa_system_sgpr_workgroup_id_y 0
		.amdhsa_system_sgpr_workgroup_id_z 0
		.amdhsa_system_sgpr_workgroup_info 0
		.amdhsa_system_vgpr_workitem_id 1
		.amdhsa_next_free_vgpr 54
		.amdhsa_next_free_sgpr 66
		.amdhsa_accum_offset 56
		.amdhsa_reserve_vcc 1
		.amdhsa_reserve_flat_scratch 0
		.amdhsa_float_round_mode_32 0
		.amdhsa_float_round_mode_16_64 0
		.amdhsa_float_denorm_mode_32 3
		.amdhsa_float_denorm_mode_16_64 3
		.amdhsa_dx10_clamp 1
		.amdhsa_ieee_mode 1
		.amdhsa_fp16_overflow 0
		.amdhsa_tg_split 0
		.amdhsa_exception_fp_ieee_invalid_op 0
		.amdhsa_exception_fp_denorm_src 0
		.amdhsa_exception_fp_ieee_div_zero 0
		.amdhsa_exception_fp_ieee_overflow 0
		.amdhsa_exception_fp_ieee_underflow 0
		.amdhsa_exception_fp_ieee_inexact 0
		.amdhsa_exception_int_div_zero 0
	.end_amdhsa_kernel
	.section	.text._ZN12_GLOBAL__N_120softmax_warp_forwardIdddLi10ELb0ELb0ELi64EEEvPT0_PKT_iiiPKbib,"axG",@progbits,_ZN12_GLOBAL__N_120softmax_warp_forwardIdddLi10ELb0ELb0ELi64EEEvPT0_PKT_iiiPKbib,comdat
.Lfunc_end374:
	.size	_ZN12_GLOBAL__N_120softmax_warp_forwardIdddLi10ELb0ELb0ELi64EEEvPT0_PKT_iiiPKbib, .Lfunc_end374-_ZN12_GLOBAL__N_120softmax_warp_forwardIdddLi10ELb0ELb0ELi64EEEvPT0_PKT_iiiPKbib
                                        ; -- End function
	.section	.AMDGPU.csdata,"",@progbits
; Kernel info:
; codeLenInByte = 6560
; NumSgprs: 70
; NumVgprs: 54
; NumAgprs: 0
; TotalNumVgprs: 54
; ScratchSize: 0
; MemoryBound: 0
; FloatMode: 240
; IeeeMode: 1
; LDSByteSize: 0 bytes/workgroup (compile time only)
; SGPRBlocks: 8
; VGPRBlocks: 6
; NumSGPRsForWavesPerEU: 70
; NumVGPRsForWavesPerEU: 54
; AccumOffset: 56
; Occupancy: 8
; WaveLimiterHint : 0
; COMPUTE_PGM_RSRC2:SCRATCH_EN: 0
; COMPUTE_PGM_RSRC2:USER_SGPR: 6
; COMPUTE_PGM_RSRC2:TRAP_HANDLER: 0
; COMPUTE_PGM_RSRC2:TGID_X_EN: 1
; COMPUTE_PGM_RSRC2:TGID_Y_EN: 0
; COMPUTE_PGM_RSRC2:TGID_Z_EN: 0
; COMPUTE_PGM_RSRC2:TIDIG_COMP_CNT: 1
; COMPUTE_PGM_RSRC3_GFX90A:ACCUM_OFFSET: 13
; COMPUTE_PGM_RSRC3_GFX90A:TG_SPLIT: 0
	.section	.text._ZN12_GLOBAL__N_120softmax_warp_forwardIdddLi10ELb0ELb0ELi32EEEvPT0_PKT_iiiPKbib,"axG",@progbits,_ZN12_GLOBAL__N_120softmax_warp_forwardIdddLi10ELb0ELb0ELi32EEEvPT0_PKT_iiiPKbib,comdat
	.globl	_ZN12_GLOBAL__N_120softmax_warp_forwardIdddLi10ELb0ELb0ELi32EEEvPT0_PKT_iiiPKbib ; -- Begin function _ZN12_GLOBAL__N_120softmax_warp_forwardIdddLi10ELb0ELb0ELi32EEEvPT0_PKT_iiiPKbib
	.p2align	8
	.type	_ZN12_GLOBAL__N_120softmax_warp_forwardIdddLi10ELb0ELb0ELi32EEEvPT0_PKT_iiiPKbib,@function
_ZN12_GLOBAL__N_120softmax_warp_forwardIdddLi10ELb0ELb0ELi32EEEvPT0_PKT_iiiPKbib: ; @_ZN12_GLOBAL__N_120softmax_warp_forwardIdddLi10ELb0ELb0ELi32EEEvPT0_PKT_iiiPKbib
; %bb.0:
	s_load_dword s0, s[4:5], 0x3c
	s_load_dwordx8 s[68:75], s[4:5], 0x0
	v_bfe_u32 v1, v0, 10, 10
	v_and_b32_e32 v68, 0x3ff, v0
	v_mov_b32_e32 v10, 0
	s_waitcnt lgkmcnt(0)
	s_lshr_b32 s0, s0, 16
	s_mul_i32 s6, s6, s0
	v_add_u32_e32 v1, s6, v1
	v_sub_u32_e32 v72, s72, v1
	v_mad_u64_u32 v[0:1], s[0:1], v1, s73, v[68:69]
	v_ashrrev_i32_e32 v1, 31, v0
	v_lshlrev_b64 v[0:1], 3, v[0:1]
	v_mov_b32_e32 v2, s71
	v_add_co_u32_e32 v66, vcc, s70, v0
	v_cmp_lt_i32_e64 s[66:67], 0, v72
	v_cmp_gt_i32_e64 s[64:65], s74, v68
	v_mov_b32_e32 v11, 0xfff00000
	v_addc_co_u32_e32 v67, vcc, v2, v1, vcc
	s_and_b64 s[2:3], s[66:67], s[64:65]
	v_pk_mov_b32 v[8:9], v[10:11], v[10:11] op_sel:[0,1]
	s_and_saveexec_b64 s[0:1], s[2:3]
	s_cbranch_execz .LBB375_2
; %bb.1:
	global_load_dwordx2 v[8:9], v[66:67], off
.LBB375_2:
	s_or_b64 exec, exec, s[0:1]
	v_add_u32_e32 v2, 32, v68
	v_cmp_gt_i32_e64 s[62:63], s74, v2
	s_and_b64 s[2:3], s[66:67], s[62:63]
	s_and_saveexec_b64 s[0:1], s[2:3]
	s_cbranch_execz .LBB375_4
; %bb.3:
	global_load_dwordx2 v[10:11], v[66:67], off offset:256
.LBB375_4:
	s_or_b64 exec, exec, s[0:1]
	v_add_u32_e32 v2, 64, v68
	v_mov_b32_e32 v16, 0
	v_cmp_gt_i32_e64 s[60:61], s74, v2
	v_mov_b32_e32 v17, 0xfff00000
	s_and_b64 s[2:3], s[66:67], s[60:61]
	v_pk_mov_b32 v[12:13], v[16:17], v[16:17] op_sel:[0,1]
	s_and_saveexec_b64 s[0:1], s[2:3]
	s_cbranch_execz .LBB375_6
; %bb.5:
	global_load_dwordx2 v[12:13], v[66:67], off offset:512
.LBB375_6:
	s_or_b64 exec, exec, s[0:1]
	v_add_u32_e32 v2, 0x60, v68
	v_cmp_gt_i32_e64 s[58:59], s74, v2
	s_and_b64 s[2:3], s[66:67], s[58:59]
	s_and_saveexec_b64 s[0:1], s[2:3]
	s_cbranch_execz .LBB375_8
; %bb.7:
	global_load_dwordx2 v[16:17], v[66:67], off offset:768
.LBB375_8:
	s_or_b64 exec, exec, s[0:1]
	v_add_u32_e32 v2, 0x80, v68
	v_mov_b32_e32 v22, 0
	v_cmp_gt_i32_e64 s[56:57], s74, v2
	v_mov_b32_e32 v23, 0xfff00000
	s_and_b64 s[2:3], s[66:67], s[56:57]
	v_pk_mov_b32 v[18:19], v[22:23], v[22:23] op_sel:[0,1]
	s_and_saveexec_b64 s[0:1], s[2:3]
	s_cbranch_execz .LBB375_10
; %bb.9:
	global_load_dwordx2 v[18:19], v[66:67], off offset:1024
.LBB375_10:
	;; [unrolled: 21-line block ×7, first 2 shown]
	s_or_b64 exec, exec, s[0:1]
	v_add_u32_e32 v2, 0x1e0, v68
	v_cmp_gt_i32_e64 s[34:35], s74, v2
	s_and_b64 s[2:3], s[66:67], s[34:35]
	s_and_saveexec_b64 s[0:1], s[2:3]
	s_cbranch_execz .LBB375_32
; %bb.31:
	global_load_dwordx2 v[50:51], v[66:67], off offset:3840
.LBB375_32:
	s_or_b64 exec, exec, s[0:1]
	v_add_u32_e32 v2, 0x200, v68
	v_mov_b32_e32 v52, 0
	v_cmp_gt_i32_e64 s[30:31], s74, v2
	v_mov_b32_e32 v53, 0xfff00000
	s_and_b64 s[2:3], s[66:67], s[30:31]
	v_pk_mov_b32 v[54:55], v[52:53], v[52:53] op_sel:[0,1]
	s_and_saveexec_b64 s[0:1], s[2:3]
	s_cbranch_execz .LBB375_34
; %bb.33:
	v_add_co_u32_e32 v2, vcc, 0x1000, v66
	v_addc_co_u32_e32 v3, vcc, 0, v67, vcc
	global_load_dwordx2 v[54:55], v[2:3], off
.LBB375_34:
	s_or_b64 exec, exec, s[0:1]
	v_add_u32_e32 v2, 0x220, v68
	v_cmp_gt_i32_e64 s[28:29], s74, v2
	s_and_b64 s[2:3], s[66:67], s[28:29]
	s_and_saveexec_b64 s[0:1], s[2:3]
	s_cbranch_execz .LBB375_36
; %bb.35:
	v_add_co_u32_e32 v2, vcc, 0x1000, v66
	v_addc_co_u32_e32 v3, vcc, 0, v67, vcc
	global_load_dwordx2 v[52:53], v[2:3], off offset:256
.LBB375_36:
	s_or_b64 exec, exec, s[0:1]
	v_add_u32_e32 v2, 0x240, v68
	v_mov_b32_e32 v56, 0
	v_cmp_gt_i32_e64 s[26:27], s74, v2
	v_mov_b32_e32 v57, 0xfff00000
	s_and_b64 s[2:3], s[66:67], s[26:27]
	v_pk_mov_b32 v[58:59], v[56:57], v[56:57] op_sel:[0,1]
	s_and_saveexec_b64 s[0:1], s[2:3]
	s_cbranch_execz .LBB375_38
; %bb.37:
	v_add_co_u32_e32 v2, vcc, 0x1000, v66
	v_addc_co_u32_e32 v3, vcc, 0, v67, vcc
	global_load_dwordx2 v[58:59], v[2:3], off offset:512
.LBB375_38:
	s_or_b64 exec, exec, s[0:1]
	v_add_u32_e32 v2, 0x260, v68
	v_cmp_gt_i32_e64 s[24:25], s74, v2
	s_and_b64 s[2:3], s[66:67], s[24:25]
	s_and_saveexec_b64 s[0:1], s[2:3]
	s_cbranch_execz .LBB375_40
; %bb.39:
	v_add_co_u32_e32 v2, vcc, 0x1000, v66
	v_addc_co_u32_e32 v3, vcc, 0, v67, vcc
	global_load_dwordx2 v[56:57], v[2:3], off offset:768
.LBB375_40:
	s_or_b64 exec, exec, s[0:1]
	v_add_u32_e32 v2, 0x280, v68
	v_mov_b32_e32 v60, 0
	v_cmp_gt_i32_e64 s[22:23], s74, v2
	v_mov_b32_e32 v61, 0xfff00000
	s_and_b64 s[2:3], s[66:67], s[22:23]
	v_pk_mov_b32 v[62:63], v[60:61], v[60:61] op_sel:[0,1]
	s_and_saveexec_b64 s[0:1], s[2:3]
	s_cbranch_execz .LBB375_42
; %bb.41:
	v_add_co_u32_e32 v2, vcc, 0x1000, v66
	v_addc_co_u32_e32 v3, vcc, 0, v67, vcc
	global_load_dwordx2 v[62:63], v[2:3], off offset:1024
.LBB375_42:
	;; [unrolled: 25-line block ×6, first 2 shown]
	s_or_b64 exec, exec, s[0:1]
	v_add_u32_e32 v2, 0x3a0, v68
	v_cmp_gt_i32_e64 s[4:5], s74, v2
	s_and_b64 s[2:3], s[66:67], s[4:5]
	s_and_saveexec_b64 s[0:1], s[2:3]
	s_cbranch_execz .LBB375_60
; %bb.59:
	v_add_co_u32_e32 v2, vcc, 0x1000, v66
	v_addc_co_u32_e32 v3, vcc, 0, v67, vcc
	global_load_dwordx2 v[4:5], v[2:3], off offset:3328
.LBB375_60:
	s_or_b64 exec, exec, s[0:1]
	v_add_u32_e32 v2, 0x3c0, v68
	v_cmp_gt_i32_e64 s[2:3], s74, v2
	v_mov_b32_e32 v2, 0
	v_mov_b32_e32 v3, 0xfff00000
	s_and_b64 s[70:71], s[66:67], s[2:3]
	v_pk_mov_b32 v[6:7], v[2:3], v[2:3] op_sel:[0,1]
	s_and_saveexec_b64 s[0:1], s[70:71]
	s_cbranch_execz .LBB375_62
; %bb.61:
	v_add_co_u32_e32 v6, vcc, 0x1000, v66
	v_addc_co_u32_e32 v7, vcc, 0, v67, vcc
	global_load_dwordx2 v[6:7], v[6:7], off offset:3584
.LBB375_62:
	s_or_b64 exec, exec, s[0:1]
	v_add_u32_e32 v68, 0x3e0, v68
	v_cmp_gt_i32_e64 s[0:1], s74, v68
                                        ; implicit-def: $vgpr84 : SGPR spill to VGPR lane
	v_writelane_b32 v84, s0, 0
	s_and_b64 s[66:67], s[66:67], s[0:1]
	v_writelane_b32 v84, s1, 1
	s_and_saveexec_b64 s[0:1], s[66:67]
	s_cbranch_execz .LBB375_64
; %bb.63:
	v_add_co_u32_e32 v2, vcc, 0x1000, v66
	v_addc_co_u32_e32 v3, vcc, 0, v67, vcc
	global_load_dwordx2 v[2:3], v[2:3], off offset:3840
.LBB375_64:
	s_or_b64 exec, exec, s[0:1]
	s_waitcnt vmcnt(0)
	v_cmp_gt_f64_e32 vcc, v[8:9], v[10:11]
	v_cndmask_b32_e32 v67, v11, v9, vcc
	v_cndmask_b32_e32 v66, v10, v8, vcc
	v_cmp_gt_f64_e32 vcc, v[66:67], v[12:13]
	v_cndmask_b32_e32 v67, v13, v67, vcc
	v_cndmask_b32_e32 v66, v12, v66, vcc
	;; [unrolled: 3-line block ×29, first 2 shown]
	v_mbcnt_lo_u32_b32 v68, -1, 0
	v_cmp_gt_f64_e32 vcc, v[66:67], v[6:7]
	v_mbcnt_hi_u32_b32 v70, -1, v68
	v_cndmask_b32_e32 v67, v7, v67, vcc
	v_cndmask_b32_e32 v66, v6, v66, vcc
	v_and_b32_e32 v68, 0x60, v70
	v_cmp_gt_f64_e32 vcc, v[66:67], v[2:3]
	v_add_u32_e32 v71, 32, v68
	v_xor_b32_e32 v68, 16, v70
	v_cndmask_b32_e32 v67, v3, v67, vcc
	v_cndmask_b32_e32 v66, v2, v66, vcc
	v_cmp_lt_i32_e32 vcc, v68, v71
	v_cndmask_b32_e32 v68, v70, v68, vcc
	v_lshlrev_b32_e32 v73, 2, v68
	ds_bpermute_b32 v68, v73, v66
	ds_bpermute_b32 v69, v73, v67
	s_mov_b32 s70, 0x652b82fe
	s_mov_b32 s71, 0x3ff71547
	s_mov_b32 s72, 0xfefa39ef
	s_mov_b32 s73, 0xbfe62e42
	s_waitcnt lgkmcnt(0)
	v_cmp_lt_f64_e32 vcc, v[66:67], v[68:69]
	v_cndmask_b32_e32 v66, v66, v68, vcc
	v_xor_b32_e32 v68, 8, v70
	v_cndmask_b32_e32 v67, v67, v69, vcc
	v_cmp_lt_i32_e32 vcc, v68, v71
	v_cndmask_b32_e32 v68, v70, v68, vcc
	v_lshlrev_b32_e32 v74, 2, v68
	ds_bpermute_b32 v68, v74, v66
	ds_bpermute_b32 v69, v74, v67
	s_mov_b32 s74, 0x3b39803f
	s_mov_b32 s0, 0xfca7ab0c
	s_mov_b32 s75, 0xbc7abc9e
	s_mov_b32 s1, 0x3e928af3
	s_waitcnt lgkmcnt(0)
	v_cmp_lt_f64_e32 vcc, v[66:67], v[68:69]
	v_cndmask_b32_e32 v66, v66, v68, vcc
	v_xor_b32_e32 v68, 4, v70
	;; [unrolled: 14-line block ×4, first 2 shown]
	v_cndmask_b32_e32 v67, v67, v69, vcc
	v_cmp_lt_i32_e32 vcc, v68, v71
	v_cndmask_b32_e32 v68, v70, v68, vcc
	v_lshlrev_b32_e32 v77, 2, v68
	ds_bpermute_b32 v68, v77, v66
	ds_bpermute_b32 v69, v77, v67
	v_pk_mov_b32 v[70:71], s[0:1], s[0:1] op_sel:[0,1]
	s_mov_b32 s84, 0x1852b7b0
	s_mov_b32 s85, 0x3f56c16c
	;; [unrolled: 1-line block ×3, first 2 shown]
	s_waitcnt lgkmcnt(0)
	v_cmp_lt_f64_e32 vcc, v[66:67], v[68:69]
	v_cndmask_b32_e32 v69, v67, v69, vcc
	v_cndmask_b32_e32 v68, v66, v68, vcc
	v_add_f64 v[8:9], v[8:9], -v[68:69]
	v_mul_f64 v[66:67], v[8:9], s[70:71]
	v_rndne_f64_e32 v[66:67], v[66:67]
	v_fma_f64 v[78:79], s[72:73], v[66:67], v[8:9]
	v_fmac_f64_e32 v[78:79], s[74:75], v[66:67]
	v_fma_f64 v[80:81], s[76:77], v[78:79], v[70:71]
	v_fma_f64 v[80:81], v[78:79], v[80:81], s[78:79]
	;; [unrolled: 1-line block ×5, first 2 shown]
	s_mov_b32 s87, 0x3f811111
	s_mov_b32 s88, 0x555502a1
	v_fma_f64 v[80:81], v[78:79], v[80:81], s[86:87]
	s_mov_b32 s89, 0x3fa55555
	s_mov_b32 s90, 0x55555511
	v_fma_f64 v[80:81], v[78:79], v[80:81], s[88:89]
	;; [unrolled: 3-line block ×3, first 2 shown]
	s_mov_b32 s93, 0x3fe00000
	v_fma_f64 v[80:81], v[78:79], v[80:81], s[92:93]
	v_fma_f64 v[80:81], v[78:79], v[80:81], 1.0
	s_mov_b32 s94, 0
	s_mov_b32 s0, 0
	v_fma_f64 v[78:79], v[78:79], v[80:81], 1.0
	v_cvt_i32_f64_e32 v66, v[66:67]
	s_mov_b32 s95, 0x40900000
	s_mov_b32 s1, 0xc090cc00
	v_ldexp_f64 v[66:67], v[78:79], v66
	v_mov_b32_e32 v78, 0x7ff00000
	v_cmp_nlt_f64_e32 vcc, s[94:95], v[8:9]
	v_cmp_ngt_f64_e64 s[66:67], s[0:1], v[8:9]
	v_cndmask_b32_e32 v67, v78, v67, vcc
	s_and_b64 vcc, s[66:67], vcc
	v_add_f64 v[10:11], v[10:11], -v[68:69]
	v_cndmask_b32_e64 v9, 0, v67, s[66:67]
	v_cndmask_b32_e32 v8, 0, v66, vcc
	v_mul_f64 v[66:67], v[10:11], s[70:71]
	v_rndne_f64_e32 v[66:67], v[66:67]
	v_fma_f64 v[80:81], s[72:73], v[66:67], v[10:11]
	v_fmac_f64_e32 v[80:81], s[74:75], v[66:67]
	v_fma_f64 v[82:83], s[76:77], v[80:81], v[70:71]
	v_fma_f64 v[82:83], v[80:81], v[82:83], s[78:79]
	v_fma_f64 v[82:83], v[80:81], v[82:83], s[80:81]
	v_fma_f64 v[82:83], v[80:81], v[82:83], s[82:83]
	v_fma_f64 v[82:83], v[80:81], v[82:83], s[84:85]
	v_fma_f64 v[82:83], v[80:81], v[82:83], s[86:87]
	v_fma_f64 v[82:83], v[80:81], v[82:83], s[88:89]
	v_fma_f64 v[82:83], v[80:81], v[82:83], s[90:91]
	v_fma_f64 v[82:83], v[80:81], v[82:83], s[92:93]
	v_fma_f64 v[82:83], v[80:81], v[82:83], 1.0
	v_fma_f64 v[80:81], v[80:81], v[82:83], 1.0
	v_cvt_i32_f64_e32 v66, v[66:67]
	v_ldexp_f64 v[66:67], v[80:81], v66
	v_cmp_nlt_f64_e32 vcc, s[94:95], v[10:11]
	v_cmp_ngt_f64_e64 s[66:67], s[0:1], v[10:11]
	v_cndmask_b32_e32 v67, v78, v67, vcc
	s_and_b64 vcc, s[66:67], vcc
	v_add_f64 v[12:13], v[12:13], -v[68:69]
	v_cndmask_b32_e64 v11, 0, v67, s[66:67]
	v_cndmask_b32_e32 v10, 0, v66, vcc
	v_mul_f64 v[66:67], v[12:13], s[70:71]
	v_rndne_f64_e32 v[66:67], v[66:67]
	v_fma_f64 v[80:81], s[72:73], v[66:67], v[12:13]
	v_fmac_f64_e32 v[80:81], s[74:75], v[66:67]
	v_fma_f64 v[82:83], s[76:77], v[80:81], v[70:71]
	v_fma_f64 v[82:83], v[80:81], v[82:83], s[78:79]
	v_fma_f64 v[82:83], v[80:81], v[82:83], s[80:81]
	v_fma_f64 v[82:83], v[80:81], v[82:83], s[82:83]
	v_fma_f64 v[82:83], v[80:81], v[82:83], s[84:85]
	v_fma_f64 v[82:83], v[80:81], v[82:83], s[86:87]
	v_fma_f64 v[82:83], v[80:81], v[82:83], s[88:89]
	v_fma_f64 v[82:83], v[80:81], v[82:83], s[90:91]
	v_fma_f64 v[82:83], v[80:81], v[82:83], s[92:93]
	v_fma_f64 v[82:83], v[80:81], v[82:83], 1.0
	v_fma_f64 v[80:81], v[80:81], v[82:83], 1.0
	v_cvt_i32_f64_e32 v66, v[66:67]
	v_ldexp_f64 v[66:67], v[80:81], v66
	;; [unrolled: 24-line block ×27, first 2 shown]
	v_cmp_nlt_f64_e32 vcc, s[94:95], v[14:15]
	v_cmp_ngt_f64_e64 s[66:67], s[0:1], v[14:15]
	v_cndmask_b32_e32 v67, v78, v67, vcc
	s_and_b64 vcc, s[66:67], vcc
	v_add_f64 v[20:21], v[20:21], -v[68:69]
	v_cndmask_b32_e64 v15, 0, v67, s[66:67]
	v_cndmask_b32_e32 v14, 0, v66, vcc
	v_mul_f64 v[66:67], v[20:21], s[70:71]
	v_rndne_f64_e32 v[66:67], v[66:67]
	v_fma_f64 v[80:81], s[72:73], v[66:67], v[20:21]
	v_fmac_f64_e32 v[80:81], s[74:75], v[66:67]
	v_fma_f64 v[82:83], s[76:77], v[80:81], v[70:71]
	v_fma_f64 v[82:83], v[80:81], v[82:83], s[78:79]
	;; [unrolled: 1-line block ×9, first 2 shown]
	v_add_f64 v[4:5], v[4:5], -v[68:69]
	v_fma_f64 v[82:83], v[80:81], v[82:83], 1.0
	v_cmp_nlt_f64_e32 vcc, s[94:95], v[20:21]
	v_cmp_ngt_f64_e64 s[66:67], s[0:1], v[20:21]
	v_mul_f64 v[20:21], v[4:5], s[70:71]
	v_fma_f64 v[80:81], v[80:81], v[82:83], 1.0
	v_cvt_i32_f64_e32 v66, v[66:67]
	v_rndne_f64_e32 v[20:21], v[20:21]
	v_ldexp_f64 v[66:67], v[80:81], v66
	v_fma_f64 v[80:81], s[72:73], v[20:21], v[4:5]
	v_fmac_f64_e32 v[80:81], s[74:75], v[20:21]
	v_fma_f64 v[82:83], s[76:77], v[80:81], v[70:71]
	v_fma_f64 v[82:83], v[80:81], v[82:83], s[78:79]
	;; [unrolled: 1-line block ×7, first 2 shown]
	v_cndmask_b32_e32 v67, v78, v67, vcc
	s_and_b64 vcc, s[66:67], vcc
	v_fma_f64 v[82:83], v[80:81], v[82:83], s[90:91]
	v_cndmask_b32_e64 v67, 0, v67, s[66:67]
	v_cndmask_b32_e32 v66, 0, v66, vcc
	v_fma_f64 v[82:83], v[80:81], v[82:83], s[92:93]
	v_cmp_nlt_f64_e32 vcc, s[94:95], v[4:5]
	v_cmp_ngt_f64_e64 s[66:67], s[0:1], v[4:5]
	v_add_f64 v[4:5], v[6:7], -v[68:69]
	v_fma_f64 v[82:83], v[80:81], v[82:83], 1.0
	v_mul_f64 v[6:7], v[4:5], s[70:71]
	v_fma_f64 v[80:81], v[80:81], v[82:83], 1.0
	v_cvt_i32_f64_e32 v20, v[20:21]
	v_rndne_f64_e32 v[6:7], v[6:7]
	v_ldexp_f64 v[20:21], v[80:81], v20
	v_fma_f64 v[80:81], s[72:73], v[6:7], v[4:5]
	v_fmac_f64_e32 v[80:81], s[74:75], v[6:7]
	v_fma_f64 v[82:83], s[76:77], v[80:81], v[70:71]
	v_fma_f64 v[82:83], v[80:81], v[82:83], s[78:79]
	;; [unrolled: 1-line block ×9, first 2 shown]
	v_fma_f64 v[82:83], v[80:81], v[82:83], 1.0
	v_cndmask_b32_e32 v21, v78, v21, vcc
	s_and_b64 vcc, s[66:67], vcc
	v_fma_f64 v[80:81], v[80:81], v[82:83], 1.0
	v_cvt_i32_f64_e32 v6, v[6:7]
	v_cndmask_b32_e64 v21, 0, v21, s[66:67]
	v_cndmask_b32_e32 v20, 0, v20, vcc
	v_ldexp_f64 v[6:7], v[80:81], v6
	v_cmp_nlt_f64_e32 vcc, s[94:95], v[4:5]
	v_cmp_ngt_f64_e64 s[66:67], s[0:1], v[4:5]
	v_cndmask_b32_e32 v7, v78, v7, vcc
	s_and_b64 vcc, s[66:67], vcc
	v_cndmask_b32_e64 v5, 0, v7, s[66:67]
	v_cndmask_b32_e32 v4, 0, v6, vcc
	v_add_f64 v[6:7], v[2:3], -v[68:69]
	v_mul_f64 v[2:3], v[6:7], s[70:71]
	v_rndne_f64_e32 v[2:3], v[2:3]
	v_fma_f64 v[68:69], s[72:73], v[2:3], v[6:7]
	v_cmp_nlt_f64_e32 vcc, s[94:95], v[6:7]
	v_cmp_ngt_f64_e64 s[66:67], s[0:1], v[6:7]
	v_add_f64 v[6:7], v[8:9], 0
	v_add_f64 v[6:7], v[6:7], v[10:11]
	;; [unrolled: 1-line block ×16, first 2 shown]
	v_fmac_f64_e32 v[68:69], s[74:75], v[2:3]
	v_add_f64 v[6:7], v[6:7], v[54:55]
	v_fmac_f64_e32 v[70:71], s[76:77], v[68:69]
	v_add_f64 v[6:7], v[6:7], v[52:53]
	v_fma_f64 v[70:71], v[68:69], v[70:71], s[78:79]
	v_add_f64 v[6:7], v[6:7], v[58:59]
	v_fma_f64 v[70:71], v[68:69], v[70:71], s[80:81]
	;; [unrolled: 2-line block ×8, first 2 shown]
	v_add_f64 v[6:7], v[6:7], v[28:29]
	v_fma_f64 v[70:71], v[68:69], v[70:71], 1.0
	v_add_f64 v[6:7], v[6:7], v[32:33]
	v_fma_f64 v[68:69], v[68:69], v[70:71], 1.0
	v_cvt_i32_f64_e32 v2, v[2:3]
	v_add_f64 v[6:7], v[6:7], v[14:15]
	v_ldexp_f64 v[2:3], v[68:69], v2
	v_add_f64 v[6:7], v[6:7], v[66:67]
	v_cndmask_b32_e32 v3, v78, v3, vcc
	s_and_b64 vcc, s[66:67], vcc
	v_add_f64 v[6:7], v[6:7], v[20:21]
	v_cndmask_b32_e64 v3, 0, v3, s[66:67]
	v_cndmask_b32_e32 v2, 0, v2, vcc
	v_add_f64 v[6:7], v[6:7], v[4:5]
	v_add_f64 v[6:7], v[6:7], v[2:3]
	ds_bpermute_b32 v68, v73, v6
	ds_bpermute_b32 v69, v73, v7
	v_cmp_lt_i32_e32 vcc, 0, v72
	s_waitcnt lgkmcnt(0)
	v_add_f64 v[6:7], v[6:7], v[68:69]
	ds_bpermute_b32 v68, v74, v6
	ds_bpermute_b32 v69, v74, v7
	s_waitcnt lgkmcnt(0)
	v_add_f64 v[6:7], v[6:7], v[68:69]
	ds_bpermute_b32 v68, v75, v6
	ds_bpermute_b32 v69, v75, v7
	;; [unrolled: 4-line block ×4, first 2 shown]
	s_and_saveexec_b64 s[0:1], vcc
	s_cbranch_execz .LBB375_98
; %bb.65:
	s_and_b64 exec, exec, s[64:65]
	s_cbranch_execz .LBB375_98
; %bb.66:
	s_waitcnt lgkmcnt(0)
	v_add_f64 v[6:7], v[6:7], v[68:69]
	v_div_scale_f64 v[68:69], s[0:1], v[6:7], v[6:7], v[8:9]
	v_rcp_f64_e32 v[70:71], v[68:69]
	v_mov_b32_e32 v72, s69
	v_add_co_u32_e32 v0, vcc, s68, v0
	v_addc_co_u32_e32 v1, vcc, v72, v1, vcc
	v_fma_f64 v[72:73], -v[68:69], v[70:71], 1.0
	v_fmac_f64_e32 v[70:71], v[70:71], v[72:73]
	v_fma_f64 v[72:73], -v[68:69], v[70:71], 1.0
	v_fmac_f64_e32 v[70:71], v[70:71], v[72:73]
	v_div_scale_f64 v[72:73], vcc, v[8:9], v[6:7], v[8:9]
	v_mul_f64 v[74:75], v[72:73], v[70:71]
	v_fma_f64 v[68:69], -v[68:69], v[74:75], v[72:73]
	v_cmp_eq_f64_e64 s[64:65], 0, v[6:7]
	s_nop 0
	v_div_fmas_f64 v[68:69], v[68:69], v[70:71], v[74:75]
	v_div_fixup_f64 v[68:69], v[68:69], v[6:7], v[8:9]
	v_mov_b32_e32 v8, 0x7ff80000
	v_cndmask_b32_e64 v69, v69, v8, s[64:65]
	v_cndmask_b32_e64 v68, v68, 0, s[64:65]
	global_store_dwordx2 v[0:1], v[68:69], off
	s_and_b64 exec, exec, s[62:63]
	s_cbranch_execz .LBB375_98
; %bb.67:
	v_div_scale_f64 v[68:69], s[0:1], v[6:7], v[6:7], v[10:11]
	v_rcp_f64_e32 v[70:71], v[68:69]
	v_div_scale_f64 v[72:73], vcc, v[10:11], v[6:7], v[10:11]
	v_fma_f64 v[74:75], -v[68:69], v[70:71], 1.0
	v_fmac_f64_e32 v[70:71], v[70:71], v[74:75]
	v_fma_f64 v[74:75], -v[68:69], v[70:71], 1.0
	v_fmac_f64_e32 v[70:71], v[70:71], v[74:75]
	v_mul_f64 v[74:75], v[72:73], v[70:71]
	v_fma_f64 v[68:69], -v[68:69], v[74:75], v[72:73]
	v_div_fmas_f64 v[68:69], v[68:69], v[70:71], v[74:75]
	v_div_fixup_f64 v[10:11], v[68:69], v[6:7], v[10:11]
	v_cndmask_b32_e64 v9, v11, v8, s[64:65]
	v_cndmask_b32_e64 v8, v10, 0, s[64:65]
	global_store_dwordx2 v[0:1], v[8:9], off offset:256
	s_and_b64 exec, exec, s[60:61]
	s_cbranch_execz .LBB375_98
; %bb.68:
	v_div_scale_f64 v[8:9], s[0:1], v[6:7], v[6:7], v[12:13]
	v_rcp_f64_e32 v[10:11], v[8:9]
	v_div_scale_f64 v[68:69], vcc, v[12:13], v[6:7], v[12:13]
	v_fma_f64 v[70:71], -v[8:9], v[10:11], 1.0
	v_fmac_f64_e32 v[10:11], v[10:11], v[70:71]
	v_fma_f64 v[70:71], -v[8:9], v[10:11], 1.0
	v_fmac_f64_e32 v[10:11], v[10:11], v[70:71]
	v_mul_f64 v[70:71], v[68:69], v[10:11]
	v_fma_f64 v[8:9], -v[8:9], v[70:71], v[68:69]
	v_div_fmas_f64 v[8:9], v[8:9], v[10:11], v[70:71]
	v_div_fixup_f64 v[10:11], v[8:9], v[6:7], v[12:13]
	v_mov_b32_e32 v8, 0x7ff80000
	v_cndmask_b32_e64 v11, v11, v8, s[64:65]
	v_cndmask_b32_e64 v10, v10, 0, s[64:65]
	global_store_dwordx2 v[0:1], v[10:11], off offset:512
	s_and_b64 exec, exec, s[58:59]
	s_cbranch_execz .LBB375_98
; %bb.69:
	v_div_scale_f64 v[10:11], s[0:1], v[6:7], v[6:7], v[16:17]
	v_rcp_f64_e32 v[12:13], v[10:11]
	v_div_scale_f64 v[68:69], vcc, v[16:17], v[6:7], v[16:17]
	v_fma_f64 v[70:71], -v[10:11], v[12:13], 1.0
	v_fmac_f64_e32 v[12:13], v[12:13], v[70:71]
	v_fma_f64 v[70:71], -v[10:11], v[12:13], 1.0
	v_fmac_f64_e32 v[12:13], v[12:13], v[70:71]
	v_mul_f64 v[70:71], v[68:69], v[12:13]
	v_fma_f64 v[10:11], -v[10:11], v[70:71], v[68:69]
	v_div_fmas_f64 v[10:11], v[10:11], v[12:13], v[70:71]
	v_div_fixup_f64 v[10:11], v[10:11], v[6:7], v[16:17]
	v_cndmask_b32_e64 v9, v11, v8, s[64:65]
	v_cndmask_b32_e64 v8, v10, 0, s[64:65]
	global_store_dwordx2 v[0:1], v[8:9], off offset:768
	s_and_b64 exec, exec, s[56:57]
	s_cbranch_execz .LBB375_98
; %bb.70:
	v_div_scale_f64 v[8:9], s[0:1], v[6:7], v[6:7], v[18:19]
	v_rcp_f64_e32 v[10:11], v[8:9]
	v_div_scale_f64 v[12:13], vcc, v[18:19], v[6:7], v[18:19]
	v_fma_f64 v[16:17], -v[8:9], v[10:11], 1.0
	v_fmac_f64_e32 v[10:11], v[10:11], v[16:17]
	v_fma_f64 v[16:17], -v[8:9], v[10:11], 1.0
	v_fmac_f64_e32 v[10:11], v[10:11], v[16:17]
	v_mul_f64 v[16:17], v[12:13], v[10:11]
	v_fma_f64 v[8:9], -v[8:9], v[16:17], v[12:13]
	v_div_fmas_f64 v[8:9], v[8:9], v[10:11], v[16:17]
	v_div_fixup_f64 v[10:11], v[8:9], v[6:7], v[18:19]
	v_mov_b32_e32 v8, 0x7ff80000
	v_cndmask_b32_e64 v11, v11, v8, s[64:65]
	v_cndmask_b32_e64 v10, v10, 0, s[64:65]
	global_store_dwordx2 v[0:1], v[10:11], off offset:1024
	s_and_b64 exec, exec, s[54:55]
	s_cbranch_execz .LBB375_98
; %bb.71:
	v_div_scale_f64 v[10:11], s[0:1], v[6:7], v[6:7], v[22:23]
	v_rcp_f64_e32 v[12:13], v[10:11]
	v_div_scale_f64 v[16:17], vcc, v[22:23], v[6:7], v[22:23]
	v_fma_f64 v[18:19], -v[10:11], v[12:13], 1.0
	v_fmac_f64_e32 v[12:13], v[12:13], v[18:19]
	v_fma_f64 v[18:19], -v[10:11], v[12:13], 1.0
	v_fmac_f64_e32 v[12:13], v[12:13], v[18:19]
	v_mul_f64 v[18:19], v[16:17], v[12:13]
	v_fma_f64 v[10:11], -v[10:11], v[18:19], v[16:17]
	v_div_fmas_f64 v[10:11], v[10:11], v[12:13], v[18:19]
	v_div_fixup_f64 v[10:11], v[10:11], v[6:7], v[22:23]
	v_cndmask_b32_e64 v9, v11, v8, s[64:65]
	v_cndmask_b32_e64 v8, v10, 0, s[64:65]
	global_store_dwordx2 v[0:1], v[8:9], off offset:1280
	s_and_b64 exec, exec, s[52:53]
	s_cbranch_execz .LBB375_98
; %bb.72:
	v_div_scale_f64 v[8:9], s[0:1], v[6:7], v[6:7], v[24:25]
	v_rcp_f64_e32 v[10:11], v[8:9]
	v_div_scale_f64 v[12:13], vcc, v[24:25], v[6:7], v[24:25]
	v_fma_f64 v[16:17], -v[8:9], v[10:11], 1.0
	v_fmac_f64_e32 v[10:11], v[10:11], v[16:17]
	v_fma_f64 v[16:17], -v[8:9], v[10:11], 1.0
	v_fmac_f64_e32 v[10:11], v[10:11], v[16:17]
	v_mul_f64 v[16:17], v[12:13], v[10:11]
	v_fma_f64 v[8:9], -v[8:9], v[16:17], v[12:13]
	v_div_fmas_f64 v[8:9], v[8:9], v[10:11], v[16:17]
	v_div_fixup_f64 v[10:11], v[8:9], v[6:7], v[24:25]
	v_mov_b32_e32 v8, 0x7ff80000
	v_cndmask_b32_e64 v11, v11, v8, s[64:65]
	v_cndmask_b32_e64 v10, v10, 0, s[64:65]
	global_store_dwordx2 v[0:1], v[10:11], off offset:1536
	s_and_b64 exec, exec, s[50:51]
	s_cbranch_execz .LBB375_98
; %bb.73:
	v_div_scale_f64 v[10:11], s[0:1], v[6:7], v[6:7], v[26:27]
	v_rcp_f64_e32 v[12:13], v[10:11]
	v_div_scale_f64 v[16:17], vcc, v[26:27], v[6:7], v[26:27]
	v_fma_f64 v[18:19], -v[10:11], v[12:13], 1.0
	v_fmac_f64_e32 v[12:13], v[12:13], v[18:19]
	v_fma_f64 v[18:19], -v[10:11], v[12:13], 1.0
	v_fmac_f64_e32 v[12:13], v[12:13], v[18:19]
	v_mul_f64 v[18:19], v[16:17], v[12:13]
	v_fma_f64 v[10:11], -v[10:11], v[18:19], v[16:17]
	v_div_fmas_f64 v[10:11], v[10:11], v[12:13], v[18:19]
	v_div_fixup_f64 v[10:11], v[10:11], v[6:7], v[26:27]
	v_cndmask_b32_e64 v9, v11, v8, s[64:65]
	v_cndmask_b32_e64 v8, v10, 0, s[64:65]
	global_store_dwordx2 v[0:1], v[8:9], off offset:1792
	s_and_b64 exec, exec, s[48:49]
	s_cbranch_execz .LBB375_98
; %bb.74:
	v_div_scale_f64 v[8:9], s[0:1], v[6:7], v[6:7], v[30:31]
	v_rcp_f64_e32 v[10:11], v[8:9]
	v_div_scale_f64 v[12:13], vcc, v[30:31], v[6:7], v[30:31]
	v_fma_f64 v[16:17], -v[8:9], v[10:11], 1.0
	v_fmac_f64_e32 v[10:11], v[10:11], v[16:17]
	v_fma_f64 v[16:17], -v[8:9], v[10:11], 1.0
	v_fmac_f64_e32 v[10:11], v[10:11], v[16:17]
	v_mul_f64 v[16:17], v[12:13], v[10:11]
	v_fma_f64 v[8:9], -v[8:9], v[16:17], v[12:13]
	v_div_fmas_f64 v[8:9], v[8:9], v[10:11], v[16:17]
	v_div_fixup_f64 v[10:11], v[8:9], v[6:7], v[30:31]
	v_mov_b32_e32 v8, 0x7ff80000
	v_cndmask_b32_e64 v11, v11, v8, s[64:65]
	v_cndmask_b32_e64 v10, v10, 0, s[64:65]
	global_store_dwordx2 v[0:1], v[10:11], off offset:2048
	s_and_b64 exec, exec, s[46:47]
	s_cbranch_execz .LBB375_98
; %bb.75:
	v_div_scale_f64 v[10:11], s[0:1], v[6:7], v[6:7], v[34:35]
	v_rcp_f64_e32 v[12:13], v[10:11]
	v_div_scale_f64 v[16:17], vcc, v[34:35], v[6:7], v[34:35]
	v_fma_f64 v[18:19], -v[10:11], v[12:13], 1.0
	v_fmac_f64_e32 v[12:13], v[12:13], v[18:19]
	v_fma_f64 v[18:19], -v[10:11], v[12:13], 1.0
	v_fmac_f64_e32 v[12:13], v[12:13], v[18:19]
	v_mul_f64 v[18:19], v[16:17], v[12:13]
	v_fma_f64 v[10:11], -v[10:11], v[18:19], v[16:17]
	v_div_fmas_f64 v[10:11], v[10:11], v[12:13], v[18:19]
	v_div_fixup_f64 v[10:11], v[10:11], v[6:7], v[34:35]
	v_cndmask_b32_e64 v9, v11, v8, s[64:65]
	v_cndmask_b32_e64 v8, v10, 0, s[64:65]
	global_store_dwordx2 v[0:1], v[8:9], off offset:2304
	s_and_b64 exec, exec, s[44:45]
	s_cbranch_execz .LBB375_98
; %bb.76:
	v_div_scale_f64 v[8:9], s[0:1], v[6:7], v[6:7], v[36:37]
	v_rcp_f64_e32 v[10:11], v[8:9]
	v_div_scale_f64 v[12:13], vcc, v[36:37], v[6:7], v[36:37]
	v_fma_f64 v[16:17], -v[8:9], v[10:11], 1.0
	v_fmac_f64_e32 v[10:11], v[10:11], v[16:17]
	v_fma_f64 v[16:17], -v[8:9], v[10:11], 1.0
	v_fmac_f64_e32 v[10:11], v[10:11], v[16:17]
	v_mul_f64 v[16:17], v[12:13], v[10:11]
	v_fma_f64 v[8:9], -v[8:9], v[16:17], v[12:13]
	v_div_fmas_f64 v[8:9], v[8:9], v[10:11], v[16:17]
	v_div_fixup_f64 v[10:11], v[8:9], v[6:7], v[36:37]
	v_mov_b32_e32 v8, 0x7ff80000
	v_cndmask_b32_e64 v11, v11, v8, s[64:65]
	v_cndmask_b32_e64 v10, v10, 0, s[64:65]
	global_store_dwordx2 v[0:1], v[10:11], off offset:2560
	s_and_b64 exec, exec, s[42:43]
	s_cbranch_execz .LBB375_98
; %bb.77:
	v_div_scale_f64 v[10:11], s[0:1], v[6:7], v[6:7], v[38:39]
	v_rcp_f64_e32 v[12:13], v[10:11]
	v_div_scale_f64 v[16:17], vcc, v[38:39], v[6:7], v[38:39]
	v_fma_f64 v[18:19], -v[10:11], v[12:13], 1.0
	v_fmac_f64_e32 v[12:13], v[12:13], v[18:19]
	v_fma_f64 v[18:19], -v[10:11], v[12:13], 1.0
	v_fmac_f64_e32 v[12:13], v[12:13], v[18:19]
	v_mul_f64 v[18:19], v[16:17], v[12:13]
	v_fma_f64 v[10:11], -v[10:11], v[18:19], v[16:17]
	v_div_fmas_f64 v[10:11], v[10:11], v[12:13], v[18:19]
	v_div_fixup_f64 v[10:11], v[10:11], v[6:7], v[38:39]
	v_cndmask_b32_e64 v9, v11, v8, s[64:65]
	v_cndmask_b32_e64 v8, v10, 0, s[64:65]
	global_store_dwordx2 v[0:1], v[8:9], off offset:2816
	s_and_b64 exec, exec, s[40:41]
	s_cbranch_execz .LBB375_98
; %bb.78:
	v_div_scale_f64 v[8:9], s[0:1], v[6:7], v[6:7], v[42:43]
	v_rcp_f64_e32 v[10:11], v[8:9]
	v_div_scale_f64 v[12:13], vcc, v[42:43], v[6:7], v[42:43]
	v_fma_f64 v[16:17], -v[8:9], v[10:11], 1.0
	v_fmac_f64_e32 v[10:11], v[10:11], v[16:17]
	v_fma_f64 v[16:17], -v[8:9], v[10:11], 1.0
	v_fmac_f64_e32 v[10:11], v[10:11], v[16:17]
	v_mul_f64 v[16:17], v[12:13], v[10:11]
	v_fma_f64 v[8:9], -v[8:9], v[16:17], v[12:13]
	v_div_fmas_f64 v[8:9], v[8:9], v[10:11], v[16:17]
	v_div_fixup_f64 v[10:11], v[8:9], v[6:7], v[42:43]
	v_mov_b32_e32 v8, 0x7ff80000
	v_cndmask_b32_e64 v11, v11, v8, s[64:65]
	v_cndmask_b32_e64 v10, v10, 0, s[64:65]
	global_store_dwordx2 v[0:1], v[10:11], off offset:3072
	s_and_b64 exec, exec, s[38:39]
	s_cbranch_execz .LBB375_98
; %bb.79:
	v_div_scale_f64 v[10:11], s[0:1], v[6:7], v[6:7], v[44:45]
	v_rcp_f64_e32 v[12:13], v[10:11]
	v_div_scale_f64 v[16:17], vcc, v[44:45], v[6:7], v[44:45]
	v_fma_f64 v[18:19], -v[10:11], v[12:13], 1.0
	v_fmac_f64_e32 v[12:13], v[12:13], v[18:19]
	v_fma_f64 v[18:19], -v[10:11], v[12:13], 1.0
	v_fmac_f64_e32 v[12:13], v[12:13], v[18:19]
	v_mul_f64 v[18:19], v[16:17], v[12:13]
	v_fma_f64 v[10:11], -v[10:11], v[18:19], v[16:17]
	v_div_fmas_f64 v[10:11], v[10:11], v[12:13], v[18:19]
	v_div_fixup_f64 v[10:11], v[10:11], v[6:7], v[44:45]
	v_cndmask_b32_e64 v9, v11, v8, s[64:65]
	v_cndmask_b32_e64 v8, v10, 0, s[64:65]
	global_store_dwordx2 v[0:1], v[8:9], off offset:3328
	s_and_b64 exec, exec, s[36:37]
	s_cbranch_execz .LBB375_98
; %bb.80:
	v_div_scale_f64 v[8:9], s[0:1], v[6:7], v[6:7], v[48:49]
	v_rcp_f64_e32 v[10:11], v[8:9]
	v_div_scale_f64 v[12:13], vcc, v[48:49], v[6:7], v[48:49]
	v_fma_f64 v[16:17], -v[8:9], v[10:11], 1.0
	v_fmac_f64_e32 v[10:11], v[10:11], v[16:17]
	v_fma_f64 v[16:17], -v[8:9], v[10:11], 1.0
	v_fmac_f64_e32 v[10:11], v[10:11], v[16:17]
	v_mul_f64 v[16:17], v[12:13], v[10:11]
	v_fma_f64 v[8:9], -v[8:9], v[16:17], v[12:13]
	v_div_fmas_f64 v[8:9], v[8:9], v[10:11], v[16:17]
	v_div_fixup_f64 v[10:11], v[8:9], v[6:7], v[48:49]
	v_mov_b32_e32 v8, 0x7ff80000
	v_cndmask_b32_e64 v11, v11, v8, s[64:65]
	v_cndmask_b32_e64 v10, v10, 0, s[64:65]
	global_store_dwordx2 v[0:1], v[10:11], off offset:3584
	s_and_b64 exec, exec, s[34:35]
	s_cbranch_execz .LBB375_98
; %bb.81:
	v_div_scale_f64 v[10:11], s[0:1], v[6:7], v[6:7], v[50:51]
	v_rcp_f64_e32 v[12:13], v[10:11]
	v_div_scale_f64 v[16:17], vcc, v[50:51], v[6:7], v[50:51]
	v_fma_f64 v[18:19], -v[10:11], v[12:13], 1.0
	v_fmac_f64_e32 v[12:13], v[12:13], v[18:19]
	v_fma_f64 v[18:19], -v[10:11], v[12:13], 1.0
	v_fmac_f64_e32 v[12:13], v[12:13], v[18:19]
	v_mul_f64 v[18:19], v[16:17], v[12:13]
	v_fma_f64 v[10:11], -v[10:11], v[18:19], v[16:17]
	v_div_fmas_f64 v[10:11], v[10:11], v[12:13], v[18:19]
	v_div_fixup_f64 v[10:11], v[10:11], v[6:7], v[50:51]
	v_cndmask_b32_e64 v9, v11, v8, s[64:65]
	v_cndmask_b32_e64 v8, v10, 0, s[64:65]
	global_store_dwordx2 v[0:1], v[8:9], off offset:3840
	s_and_b64 exec, exec, s[30:31]
	s_cbranch_execz .LBB375_98
; %bb.82:
	v_div_scale_f64 v[8:9], s[0:1], v[6:7], v[6:7], v[54:55]
	v_rcp_f64_e32 v[10:11], v[8:9]
	v_div_scale_f64 v[12:13], vcc, v[54:55], v[6:7], v[54:55]
	v_fma_f64 v[16:17], -v[8:9], v[10:11], 1.0
	v_fmac_f64_e32 v[10:11], v[10:11], v[16:17]
	v_fma_f64 v[16:17], -v[8:9], v[10:11], 1.0
	v_fmac_f64_e32 v[10:11], v[10:11], v[16:17]
	v_mul_f64 v[16:17], v[12:13], v[10:11]
	v_fma_f64 v[8:9], -v[8:9], v[16:17], v[12:13]
	v_div_fmas_f64 v[8:9], v[8:9], v[10:11], v[16:17]
	v_div_fixup_f64 v[10:11], v[8:9], v[6:7], v[54:55]
	v_mov_b32_e32 v8, 0x7ff80000
	v_add_co_u32_e32 v12, vcc, 0x1000, v0
	v_cndmask_b32_e64 v11, v11, v8, s[64:65]
	v_cndmask_b32_e64 v10, v10, 0, s[64:65]
	v_addc_co_u32_e32 v13, vcc, 0, v1, vcc
	global_store_dwordx2 v[12:13], v[10:11], off
	s_and_b64 exec, exec, s[28:29]
	s_cbranch_execz .LBB375_98
; %bb.83:
	v_div_scale_f64 v[10:11], s[0:1], v[6:7], v[6:7], v[52:53]
	v_rcp_f64_e32 v[12:13], v[10:11]
	v_div_scale_f64 v[16:17], vcc, v[52:53], v[6:7], v[52:53]
	v_fma_f64 v[18:19], -v[10:11], v[12:13], 1.0
	v_fmac_f64_e32 v[12:13], v[12:13], v[18:19]
	v_fma_f64 v[18:19], -v[10:11], v[12:13], 1.0
	v_fmac_f64_e32 v[12:13], v[12:13], v[18:19]
	v_mul_f64 v[18:19], v[16:17], v[12:13]
	v_fma_f64 v[10:11], -v[10:11], v[18:19], v[16:17]
	v_div_fmas_f64 v[10:11], v[10:11], v[12:13], v[18:19]
	v_div_fixup_f64 v[10:11], v[10:11], v[6:7], v[52:53]
	v_cndmask_b32_e64 v9, v11, v8, s[64:65]
	v_cndmask_b32_e64 v8, v10, 0, s[64:65]
	v_add_co_u32_e32 v10, vcc, 0x1000, v0
	v_addc_co_u32_e32 v11, vcc, 0, v1, vcc
	global_store_dwordx2 v[10:11], v[8:9], off offset:256
	s_and_b64 exec, exec, s[26:27]
	s_cbranch_execz .LBB375_98
; %bb.84:
	v_div_scale_f64 v[8:9], s[0:1], v[6:7], v[6:7], v[58:59]
	v_rcp_f64_e32 v[10:11], v[8:9]
	v_div_scale_f64 v[12:13], vcc, v[58:59], v[6:7], v[58:59]
	v_fma_f64 v[16:17], -v[8:9], v[10:11], 1.0
	v_fmac_f64_e32 v[10:11], v[10:11], v[16:17]
	v_fma_f64 v[16:17], -v[8:9], v[10:11], 1.0
	v_fmac_f64_e32 v[10:11], v[10:11], v[16:17]
	v_mul_f64 v[16:17], v[12:13], v[10:11]
	v_fma_f64 v[8:9], -v[8:9], v[16:17], v[12:13]
	v_div_fmas_f64 v[8:9], v[8:9], v[10:11], v[16:17]
	v_div_fixup_f64 v[10:11], v[8:9], v[6:7], v[58:59]
	v_mov_b32_e32 v8, 0x7ff80000
	v_add_co_u32_e32 v12, vcc, 0x1000, v0
	v_cndmask_b32_e64 v11, v11, v8, s[64:65]
	v_cndmask_b32_e64 v10, v10, 0, s[64:65]
	v_addc_co_u32_e32 v13, vcc, 0, v1, vcc
	global_store_dwordx2 v[12:13], v[10:11], off offset:512
	s_and_b64 exec, exec, s[24:25]
	s_cbranch_execz .LBB375_98
; %bb.85:
	v_div_scale_f64 v[10:11], s[0:1], v[6:7], v[6:7], v[56:57]
	v_rcp_f64_e32 v[12:13], v[10:11]
	v_div_scale_f64 v[16:17], vcc, v[56:57], v[6:7], v[56:57]
	v_fma_f64 v[18:19], -v[10:11], v[12:13], 1.0
	v_fmac_f64_e32 v[12:13], v[12:13], v[18:19]
	v_fma_f64 v[18:19], -v[10:11], v[12:13], 1.0
	v_fmac_f64_e32 v[12:13], v[12:13], v[18:19]
	v_mul_f64 v[18:19], v[16:17], v[12:13]
	v_fma_f64 v[10:11], -v[10:11], v[18:19], v[16:17]
	v_div_fmas_f64 v[10:11], v[10:11], v[12:13], v[18:19]
	v_div_fixup_f64 v[10:11], v[10:11], v[6:7], v[56:57]
	v_cndmask_b32_e64 v9, v11, v8, s[64:65]
	v_cndmask_b32_e64 v8, v10, 0, s[64:65]
	v_add_co_u32_e32 v10, vcc, 0x1000, v0
	v_addc_co_u32_e32 v11, vcc, 0, v1, vcc
	global_store_dwordx2 v[10:11], v[8:9], off offset:768
	s_and_b64 exec, exec, s[22:23]
	s_cbranch_execz .LBB375_98
; %bb.86:
	v_div_scale_f64 v[8:9], s[0:1], v[6:7], v[6:7], v[62:63]
	v_rcp_f64_e32 v[10:11], v[8:9]
	v_div_scale_f64 v[12:13], vcc, v[62:63], v[6:7], v[62:63]
	v_fma_f64 v[16:17], -v[8:9], v[10:11], 1.0
	v_fmac_f64_e32 v[10:11], v[10:11], v[16:17]
	v_fma_f64 v[16:17], -v[8:9], v[10:11], 1.0
	v_fmac_f64_e32 v[10:11], v[10:11], v[16:17]
	v_mul_f64 v[16:17], v[12:13], v[10:11]
	v_fma_f64 v[8:9], -v[8:9], v[16:17], v[12:13]
	v_div_fmas_f64 v[8:9], v[8:9], v[10:11], v[16:17]
	v_div_fixup_f64 v[10:11], v[8:9], v[6:7], v[62:63]
	v_mov_b32_e32 v8, 0x7ff80000
	v_add_co_u32_e32 v12, vcc, 0x1000, v0
	v_cndmask_b32_e64 v11, v11, v8, s[64:65]
	v_cndmask_b32_e64 v10, v10, 0, s[64:65]
	v_addc_co_u32_e32 v13, vcc, 0, v1, vcc
	global_store_dwordx2 v[12:13], v[10:11], off offset:1024
	;; [unrolled: 39-line block ×6, first 2 shown]
	s_and_b64 exec, exec, s[4:5]
	s_cbranch_execz .LBB375_98
; %bb.95:
	v_div_scale_f64 v[10:11], s[0:1], v[6:7], v[6:7], v[20:21]
	v_rcp_f64_e32 v[12:13], v[10:11]
	v_div_scale_f64 v[14:15], vcc, v[20:21], v[6:7], v[20:21]
	v_fma_f64 v[16:17], -v[10:11], v[12:13], 1.0
	v_fmac_f64_e32 v[12:13], v[12:13], v[16:17]
	v_fma_f64 v[16:17], -v[10:11], v[12:13], 1.0
	v_fmac_f64_e32 v[12:13], v[12:13], v[16:17]
	v_mul_f64 v[16:17], v[14:15], v[12:13]
	v_fma_f64 v[10:11], -v[10:11], v[16:17], v[14:15]
	v_div_fmas_f64 v[10:11], v[10:11], v[12:13], v[16:17]
	v_div_fixup_f64 v[10:11], v[10:11], v[6:7], v[20:21]
	v_cndmask_b32_e64 v9, v11, v8, s[64:65]
	v_cndmask_b32_e64 v8, v10, 0, s[64:65]
	v_add_co_u32_e32 v10, vcc, 0x1000, v0
	v_addc_co_u32_e32 v11, vcc, 0, v1, vcc
	global_store_dwordx2 v[10:11], v[8:9], off offset:3328
	s_and_b64 exec, exec, s[2:3]
	s_cbranch_execz .LBB375_98
; %bb.96:
	v_div_scale_f64 v[8:9], s[0:1], v[6:7], v[6:7], v[4:5]
	v_rcp_f64_e32 v[10:11], v[8:9]
	v_div_scale_f64 v[12:13], vcc, v[4:5], v[6:7], v[4:5]
	v_readlane_b32 s0, v84, 0
	v_fma_f64 v[14:15], -v[8:9], v[10:11], 1.0
	v_fmac_f64_e32 v[10:11], v[10:11], v[14:15]
	v_fma_f64 v[14:15], -v[8:9], v[10:11], 1.0
	v_fmac_f64_e32 v[10:11], v[10:11], v[14:15]
	v_mul_f64 v[14:15], v[12:13], v[10:11]
	v_fma_f64 v[8:9], -v[8:9], v[14:15], v[12:13]
	v_div_fmas_f64 v[8:9], v[8:9], v[10:11], v[14:15]
	v_div_fixup_f64 v[8:9], v[8:9], v[6:7], v[4:5]
	v_mov_b32_e32 v4, 0x7ff80000
	v_add_co_u32_e32 v10, vcc, 0x1000, v0
	v_cndmask_b32_e64 v9, v9, v4, s[64:65]
	v_cndmask_b32_e64 v8, v8, 0, s[64:65]
	v_addc_co_u32_e32 v11, vcc, 0, v1, vcc
	v_readlane_b32 s1, v84, 1
	global_store_dwordx2 v[10:11], v[8:9], off offset:3584
	s_and_b64 exec, exec, s[0:1]
	s_cbranch_execz .LBB375_98
; %bb.97:
	v_div_scale_f64 v[8:9], s[0:1], v[6:7], v[6:7], v[2:3]
	v_rcp_f64_e32 v[10:11], v[8:9]
	v_div_scale_f64 v[12:13], vcc, v[2:3], v[6:7], v[2:3]
	v_fma_f64 v[14:15], -v[8:9], v[10:11], 1.0
	v_fmac_f64_e32 v[10:11], v[10:11], v[14:15]
	v_fma_f64 v[14:15], -v[8:9], v[10:11], 1.0
	v_fmac_f64_e32 v[10:11], v[10:11], v[14:15]
	v_mul_f64 v[14:15], v[12:13], v[10:11]
	v_fma_f64 v[8:9], -v[8:9], v[14:15], v[12:13]
	v_div_fmas_f64 v[8:9], v[8:9], v[10:11], v[14:15]
	v_div_fixup_f64 v[2:3], v[8:9], v[6:7], v[2:3]
	v_add_co_u32_e32 v0, vcc, 0x1000, v0
	v_cndmask_b32_e64 v3, v3, v4, s[64:65]
	v_cndmask_b32_e64 v2, v2, 0, s[64:65]
	v_addc_co_u32_e32 v1, vcc, 0, v1, vcc
	global_store_dwordx2 v[0:1], v[2:3], off offset:3840
.LBB375_98:
	s_endpgm
	.section	.rodata,"a",@progbits
	.p2align	6, 0x0
	.amdhsa_kernel _ZN12_GLOBAL__N_120softmax_warp_forwardIdddLi10ELb0ELb0ELi32EEEvPT0_PKT_iiiPKbib
		.amdhsa_group_segment_fixed_size 0
		.amdhsa_private_segment_fixed_size 0
		.amdhsa_kernarg_size 304
		.amdhsa_user_sgpr_count 6
		.amdhsa_user_sgpr_private_segment_buffer 1
		.amdhsa_user_sgpr_dispatch_ptr 0
		.amdhsa_user_sgpr_queue_ptr 0
		.amdhsa_user_sgpr_kernarg_segment_ptr 1
		.amdhsa_user_sgpr_dispatch_id 0
		.amdhsa_user_sgpr_flat_scratch_init 0
		.amdhsa_user_sgpr_kernarg_preload_length 0
		.amdhsa_user_sgpr_kernarg_preload_offset 0
		.amdhsa_user_sgpr_private_segment_size 0
		.amdhsa_uses_dynamic_stack 0
		.amdhsa_system_sgpr_private_segment_wavefront_offset 0
		.amdhsa_system_sgpr_workgroup_id_x 1
		.amdhsa_system_sgpr_workgroup_id_y 0
		.amdhsa_system_sgpr_workgroup_id_z 0
		.amdhsa_system_sgpr_workgroup_info 0
		.amdhsa_system_vgpr_workitem_id 1
		.amdhsa_next_free_vgpr 85
		.amdhsa_next_free_sgpr 96
		.amdhsa_accum_offset 88
		.amdhsa_reserve_vcc 1
		.amdhsa_reserve_flat_scratch 0
		.amdhsa_float_round_mode_32 0
		.amdhsa_float_round_mode_16_64 0
		.amdhsa_float_denorm_mode_32 3
		.amdhsa_float_denorm_mode_16_64 3
		.amdhsa_dx10_clamp 1
		.amdhsa_ieee_mode 1
		.amdhsa_fp16_overflow 0
		.amdhsa_tg_split 0
		.amdhsa_exception_fp_ieee_invalid_op 0
		.amdhsa_exception_fp_denorm_src 0
		.amdhsa_exception_fp_ieee_div_zero 0
		.amdhsa_exception_fp_ieee_overflow 0
		.amdhsa_exception_fp_ieee_underflow 0
		.amdhsa_exception_fp_ieee_inexact 0
		.amdhsa_exception_int_div_zero 0
	.end_amdhsa_kernel
	.section	.text._ZN12_GLOBAL__N_120softmax_warp_forwardIdddLi10ELb0ELb0ELi32EEEvPT0_PKT_iiiPKbib,"axG",@progbits,_ZN12_GLOBAL__N_120softmax_warp_forwardIdddLi10ELb0ELb0ELi32EEEvPT0_PKT_iiiPKbib,comdat
.Lfunc_end375:
	.size	_ZN12_GLOBAL__N_120softmax_warp_forwardIdddLi10ELb0ELb0ELi32EEEvPT0_PKT_iiiPKbib, .Lfunc_end375-_ZN12_GLOBAL__N_120softmax_warp_forwardIdddLi10ELb0ELb0ELi32EEEvPT0_PKT_iiiPKbib
                                        ; -- End function
	.section	.AMDGPU.csdata,"",@progbits
; Kernel info:
; codeLenInByte = 12244
; NumSgprs: 100
; NumVgprs: 85
; NumAgprs: 0
; TotalNumVgprs: 85
; ScratchSize: 0
; MemoryBound: 0
; FloatMode: 240
; IeeeMode: 1
; LDSByteSize: 0 bytes/workgroup (compile time only)
; SGPRBlocks: 12
; VGPRBlocks: 10
; NumSGPRsForWavesPerEU: 100
; NumVGPRsForWavesPerEU: 85
; AccumOffset: 88
; Occupancy: 5
; WaveLimiterHint : 0
; COMPUTE_PGM_RSRC2:SCRATCH_EN: 0
; COMPUTE_PGM_RSRC2:USER_SGPR: 6
; COMPUTE_PGM_RSRC2:TRAP_HANDLER: 0
; COMPUTE_PGM_RSRC2:TGID_X_EN: 1
; COMPUTE_PGM_RSRC2:TGID_Y_EN: 0
; COMPUTE_PGM_RSRC2:TGID_Z_EN: 0
; COMPUTE_PGM_RSRC2:TIDIG_COMP_CNT: 1
; COMPUTE_PGM_RSRC3_GFX90A:ACCUM_OFFSET: 21
; COMPUTE_PGM_RSRC3_GFX90A:TG_SPLIT: 0
	.section	.text._ZN12_GLOBAL__N_120softmax_warp_forwardIdddLi11ELb0ELb0ELi64EEEvPT0_PKT_iiiPKbib,"axG",@progbits,_ZN12_GLOBAL__N_120softmax_warp_forwardIdddLi11ELb0ELb0ELi64EEEvPT0_PKT_iiiPKbib,comdat
	.globl	_ZN12_GLOBAL__N_120softmax_warp_forwardIdddLi11ELb0ELb0ELi64EEEvPT0_PKT_iiiPKbib ; -- Begin function _ZN12_GLOBAL__N_120softmax_warp_forwardIdddLi11ELb0ELb0ELi64EEEvPT0_PKT_iiiPKbib
	.p2align	8
	.type	_ZN12_GLOBAL__N_120softmax_warp_forwardIdddLi11ELb0ELb0ELi64EEEvPT0_PKT_iiiPKbib,@function
_ZN12_GLOBAL__N_120softmax_warp_forwardIdddLi11ELb0ELb0ELi64EEEvPT0_PKT_iiiPKbib: ; @_ZN12_GLOBAL__N_120softmax_warp_forwardIdddLi11ELb0ELb0ELi64EEEvPT0_PKT_iiiPKbib
; %bb.0:
	s_load_dword s0, s[4:5], 0x3c
	s_load_dwordx8 s[68:75], s[4:5], 0x0
	v_bfe_u32 v1, v0, 10, 10
	v_and_b32_e32 v68, 0x3ff, v0
	v_mov_b32_e32 v10, 0
	s_waitcnt lgkmcnt(0)
	s_lshr_b32 s0, s0, 16
	s_mul_i32 s6, s6, s0
	v_add_u32_e32 v1, s6, v1
	v_sub_u32_e32 v70, s72, v1
	v_mad_u64_u32 v[0:1], s[0:1], v1, s73, v[68:69]
	v_ashrrev_i32_e32 v1, 31, v0
	v_lshlrev_b64 v[0:1], 3, v[0:1]
	v_mov_b32_e32 v2, s71
	v_add_co_u32_e32 v66, vcc, s70, v0
	v_cmp_lt_i32_e64 s[66:67], 0, v70
	v_cmp_gt_i32_e64 s[64:65], s74, v68
	v_mov_b32_e32 v11, 0xfff00000
	v_addc_co_u32_e32 v67, vcc, v2, v1, vcc
	s_and_b64 s[2:3], s[66:67], s[64:65]
	v_pk_mov_b32 v[8:9], v[10:11], v[10:11] op_sel:[0,1]
	s_and_saveexec_b64 s[0:1], s[2:3]
	s_cbranch_execz .LBB376_2
; %bb.1:
	global_load_dwordx2 v[8:9], v[66:67], off
.LBB376_2:
	s_or_b64 exec, exec, s[0:1]
	v_add_u32_e32 v2, 64, v68
	v_cmp_gt_i32_e64 s[62:63], s74, v2
	s_and_b64 s[2:3], s[66:67], s[62:63]
	s_and_saveexec_b64 s[0:1], s[2:3]
	s_cbranch_execz .LBB376_4
; %bb.3:
	global_load_dwordx2 v[10:11], v[66:67], off offset:512
.LBB376_4:
	s_or_b64 exec, exec, s[0:1]
	v_add_u32_e32 v2, 0x80, v68
	v_mov_b32_e32 v18, 0
	v_cmp_gt_i32_e64 s[60:61], s74, v2
	v_mov_b32_e32 v19, 0xfff00000
	s_and_b64 s[2:3], s[66:67], s[60:61]
	v_pk_mov_b32 v[14:15], v[18:19], v[18:19] op_sel:[0,1]
	s_and_saveexec_b64 s[0:1], s[2:3]
	s_cbranch_execz .LBB376_6
; %bb.5:
	global_load_dwordx2 v[14:15], v[66:67], off offset:1024
.LBB376_6:
	s_or_b64 exec, exec, s[0:1]
	v_add_u32_e32 v2, 0xc0, v68
	v_cmp_gt_i32_e64 s[58:59], s74, v2
	s_and_b64 s[2:3], s[66:67], s[58:59]
	s_and_saveexec_b64 s[0:1], s[2:3]
	s_cbranch_execz .LBB376_8
; %bb.7:
	global_load_dwordx2 v[18:19], v[66:67], off offset:1536
.LBB376_8:
	s_or_b64 exec, exec, s[0:1]
	v_add_u32_e32 v2, 0x100, v68
	v_mov_b32_e32 v22, 0
	v_cmp_gt_i32_e64 s[56:57], s74, v2
	v_mov_b32_e32 v23, 0xfff00000
	s_and_b64 s[2:3], s[66:67], s[56:57]
	v_pk_mov_b32 v[20:21], v[22:23], v[22:23] op_sel:[0,1]
	s_and_saveexec_b64 s[0:1], s[2:3]
	s_cbranch_execz .LBB376_10
; %bb.9:
	global_load_dwordx2 v[20:21], v[66:67], off offset:2048
.LBB376_10:
	;; [unrolled: 21-line block ×3, first 2 shown]
	s_or_b64 exec, exec, s[0:1]
	v_add_u32_e32 v2, 0x1c0, v68
	v_cmp_gt_i32_e64 s[50:51], s74, v2
	s_and_b64 s[2:3], s[66:67], s[50:51]
	s_and_saveexec_b64 s[0:1], s[2:3]
	s_cbranch_execz .LBB376_16
; %bb.15:
	global_load_dwordx2 v[30:31], v[66:67], off offset:3584
.LBB376_16:
	s_or_b64 exec, exec, s[0:1]
	v_add_u32_e32 v2, 0x200, v68
	v_mov_b32_e32 v32, 0
	v_cmp_gt_i32_e64 s[48:49], s74, v2
	v_mov_b32_e32 v33, 0xfff00000
	s_and_b64 s[2:3], s[66:67], s[48:49]
	v_pk_mov_b32 v[34:35], v[32:33], v[32:33] op_sel:[0,1]
	s_and_saveexec_b64 s[0:1], s[2:3]
	s_cbranch_execz .LBB376_18
; %bb.17:
	v_add_co_u32_e32 v2, vcc, 0x1000, v66
	v_addc_co_u32_e32 v3, vcc, 0, v67, vcc
	global_load_dwordx2 v[34:35], v[2:3], off
.LBB376_18:
	s_or_b64 exec, exec, s[0:1]
	v_add_u32_e32 v2, 0x240, v68
	v_cmp_gt_i32_e64 s[46:47], s74, v2
	s_and_b64 s[2:3], s[66:67], s[46:47]
	s_and_saveexec_b64 s[0:1], s[2:3]
	s_cbranch_execz .LBB376_20
; %bb.19:
	v_add_co_u32_e32 v2, vcc, 0x1000, v66
	v_addc_co_u32_e32 v3, vcc, 0, v67, vcc
	global_load_dwordx2 v[32:33], v[2:3], off offset:512
.LBB376_20:
	s_or_b64 exec, exec, s[0:1]
	v_add_u32_e32 v2, 0x280, v68
	v_mov_b32_e32 v36, 0
	v_cmp_gt_i32_e64 s[44:45], s74, v2
	v_mov_b32_e32 v37, 0xfff00000
	s_and_b64 s[2:3], s[66:67], s[44:45]
	v_pk_mov_b32 v[38:39], v[36:37], v[36:37] op_sel:[0,1]
	s_and_saveexec_b64 s[0:1], s[2:3]
	s_cbranch_execz .LBB376_22
; %bb.21:
	v_add_co_u32_e32 v2, vcc, 0x1000, v66
	v_addc_co_u32_e32 v3, vcc, 0, v67, vcc
	global_load_dwordx2 v[38:39], v[2:3], off offset:1024
.LBB376_22:
	s_or_b64 exec, exec, s[0:1]
	v_add_u32_e32 v2, 0x2c0, v68
	v_cmp_gt_i32_e64 s[42:43], s74, v2
	s_and_b64 s[2:3], s[66:67], s[42:43]
	s_and_saveexec_b64 s[0:1], s[2:3]
	s_cbranch_execz .LBB376_24
; %bb.23:
	v_add_co_u32_e32 v2, vcc, 0x1000, v66
	v_addc_co_u32_e32 v3, vcc, 0, v67, vcc
	global_load_dwordx2 v[36:37], v[2:3], off offset:1536
.LBB376_24:
	s_or_b64 exec, exec, s[0:1]
	v_add_u32_e32 v2, 0x300, v68
	v_mov_b32_e32 v40, 0
	v_cmp_gt_i32_e64 s[40:41], s74, v2
	v_mov_b32_e32 v41, 0xfff00000
	s_and_b64 s[2:3], s[66:67], s[40:41]
	v_pk_mov_b32 v[42:43], v[40:41], v[40:41] op_sel:[0,1]
	s_and_saveexec_b64 s[0:1], s[2:3]
	s_cbranch_execz .LBB376_26
; %bb.25:
	v_add_co_u32_e32 v2, vcc, 0x1000, v66
	v_addc_co_u32_e32 v3, vcc, 0, v67, vcc
	global_load_dwordx2 v[42:43], v[2:3], off offset:2048
.LBB376_26:
	;; [unrolled: 25-line block ×3, first 2 shown]
	s_or_b64 exec, exec, s[0:1]
	v_add_u32_e32 v2, 0x3c0, v68
	v_cmp_gt_i32_e64 s[34:35], s74, v2
	s_and_b64 s[2:3], s[66:67], s[34:35]
	s_and_saveexec_b64 s[0:1], s[2:3]
	s_cbranch_execz .LBB376_32
; %bb.31:
	v_add_co_u32_e32 v2, vcc, 0x1000, v66
	v_addc_co_u32_e32 v3, vcc, 0, v67, vcc
	global_load_dwordx2 v[44:45], v[2:3], off offset:3584
.LBB376_32:
	s_or_b64 exec, exec, s[0:1]
	v_or_b32_e32 v2, 0x400, v68
	v_mov_b32_e32 v48, 0
	v_cmp_gt_i32_e64 s[30:31], s74, v2
	v_mov_b32_e32 v49, 0xfff00000
	s_and_b64 s[2:3], s[66:67], s[30:31]
	v_pk_mov_b32 v[50:51], v[48:49], v[48:49] op_sel:[0,1]
	s_and_saveexec_b64 s[0:1], s[2:3]
	s_cbranch_execz .LBB376_34
; %bb.33:
	v_add_co_u32_e32 v2, vcc, 0x2000, v66
	v_addc_co_u32_e32 v3, vcc, 0, v67, vcc
	global_load_dwordx2 v[50:51], v[2:3], off
.LBB376_34:
	s_or_b64 exec, exec, s[0:1]
	v_add_u32_e32 v2, 0x440, v68
	v_cmp_gt_i32_e64 s[28:29], s74, v2
	s_and_b64 s[2:3], s[66:67], s[28:29]
	s_and_saveexec_b64 s[0:1], s[2:3]
	s_cbranch_execz .LBB376_36
; %bb.35:
	v_add_co_u32_e32 v2, vcc, 0x2000, v66
	v_addc_co_u32_e32 v3, vcc, 0, v67, vcc
	global_load_dwordx2 v[48:49], v[2:3], off offset:512
.LBB376_36:
	s_or_b64 exec, exec, s[0:1]
	v_add_u32_e32 v2, 0x480, v68
	v_mov_b32_e32 v52, 0
	v_cmp_gt_i32_e64 s[26:27], s74, v2
	v_mov_b32_e32 v53, 0xfff00000
	s_and_b64 s[2:3], s[66:67], s[26:27]
	v_pk_mov_b32 v[54:55], v[52:53], v[52:53] op_sel:[0,1]
	s_and_saveexec_b64 s[0:1], s[2:3]
	s_cbranch_execz .LBB376_38
; %bb.37:
	v_add_co_u32_e32 v2, vcc, 0x2000, v66
	v_addc_co_u32_e32 v3, vcc, 0, v67, vcc
	global_load_dwordx2 v[54:55], v[2:3], off offset:1024
.LBB376_38:
	s_or_b64 exec, exec, s[0:1]
	v_add_u32_e32 v2, 0x4c0, v68
	v_cmp_gt_i32_e64 s[24:25], s74, v2
	s_and_b64 s[2:3], s[66:67], s[24:25]
	s_and_saveexec_b64 s[0:1], s[2:3]
	s_cbranch_execz .LBB376_40
; %bb.39:
	v_add_co_u32_e32 v2, vcc, 0x2000, v66
	v_addc_co_u32_e32 v3, vcc, 0, v67, vcc
	global_load_dwordx2 v[52:53], v[2:3], off offset:1536
.LBB376_40:
	s_or_b64 exec, exec, s[0:1]
	v_add_u32_e32 v2, 0x500, v68
	v_mov_b32_e32 v56, 0
	v_cmp_gt_i32_e64 s[22:23], s74, v2
	v_mov_b32_e32 v57, 0xfff00000
	s_and_b64 s[2:3], s[66:67], s[22:23]
	v_pk_mov_b32 v[58:59], v[56:57], v[56:57] op_sel:[0,1]
	s_and_saveexec_b64 s[0:1], s[2:3]
	s_cbranch_execz .LBB376_42
; %bb.41:
	v_add_co_u32_e32 v2, vcc, 0x2000, v66
	v_addc_co_u32_e32 v3, vcc, 0, v67, vcc
	global_load_dwordx2 v[58:59], v[2:3], off offset:2048
.LBB376_42:
	;; [unrolled: 25-line block ×3, first 2 shown]
	s_or_b64 exec, exec, s[0:1]
	v_add_u32_e32 v2, 0x5c0, v68
	v_cmp_gt_i32_e64 s[16:17], s74, v2
	s_and_b64 s[2:3], s[66:67], s[16:17]
	s_and_saveexec_b64 s[0:1], s[2:3]
	s_cbranch_execz .LBB376_48
; %bb.47:
	v_add_co_u32_e32 v2, vcc, 0x2000, v66
	v_addc_co_u32_e32 v3, vcc, 0, v67, vcc
	global_load_dwordx2 v[60:61], v[2:3], off offset:3584
.LBB376_48:
	s_or_b64 exec, exec, s[0:1]
	v_add_u32_e32 v2, 0x600, v68
	v_mov_b32_e32 v24, 0
	v_cmp_gt_i32_e64 s[14:15], s74, v2
	v_mov_b32_e32 v25, 0xfff00000
	s_and_b64 s[2:3], s[66:67], s[14:15]
	v_pk_mov_b32 v[64:65], v[24:25], v[24:25] op_sel:[0,1]
	s_and_saveexec_b64 s[0:1], s[2:3]
	s_cbranch_execz .LBB376_50
; %bb.49:
	v_add_co_u32_e32 v2, vcc, 0x3000, v66
	v_addc_co_u32_e32 v3, vcc, 0, v67, vcc
	global_load_dwordx2 v[64:65], v[2:3], off
.LBB376_50:
	s_or_b64 exec, exec, s[0:1]
	v_add_u32_e32 v2, 0x640, v68
	v_cmp_gt_i32_e64 s[12:13], s74, v2
	s_and_b64 s[2:3], s[66:67], s[12:13]
	s_and_saveexec_b64 s[0:1], s[2:3]
	s_cbranch_execz .LBB376_52
; %bb.51:
	v_add_co_u32_e32 v2, vcc, 0x3000, v66
	v_addc_co_u32_e32 v3, vcc, 0, v67, vcc
	global_load_dwordx2 v[24:25], v[2:3], off offset:512
.LBB376_52:
	s_or_b64 exec, exec, s[0:1]
	v_add_u32_e32 v2, 0x680, v68
	v_mov_b32_e32 v12, 0
	v_cmp_gt_i32_e64 s[10:11], s74, v2
	v_mov_b32_e32 v13, 0xfff00000
	s_and_b64 s[2:3], s[66:67], s[10:11]
	v_pk_mov_b32 v[28:29], v[12:13], v[12:13] op_sel:[0,1]
	s_and_saveexec_b64 s[0:1], s[2:3]
	s_cbranch_execz .LBB376_54
; %bb.53:
	v_add_co_u32_e32 v2, vcc, 0x3000, v66
	v_addc_co_u32_e32 v3, vcc, 0, v67, vcc
	global_load_dwordx2 v[28:29], v[2:3], off offset:1024
.LBB376_54:
	s_or_b64 exec, exec, s[0:1]
	v_add_u32_e32 v2, 0x6c0, v68
	v_cmp_gt_i32_e64 s[8:9], s74, v2
	s_and_b64 s[2:3], s[66:67], s[8:9]
	s_and_saveexec_b64 s[0:1], s[2:3]
	s_cbranch_execz .LBB376_56
; %bb.55:
	v_add_co_u32_e32 v2, vcc, 0x3000, v66
	v_addc_co_u32_e32 v3, vcc, 0, v67, vcc
	global_load_dwordx2 v[12:13], v[2:3], off offset:1536
.LBB376_56:
	s_or_b64 exec, exec, s[0:1]
	v_add_u32_e32 v2, 0x700, v68
	v_mov_b32_e32 v4, 0
	v_cmp_gt_i32_e64 s[6:7], s74, v2
	v_mov_b32_e32 v5, 0xfff00000
	s_and_b64 s[2:3], s[66:67], s[6:7]
	v_pk_mov_b32 v[16:17], v[4:5], v[4:5] op_sel:[0,1]
	s_and_saveexec_b64 s[0:1], s[2:3]
	s_cbranch_execz .LBB376_58
; %bb.57:
	v_add_co_u32_e32 v2, vcc, 0x3000, v66
	v_addc_co_u32_e32 v3, vcc, 0, v67, vcc
	global_load_dwordx2 v[16:17], v[2:3], off offset:2048
.LBB376_58:
	s_or_b64 exec, exec, s[0:1]
	v_add_u32_e32 v2, 0x740, v68
	v_cmp_gt_i32_e64 s[4:5], s74, v2
	s_and_b64 s[2:3], s[66:67], s[4:5]
	s_and_saveexec_b64 s[0:1], s[2:3]
	s_cbranch_execz .LBB376_60
; %bb.59:
	v_add_co_u32_e32 v2, vcc, 0x3000, v66
	v_addc_co_u32_e32 v3, vcc, 0, v67, vcc
	global_load_dwordx2 v[4:5], v[2:3], off offset:2560
.LBB376_60:
	s_or_b64 exec, exec, s[0:1]
	v_add_u32_e32 v2, 0x780, v68
	v_cmp_gt_i32_e64 s[2:3], s74, v2
	v_mov_b32_e32 v2, 0
	v_mov_b32_e32 v3, 0xfff00000
	s_and_b64 s[70:71], s[66:67], s[2:3]
	v_pk_mov_b32 v[6:7], v[2:3], v[2:3] op_sel:[0,1]
	s_and_saveexec_b64 s[0:1], s[70:71]
	s_cbranch_execz .LBB376_62
; %bb.61:
	v_add_co_u32_e32 v6, vcc, 0x3000, v66
	v_addc_co_u32_e32 v7, vcc, 0, v67, vcc
	global_load_dwordx2 v[6:7], v[6:7], off offset:3072
.LBB376_62:
	s_or_b64 exec, exec, s[0:1]
	v_add_u32_e32 v68, 0x7c0, v68
	v_cmp_gt_i32_e64 s[0:1], s74, v68
                                        ; implicit-def: $vgpr84 : SGPR spill to VGPR lane
	v_writelane_b32 v84, s0, 0
	s_and_b64 s[66:67], s[66:67], s[0:1]
	v_writelane_b32 v84, s1, 1
	s_and_saveexec_b64 s[0:1], s[66:67]
	s_cbranch_execz .LBB376_64
; %bb.63:
	v_add_co_u32_e32 v2, vcc, 0x3000, v66
	v_addc_co_u32_e32 v3, vcc, 0, v67, vcc
	global_load_dwordx2 v[2:3], v[2:3], off offset:3584
.LBB376_64:
	s_or_b64 exec, exec, s[0:1]
	s_waitcnt vmcnt(0)
	v_cmp_gt_f64_e32 vcc, v[8:9], v[10:11]
	v_cndmask_b32_e32 v67, v11, v9, vcc
	v_cndmask_b32_e32 v66, v10, v8, vcc
	v_cmp_gt_f64_e32 vcc, v[66:67], v[14:15]
	v_cndmask_b32_e32 v67, v15, v67, vcc
	v_cndmask_b32_e32 v66, v14, v66, vcc
	;; [unrolled: 3-line block ×29, first 2 shown]
	v_mbcnt_lo_u32_b32 v68, -1, 0
	v_cmp_gt_f64_e32 vcc, v[66:67], v[6:7]
	v_mbcnt_hi_u32_b32 v76, -1, v68
	v_cndmask_b32_e32 v67, v7, v67, vcc
	v_cndmask_b32_e32 v66, v6, v66, vcc
	v_and_b32_e32 v68, 64, v76
	v_cmp_gt_f64_e32 vcc, v[66:67], v[2:3]
	v_add_u32_e32 v77, 64, v68
	v_xor_b32_e32 v68, 32, v76
	v_cndmask_b32_e32 v67, v3, v67, vcc
	v_cndmask_b32_e32 v66, v2, v66, vcc
	v_cmp_lt_i32_e32 vcc, v68, v77
	v_cndmask_b32_e32 v68, v76, v68, vcc
	v_lshlrev_b32_e32 v71, 2, v68
	ds_bpermute_b32 v68, v71, v66
	ds_bpermute_b32 v69, v71, v67
	s_mov_b32 s70, 0x652b82fe
	s_mov_b32 s71, 0x3ff71547
	s_mov_b32 s72, 0xfefa39ef
	s_mov_b32 s73, 0xbfe62e42
	s_waitcnt lgkmcnt(0)
	v_cmp_lt_f64_e32 vcc, v[66:67], v[68:69]
	v_cndmask_b32_e32 v66, v66, v68, vcc
	v_xor_b32_e32 v68, 16, v76
	v_cndmask_b32_e32 v67, v67, v69, vcc
	v_cmp_lt_i32_e32 vcc, v68, v77
	v_cndmask_b32_e32 v68, v76, v68, vcc
	v_lshlrev_b32_e32 v72, 2, v68
	ds_bpermute_b32 v68, v72, v66
	ds_bpermute_b32 v69, v72, v67
	s_mov_b32 s74, 0x3b39803f
	s_mov_b32 s0, 0xfca7ab0c
	s_mov_b32 s75, 0xbc7abc9e
	s_mov_b32 s1, 0x3e928af3
	s_waitcnt lgkmcnt(0)
	v_cmp_lt_f64_e32 vcc, v[66:67], v[68:69]
	v_cndmask_b32_e32 v66, v66, v68, vcc
	v_xor_b32_e32 v68, 8, v76
	;; [unrolled: 14-line block ×5, first 2 shown]
	v_cndmask_b32_e32 v67, v67, v69, vcc
	v_cmp_lt_i32_e32 vcc, v68, v77
	v_cndmask_b32_e32 v68, v76, v68, vcc
	v_lshlrev_b32_e32 v76, 2, v68
	ds_bpermute_b32 v68, v76, v66
	ds_bpermute_b32 v69, v76, v67
	s_mov_b32 s88, 0x555502a1
	s_mov_b32 s89, 0x3fa55555
	;; [unrolled: 1-line block ×4, first 2 shown]
	s_waitcnt lgkmcnt(0)
	v_cmp_lt_f64_e32 vcc, v[66:67], v[68:69]
	v_cndmask_b32_e32 v67, v67, v69, vcc
	v_cndmask_b32_e32 v66, v66, v68, vcc
	v_add_f64 v[8:9], v[8:9], -v[66:67]
	v_mul_f64 v[68:69], v[8:9], s[70:71]
	v_rndne_f64_e32 v[78:79], v[68:69]
	v_fma_f64 v[80:81], s[72:73], v[78:79], v[8:9]
	v_fmac_f64_e32 v[80:81], s[74:75], v[78:79]
	v_pk_mov_b32 v[68:69], s[0:1], s[0:1] op_sel:[0,1]
	v_fma_f64 v[82:83], s[76:77], v[80:81], v[68:69]
	v_fma_f64 v[82:83], v[80:81], v[82:83], s[78:79]
	;; [unrolled: 1-line block ×7, first 2 shown]
	s_mov_b32 s92, 11
	v_fma_f64 v[82:83], v[80:81], v[82:83], s[90:91]
	s_mov_b32 s93, 0x3fe00000
	v_fma_f64 v[82:83], v[80:81], v[82:83], s[92:93]
	v_fma_f64 v[82:83], v[80:81], v[82:83], 1.0
	s_mov_b32 s94, 0
	s_mov_b32 s0, 0
	v_fma_f64 v[80:81], v[80:81], v[82:83], 1.0
	v_cvt_i32_f64_e32 v77, v[78:79]
	s_mov_b32 s95, 0x40900000
	s_mov_b32 s1, 0xc090cc00
	v_ldexp_f64 v[78:79], v[80:81], v77
	v_mov_b32_e32 v77, 0x7ff00000
	v_cmp_nlt_f64_e32 vcc, s[94:95], v[8:9]
	v_cmp_ngt_f64_e64 s[66:67], s[0:1], v[8:9]
	v_cndmask_b32_e32 v79, v77, v79, vcc
	s_and_b64 vcc, s[66:67], vcc
	v_add_f64 v[10:11], v[10:11], -v[66:67]
	v_cndmask_b32_e64 v9, 0, v79, s[66:67]
	v_cndmask_b32_e32 v8, 0, v78, vcc
	v_mul_f64 v[78:79], v[10:11], s[70:71]
	v_rndne_f64_e32 v[78:79], v[78:79]
	v_fma_f64 v[80:81], s[72:73], v[78:79], v[10:11]
	v_fmac_f64_e32 v[80:81], s[74:75], v[78:79]
	v_fma_f64 v[82:83], s[76:77], v[80:81], v[68:69]
	v_fma_f64 v[82:83], v[80:81], v[82:83], s[78:79]
	v_fma_f64 v[82:83], v[80:81], v[82:83], s[80:81]
	v_fma_f64 v[82:83], v[80:81], v[82:83], s[82:83]
	v_fma_f64 v[82:83], v[80:81], v[82:83], s[84:85]
	v_fma_f64 v[82:83], v[80:81], v[82:83], s[86:87]
	v_fma_f64 v[82:83], v[80:81], v[82:83], s[88:89]
	v_fma_f64 v[82:83], v[80:81], v[82:83], s[90:91]
	v_fma_f64 v[82:83], v[80:81], v[82:83], s[92:93]
	v_fma_f64 v[82:83], v[80:81], v[82:83], 1.0
	v_fma_f64 v[80:81], v[80:81], v[82:83], 1.0
	v_cvt_i32_f64_e32 v78, v[78:79]
	v_ldexp_f64 v[78:79], v[80:81], v78
	v_cmp_nlt_f64_e32 vcc, s[94:95], v[10:11]
	v_cmp_ngt_f64_e64 s[66:67], s[0:1], v[10:11]
	v_cndmask_b32_e32 v79, v77, v79, vcc
	s_and_b64 vcc, s[66:67], vcc
	v_add_f64 v[14:15], v[14:15], -v[66:67]
	v_cndmask_b32_e64 v11, 0, v79, s[66:67]
	v_cndmask_b32_e32 v10, 0, v78, vcc
	v_mul_f64 v[78:79], v[14:15], s[70:71]
	v_rndne_f64_e32 v[78:79], v[78:79]
	v_fma_f64 v[80:81], s[72:73], v[78:79], v[14:15]
	v_fmac_f64_e32 v[80:81], s[74:75], v[78:79]
	v_fma_f64 v[82:83], s[76:77], v[80:81], v[68:69]
	v_fma_f64 v[82:83], v[80:81], v[82:83], s[78:79]
	v_fma_f64 v[82:83], v[80:81], v[82:83], s[80:81]
	v_fma_f64 v[82:83], v[80:81], v[82:83], s[82:83]
	v_fma_f64 v[82:83], v[80:81], v[82:83], s[84:85]
	v_fma_f64 v[82:83], v[80:81], v[82:83], s[86:87]
	v_fma_f64 v[82:83], v[80:81], v[82:83], s[88:89]
	v_fma_f64 v[82:83], v[80:81], v[82:83], s[90:91]
	v_fma_f64 v[82:83], v[80:81], v[82:83], s[92:93]
	v_fma_f64 v[82:83], v[80:81], v[82:83], 1.0
	v_fma_f64 v[80:81], v[80:81], v[82:83], 1.0
	v_cvt_i32_f64_e32 v78, v[78:79]
	v_ldexp_f64 v[78:79], v[80:81], v78
	;; [unrolled: 24-line block ×29, first 2 shown]
	v_cmp_nlt_f64_e32 vcc, s[94:95], v[4:5]
	v_cmp_ngt_f64_e64 s[66:67], s[0:1], v[4:5]
	v_cndmask_b32_e32 v79, v77, v79, vcc
	s_and_b64 vcc, s[66:67], vcc
	v_add_f64 v[6:7], v[6:7], -v[66:67]
	v_cndmask_b32_e64 v5, 0, v79, s[66:67]
	v_cndmask_b32_e32 v4, 0, v78, vcc
	v_mul_f64 v[78:79], v[6:7], s[70:71]
	v_rndne_f64_e32 v[78:79], v[78:79]
	v_fma_f64 v[80:81], s[72:73], v[78:79], v[6:7]
	v_fmac_f64_e32 v[80:81], s[74:75], v[78:79]
	v_fma_f64 v[82:83], s[76:77], v[80:81], v[68:69]
	v_fma_f64 v[82:83], v[80:81], v[82:83], s[78:79]
	;; [unrolled: 1-line block ×9, first 2 shown]
	v_fma_f64 v[82:83], v[80:81], v[82:83], 1.0
	v_fma_f64 v[80:81], v[80:81], v[82:83], 1.0
	v_cvt_i32_f64_e32 v78, v[78:79]
	v_add_f64 v[66:67], v[2:3], -v[66:67]
	v_ldexp_f64 v[78:79], v[80:81], v78
	v_cmp_nlt_f64_e32 vcc, s[94:95], v[6:7]
	v_cmp_ngt_f64_e64 s[66:67], s[0:1], v[6:7]
	v_mul_f64 v[2:3], v[66:67], s[70:71]
	v_cndmask_b32_e32 v79, v77, v79, vcc
	s_and_b64 vcc, s[66:67], vcc
	v_rndne_f64_e32 v[2:3], v[2:3]
	v_cndmask_b32_e64 v7, 0, v79, s[66:67]
	v_cndmask_b32_e32 v6, 0, v78, vcc
	v_fma_f64 v[78:79], s[72:73], v[2:3], v[66:67]
	v_cmp_nlt_f64_e32 vcc, s[94:95], v[66:67]
	v_cmp_ngt_f64_e64 s[66:67], s[0:1], v[66:67]
	v_add_f64 v[66:67], v[8:9], 0
	v_add_f64 v[66:67], v[66:67], v[10:11]
	;; [unrolled: 1-line block ×16, first 2 shown]
	v_fmac_f64_e32 v[78:79], s[74:75], v[2:3]
	v_add_f64 v[66:67], v[66:67], v[50:51]
	v_fmac_f64_e32 v[68:69], s[76:77], v[78:79]
	v_add_f64 v[66:67], v[66:67], v[48:49]
	v_fma_f64 v[68:69], v[78:79], v[68:69], s[78:79]
	v_add_f64 v[66:67], v[66:67], v[54:55]
	v_fma_f64 v[68:69], v[78:79], v[68:69], s[80:81]
	;; [unrolled: 2-line block ×8, first 2 shown]
	v_add_f64 v[66:67], v[66:67], v[24:25]
	v_fma_f64 v[68:69], v[78:79], v[68:69], 1.0
	v_add_f64 v[66:67], v[66:67], v[28:29]
	v_fma_f64 v[68:69], v[78:79], v[68:69], 1.0
	v_cvt_i32_f64_e32 v2, v[2:3]
	v_add_f64 v[66:67], v[66:67], v[12:13]
	v_ldexp_f64 v[2:3], v[68:69], v2
	v_add_f64 v[66:67], v[66:67], v[16:17]
	v_cndmask_b32_e32 v3, v77, v3, vcc
	s_and_b64 vcc, s[66:67], vcc
	v_add_f64 v[66:67], v[66:67], v[4:5]
	v_cndmask_b32_e64 v3, 0, v3, s[66:67]
	v_cndmask_b32_e32 v2, 0, v2, vcc
	v_add_f64 v[66:67], v[66:67], v[6:7]
	v_add_f64 v[66:67], v[66:67], v[2:3]
	ds_bpermute_b32 v68, v71, v66
	ds_bpermute_b32 v69, v71, v67
	v_cmp_lt_i32_e32 vcc, 0, v70
	s_waitcnt lgkmcnt(0)
	v_add_f64 v[66:67], v[66:67], v[68:69]
	ds_bpermute_b32 v68, v72, v66
	ds_bpermute_b32 v69, v72, v67
	s_waitcnt lgkmcnt(0)
	v_add_f64 v[66:67], v[66:67], v[68:69]
	ds_bpermute_b32 v68, v73, v66
	ds_bpermute_b32 v69, v73, v67
	;; [unrolled: 4-line block ×5, first 2 shown]
	s_and_saveexec_b64 s[0:1], vcc
	s_cbranch_execz .LBB376_98
; %bb.65:
	s_and_b64 exec, exec, s[64:65]
	s_cbranch_execz .LBB376_98
; %bb.66:
	s_waitcnt lgkmcnt(0)
	v_add_f64 v[66:67], v[66:67], v[68:69]
	v_div_scale_f64 v[68:69], s[0:1], v[66:67], v[66:67], v[8:9]
	v_rcp_f64_e32 v[70:71], v[68:69]
	v_mov_b32_e32 v72, s69
	v_add_co_u32_e32 v0, vcc, s68, v0
	v_addc_co_u32_e32 v1, vcc, v72, v1, vcc
	v_fma_f64 v[72:73], -v[68:69], v[70:71], 1.0
	v_fmac_f64_e32 v[70:71], v[70:71], v[72:73]
	v_fma_f64 v[72:73], -v[68:69], v[70:71], 1.0
	v_fmac_f64_e32 v[70:71], v[70:71], v[72:73]
	v_div_scale_f64 v[72:73], vcc, v[8:9], v[66:67], v[8:9]
	v_mul_f64 v[74:75], v[72:73], v[70:71]
	v_fma_f64 v[68:69], -v[68:69], v[74:75], v[72:73]
	v_cmp_eq_f64_e64 s[64:65], 0, v[66:67]
	s_nop 0
	v_div_fmas_f64 v[68:69], v[68:69], v[70:71], v[74:75]
	v_div_fixup_f64 v[68:69], v[68:69], v[66:67], v[8:9]
	v_mov_b32_e32 v8, 0x7ff80000
	v_cndmask_b32_e64 v69, v69, v8, s[64:65]
	v_cndmask_b32_e64 v68, v68, 0, s[64:65]
	global_store_dwordx2 v[0:1], v[68:69], off
	s_and_b64 exec, exec, s[62:63]
	s_cbranch_execz .LBB376_98
; %bb.67:
	v_div_scale_f64 v[68:69], s[0:1], v[66:67], v[66:67], v[10:11]
	v_rcp_f64_e32 v[70:71], v[68:69]
	v_div_scale_f64 v[72:73], vcc, v[10:11], v[66:67], v[10:11]
	v_fma_f64 v[74:75], -v[68:69], v[70:71], 1.0
	v_fmac_f64_e32 v[70:71], v[70:71], v[74:75]
	v_fma_f64 v[74:75], -v[68:69], v[70:71], 1.0
	v_fmac_f64_e32 v[70:71], v[70:71], v[74:75]
	v_mul_f64 v[74:75], v[72:73], v[70:71]
	v_fma_f64 v[68:69], -v[68:69], v[74:75], v[72:73]
	v_div_fmas_f64 v[68:69], v[68:69], v[70:71], v[74:75]
	v_div_fixup_f64 v[10:11], v[68:69], v[66:67], v[10:11]
	v_cndmask_b32_e64 v9, v11, v8, s[64:65]
	v_cndmask_b32_e64 v8, v10, 0, s[64:65]
	global_store_dwordx2 v[0:1], v[8:9], off offset:512
	s_and_b64 exec, exec, s[60:61]
	s_cbranch_execz .LBB376_98
; %bb.68:
	v_div_scale_f64 v[8:9], s[0:1], v[66:67], v[66:67], v[14:15]
	v_rcp_f64_e32 v[10:11], v[8:9]
	v_div_scale_f64 v[68:69], vcc, v[14:15], v[66:67], v[14:15]
	v_fma_f64 v[70:71], -v[8:9], v[10:11], 1.0
	v_fmac_f64_e32 v[10:11], v[10:11], v[70:71]
	v_fma_f64 v[70:71], -v[8:9], v[10:11], 1.0
	v_fmac_f64_e32 v[10:11], v[10:11], v[70:71]
	v_mul_f64 v[70:71], v[68:69], v[10:11]
	v_fma_f64 v[8:9], -v[8:9], v[70:71], v[68:69]
	v_div_fmas_f64 v[8:9], v[8:9], v[10:11], v[70:71]
	v_div_fixup_f64 v[10:11], v[8:9], v[66:67], v[14:15]
	v_mov_b32_e32 v8, 0x7ff80000
	v_cndmask_b32_e64 v11, v11, v8, s[64:65]
	v_cndmask_b32_e64 v10, v10, 0, s[64:65]
	global_store_dwordx2 v[0:1], v[10:11], off offset:1024
	s_and_b64 exec, exec, s[58:59]
	s_cbranch_execz .LBB376_98
; %bb.69:
	v_div_scale_f64 v[10:11], s[0:1], v[66:67], v[66:67], v[18:19]
	v_rcp_f64_e32 v[14:15], v[10:11]
	v_div_scale_f64 v[68:69], vcc, v[18:19], v[66:67], v[18:19]
	v_fma_f64 v[70:71], -v[10:11], v[14:15], 1.0
	v_fmac_f64_e32 v[14:15], v[14:15], v[70:71]
	v_fma_f64 v[70:71], -v[10:11], v[14:15], 1.0
	v_fmac_f64_e32 v[14:15], v[14:15], v[70:71]
	v_mul_f64 v[70:71], v[68:69], v[14:15]
	v_fma_f64 v[10:11], -v[10:11], v[70:71], v[68:69]
	v_div_fmas_f64 v[10:11], v[10:11], v[14:15], v[70:71]
	v_div_fixup_f64 v[10:11], v[10:11], v[66:67], v[18:19]
	v_cndmask_b32_e64 v9, v11, v8, s[64:65]
	v_cndmask_b32_e64 v8, v10, 0, s[64:65]
	global_store_dwordx2 v[0:1], v[8:9], off offset:1536
	s_and_b64 exec, exec, s[56:57]
	s_cbranch_execz .LBB376_98
; %bb.70:
	v_div_scale_f64 v[8:9], s[0:1], v[66:67], v[66:67], v[20:21]
	v_rcp_f64_e32 v[10:11], v[8:9]
	v_div_scale_f64 v[14:15], vcc, v[20:21], v[66:67], v[20:21]
	v_fma_f64 v[18:19], -v[8:9], v[10:11], 1.0
	v_fmac_f64_e32 v[10:11], v[10:11], v[18:19]
	v_fma_f64 v[18:19], -v[8:9], v[10:11], 1.0
	v_fmac_f64_e32 v[10:11], v[10:11], v[18:19]
	v_mul_f64 v[18:19], v[14:15], v[10:11]
	v_fma_f64 v[8:9], -v[8:9], v[18:19], v[14:15]
	v_div_fmas_f64 v[8:9], v[8:9], v[10:11], v[18:19]
	v_div_fixup_f64 v[10:11], v[8:9], v[66:67], v[20:21]
	v_mov_b32_e32 v8, 0x7ff80000
	v_cndmask_b32_e64 v11, v11, v8, s[64:65]
	v_cndmask_b32_e64 v10, v10, 0, s[64:65]
	global_store_dwordx2 v[0:1], v[10:11], off offset:2048
	;; [unrolled: 35-line block ×3, first 2 shown]
	s_and_b64 exec, exec, s[50:51]
	s_cbranch_execz .LBB376_98
; %bb.73:
	v_div_scale_f64 v[10:11], s[0:1], v[66:67], v[66:67], v[30:31]
	v_rcp_f64_e32 v[14:15], v[10:11]
	v_div_scale_f64 v[18:19], vcc, v[30:31], v[66:67], v[30:31]
	v_fma_f64 v[20:21], -v[10:11], v[14:15], 1.0
	v_fmac_f64_e32 v[14:15], v[14:15], v[20:21]
	v_fma_f64 v[20:21], -v[10:11], v[14:15], 1.0
	v_fmac_f64_e32 v[14:15], v[14:15], v[20:21]
	v_mul_f64 v[20:21], v[18:19], v[14:15]
	v_fma_f64 v[10:11], -v[10:11], v[20:21], v[18:19]
	v_div_fmas_f64 v[10:11], v[10:11], v[14:15], v[20:21]
	v_div_fixup_f64 v[10:11], v[10:11], v[66:67], v[30:31]
	v_cndmask_b32_e64 v9, v11, v8, s[64:65]
	v_cndmask_b32_e64 v8, v10, 0, s[64:65]
	global_store_dwordx2 v[0:1], v[8:9], off offset:3584
	s_and_b64 exec, exec, s[48:49]
	s_cbranch_execz .LBB376_98
; %bb.74:
	v_div_scale_f64 v[8:9], s[0:1], v[66:67], v[66:67], v[34:35]
	v_rcp_f64_e32 v[10:11], v[8:9]
	v_div_scale_f64 v[14:15], vcc, v[34:35], v[66:67], v[34:35]
	v_fma_f64 v[18:19], -v[8:9], v[10:11], 1.0
	v_fmac_f64_e32 v[10:11], v[10:11], v[18:19]
	v_fma_f64 v[18:19], -v[8:9], v[10:11], 1.0
	v_fmac_f64_e32 v[10:11], v[10:11], v[18:19]
	v_mul_f64 v[18:19], v[14:15], v[10:11]
	v_fma_f64 v[8:9], -v[8:9], v[18:19], v[14:15]
	v_div_fmas_f64 v[8:9], v[8:9], v[10:11], v[18:19]
	v_div_fixup_f64 v[10:11], v[8:9], v[66:67], v[34:35]
	v_mov_b32_e32 v8, 0x7ff80000
	v_add_co_u32_e32 v14, vcc, 0x1000, v0
	v_cndmask_b32_e64 v11, v11, v8, s[64:65]
	v_cndmask_b32_e64 v10, v10, 0, s[64:65]
	v_addc_co_u32_e32 v15, vcc, 0, v1, vcc
	global_store_dwordx2 v[14:15], v[10:11], off
	s_and_b64 exec, exec, s[46:47]
	s_cbranch_execz .LBB376_98
; %bb.75:
	v_div_scale_f64 v[10:11], s[0:1], v[66:67], v[66:67], v[32:33]
	v_rcp_f64_e32 v[14:15], v[10:11]
	v_div_scale_f64 v[18:19], vcc, v[32:33], v[66:67], v[32:33]
	v_fma_f64 v[20:21], -v[10:11], v[14:15], 1.0
	v_fmac_f64_e32 v[14:15], v[14:15], v[20:21]
	v_fma_f64 v[20:21], -v[10:11], v[14:15], 1.0
	v_fmac_f64_e32 v[14:15], v[14:15], v[20:21]
	v_mul_f64 v[20:21], v[18:19], v[14:15]
	v_fma_f64 v[10:11], -v[10:11], v[20:21], v[18:19]
	v_div_fmas_f64 v[10:11], v[10:11], v[14:15], v[20:21]
	v_div_fixup_f64 v[10:11], v[10:11], v[66:67], v[32:33]
	v_cndmask_b32_e64 v9, v11, v8, s[64:65]
	v_cndmask_b32_e64 v8, v10, 0, s[64:65]
	v_add_co_u32_e32 v10, vcc, 0x1000, v0
	v_addc_co_u32_e32 v11, vcc, 0, v1, vcc
	global_store_dwordx2 v[10:11], v[8:9], off offset:512
	s_and_b64 exec, exec, s[44:45]
	s_cbranch_execz .LBB376_98
; %bb.76:
	v_div_scale_f64 v[8:9], s[0:1], v[66:67], v[66:67], v[38:39]
	v_rcp_f64_e32 v[10:11], v[8:9]
	v_div_scale_f64 v[14:15], vcc, v[38:39], v[66:67], v[38:39]
	v_fma_f64 v[18:19], -v[8:9], v[10:11], 1.0
	v_fmac_f64_e32 v[10:11], v[10:11], v[18:19]
	v_fma_f64 v[18:19], -v[8:9], v[10:11], 1.0
	v_fmac_f64_e32 v[10:11], v[10:11], v[18:19]
	v_mul_f64 v[18:19], v[14:15], v[10:11]
	v_fma_f64 v[8:9], -v[8:9], v[18:19], v[14:15]
	v_div_fmas_f64 v[8:9], v[8:9], v[10:11], v[18:19]
	v_div_fixup_f64 v[10:11], v[8:9], v[66:67], v[38:39]
	v_mov_b32_e32 v8, 0x7ff80000
	v_add_co_u32_e32 v14, vcc, 0x1000, v0
	v_cndmask_b32_e64 v11, v11, v8, s[64:65]
	v_cndmask_b32_e64 v10, v10, 0, s[64:65]
	v_addc_co_u32_e32 v15, vcc, 0, v1, vcc
	global_store_dwordx2 v[14:15], v[10:11], off offset:1024
	s_and_b64 exec, exec, s[42:43]
	s_cbranch_execz .LBB376_98
; %bb.77:
	v_div_scale_f64 v[10:11], s[0:1], v[66:67], v[66:67], v[36:37]
	v_rcp_f64_e32 v[14:15], v[10:11]
	v_div_scale_f64 v[18:19], vcc, v[36:37], v[66:67], v[36:37]
	v_fma_f64 v[20:21], -v[10:11], v[14:15], 1.0
	v_fmac_f64_e32 v[14:15], v[14:15], v[20:21]
	v_fma_f64 v[20:21], -v[10:11], v[14:15], 1.0
	v_fmac_f64_e32 v[14:15], v[14:15], v[20:21]
	v_mul_f64 v[20:21], v[18:19], v[14:15]
	v_fma_f64 v[10:11], -v[10:11], v[20:21], v[18:19]
	v_div_fmas_f64 v[10:11], v[10:11], v[14:15], v[20:21]
	v_div_fixup_f64 v[10:11], v[10:11], v[66:67], v[36:37]
	v_cndmask_b32_e64 v9, v11, v8, s[64:65]
	v_cndmask_b32_e64 v8, v10, 0, s[64:65]
	v_add_co_u32_e32 v10, vcc, 0x1000, v0
	v_addc_co_u32_e32 v11, vcc, 0, v1, vcc
	global_store_dwordx2 v[10:11], v[8:9], off offset:1536
	s_and_b64 exec, exec, s[40:41]
	s_cbranch_execz .LBB376_98
; %bb.78:
	v_div_scale_f64 v[8:9], s[0:1], v[66:67], v[66:67], v[42:43]
	v_rcp_f64_e32 v[10:11], v[8:9]
	v_div_scale_f64 v[14:15], vcc, v[42:43], v[66:67], v[42:43]
	v_fma_f64 v[18:19], -v[8:9], v[10:11], 1.0
	v_fmac_f64_e32 v[10:11], v[10:11], v[18:19]
	v_fma_f64 v[18:19], -v[8:9], v[10:11], 1.0
	v_fmac_f64_e32 v[10:11], v[10:11], v[18:19]
	v_mul_f64 v[18:19], v[14:15], v[10:11]
	v_fma_f64 v[8:9], -v[8:9], v[18:19], v[14:15]
	v_div_fmas_f64 v[8:9], v[8:9], v[10:11], v[18:19]
	v_div_fixup_f64 v[10:11], v[8:9], v[66:67], v[42:43]
	v_mov_b32_e32 v8, 0x7ff80000
	v_add_co_u32_e32 v14, vcc, 0x1000, v0
	v_cndmask_b32_e64 v11, v11, v8, s[64:65]
	v_cndmask_b32_e64 v10, v10, 0, s[64:65]
	v_addc_co_u32_e32 v15, vcc, 0, v1, vcc
	global_store_dwordx2 v[14:15], v[10:11], off offset:2048
	;; [unrolled: 39-line block ×3, first 2 shown]
	s_and_b64 exec, exec, s[34:35]
	s_cbranch_execz .LBB376_98
; %bb.81:
	v_div_scale_f64 v[10:11], s[0:1], v[66:67], v[66:67], v[44:45]
	v_rcp_f64_e32 v[14:15], v[10:11]
	v_div_scale_f64 v[18:19], vcc, v[44:45], v[66:67], v[44:45]
	v_fma_f64 v[20:21], -v[10:11], v[14:15], 1.0
	v_fmac_f64_e32 v[14:15], v[14:15], v[20:21]
	v_fma_f64 v[20:21], -v[10:11], v[14:15], 1.0
	v_fmac_f64_e32 v[14:15], v[14:15], v[20:21]
	v_mul_f64 v[20:21], v[18:19], v[14:15]
	v_fma_f64 v[10:11], -v[10:11], v[20:21], v[18:19]
	v_div_fmas_f64 v[10:11], v[10:11], v[14:15], v[20:21]
	v_div_fixup_f64 v[10:11], v[10:11], v[66:67], v[44:45]
	v_cndmask_b32_e64 v9, v11, v8, s[64:65]
	v_cndmask_b32_e64 v8, v10, 0, s[64:65]
	v_add_co_u32_e32 v10, vcc, 0x1000, v0
	v_addc_co_u32_e32 v11, vcc, 0, v1, vcc
	global_store_dwordx2 v[10:11], v[8:9], off offset:3584
	s_and_b64 exec, exec, s[30:31]
	s_cbranch_execz .LBB376_98
; %bb.82:
	v_div_scale_f64 v[8:9], s[0:1], v[66:67], v[66:67], v[50:51]
	v_rcp_f64_e32 v[10:11], v[8:9]
	v_div_scale_f64 v[14:15], vcc, v[50:51], v[66:67], v[50:51]
	v_fma_f64 v[18:19], -v[8:9], v[10:11], 1.0
	v_fmac_f64_e32 v[10:11], v[10:11], v[18:19]
	v_fma_f64 v[18:19], -v[8:9], v[10:11], 1.0
	v_fmac_f64_e32 v[10:11], v[10:11], v[18:19]
	v_mul_f64 v[18:19], v[14:15], v[10:11]
	v_fma_f64 v[8:9], -v[8:9], v[18:19], v[14:15]
	v_div_fmas_f64 v[8:9], v[8:9], v[10:11], v[18:19]
	v_div_fixup_f64 v[10:11], v[8:9], v[66:67], v[50:51]
	v_mov_b32_e32 v8, 0x7ff80000
	v_add_co_u32_e32 v14, vcc, 0x2000, v0
	v_cndmask_b32_e64 v11, v11, v8, s[64:65]
	v_cndmask_b32_e64 v10, v10, 0, s[64:65]
	v_addc_co_u32_e32 v15, vcc, 0, v1, vcc
	global_store_dwordx2 v[14:15], v[10:11], off
	s_and_b64 exec, exec, s[28:29]
	s_cbranch_execz .LBB376_98
; %bb.83:
	v_div_scale_f64 v[10:11], s[0:1], v[66:67], v[66:67], v[48:49]
	v_rcp_f64_e32 v[14:15], v[10:11]
	v_div_scale_f64 v[18:19], vcc, v[48:49], v[66:67], v[48:49]
	v_fma_f64 v[20:21], -v[10:11], v[14:15], 1.0
	v_fmac_f64_e32 v[14:15], v[14:15], v[20:21]
	v_fma_f64 v[20:21], -v[10:11], v[14:15], 1.0
	v_fmac_f64_e32 v[14:15], v[14:15], v[20:21]
	v_mul_f64 v[20:21], v[18:19], v[14:15]
	v_fma_f64 v[10:11], -v[10:11], v[20:21], v[18:19]
	v_div_fmas_f64 v[10:11], v[10:11], v[14:15], v[20:21]
	v_div_fixup_f64 v[10:11], v[10:11], v[66:67], v[48:49]
	v_cndmask_b32_e64 v9, v11, v8, s[64:65]
	v_cndmask_b32_e64 v8, v10, 0, s[64:65]
	v_add_co_u32_e32 v10, vcc, 0x2000, v0
	v_addc_co_u32_e32 v11, vcc, 0, v1, vcc
	global_store_dwordx2 v[10:11], v[8:9], off offset:512
	s_and_b64 exec, exec, s[26:27]
	s_cbranch_execz .LBB376_98
; %bb.84:
	v_div_scale_f64 v[8:9], s[0:1], v[66:67], v[66:67], v[54:55]
	v_rcp_f64_e32 v[10:11], v[8:9]
	v_div_scale_f64 v[14:15], vcc, v[54:55], v[66:67], v[54:55]
	v_fma_f64 v[18:19], -v[8:9], v[10:11], 1.0
	v_fmac_f64_e32 v[10:11], v[10:11], v[18:19]
	v_fma_f64 v[18:19], -v[8:9], v[10:11], 1.0
	v_fmac_f64_e32 v[10:11], v[10:11], v[18:19]
	v_mul_f64 v[18:19], v[14:15], v[10:11]
	v_fma_f64 v[8:9], -v[8:9], v[18:19], v[14:15]
	v_div_fmas_f64 v[8:9], v[8:9], v[10:11], v[18:19]
	v_div_fixup_f64 v[10:11], v[8:9], v[66:67], v[54:55]
	v_mov_b32_e32 v8, 0x7ff80000
	v_add_co_u32_e32 v14, vcc, 0x2000, v0
	v_cndmask_b32_e64 v11, v11, v8, s[64:65]
	v_cndmask_b32_e64 v10, v10, 0, s[64:65]
	v_addc_co_u32_e32 v15, vcc, 0, v1, vcc
	global_store_dwordx2 v[14:15], v[10:11], off offset:1024
	s_and_b64 exec, exec, s[24:25]
	s_cbranch_execz .LBB376_98
; %bb.85:
	v_div_scale_f64 v[10:11], s[0:1], v[66:67], v[66:67], v[52:53]
	v_rcp_f64_e32 v[14:15], v[10:11]
	v_div_scale_f64 v[18:19], vcc, v[52:53], v[66:67], v[52:53]
	v_fma_f64 v[20:21], -v[10:11], v[14:15], 1.0
	v_fmac_f64_e32 v[14:15], v[14:15], v[20:21]
	v_fma_f64 v[20:21], -v[10:11], v[14:15], 1.0
	v_fmac_f64_e32 v[14:15], v[14:15], v[20:21]
	v_mul_f64 v[20:21], v[18:19], v[14:15]
	v_fma_f64 v[10:11], -v[10:11], v[20:21], v[18:19]
	v_div_fmas_f64 v[10:11], v[10:11], v[14:15], v[20:21]
	v_div_fixup_f64 v[10:11], v[10:11], v[66:67], v[52:53]
	v_cndmask_b32_e64 v9, v11, v8, s[64:65]
	v_cndmask_b32_e64 v8, v10, 0, s[64:65]
	v_add_co_u32_e32 v10, vcc, 0x2000, v0
	v_addc_co_u32_e32 v11, vcc, 0, v1, vcc
	global_store_dwordx2 v[10:11], v[8:9], off offset:1536
	s_and_b64 exec, exec, s[22:23]
	s_cbranch_execz .LBB376_98
; %bb.86:
	v_div_scale_f64 v[8:9], s[0:1], v[66:67], v[66:67], v[58:59]
	v_rcp_f64_e32 v[10:11], v[8:9]
	v_div_scale_f64 v[14:15], vcc, v[58:59], v[66:67], v[58:59]
	v_fma_f64 v[18:19], -v[8:9], v[10:11], 1.0
	v_fmac_f64_e32 v[10:11], v[10:11], v[18:19]
	v_fma_f64 v[18:19], -v[8:9], v[10:11], 1.0
	v_fmac_f64_e32 v[10:11], v[10:11], v[18:19]
	v_mul_f64 v[18:19], v[14:15], v[10:11]
	v_fma_f64 v[8:9], -v[8:9], v[18:19], v[14:15]
	v_div_fmas_f64 v[8:9], v[8:9], v[10:11], v[18:19]
	v_div_fixup_f64 v[10:11], v[8:9], v[66:67], v[58:59]
	v_mov_b32_e32 v8, 0x7ff80000
	v_add_co_u32_e32 v14, vcc, 0x2000, v0
	v_cndmask_b32_e64 v11, v11, v8, s[64:65]
	v_cndmask_b32_e64 v10, v10, 0, s[64:65]
	v_addc_co_u32_e32 v15, vcc, 0, v1, vcc
	global_store_dwordx2 v[14:15], v[10:11], off offset:2048
	;; [unrolled: 39-line block ×3, first 2 shown]
	s_and_b64 exec, exec, s[16:17]
	s_cbranch_execz .LBB376_98
; %bb.89:
	v_div_scale_f64 v[10:11], s[0:1], v[66:67], v[66:67], v[60:61]
	v_rcp_f64_e32 v[14:15], v[10:11]
	v_div_scale_f64 v[18:19], vcc, v[60:61], v[66:67], v[60:61]
	v_fma_f64 v[20:21], -v[10:11], v[14:15], 1.0
	v_fmac_f64_e32 v[14:15], v[14:15], v[20:21]
	v_fma_f64 v[20:21], -v[10:11], v[14:15], 1.0
	v_fmac_f64_e32 v[14:15], v[14:15], v[20:21]
	v_mul_f64 v[20:21], v[18:19], v[14:15]
	v_fma_f64 v[10:11], -v[10:11], v[20:21], v[18:19]
	v_div_fmas_f64 v[10:11], v[10:11], v[14:15], v[20:21]
	v_div_fixup_f64 v[10:11], v[10:11], v[66:67], v[60:61]
	v_cndmask_b32_e64 v9, v11, v8, s[64:65]
	v_cndmask_b32_e64 v8, v10, 0, s[64:65]
	v_add_co_u32_e32 v10, vcc, 0x2000, v0
	v_addc_co_u32_e32 v11, vcc, 0, v1, vcc
	global_store_dwordx2 v[10:11], v[8:9], off offset:3584
	s_and_b64 exec, exec, s[14:15]
	s_cbranch_execz .LBB376_98
; %bb.90:
	v_div_scale_f64 v[8:9], s[0:1], v[66:67], v[66:67], v[64:65]
	v_rcp_f64_e32 v[10:11], v[8:9]
	v_div_scale_f64 v[14:15], vcc, v[64:65], v[66:67], v[64:65]
	v_fma_f64 v[18:19], -v[8:9], v[10:11], 1.0
	v_fmac_f64_e32 v[10:11], v[10:11], v[18:19]
	v_fma_f64 v[18:19], -v[8:9], v[10:11], 1.0
	v_fmac_f64_e32 v[10:11], v[10:11], v[18:19]
	v_mul_f64 v[18:19], v[14:15], v[10:11]
	v_fma_f64 v[8:9], -v[8:9], v[18:19], v[14:15]
	v_div_fmas_f64 v[8:9], v[8:9], v[10:11], v[18:19]
	v_div_fixup_f64 v[10:11], v[8:9], v[66:67], v[64:65]
	v_mov_b32_e32 v8, 0x7ff80000
	v_add_co_u32_e32 v14, vcc, 0x3000, v0
	v_cndmask_b32_e64 v11, v11, v8, s[64:65]
	v_cndmask_b32_e64 v10, v10, 0, s[64:65]
	v_addc_co_u32_e32 v15, vcc, 0, v1, vcc
	global_store_dwordx2 v[14:15], v[10:11], off
	s_and_b64 exec, exec, s[12:13]
	s_cbranch_execz .LBB376_98
; %bb.91:
	v_div_scale_f64 v[10:11], s[0:1], v[66:67], v[66:67], v[24:25]
	v_rcp_f64_e32 v[14:15], v[10:11]
	v_div_scale_f64 v[18:19], vcc, v[24:25], v[66:67], v[24:25]
	v_fma_f64 v[20:21], -v[10:11], v[14:15], 1.0
	v_fmac_f64_e32 v[14:15], v[14:15], v[20:21]
	v_fma_f64 v[20:21], -v[10:11], v[14:15], 1.0
	v_fmac_f64_e32 v[14:15], v[14:15], v[20:21]
	v_mul_f64 v[20:21], v[18:19], v[14:15]
	v_fma_f64 v[10:11], -v[10:11], v[20:21], v[18:19]
	v_div_fmas_f64 v[10:11], v[10:11], v[14:15], v[20:21]
	v_div_fixup_f64 v[10:11], v[10:11], v[66:67], v[24:25]
	v_cndmask_b32_e64 v9, v11, v8, s[64:65]
	v_cndmask_b32_e64 v8, v10, 0, s[64:65]
	v_add_co_u32_e32 v10, vcc, 0x3000, v0
	v_addc_co_u32_e32 v11, vcc, 0, v1, vcc
	global_store_dwordx2 v[10:11], v[8:9], off offset:512
	s_and_b64 exec, exec, s[10:11]
	s_cbranch_execz .LBB376_98
; %bb.92:
	v_div_scale_f64 v[8:9], s[0:1], v[66:67], v[66:67], v[28:29]
	v_rcp_f64_e32 v[10:11], v[8:9]
	v_div_scale_f64 v[14:15], vcc, v[28:29], v[66:67], v[28:29]
	v_fma_f64 v[18:19], -v[8:9], v[10:11], 1.0
	v_fmac_f64_e32 v[10:11], v[10:11], v[18:19]
	v_fma_f64 v[18:19], -v[8:9], v[10:11], 1.0
	v_fmac_f64_e32 v[10:11], v[10:11], v[18:19]
	v_mul_f64 v[18:19], v[14:15], v[10:11]
	v_fma_f64 v[8:9], -v[8:9], v[18:19], v[14:15]
	v_div_fmas_f64 v[8:9], v[8:9], v[10:11], v[18:19]
	v_div_fixup_f64 v[10:11], v[8:9], v[66:67], v[28:29]
	v_mov_b32_e32 v8, 0x7ff80000
	v_add_co_u32_e32 v14, vcc, 0x3000, v0
	v_cndmask_b32_e64 v11, v11, v8, s[64:65]
	v_cndmask_b32_e64 v10, v10, 0, s[64:65]
	v_addc_co_u32_e32 v15, vcc, 0, v1, vcc
	global_store_dwordx2 v[14:15], v[10:11], off offset:1024
	s_and_b64 exec, exec, s[8:9]
	s_cbranch_execz .LBB376_98
; %bb.93:
	v_div_scale_f64 v[10:11], s[0:1], v[66:67], v[66:67], v[12:13]
	v_rcp_f64_e32 v[14:15], v[10:11]
	v_div_scale_f64 v[18:19], vcc, v[12:13], v[66:67], v[12:13]
	v_fma_f64 v[20:21], -v[10:11], v[14:15], 1.0
	v_fmac_f64_e32 v[14:15], v[14:15], v[20:21]
	v_fma_f64 v[20:21], -v[10:11], v[14:15], 1.0
	v_fmac_f64_e32 v[14:15], v[14:15], v[20:21]
	v_mul_f64 v[20:21], v[18:19], v[14:15]
	v_fma_f64 v[10:11], -v[10:11], v[20:21], v[18:19]
	v_div_fmas_f64 v[10:11], v[10:11], v[14:15], v[20:21]
	v_div_fixup_f64 v[10:11], v[10:11], v[66:67], v[12:13]
	v_cndmask_b32_e64 v9, v11, v8, s[64:65]
	v_cndmask_b32_e64 v8, v10, 0, s[64:65]
	v_add_co_u32_e32 v10, vcc, 0x3000, v0
	v_addc_co_u32_e32 v11, vcc, 0, v1, vcc
	global_store_dwordx2 v[10:11], v[8:9], off offset:1536
	s_and_b64 exec, exec, s[6:7]
	s_cbranch_execz .LBB376_98
; %bb.94:
	v_div_scale_f64 v[8:9], s[0:1], v[66:67], v[66:67], v[16:17]
	v_rcp_f64_e32 v[10:11], v[8:9]
	v_div_scale_f64 v[12:13], vcc, v[16:17], v[66:67], v[16:17]
	v_fma_f64 v[14:15], -v[8:9], v[10:11], 1.0
	v_fmac_f64_e32 v[10:11], v[10:11], v[14:15]
	v_fma_f64 v[14:15], -v[8:9], v[10:11], 1.0
	v_fmac_f64_e32 v[10:11], v[10:11], v[14:15]
	v_mul_f64 v[14:15], v[12:13], v[10:11]
	v_fma_f64 v[8:9], -v[8:9], v[14:15], v[12:13]
	v_div_fmas_f64 v[8:9], v[8:9], v[10:11], v[14:15]
	v_div_fixup_f64 v[10:11], v[8:9], v[66:67], v[16:17]
	v_mov_b32_e32 v8, 0x7ff80000
	v_add_co_u32_e32 v12, vcc, 0x3000, v0
	v_cndmask_b32_e64 v11, v11, v8, s[64:65]
	v_cndmask_b32_e64 v10, v10, 0, s[64:65]
	v_addc_co_u32_e32 v13, vcc, 0, v1, vcc
	global_store_dwordx2 v[12:13], v[10:11], off offset:2048
	s_and_b64 exec, exec, s[4:5]
	s_cbranch_execz .LBB376_98
; %bb.95:
	v_div_scale_f64 v[10:11], s[0:1], v[66:67], v[66:67], v[4:5]
	v_rcp_f64_e32 v[12:13], v[10:11]
	v_div_scale_f64 v[14:15], vcc, v[4:5], v[66:67], v[4:5]
	v_fma_f64 v[16:17], -v[10:11], v[12:13], 1.0
	v_fmac_f64_e32 v[12:13], v[12:13], v[16:17]
	v_fma_f64 v[16:17], -v[10:11], v[12:13], 1.0
	v_fmac_f64_e32 v[12:13], v[12:13], v[16:17]
	v_mul_f64 v[16:17], v[14:15], v[12:13]
	v_fma_f64 v[10:11], -v[10:11], v[16:17], v[14:15]
	v_div_fmas_f64 v[10:11], v[10:11], v[12:13], v[16:17]
	v_div_fixup_f64 v[4:5], v[10:11], v[66:67], v[4:5]
	v_cndmask_b32_e64 v5, v5, v8, s[64:65]
	v_add_co_u32_e32 v8, vcc, 0x3000, v0
	v_cndmask_b32_e64 v4, v4, 0, s[64:65]
	v_addc_co_u32_e32 v9, vcc, 0, v1, vcc
	global_store_dwordx2 v[8:9], v[4:5], off offset:2560
	s_and_b64 exec, exec, s[2:3]
	s_cbranch_execz .LBB376_98
; %bb.96:
	v_div_scale_f64 v[4:5], s[0:1], v[66:67], v[66:67], v[6:7]
	v_rcp_f64_e32 v[8:9], v[4:5]
	v_div_scale_f64 v[10:11], vcc, v[6:7], v[66:67], v[6:7]
	v_readlane_b32 s0, v84, 0
	v_fma_f64 v[12:13], -v[4:5], v[8:9], 1.0
	v_fmac_f64_e32 v[8:9], v[8:9], v[12:13]
	v_fma_f64 v[12:13], -v[4:5], v[8:9], 1.0
	v_fmac_f64_e32 v[8:9], v[8:9], v[12:13]
	v_mul_f64 v[12:13], v[10:11], v[8:9]
	v_fma_f64 v[4:5], -v[4:5], v[12:13], v[10:11]
	v_div_fmas_f64 v[4:5], v[4:5], v[8:9], v[12:13]
	v_div_fixup_f64 v[6:7], v[4:5], v[66:67], v[6:7]
	v_mov_b32_e32 v4, 0x7ff80000
	v_add_co_u32_e32 v8, vcc, 0x3000, v0
	v_cndmask_b32_e64 v7, v7, v4, s[64:65]
	v_cndmask_b32_e64 v6, v6, 0, s[64:65]
	v_addc_co_u32_e32 v9, vcc, 0, v1, vcc
	v_readlane_b32 s1, v84, 1
	global_store_dwordx2 v[8:9], v[6:7], off offset:3072
	s_and_b64 exec, exec, s[0:1]
	s_cbranch_execz .LBB376_98
; %bb.97:
	v_div_scale_f64 v[6:7], s[0:1], v[66:67], v[66:67], v[2:3]
	v_rcp_f64_e32 v[8:9], v[6:7]
	v_div_scale_f64 v[10:11], vcc, v[2:3], v[66:67], v[2:3]
	v_fma_f64 v[12:13], -v[6:7], v[8:9], 1.0
	v_fmac_f64_e32 v[8:9], v[8:9], v[12:13]
	v_fma_f64 v[12:13], -v[6:7], v[8:9], 1.0
	v_fmac_f64_e32 v[8:9], v[8:9], v[12:13]
	v_mul_f64 v[12:13], v[10:11], v[8:9]
	v_fma_f64 v[6:7], -v[6:7], v[12:13], v[10:11]
	v_div_fmas_f64 v[6:7], v[6:7], v[8:9], v[12:13]
	v_div_fixup_f64 v[2:3], v[6:7], v[66:67], v[2:3]
	v_add_co_u32_e32 v0, vcc, 0x3000, v0
	v_cndmask_b32_e64 v3, v3, v4, s[64:65]
	v_cndmask_b32_e64 v2, v2, 0, s[64:65]
	v_addc_co_u32_e32 v1, vcc, 0, v1, vcc
	global_store_dwordx2 v[0:1], v[2:3], off offset:3584
.LBB376_98:
	s_endpgm
	.section	.rodata,"a",@progbits
	.p2align	6, 0x0
	.amdhsa_kernel _ZN12_GLOBAL__N_120softmax_warp_forwardIdddLi11ELb0ELb0ELi64EEEvPT0_PKT_iiiPKbib
		.amdhsa_group_segment_fixed_size 0
		.amdhsa_private_segment_fixed_size 0
		.amdhsa_kernarg_size 304
		.amdhsa_user_sgpr_count 6
		.amdhsa_user_sgpr_private_segment_buffer 1
		.amdhsa_user_sgpr_dispatch_ptr 0
		.amdhsa_user_sgpr_queue_ptr 0
		.amdhsa_user_sgpr_kernarg_segment_ptr 1
		.amdhsa_user_sgpr_dispatch_id 0
		.amdhsa_user_sgpr_flat_scratch_init 0
		.amdhsa_user_sgpr_kernarg_preload_length 0
		.amdhsa_user_sgpr_kernarg_preload_offset 0
		.amdhsa_user_sgpr_private_segment_size 0
		.amdhsa_uses_dynamic_stack 0
		.amdhsa_system_sgpr_private_segment_wavefront_offset 0
		.amdhsa_system_sgpr_workgroup_id_x 1
		.amdhsa_system_sgpr_workgroup_id_y 0
		.amdhsa_system_sgpr_workgroup_id_z 0
		.amdhsa_system_sgpr_workgroup_info 0
		.amdhsa_system_vgpr_workitem_id 1
		.amdhsa_next_free_vgpr 85
		.amdhsa_next_free_sgpr 96
		.amdhsa_accum_offset 88
		.amdhsa_reserve_vcc 1
		.amdhsa_reserve_flat_scratch 0
		.amdhsa_float_round_mode_32 0
		.amdhsa_float_round_mode_16_64 0
		.amdhsa_float_denorm_mode_32 3
		.amdhsa_float_denorm_mode_16_64 3
		.amdhsa_dx10_clamp 1
		.amdhsa_ieee_mode 1
		.amdhsa_fp16_overflow 0
		.amdhsa_tg_split 0
		.amdhsa_exception_fp_ieee_invalid_op 0
		.amdhsa_exception_fp_denorm_src 0
		.amdhsa_exception_fp_ieee_div_zero 0
		.amdhsa_exception_fp_ieee_overflow 0
		.amdhsa_exception_fp_ieee_underflow 0
		.amdhsa_exception_fp_ieee_inexact 0
		.amdhsa_exception_int_div_zero 0
	.end_amdhsa_kernel
	.section	.text._ZN12_GLOBAL__N_120softmax_warp_forwardIdddLi11ELb0ELb0ELi64EEEvPT0_PKT_iiiPKbib,"axG",@progbits,_ZN12_GLOBAL__N_120softmax_warp_forwardIdddLi11ELb0ELb0ELi64EEEvPT0_PKT_iiiPKbib,comdat
.Lfunc_end376:
	.size	_ZN12_GLOBAL__N_120softmax_warp_forwardIdddLi11ELb0ELb0ELi64EEEvPT0_PKT_iiiPKbib, .Lfunc_end376-_ZN12_GLOBAL__N_120softmax_warp_forwardIdddLi11ELb0ELb0ELi64EEEvPT0_PKT_iiiPKbib
                                        ; -- End function
	.section	.AMDGPU.csdata,"",@progbits
; Kernel info:
; codeLenInByte = 12512
; NumSgprs: 100
; NumVgprs: 85
; NumAgprs: 0
; TotalNumVgprs: 85
; ScratchSize: 0
; MemoryBound: 0
; FloatMode: 240
; IeeeMode: 1
; LDSByteSize: 0 bytes/workgroup (compile time only)
; SGPRBlocks: 12
; VGPRBlocks: 10
; NumSGPRsForWavesPerEU: 100
; NumVGPRsForWavesPerEU: 85
; AccumOffset: 88
; Occupancy: 5
; WaveLimiterHint : 0
; COMPUTE_PGM_RSRC2:SCRATCH_EN: 0
; COMPUTE_PGM_RSRC2:USER_SGPR: 6
; COMPUTE_PGM_RSRC2:TRAP_HANDLER: 0
; COMPUTE_PGM_RSRC2:TGID_X_EN: 1
; COMPUTE_PGM_RSRC2:TGID_Y_EN: 0
; COMPUTE_PGM_RSRC2:TGID_Z_EN: 0
; COMPUTE_PGM_RSRC2:TIDIG_COMP_CNT: 1
; COMPUTE_PGM_RSRC3_GFX90A:ACCUM_OFFSET: 21
; COMPUTE_PGM_RSRC3_GFX90A:TG_SPLIT: 0
	.section	.text._ZN12_GLOBAL__N_120softmax_warp_forwardIdddLi11ELb0ELb0ELi32EEEvPT0_PKT_iiiPKbib,"axG",@progbits,_ZN12_GLOBAL__N_120softmax_warp_forwardIdddLi11ELb0ELb0ELi32EEEvPT0_PKT_iiiPKbib,comdat
	.globl	_ZN12_GLOBAL__N_120softmax_warp_forwardIdddLi11ELb0ELb0ELi32EEEvPT0_PKT_iiiPKbib ; -- Begin function _ZN12_GLOBAL__N_120softmax_warp_forwardIdddLi11ELb0ELb0ELi32EEEvPT0_PKT_iiiPKbib
	.p2align	8
	.type	_ZN12_GLOBAL__N_120softmax_warp_forwardIdddLi11ELb0ELb0ELi32EEEvPT0_PKT_iiiPKbib,@function
_ZN12_GLOBAL__N_120softmax_warp_forwardIdddLi11ELb0ELb0ELi32EEEvPT0_PKT_iiiPKbib: ; @_ZN12_GLOBAL__N_120softmax_warp_forwardIdddLi11ELb0ELb0ELi32EEEvPT0_PKT_iiiPKbib
; %bb.0:
	s_mov_b64 s[98:99], s[2:3]
	s_mov_b64 s[96:97], s[0:1]
	s_load_dword s0, s[4:5], 0x3c
	s_load_dwordx8 s[40:47], s[4:5], 0x0
	s_add_u32 s96, s96, s7
	s_addc_u32 s97, s97, 0
	v_bfe_u32 v1, v0, 10, 10
	s_waitcnt lgkmcnt(0)
	s_lshr_b32 s0, s0, 16
	s_mul_i32 s6, s6, s0
	v_add_u32_e32 v1, s6, v1
	v_and_b32_e32 v16, 0x3ff, v0
	v_sub_u32_e32 v4, s44, v1
	v_mad_u64_u32 v[0:1], s[0:1], v1, s45, v[16:17]
	v_ashrrev_i32_e32 v1, 31, v0
	v_lshlrev_b64 v[2:3], 3, v[0:1]
	v_add_co_u32_e32 v18, vcc, s42, v2
	buffer_store_dword v2, off, s[96:99], 0 offset:280 ; 4-byte Folded Spill
	s_nop 0
	buffer_store_dword v3, off, s[96:99], 0 offset:284 ; 4-byte Folded Spill
	v_mov_b32_e32 v66, 0
	v_mov_b32_e32 v0, s43
	v_cmp_lt_i32_e64 s[36:37], 0, v4
	v_cmp_gt_i32_e64 s[34:35], s46, v16
	v_mov_b32_e32 v67, 0xfff00000
	s_and_b64 s[2:3], s[36:37], s[34:35]
	v_pk_mov_b32 v[20:21], v[66:67], v[66:67] op_sel:[0,1]
	buffer_store_dword v4, off, s[96:99], 0 offset:80 ; 4-byte Folded Spill
	v_addc_co_u32_e32 v19, vcc, v0, v3, vcc
	s_and_saveexec_b64 s[0:1], s[2:3]
	s_cbranch_execz .LBB377_2
; %bb.1:
	global_load_dwordx2 v[20:21], v[18:19], off
.LBB377_2:
	s_or_b64 exec, exec, s[0:1]
	v_add_u32_e32 v0, 32, v16
	v_cmp_gt_i32_e64 s[30:31], s46, v0
	s_and_b64 s[2:3], s[36:37], s[30:31]
	s_and_saveexec_b64 s[0:1], s[2:3]
	s_cbranch_execz .LBB377_4
; %bb.3:
	global_load_dwordx2 v[66:67], v[18:19], off offset:256
.LBB377_4:
	s_or_b64 exec, exec, s[0:1]
	v_add_u32_e32 v0, 64, v16
	v_mov_b32_e32 v2, 0
	v_cmp_gt_i32_e64 s[28:29], s46, v0
	v_mov_b32_e32 v3, 0xfff00000
	s_and_b64 s[2:3], s[36:37], s[28:29]
	v_pk_mov_b32 v[4:5], v[2:3], v[2:3] op_sel:[0,1]
	s_and_saveexec_b64 s[0:1], s[2:3]
	s_cbranch_execz .LBB377_6
; %bb.5:
	global_load_dwordx2 v[4:5], v[18:19], off offset:512
.LBB377_6:
	s_or_b64 exec, exec, s[0:1]
	v_add_u32_e32 v0, 0x60, v16
	v_cmp_gt_i32_e64 s[26:27], s46, v0
	s_and_b64 s[2:3], s[36:37], s[26:27]
	s_and_saveexec_b64 s[0:1], s[2:3]
	s_cbranch_execz .LBB377_8
; %bb.7:
	global_load_dwordx2 v[2:3], v[18:19], off offset:768
.LBB377_8:
	s_or_b64 exec, exec, s[0:1]
	v_add_u32_e32 v0, 0x80, v16
	v_mov_b32_e32 v6, 0
	v_cmp_gt_i32_e64 s[24:25], s46, v0
	v_mov_b32_e32 v7, 0xfff00000
	s_and_b64 s[2:3], s[36:37], s[24:25]
	v_pk_mov_b32 v[46:47], v[6:7], v[6:7] op_sel:[0,1]
	s_and_saveexec_b64 s[0:1], s[2:3]
	s_cbranch_execz .LBB377_10
; %bb.9:
	global_load_dwordx2 v[46:47], v[18:19], off offset:1024
.LBB377_10:
	s_or_b64 exec, exec, s[0:1]
	v_add_u32_e32 v0, 0xa0, v16
	v_cmp_gt_i32_e64 s[22:23], s46, v0
	s_and_b64 s[2:3], s[36:37], s[22:23]
	s_and_saveexec_b64 s[0:1], s[2:3]
	s_cbranch_execz .LBB377_12
; %bb.11:
	global_load_dwordx2 v[6:7], v[18:19], off offset:1280
.LBB377_12:
	s_or_b64 exec, exec, s[0:1]
	v_add_u32_e32 v0, 0xc0, v16
	v_cmp_gt_i32_e64 s[20:21], s46, v0
	v_mov_b32_e32 v10, 0
	s_and_b64 s[2:3], s[36:37], s[20:21]
	v_mov_b32_e32 v11, 0xfff00000
	buffer_store_dword v10, off, s[96:99], 0 offset:72 ; 4-byte Folded Spill
	s_nop 0
	buffer_store_dword v11, off, s[96:99], 0 offset:76 ; 4-byte Folded Spill
	s_and_saveexec_b64 s[0:1], s[2:3]
	s_cbranch_execz .LBB377_14
; %bb.13:
	global_load_dwordx2 v[0:1], v[18:19], off offset:1536
	s_waitcnt vmcnt(0)
	buffer_store_dword v0, off, s[96:99], 0 offset:72 ; 4-byte Folded Spill
	s_nop 0
	buffer_store_dword v1, off, s[96:99], 0 offset:76 ; 4-byte Folded Spill
.LBB377_14:
	s_or_b64 exec, exec, s[0:1]
	v_add_u32_e32 v0, 0xe0, v16
	v_cmp_gt_i32_e64 s[18:19], s46, v0
	s_and_b64 s[2:3], s[36:37], s[18:19]
	s_and_saveexec_b64 s[0:1], s[2:3]
	s_cbranch_execz .LBB377_16
; %bb.15:
	global_load_dwordx2 v[10:11], v[18:19], off offset:1792
.LBB377_16:
	s_or_b64 exec, exec, s[0:1]
	v_add_u32_e32 v0, 0x100, v16
	v_mov_b32_e32 v38, 0
	v_cmp_gt_i32_e64 s[16:17], s46, v0
	v_mov_b32_e32 v39, 0xfff00000
	s_and_b64 s[2:3], s[36:37], s[16:17]
	v_pk_mov_b32 v[104:105], v[38:39], v[38:39] op_sel:[0,1]
	s_and_saveexec_b64 s[0:1], s[2:3]
	s_cbranch_execz .LBB377_18
; %bb.17:
	global_load_dwordx2 v[104:105], v[18:19], off offset:2048
.LBB377_18:
	s_or_b64 exec, exec, s[0:1]
	v_add_u32_e32 v0, 0x120, v16
	v_cmp_gt_i32_e64 s[14:15], s46, v0
	s_and_b64 s[2:3], s[36:37], s[14:15]
	s_and_saveexec_b64 s[0:1], s[2:3]
	s_cbranch_execz .LBB377_20
; %bb.19:
	global_load_dwordx2 v[38:39], v[18:19], off offset:2304
.LBB377_20:
	s_or_b64 exec, exec, s[0:1]
	v_add_u32_e32 v0, 0x140, v16
	v_cmp_gt_i32_e64 s[12:13], s46, v0
	v_mov_b32_e32 v22, 0
	s_and_b64 s[2:3], s[36:37], s[12:13]
	v_mov_b32_e32 v23, 0xfff00000
	buffer_store_dword v22, off, s[96:99], 0 offset:64 ; 4-byte Folded Spill
	s_nop 0
	buffer_store_dword v23, off, s[96:99], 0 offset:68 ; 4-byte Folded Spill
	s_and_saveexec_b64 s[0:1], s[2:3]
	s_cbranch_execz .LBB377_22
; %bb.21:
	global_load_dwordx2 v[0:1], v[18:19], off offset:2560
	s_waitcnt vmcnt(0)
	buffer_store_dword v0, off, s[96:99], 0 offset:64 ; 4-byte Folded Spill
	s_nop 0
	buffer_store_dword v1, off, s[96:99], 0 offset:68 ; 4-byte Folded Spill
.LBB377_22:
	;; [unrolled: 48-line block ×3, first 2 shown]
	s_or_b64 exec, exec, s[0:1]
	v_add_u32_e32 v0, 0x1e0, v16
	v_cmp_gt_i32_e64 s[2:3], s46, v0
	s_and_b64 s[38:39], s[36:37], s[2:3]
	s_and_saveexec_b64 s[0:1], s[38:39]
	s_cbranch_execz .LBB377_32
; %bb.31:
	global_load_dwordx2 v[54:55], v[18:19], off offset:3840
.LBB377_32:
	s_or_b64 exec, exec, s[0:1]
	v_add_u32_e32 v0, 0x200, v16
	v_cmp_gt_i32_e64 s[0:1], s46, v0
	v_mov_b32_e32 v72, 0
	s_and_b64 s[42:43], s[36:37], s[0:1]
	v_mov_b32_e32 v73, 0xfff00000
	buffer_store_dword v72, off, s[96:99], 0 offset:48 ; 4-byte Folded Spill
	s_nop 0
	buffer_store_dword v73, off, s[96:99], 0 offset:52 ; 4-byte Folded Spill
	s_and_saveexec_b64 s[38:39], s[42:43]
	s_cbranch_execz .LBB377_34
; %bb.33:
	v_add_co_u32_e32 v0, vcc, 0x1000, v18
	v_addc_co_u32_e32 v1, vcc, 0, v19, vcc
	global_load_dwordx2 v[0:1], v[0:1], off
	s_waitcnt vmcnt(0)
	buffer_store_dword v0, off, s[96:99], 0 offset:48 ; 4-byte Folded Spill
	s_nop 0
	buffer_store_dword v1, off, s[96:99], 0 offset:52 ; 4-byte Folded Spill
.LBB377_34:
	s_or_b64 exec, exec, s[38:39]
	v_add_u32_e32 v0, 0x220, v16
	v_cmp_gt_i32_e64 s[94:95], s46, v0
	s_and_b64 s[42:43], s[36:37], s[94:95]
	s_and_saveexec_b64 s[38:39], s[42:43]
	s_cbranch_execz .LBB377_36
; %bb.35:
	v_add_co_u32_e32 v0, vcc, 0x1000, v18
	v_addc_co_u32_e32 v1, vcc, 0, v19, vcc
	global_load_dwordx2 v[72:73], v[0:1], off offset:256
.LBB377_36:
	s_or_b64 exec, exec, s[38:39]
	v_add_u32_e32 v0, 0x240, v16
	v_mov_b32_e32 v88, 0
	v_cmp_gt_i32_e64 s[92:93], s46, v0
	v_mov_b32_e32 v89, 0xfff00000
	s_and_b64 s[42:43], s[36:37], s[92:93]
	v_pk_mov_b32 v[40:41], v[88:89], v[88:89] op_sel:[0,1]
	s_and_saveexec_b64 s[38:39], s[42:43]
	s_cbranch_execz .LBB377_38
; %bb.37:
	v_add_co_u32_e32 v0, vcc, 0x1000, v18
	v_addc_co_u32_e32 v1, vcc, 0, v19, vcc
	global_load_dwordx2 v[40:41], v[0:1], off offset:512
.LBB377_38:
	s_or_b64 exec, exec, s[38:39]
	v_add_u32_e32 v0, 0x260, v16
	v_cmp_gt_i32_e64 s[90:91], s46, v0
	s_and_b64 s[42:43], s[36:37], s[90:91]
	s_and_saveexec_b64 s[38:39], s[42:43]
	s_cbranch_execz .LBB377_40
; %bb.39:
	v_add_co_u32_e32 v0, vcc, 0x1000, v18
	v_addc_co_u32_e32 v1, vcc, 0, v19, vcc
	global_load_dwordx2 v[88:89], v[0:1], off offset:768
.LBB377_40:
	s_or_b64 exec, exec, s[38:39]
	v_add_u32_e32 v0, 0x280, v16
	v_cmp_gt_i32_e64 s[88:89], s46, v0
	v_mov_b32_e32 v80, 0
	s_and_b64 s[42:43], s[36:37], s[88:89]
	v_mov_b32_e32 v81, 0xfff00000
	buffer_store_dword v80, off, s[96:99], 0 offset:40 ; 4-byte Folded Spill
	s_nop 0
	buffer_store_dword v81, off, s[96:99], 0 offset:44 ; 4-byte Folded Spill
	s_and_saveexec_b64 s[38:39], s[42:43]
	s_cbranch_execz .LBB377_42
; %bb.41:
	v_add_co_u32_e32 v0, vcc, 0x1000, v18
	v_addc_co_u32_e32 v1, vcc, 0, v19, vcc
	global_load_dwordx2 v[0:1], v[0:1], off offset:1024
	s_waitcnt vmcnt(0)
	buffer_store_dword v0, off, s[96:99], 0 offset:40 ; 4-byte Folded Spill
	s_nop 0
	buffer_store_dword v1, off, s[96:99], 0 offset:44 ; 4-byte Folded Spill
.LBB377_42:
	s_or_b64 exec, exec, s[38:39]
	v_add_u32_e32 v0, 0x2a0, v16
	v_cmp_gt_i32_e64 s[86:87], s46, v0
	s_and_b64 s[42:43], s[36:37], s[86:87]
	s_and_saveexec_b64 s[38:39], s[42:43]
	s_cbranch_execz .LBB377_44
; %bb.43:
	v_add_co_u32_e32 v0, vcc, 0x1000, v18
	v_addc_co_u32_e32 v1, vcc, 0, v19, vcc
	global_load_dwordx2 v[80:81], v[0:1], off offset:1280
.LBB377_44:
	s_or_b64 exec, exec, s[38:39]
	v_add_u32_e32 v0, 0x2c0, v16
	v_cmp_gt_i32_e64 s[84:85], s46, v0
	v_mov_b32_e32 v86, 0
	s_and_b64 s[42:43], s[36:37], s[84:85]
	v_mov_b32_e32 v87, 0xfff00000
	buffer_store_dword v86, off, s[96:99], 0 offset:32 ; 4-byte Folded Spill
	s_nop 0
	buffer_store_dword v87, off, s[96:99], 0 offset:36 ; 4-byte Folded Spill
	s_and_saveexec_b64 s[38:39], s[42:43]
	s_cbranch_execz .LBB377_46
; %bb.45:
	v_add_co_u32_e32 v0, vcc, 0x1000, v18
	v_addc_co_u32_e32 v1, vcc, 0, v19, vcc
	global_load_dwordx2 v[0:1], v[0:1], off offset:1536
	s_waitcnt vmcnt(0)
	buffer_store_dword v0, off, s[96:99], 0 offset:32 ; 4-byte Folded Spill
	s_nop 0
	buffer_store_dword v1, off, s[96:99], 0 offset:36 ; 4-byte Folded Spill
.LBB377_46:
	;; [unrolled: 31-line block ×5, first 2 shown]
	s_or_b64 exec, exec, s[38:39]
	v_add_u32_e32 v0, 0x3a0, v16
	v_cmp_gt_i32_e64 s[70:71], s46, v0
	s_and_b64 s[42:43], s[36:37], s[70:71]
	s_and_saveexec_b64 s[38:39], s[42:43]
	s_cbranch_execz .LBB377_60
; %bb.59:
	v_add_co_u32_e32 v0, vcc, 0x1000, v18
	v_addc_co_u32_e32 v1, vcc, 0, v19, vcc
	global_load_dwordx2 v[106:107], v[0:1], off offset:3328
.LBB377_60:
	s_or_b64 exec, exec, s[38:39]
	v_add_u32_e32 v0, 0x3c0, v16
	v_mov_b32_e32 v112, 0
	v_cmp_gt_i32_e64 s[68:69], s46, v0
	v_mov_b32_e32 v113, 0xfff00000
	s_and_b64 s[42:43], s[36:37], s[68:69]
	v_pk_mov_b32 v[42:43], v[112:113], v[112:113] op_sel:[0,1]
	s_and_saveexec_b64 s[38:39], s[42:43]
	s_cbranch_execz .LBB377_62
; %bb.61:
	v_add_co_u32_e32 v0, vcc, 0x1000, v18
	v_addc_co_u32_e32 v1, vcc, 0, v19, vcc
	global_load_dwordx2 v[42:43], v[0:1], off offset:3584
.LBB377_62:
	s_or_b64 exec, exec, s[38:39]
	v_add_u32_e32 v0, 0x3e0, v16
	v_cmp_gt_i32_e64 s[38:39], s46, v0
                                        ; implicit-def: $vgpr126 : SGPR spill to VGPR lane
	v_writelane_b32 v126, s38, 0
	v_writelane_b32 v126, s39, 1
	s_and_b64 s[42:43], s[36:37], s[38:39]
	s_and_saveexec_b64 s[38:39], s[42:43]
	s_cbranch_execz .LBB377_64
; %bb.63:
	v_add_co_u32_e32 v0, vcc, 0x1000, v18
	v_addc_co_u32_e32 v1, vcc, 0, v19, vcc
	global_load_dwordx2 v[112:113], v[0:1], off offset:3840
.LBB377_64:
	s_or_b64 exec, exec, s[38:39]
	v_or_b32_e32 v0, 0x400, v16
	v_cmp_gt_i32_e64 s[38:39], s46, v0
	v_mov_b32_e32 v50, 0
	v_writelane_b32 v126, s38, 2
	v_mov_b32_e32 v51, 0xfff00000
	v_writelane_b32 v126, s39, 3
	s_and_b64 s[42:43], s[36:37], s[38:39]
	v_pk_mov_b32 v[26:27], v[50:51], v[50:51] op_sel:[0,1]
	s_and_saveexec_b64 s[38:39], s[42:43]
	s_cbranch_execz .LBB377_66
; %bb.65:
	v_add_co_u32_e32 v0, vcc, 0x2000, v18
	v_addc_co_u32_e32 v1, vcc, 0, v19, vcc
	global_load_dwordx2 v[50:51], v[0:1], off
.LBB377_66:
	s_or_b64 exec, exec, s[38:39]
	v_add_u32_e32 v0, 0x420, v16
	v_cmp_gt_i32_e64 s[38:39], s46, v0
	v_writelane_b32 v126, s38, 4
	v_writelane_b32 v126, s39, 5
	s_and_b64 s[42:43], s[36:37], s[38:39]
	s_and_saveexec_b64 s[38:39], s[42:43]
	s_cbranch_execz .LBB377_68
; %bb.67:
	v_add_co_u32_e32 v0, vcc, 0x2000, v18
	v_addc_co_u32_e32 v1, vcc, 0, v19, vcc
	global_load_dwordx2 v[26:27], v[0:1], off offset:256
.LBB377_68:
	s_or_b64 exec, exec, s[38:39]
	v_add_u32_e32 v0, 0x440, v16
	v_cmp_gt_i32_e64 s[38:39], s46, v0
	v_mov_b32_e32 v32, 0
	v_writelane_b32 v126, s38, 6
	v_mov_b32_e32 v33, 0xfff00000
	v_writelane_b32 v126, s39, 7
	s_and_b64 s[42:43], s[36:37], s[38:39]
	v_pk_mov_b32 v[60:61], v[32:33], v[32:33] op_sel:[0,1]
	s_and_saveexec_b64 s[38:39], s[42:43]
	s_cbranch_execz .LBB377_70
; %bb.69:
	v_add_co_u32_e32 v0, vcc, 0x2000, v18
	v_addc_co_u32_e32 v1, vcc, 0, v19, vcc
	global_load_dwordx2 v[60:61], v[0:1], off offset:512
.LBB377_70:
	s_or_b64 exec, exec, s[38:39]
	v_add_u32_e32 v0, 0x460, v16
	v_cmp_gt_i32_e64 s[38:39], s46, v0
	v_writelane_b32 v126, s38, 8
	v_writelane_b32 v126, s39, 9
	s_and_b64 s[42:43], s[36:37], s[38:39]
	s_and_saveexec_b64 s[38:39], s[42:43]
	s_cbranch_execz .LBB377_72
; %bb.71:
	v_add_co_u32_e32 v0, vcc, 0x2000, v18
	v_addc_co_u32_e32 v1, vcc, 0, v19, vcc
	global_load_dwordx2 v[32:33], v[0:1], off offset:768
.LBB377_72:
	s_or_b64 exec, exec, s[38:39]
	v_add_u32_e32 v0, 0x480, v16
	v_cmp_gt_i32_e64 s[38:39], s46, v0
	v_mov_b32_e32 v36, 0
	v_writelane_b32 v126, s38, 10
	v_mov_b32_e32 v37, 0xfff00000
	v_writelane_b32 v126, s39, 11
	s_and_b64 s[42:43], s[36:37], s[38:39]
	v_pk_mov_b32 v[52:53], v[36:37], v[36:37] op_sel:[0,1]
	s_and_saveexec_b64 s[38:39], s[42:43]
	s_cbranch_execz .LBB377_74
; %bb.73:
	v_add_co_u32_e32 v0, vcc, 0x2000, v18
	v_addc_co_u32_e32 v1, vcc, 0, v19, vcc
	global_load_dwordx2 v[52:53], v[0:1], off offset:1024
.LBB377_74:
	s_or_b64 exec, exec, s[38:39]
	v_add_u32_e32 v0, 0x4a0, v16
	v_cmp_gt_i32_e64 s[38:39], s46, v0
	v_writelane_b32 v126, s38, 12
	v_writelane_b32 v126, s39, 13
	s_and_b64 s[42:43], s[36:37], s[38:39]
	s_and_saveexec_b64 s[38:39], s[42:43]
	s_cbranch_execz .LBB377_76
; %bb.75:
	v_add_co_u32_e32 v0, vcc, 0x2000, v18
	v_addc_co_u32_e32 v1, vcc, 0, v19, vcc
	global_load_dwordx2 v[36:37], v[0:1], off offset:1280
.LBB377_76:
	s_or_b64 exec, exec, s[38:39]
	v_add_u32_e32 v0, 0x4c0, v16
	v_cmp_gt_i32_e64 s[38:39], s46, v0
	v_writelane_b32 v126, s38, 14
	v_mov_b32_e32 v24, 0
	v_writelane_b32 v126, s39, 15
	s_and_b64 s[42:43], s[36:37], s[38:39]
	v_mov_b32_e32 v25, 0xfff00000
	buffer_store_dword v24, off, s[96:99], 0 ; 4-byte Folded Spill
	s_nop 0
	buffer_store_dword v25, off, s[96:99], 0 offset:4 ; 4-byte Folded Spill
	s_and_saveexec_b64 s[38:39], s[42:43]
	s_cbranch_execz .LBB377_78
; %bb.77:
	v_add_co_u32_e32 v0, vcc, 0x2000, v18
	v_addc_co_u32_e32 v1, vcc, 0, v19, vcc
	global_load_dwordx2 v[0:1], v[0:1], off offset:1536
	s_waitcnt vmcnt(0)
	buffer_store_dword v0, off, s[96:99], 0 ; 4-byte Folded Spill
	s_nop 0
	buffer_store_dword v1, off, s[96:99], 0 offset:4 ; 4-byte Folded Spill
.LBB377_78:
	s_or_b64 exec, exec, s[38:39]
	v_add_u32_e32 v0, 0x4e0, v16
	v_cmp_gt_i32_e64 s[38:39], s46, v0
	v_writelane_b32 v126, s38, 16
	v_writelane_b32 v126, s39, 17
	s_and_b64 s[42:43], s[36:37], s[38:39]
	s_and_saveexec_b64 s[38:39], s[42:43]
	s_cbranch_execz .LBB377_80
; %bb.79:
	v_add_co_u32_e32 v0, vcc, 0x2000, v18
	v_addc_co_u32_e32 v1, vcc, 0, v19, vcc
	global_load_dwordx2 v[24:25], v[0:1], off offset:1792
.LBB377_80:
	s_or_b64 exec, exec, s[38:39]
	v_add_u32_e32 v0, 0x500, v16
	v_cmp_gt_i32_e64 s[38:39], s46, v0
	v_mov_b32_e32 v56, 0
	v_writelane_b32 v126, s38, 18
	v_mov_b32_e32 v57, 0xfff00000
	v_writelane_b32 v126, s39, 19
	s_and_b64 s[42:43], s[36:37], s[38:39]
	v_pk_mov_b32 v[30:31], v[56:57], v[56:57] op_sel:[0,1]
	s_and_saveexec_b64 s[38:39], s[42:43]
	s_cbranch_execz .LBB377_82
; %bb.81:
	v_add_co_u32_e32 v0, vcc, 0x2000, v18
	v_addc_co_u32_e32 v1, vcc, 0, v19, vcc
	global_load_dwordx2 v[30:31], v[0:1], off offset:2048
.LBB377_82:
	s_or_b64 exec, exec, s[38:39]
	v_add_u32_e32 v0, 0x520, v16
	v_cmp_gt_i32_e64 s[38:39], s46, v0
	v_writelane_b32 v126, s38, 20
	v_writelane_b32 v126, s39, 21
	s_and_b64 s[42:43], s[36:37], s[38:39]
	s_and_saveexec_b64 s[38:39], s[42:43]
	s_cbranch_execz .LBB377_84
; %bb.83:
	v_add_co_u32_e32 v0, vcc, 0x2000, v18
	v_addc_co_u32_e32 v1, vcc, 0, v19, vcc
	global_load_dwordx2 v[56:57], v[0:1], off offset:2304
.LBB377_84:
	s_or_b64 exec, exec, s[38:39]
	v_add_u32_e32 v0, 0x540, v16
	v_cmp_gt_i32_e64 s[38:39], s46, v0
	v_mov_b32_e32 v14, 0
	v_writelane_b32 v126, s38, 22
	v_mov_b32_e32 v15, 0xfff00000
	v_writelane_b32 v126, s39, 23
	s_and_b64 s[42:43], s[36:37], s[38:39]
	v_pk_mov_b32 v[44:45], v[14:15], v[14:15] op_sel:[0,1]
	s_and_saveexec_b64 s[38:39], s[42:43]
	s_cbranch_execz .LBB377_86
; %bb.85:
	v_add_co_u32_e32 v0, vcc, 0x2000, v18
	v_addc_co_u32_e32 v1, vcc, 0, v19, vcc
	global_load_dwordx2 v[44:45], v[0:1], off offset:2560
.LBB377_86:
	s_or_b64 exec, exec, s[38:39]
	v_add_u32_e32 v0, 0x560, v16
	v_cmp_gt_i32_e64 s[38:39], s46, v0
	v_writelane_b32 v126, s38, 24
	v_writelane_b32 v126, s39, 25
	s_and_b64 s[42:43], s[36:37], s[38:39]
	s_and_saveexec_b64 s[38:39], s[42:43]
	s_cbranch_execz .LBB377_88
; %bb.87:
	v_add_co_u32_e32 v0, vcc, 0x2000, v18
	v_addc_co_u32_e32 v1, vcc, 0, v19, vcc
	global_load_dwordx2 v[14:15], v[0:1], off offset:2816
.LBB377_88:
	s_or_b64 exec, exec, s[38:39]
	v_add_u32_e32 v0, 0x580, v16
	v_cmp_gt_i32_e64 s[38:39], s46, v0
	v_mov_b32_e32 v78, 0
	v_writelane_b32 v126, s38, 26
	v_mov_b32_e32 v79, 0xfff00000
	v_writelane_b32 v126, s39, 27
	s_and_b64 s[42:43], s[36:37], s[38:39]
	v_pk_mov_b32 v[48:49], v[78:79], v[78:79] op_sel:[0,1]
	s_and_saveexec_b64 s[38:39], s[42:43]
	s_cbranch_execz .LBB377_90
; %bb.89:
	v_add_co_u32_e32 v0, vcc, 0x2000, v18
	v_addc_co_u32_e32 v1, vcc, 0, v19, vcc
	global_load_dwordx2 v[48:49], v[0:1], off offset:3072
.LBB377_90:
	s_or_b64 exec, exec, s[38:39]
	v_add_u32_e32 v0, 0x5a0, v16
	v_cmp_gt_i32_e64 s[38:39], s46, v0
	v_writelane_b32 v126, s38, 28
	v_writelane_b32 v126, s39, 29
	s_and_b64 s[42:43], s[36:37], s[38:39]
	s_and_saveexec_b64 s[38:39], s[42:43]
	s_cbranch_execz .LBB377_92
; %bb.91:
	v_add_co_u32_e32 v0, vcc, 0x2000, v18
	v_addc_co_u32_e32 v1, vcc, 0, v19, vcc
	global_load_dwordx2 v[78:79], v[0:1], off offset:3328
.LBB377_92:
	s_or_b64 exec, exec, s[38:39]
	v_add_u32_e32 v0, 0x5c0, v16
	v_cmp_gt_i32_e64 s[38:39], s46, v0
	v_mov_b32_e32 v64, 0
	v_writelane_b32 v126, s38, 30
	v_mov_b32_e32 v65, 0xfff00000
	v_writelane_b32 v126, s39, 31
	s_and_b64 s[42:43], s[36:37], s[38:39]
	v_pk_mov_b32 v[62:63], v[64:65], v[64:65] op_sel:[0,1]
	s_and_saveexec_b64 s[38:39], s[42:43]
	s_cbranch_execz .LBB377_94
; %bb.93:
	v_add_co_u32_e32 v0, vcc, 0x2000, v18
	v_addc_co_u32_e32 v1, vcc, 0, v19, vcc
	global_load_dwordx2 v[62:63], v[0:1], off offset:3584
.LBB377_94:
	s_or_b64 exec, exec, s[38:39]
	v_add_u32_e32 v0, 0x5e0, v16
	v_cmp_gt_i32_e64 s[38:39], s46, v0
	v_writelane_b32 v126, s38, 32
	v_writelane_b32 v126, s39, 33
	s_and_b64 s[42:43], s[36:37], s[38:39]
	s_and_saveexec_b64 s[38:39], s[42:43]
	s_cbranch_execz .LBB377_96
; %bb.95:
	v_add_co_u32_e32 v0, vcc, 0x2000, v18
	v_addc_co_u32_e32 v1, vcc, 0, v19, vcc
	global_load_dwordx2 v[64:65], v[0:1], off offset:3840
.LBB377_96:
	s_or_b64 exec, exec, s[38:39]
	v_add_u32_e32 v0, 0x600, v16
	v_cmp_gt_i32_e64 s[38:39], s46, v0
	v_mov_b32_e32 v122, 0
	v_writelane_b32 v126, s38, 34
	v_mov_b32_e32 v123, 0xfff00000
	v_writelane_b32 v126, s39, 35
	s_and_b64 s[42:43], s[36:37], s[38:39]
	v_pk_mov_b32 v[76:77], v[122:123], v[122:123] op_sel:[0,1]
	s_and_saveexec_b64 s[38:39], s[42:43]
	s_cbranch_execz .LBB377_98
; %bb.97:
	v_add_co_u32_e32 v0, vcc, 0x3000, v18
	v_addc_co_u32_e32 v1, vcc, 0, v19, vcc
	global_load_dwordx2 v[76:77], v[0:1], off
.LBB377_98:
	s_or_b64 exec, exec, s[38:39]
	v_add_u32_e32 v0, 0x620, v16
	v_cmp_gt_i32_e64 s[38:39], s46, v0
	v_writelane_b32 v126, s38, 36
	v_writelane_b32 v126, s39, 37
	s_and_b64 s[42:43], s[36:37], s[38:39]
	s_and_saveexec_b64 s[38:39], s[42:43]
	s_cbranch_execz .LBB377_100
; %bb.99:
	v_add_co_u32_e32 v0, vcc, 0x3000, v18
	v_addc_co_u32_e32 v1, vcc, 0, v19, vcc
	global_load_dwordx2 v[122:123], v[0:1], off offset:256
.LBB377_100:
	s_or_b64 exec, exec, s[38:39]
	v_add_u32_e32 v0, 0x640, v16
	v_cmp_gt_i32_e64 s[38:39], s46, v0
	v_mov_b32_e32 v94, 0
	v_writelane_b32 v126, s38, 38
	v_mov_b32_e32 v95, 0xfff00000
	v_writelane_b32 v126, s39, 39
	s_and_b64 s[42:43], s[36:37], s[38:39]
	v_pk_mov_b32 v[92:93], v[94:95], v[94:95] op_sel:[0,1]
	s_and_saveexec_b64 s[38:39], s[42:43]
	s_cbranch_execz .LBB377_102
; %bb.101:
	v_add_co_u32_e32 v0, vcc, 0x3000, v18
	v_addc_co_u32_e32 v1, vcc, 0, v19, vcc
	global_load_dwordx2 v[94:95], v[0:1], off offset:512
.LBB377_102:
	s_or_b64 exec, exec, s[38:39]
	v_add_u32_e32 v0, 0x660, v16
	v_cmp_gt_i32_e64 s[38:39], s46, v0
	v_writelane_b32 v126, s38, 40
	v_writelane_b32 v126, s39, 41
	s_and_b64 s[42:43], s[36:37], s[38:39]
	s_and_saveexec_b64 s[38:39], s[42:43]
	s_cbranch_execz .LBB377_104
; %bb.103:
	v_add_co_u32_e32 v0, vcc, 0x3000, v18
	v_addc_co_u32_e32 v1, vcc, 0, v19, vcc
	global_load_dwordx2 v[92:93], v[0:1], off offset:768
.LBB377_104:
	s_or_b64 exec, exec, s[38:39]
	v_add_u32_e32 v0, 0x680, v16
	v_cmp_gt_i32_e64 s[38:39], s46, v0
	v_mov_b32_e32 v118, 0
	v_writelane_b32 v126, s38, 42
	v_mov_b32_e32 v119, 0xfff00000
	v_writelane_b32 v126, s39, 43
	s_and_b64 s[42:43], s[36:37], s[38:39]
	v_pk_mov_b32 v[102:103], v[118:119], v[118:119] op_sel:[0,1]
	s_and_saveexec_b64 s[38:39], s[42:43]
	s_cbranch_execz .LBB377_106
; %bb.105:
	v_add_co_u32_e32 v0, vcc, 0x3000, v18
	v_addc_co_u32_e32 v1, vcc, 0, v19, vcc
	global_load_dwordx2 v[118:119], v[0:1], off offset:1024
.LBB377_106:
	;; [unrolled: 29-line block ×7, first 2 shown]
	s_or_b64 exec, exec, s[38:39]
	v_add_u32_e32 v12, 0x7e0, v16
	v_cmp_gt_i32_e64 s[38:39], s46, v12
                                        ; implicit-def: $vgpr127 : SGPR spill to VGPR lane
	s_waitcnt vmcnt(16)
	v_pk_mov_b32 v[28:29], v[34:35], v[34:35] op_sel:[0,1]
	v_writelane_b32 v127, s38, 0
	s_waitcnt vmcnt(14)
	v_pk_mov_b32 v[34:35], v[54:55], v[54:55] op_sel:[0,1]
	s_waitcnt vmcnt(12)
	v_pk_mov_b32 v[54:55], v[72:73], v[72:73] op_sel:[0,1]
	v_pk_mov_b32 v[72:73], v[88:89], v[88:89] op_sel:[0,1]
	s_waitcnt vmcnt(2)
	v_pk_mov_b32 v[70:71], v[32:33], v[32:33] op_sel:[0,1]
	;; [unrolled: 3-line block ×3, first 2 shown]
	v_pk_mov_b32 v[24:25], v[56:57], v[56:57] op_sel:[0,1]
	v_pk_mov_b32 v[74:75], v[14:15], v[14:15] op_sel:[0,1]
	;; [unrolled: 1-line block ×5, first 2 shown]
	v_writelane_b32 v127, s39, 1
	s_and_b64 s[38:39], s[36:37], s[38:39]
	s_and_saveexec_b64 s[36:37], s[38:39]
	s_cbranch_execz .LBB377_128
; %bb.127:
	v_add_co_u32_e32 v12, vcc, 0x3000, v18
	v_addc_co_u32_e32 v13, vcc, 0, v19, vcc
	global_load_dwordx2 v[98:99], v[12:13], off offset:3840
.LBB377_128:
	s_or_b64 exec, exec, s[36:37]
	buffer_load_dword v8, off, s[96:99], 0 offset:72 ; 4-byte Folded Reload
	buffer_load_dword v9, off, s[96:99], 0 offset:76 ; 4-byte Folded Reload
	v_cmp_gt_f64_e32 vcc, v[20:21], v[66:67]
	v_cndmask_b32_e32 v13, v67, v21, vcc
	v_cndmask_b32_e32 v12, v66, v20, vcc
	v_cmp_gt_f64_e32 vcc, v[12:13], v[4:5]
	v_cndmask_b32_e32 v13, v5, v13, vcc
	v_cndmask_b32_e32 v12, v4, v12, vcc
	v_cmp_gt_f64_e32 vcc, v[12:13], v[2:3]
	v_cndmask_b32_e32 v13, v3, v13, vcc
	v_cndmask_b32_e32 v12, v2, v12, vcc
	v_cmp_gt_f64_e32 vcc, v[12:13], v[46:47]
	v_cndmask_b32_e32 v13, v47, v13, vcc
	v_cndmask_b32_e32 v12, v46, v12, vcc
	v_cmp_gt_f64_e32 vcc, v[12:13], v[6:7]
	v_cndmask_b32_e32 v13, v7, v13, vcc
	v_cndmask_b32_e32 v12, v6, v12, vcc
	s_mov_b32 s46, 0x652b82fe
	s_mov_b32 s47, 0x3ff71547
	s_mov_b32 s42, 0xfefa39ef
	s_mov_b32 s43, 0xbfe62e42
	s_mov_b32 s44, 0x3b39803f
	s_mov_b32 s36, 0xfca7ab0c
	s_mov_b32 s45, 0xbc7abc9e
	s_mov_b32 s37, 0x3e928af3
	s_mov_b32 s38, 0x6a5dcb37
	s_mov_b32 s39, 0x3e5ade15
	s_mov_b32 s48, 0x623fde64
	s_mov_b32 s49, 0x3ec71dee
	s_mov_b32 s50, 0x7c89e6b0
	s_mov_b32 s51, 0x3efa0199
	s_mov_b32 s52, 0x14761f6e
	s_mov_b32 s53, 0x3f2a01a0
	s_mov_b32 s54, 0x1852b7b0
	s_mov_b32 s55, 0x3f56c16c
	s_mov_b32 s56, 0x11122322
	s_mov_b32 s57, 0x3f811111
	s_mov_b32 s58, 0x555502a1
	s_mov_b32 s59, 0x3fa55555
	s_mov_b32 s60, 0x55555511
	s_mov_b32 s61, 0x3fc55555
	s_mov_b32 s66, 11
	s_mov_b32 s67, 0x3fe00000
	s_mov_b32 s62, 0
	s_mov_b32 s64, 0
	s_mov_b32 s63, 0x40900000
	s_mov_b32 s65, 0xc090cc00
	s_waitcnt vmcnt(0)
	v_cmp_gt_f64_e32 vcc, v[12:13], v[8:9]
	v_cndmask_b32_e32 v13, v9, v13, vcc
	v_cndmask_b32_e32 v12, v8, v12, vcc
	v_cmp_gt_f64_e32 vcc, v[12:13], v[10:11]
	v_cndmask_b32_e32 v13, v11, v13, vcc
	v_cndmask_b32_e32 v12, v10, v12, vcc
	;; [unrolled: 3-line block ×3, first 2 shown]
	buffer_store_dword v104, off, s[96:99], 0 offset:128 ; 4-byte Folded Spill
	s_nop 0
	buffer_store_dword v105, off, s[96:99], 0 offset:132 ; 4-byte Folded Spill
	buffer_load_dword v104, off, s[96:99], 0 offset:64 ; 4-byte Folded Reload
	s_nop 0
	buffer_load_dword v105, off, s[96:99], 0 offset:68 ; 4-byte Folded Reload
	v_cmp_gt_f64_e32 vcc, v[12:13], v[38:39]
	v_cndmask_b32_e32 v13, v39, v13, vcc
	v_cndmask_b32_e32 v12, v38, v12, vcc
	s_waitcnt vmcnt(0)
	v_cmp_gt_f64_e32 vcc, v[12:13], v[104:105]
	v_cndmask_b32_e32 v13, v105, v13, vcc
	v_cndmask_b32_e32 v12, v104, v12, vcc
	v_cmp_gt_f64_e32 vcc, v[12:13], v[22:23]
	v_cndmask_b32_e32 v13, v23, v13, vcc
	v_cndmask_b32_e32 v12, v22, v12, vcc
	;; [unrolled: 3-line block ×3, first 2 shown]
	buffer_store_dword v84, off, s[96:99], 0 offset:176 ; 4-byte Folded Spill
	s_nop 0
	buffer_store_dword v85, off, s[96:99], 0 offset:180 ; 4-byte Folded Spill
	buffer_load_dword v84, off, s[96:99], 0 offset:56 ; 4-byte Folded Reload
	s_nop 0
	buffer_load_dword v85, off, s[96:99], 0 offset:60 ; 4-byte Folded Reload
	buffer_load_dword v32, off, s[96:99], 0 offset:48 ; 4-byte Folded Reload
	;; [unrolled: 1-line block ×3, first 2 shown]
	v_cmp_gt_f64_e32 vcc, v[12:13], v[28:29]
	v_cndmask_b32_e32 v13, v29, v13, vcc
	v_cndmask_b32_e32 v12, v28, v12, vcc
	s_waitcnt vmcnt(2)
	v_cmp_gt_f64_e32 vcc, v[12:13], v[84:85]
	v_cndmask_b32_e32 v13, v85, v13, vcc
	v_cndmask_b32_e32 v12, v84, v12, vcc
	v_cmp_gt_f64_e32 vcc, v[12:13], v[34:35]
	v_cndmask_b32_e32 v13, v35, v13, vcc
	v_cndmask_b32_e32 v12, v34, v12, vcc
	s_waitcnt vmcnt(0)
	v_cmp_gt_f64_e32 vcc, v[12:13], v[32:33]
	v_cndmask_b32_e32 v13, v33, v13, vcc
	v_cndmask_b32_e32 v12, v32, v12, vcc
	v_cmp_gt_f64_e32 vcc, v[12:13], v[54:55]
	v_cndmask_b32_e32 v13, v55, v13, vcc
	v_cndmask_b32_e32 v12, v54, v12, vcc
	;; [unrolled: 3-line block ×3, first 2 shown]
	buffer_store_dword v40, off, s[96:99], 0 offset:256 ; 4-byte Folded Spill
	s_nop 0
	buffer_store_dword v41, off, s[96:99], 0 offset:260 ; 4-byte Folded Spill
	buffer_load_dword v40, off, s[96:99], 0 offset:40 ; 4-byte Folded Reload
	s_nop 0
	buffer_load_dword v41, off, s[96:99], 0 offset:44 ; 4-byte Folded Reload
	buffer_load_dword v56, off, s[96:99], 0 offset:32 ; 4-byte Folded Reload
	;; [unrolled: 1-line block ×9, first 2 shown]
	buffer_load_dword v16, off, s[96:99], 0 ; 4-byte Folded Reload
	buffer_load_dword v17, off, s[96:99], 0 offset:4 ; 4-byte Folded Reload
	s_nop 0
	buffer_store_dword v30, off, s[96:99], 0 offset:272 ; 4-byte Folded Spill
	s_nop 0
	buffer_store_dword v31, off, s[96:99], 0 offset:276 ; 4-byte Folded Spill
	buffer_store_dword v102, off, s[96:99], 0 offset:248 ; 4-byte Folded Spill
	s_nop 0
	buffer_store_dword v103, off, s[96:99], 0 offset:252 ; 4-byte Folded Spill
	;; [unrolled: 3-line block ×3, first 2 shown]
	v_cmp_gt_f64_e32 vcc, v[12:13], v[72:73]
	v_cndmask_b32_e32 v13, v73, v13, vcc
	v_cndmask_b32_e32 v12, v72, v12, vcc
	buffer_store_dword v110, off, s[96:99], 0 offset:168 ; 4-byte Folded Spill
	s_nop 0
	buffer_store_dword v111, off, s[96:99], 0 offset:172 ; 4-byte Folded Spill
	buffer_store_dword v116, off, s[96:99], 0 offset:144 ; 4-byte Folded Spill
	s_nop 0
	buffer_store_dword v117, off, s[96:99], 0 offset:148 ; 4-byte Folded Spill
	;; [unrolled: 3-line block ×3, first 2 shown]
	s_waitcnt vmcnt(22)
	v_cmp_gt_f64_e32 vcc, v[12:13], v[40:41]
	v_cndmask_b32_e32 v13, v41, v13, vcc
	v_cndmask_b32_e32 v12, v40, v12, vcc
	v_cmp_gt_f64_e32 vcc, v[12:13], v[80:81]
	v_cndmask_b32_e32 v13, v81, v13, vcc
	v_cndmask_b32_e32 v12, v80, v12, vcc
	s_waitcnt vmcnt(20)
	v_cmp_gt_f64_e32 vcc, v[12:13], v[56:57]
	v_cndmask_b32_e32 v13, v57, v13, vcc
	v_cndmask_b32_e32 v12, v56, v12, vcc
	v_cmp_gt_f64_e32 vcc, v[12:13], v[86:87]
	v_cndmask_b32_e32 v13, v87, v13, vcc
	v_cndmask_b32_e32 v12, v86, v12, vcc
	;; [unrolled: 7-line block ×5, first 2 shown]
	v_cmp_gt_f64_e32 vcc, v[12:13], v[42:43]
	v_cndmask_b32_e32 v13, v43, v13, vcc
	v_cndmask_b32_e32 v12, v42, v12, vcc
	v_cmp_gt_f64_e32 vcc, v[12:13], v[112:113]
	v_cndmask_b32_e32 v13, v113, v13, vcc
	v_cndmask_b32_e32 v12, v112, v12, vcc
	v_cmp_gt_f64_e32 vcc, v[12:13], v[50:51]
	v_cndmask_b32_e32 v13, v51, v13, vcc
	v_cndmask_b32_e32 v12, v50, v12, vcc
	v_cmp_gt_f64_e32 vcc, v[12:13], v[26:27]
	v_cndmask_b32_e32 v13, v27, v13, vcc
	v_cndmask_b32_e32 v12, v26, v12, vcc
	v_cmp_gt_f64_e32 vcc, v[12:13], v[60:61]
	v_cndmask_b32_e32 v13, v61, v13, vcc
	v_cndmask_b32_e32 v12, v60, v12, vcc
	v_cmp_gt_f64_e32 vcc, v[12:13], v[70:71]
	v_cndmask_b32_e32 v13, v71, v13, vcc
	v_cndmask_b32_e32 v12, v70, v12, vcc
	v_cmp_gt_f64_e32 vcc, v[12:13], v[52:53]
	v_cndmask_b32_e32 v13, v53, v13, vcc
	v_cndmask_b32_e32 v12, v52, v12, vcc
	v_cmp_gt_f64_e32 vcc, v[12:13], v[68:69]
	v_cndmask_b32_e32 v13, v69, v13, vcc
	v_cndmask_b32_e32 v12, v68, v12, vcc
	s_waitcnt vmcnt(12)
	v_cmp_gt_f64_e32 vcc, v[12:13], v[16:17]
	v_cndmask_b32_e32 v13, v17, v13, vcc
	v_cndmask_b32_e32 v12, v16, v12, vcc
	v_cmp_gt_f64_e32 vcc, v[12:13], v[36:37]
	v_cndmask_b32_e32 v13, v37, v13, vcc
	v_cndmask_b32_e32 v12, v36, v12, vcc
	;; [unrolled: 3-line block ×17, first 2 shown]
	v_pk_mov_b32 v[102:103], v[0:1], v[0:1] op_sel:[0,1]
	v_cmp_gt_f64_e32 vcc, v[12:13], v[102:103]
	v_cndmask_b32_e32 v13, v103, v13, vcc
	v_cndmask_b32_e32 v12, v102, v12, vcc
	v_cmp_gt_f64_e32 vcc, v[12:13], v[124:125]
	v_cndmask_b32_e32 v13, v125, v13, vcc
	v_cndmask_b32_e32 v12, v124, v12, vcc
	;; [unrolled: 3-line block ×7, first 2 shown]
	v_mbcnt_lo_u32_b32 v16, -1, 0
	buffer_store_dword v114, off, s[96:99], 0 offset:152 ; 4-byte Folded Spill
	s_nop 0
	buffer_store_dword v115, off, s[96:99], 0 offset:156 ; 4-byte Folded Spill
	v_cmp_gt_f64_e32 vcc, v[12:13], v[96:97]
	v_mbcnt_hi_u32_b32 v114, -1, v16
	v_cndmask_b32_e32 v13, v97, v13, vcc
	v_cndmask_b32_e32 v12, v96, v12, vcc
	v_and_b32_e32 v16, 0x60, v114
	v_cmp_gt_f64_e32 vcc, v[12:13], v[98:99]
	v_add_u32_e32 v115, 32, v16
	v_xor_b32_e32 v16, 16, v114
	v_cndmask_b32_e32 v13, v99, v13, vcc
	v_cndmask_b32_e32 v12, v98, v12, vcc
	v_cmp_lt_i32_e32 vcc, v16, v115
	v_cndmask_b32_e32 v16, v114, v16, vcc
	v_lshlrev_b32_e32 v17, 2, v16
	buffer_store_dword v17, off, s[96:99], 0 offset:84 ; 4-byte Folded Spill
	ds_bpermute_b32 v16, v17, v12
	ds_bpermute_b32 v17, v17, v13
	s_waitcnt lgkmcnt(0)
	v_cmp_lt_f64_e32 vcc, v[12:13], v[16:17]
	v_cndmask_b32_e32 v12, v12, v16, vcc
	v_xor_b32_e32 v16, 8, v114
	v_cndmask_b32_e32 v13, v13, v17, vcc
	v_cmp_lt_i32_e32 vcc, v16, v115
	v_cndmask_b32_e32 v16, v114, v16, vcc
	v_lshlrev_b32_e32 v17, 2, v16
	buffer_store_dword v17, off, s[96:99], 0 offset:88 ; 4-byte Folded Spill
	ds_bpermute_b32 v16, v17, v12
	ds_bpermute_b32 v17, v17, v13
	s_waitcnt lgkmcnt(0)
	v_cmp_lt_f64_e32 vcc, v[12:13], v[16:17]
	v_cndmask_b32_e32 v12, v12, v16, vcc
	v_xor_b32_e32 v16, 4, v114
	;; [unrolled: 11-line block ×3, first 2 shown]
	v_cndmask_b32_e32 v13, v13, v17, vcc
	v_cmp_lt_i32_e32 vcc, v16, v115
	v_cndmask_b32_e32 v16, v114, v16, vcc
	v_lshlrev_b32_e32 v16, 2, v16
	ds_bpermute_b32 v18, v16, v12
	ds_bpermute_b32 v19, v16, v13
	buffer_store_dword v16, off, s[96:99], 0 offset:96 ; 4-byte Folded Spill
	v_xor_b32_e32 v16, 1, v114
	s_waitcnt lgkmcnt(0)
	v_cmp_lt_f64_e32 vcc, v[12:13], v[18:19]
	v_cndmask_b32_e32 v13, v13, v19, vcc
	v_cndmask_b32_e32 v12, v12, v18, vcc
	v_cmp_lt_i32_e32 vcc, v16, v115
	v_cndmask_b32_e32 v16, v114, v16, vcc
	v_lshlrev_b32_e32 v16, 2, v16
	ds_bpermute_b32 v18, v16, v12
	ds_bpermute_b32 v19, v16, v13
	buffer_store_dword v16, off, s[96:99], 0 offset:100 ; 4-byte Folded Spill
	buffer_store_dword v120, off, s[96:99], 0 offset:216 ; 4-byte Folded Spill
	s_nop 0
	buffer_store_dword v121, off, s[96:99], 0 offset:220 ; 4-byte Folded Spill
	buffer_store_dword v96, off, s[96:99], 0 offset:200 ; 4-byte Folded Spill
	s_nop 0
	buffer_store_dword v97, off, s[96:99], 0 offset:204 ; 4-byte Folded Spill
	s_waitcnt lgkmcnt(0)
	v_cmp_lt_f64_e32 vcc, v[12:13], v[18:19]
	v_cndmask_b32_e32 v19, v13, v19, vcc
	v_cndmask_b32_e32 v18, v12, v18, vcc
	v_add_f64 v[120:121], v[20:21], -v[18:19]
	v_mul_f64 v[12:13], v[120:121], s[46:47]
	v_rndne_f64_e32 v[12:13], v[12:13]
	v_fma_f64 v[114:115], s[42:43], v[12:13], v[120:121]
	v_fmac_f64_e32 v[114:115], s[44:45], v[12:13]
	v_pk_mov_b32 v[20:21], s[36:37], s[36:37] op_sel:[0,1]
	v_fma_f64 v[16:17], s[38:39], v[114:115], v[20:21]
	v_fma_f64 v[16:17], v[114:115], v[16:17], s[48:49]
	;; [unrolled: 1-line block ×9, first 2 shown]
	v_fma_f64 v[16:17], v[114:115], v[16:17], 1.0
	v_fma_f64 v[16:17], v[114:115], v[16:17], 1.0
	v_cvt_i32_f64_e32 v12, v[12:13]
	v_ldexp_f64 v[16:17], v[16:17], v12
	v_mov_b32_e32 v12, 0x7ff00000
	v_cmp_nlt_f64_e32 vcc, s[62:63], v[120:121]
	v_cmp_ngt_f64_e64 s[36:37], s[64:65], v[120:121]
	v_cndmask_b32_e32 v13, v12, v17, vcc
	s_and_b64 vcc, s[36:37], vcc
	v_cndmask_b32_e64 v17, 0, v13, s[36:37]
	v_cndmask_b32_e32 v16, 0, v16, vcc
	buffer_store_dword v16, off, s[96:99], 0 offset:104 ; 4-byte Folded Spill
	s_nop 0
	buffer_store_dword v17, off, s[96:99], 0 offset:108 ; 4-byte Folded Spill
	v_add_f64 v[16:17], v[66:67], -v[18:19]
	v_mul_f64 v[66:67], v[16:17], s[46:47]
	v_rndne_f64_e32 v[66:67], v[66:67]
	v_fma_f64 v[114:115], s[42:43], v[66:67], v[16:17]
	v_fmac_f64_e32 v[114:115], s[44:45], v[66:67]
	v_fma_f64 v[120:121], s[38:39], v[114:115], v[20:21]
	v_fma_f64 v[120:121], v[114:115], v[120:121], s[48:49]
	;; [unrolled: 1-line block ×9, first 2 shown]
	v_fma_f64 v[120:121], v[114:115], v[120:121], 1.0
	v_fma_f64 v[114:115], v[114:115], v[120:121], 1.0
	v_cvt_i32_f64_e32 v13, v[66:67]
	v_cmp_nlt_f64_e32 vcc, s[62:63], v[16:17]
	v_cmp_ngt_f64_e64 s[36:37], s[64:65], v[16:17]
	v_add_f64 v[16:17], v[4:5], -v[18:19]
	v_ldexp_f64 v[66:67], v[114:115], v13
	v_mul_f64 v[30:31], v[16:17], s[46:47]
	v_cndmask_b32_e32 v13, v12, v67, vcc
	s_and_b64 vcc, s[36:37], vcc
	v_rndne_f64_e32 v[30:31], v[30:31]
	v_cndmask_b32_e32 v120, 0, v66, vcc
	v_fma_f64 v[66:67], s[42:43], v[30:31], v[16:17]
	v_fmac_f64_e32 v[66:67], s[44:45], v[30:31]
	v_fma_f64 v[114:115], s[38:39], v[66:67], v[20:21]
	v_fma_f64 v[114:115], v[66:67], v[114:115], s[48:49]
	;; [unrolled: 1-line block ×9, first 2 shown]
	v_fma_f64 v[114:115], v[66:67], v[114:115], 1.0
	v_cndmask_b32_e64 v121, 0, v13, s[36:37]
	v_fma_f64 v[66:67], v[66:67], v[114:115], 1.0
	v_cvt_i32_f64_e32 v13, v[30:31]
	v_add_f64 v[2:3], v[2:3], -v[18:19]
	v_ldexp_f64 v[30:31], v[66:67], v13
	v_cmp_nlt_f64_e32 vcc, s[62:63], v[16:17]
	v_cmp_ngt_f64_e64 s[36:37], s[64:65], v[16:17]
	v_mul_f64 v[16:17], v[2:3], s[46:47]
	v_cndmask_b32_e32 v13, v12, v31, vcc
	s_and_b64 vcc, s[36:37], vcc
	v_rndne_f64_e32 v[16:17], v[16:17]
	v_cndmask_b32_e32 v114, 0, v30, vcc
	v_fma_f64 v[30:31], s[42:43], v[16:17], v[2:3]
	v_fmac_f64_e32 v[30:31], s[44:45], v[16:17]
	v_fma_f64 v[66:67], s[38:39], v[30:31], v[20:21]
	v_fma_f64 v[66:67], v[30:31], v[66:67], s[48:49]
	;; [unrolled: 1-line block ×9, first 2 shown]
	v_fma_f64 v[66:67], v[30:31], v[66:67], 1.0
	v_cndmask_b32_e64 v115, 0, v13, s[36:37]
	v_fma_f64 v[30:31], v[30:31], v[66:67], 1.0
	v_cvt_i32_f64_e32 v13, v[16:17]
	v_cmp_nlt_f64_e32 vcc, s[62:63], v[2:3]
	v_cmp_ngt_f64_e64 s[36:37], s[64:65], v[2:3]
	v_add_f64 v[2:3], v[46:47], -v[18:19]
	v_ldexp_f64 v[16:17], v[30:31], v13
	v_mul_f64 v[4:5], v[2:3], s[46:47]
	v_cndmask_b32_e32 v13, v12, v17, vcc
	s_and_b64 vcc, s[36:37], vcc
	v_rndne_f64_e32 v[4:5], v[4:5]
	v_cndmask_b32_e32 v66, 0, v16, vcc
	v_fma_f64 v[16:17], s[42:43], v[4:5], v[2:3]
	v_fmac_f64_e32 v[16:17], s[44:45], v[4:5]
	v_fma_f64 v[30:31], s[38:39], v[16:17], v[20:21]
	v_fma_f64 v[30:31], v[16:17], v[30:31], s[48:49]
	;; [unrolled: 1-line block ×9, first 2 shown]
	v_fma_f64 v[30:31], v[16:17], v[30:31], 1.0
	v_fma_f64 v[16:17], v[16:17], v[30:31], 1.0
	v_cvt_i32_f64_e32 v4, v[4:5]
	v_cndmask_b32_e64 v67, 0, v13, s[36:37]
	v_ldexp_f64 v[4:5], v[16:17], v4
	v_cmp_nlt_f64_e32 vcc, s[62:63], v[2:3]
	v_cmp_ngt_f64_e64 s[36:37], s[64:65], v[2:3]
	v_cndmask_b32_e32 v5, v12, v5, vcc
	s_and_b64 vcc, s[36:37], vcc
	v_add_f64 v[2:3], v[6:7], -v[18:19]
	v_cndmask_b32_e64 v31, 0, v5, s[36:37]
	v_cndmask_b32_e32 v30, 0, v4, vcc
	v_mul_f64 v[4:5], v[2:3], s[46:47]
	v_rndne_f64_e32 v[4:5], v[4:5]
	v_fma_f64 v[6:7], s[42:43], v[4:5], v[2:3]
	v_fmac_f64_e32 v[6:7], s[44:45], v[4:5]
	v_fma_f64 v[16:17], s[38:39], v[6:7], v[20:21]
	v_fma_f64 v[16:17], v[6:7], v[16:17], s[48:49]
	;; [unrolled: 1-line block ×9, first 2 shown]
	v_fma_f64 v[16:17], v[6:7], v[16:17], 1.0
	v_fma_f64 v[6:7], v[6:7], v[16:17], 1.0
	v_cvt_i32_f64_e32 v4, v[4:5]
	v_ldexp_f64 v[4:5], v[6:7], v4
	v_cmp_nlt_f64_e32 vcc, s[62:63], v[2:3]
	v_cmp_ngt_f64_e64 s[36:37], s[64:65], v[2:3]
	v_cndmask_b32_e32 v5, v12, v5, vcc
	s_and_b64 vcc, s[36:37], vcc
	v_add_f64 v[2:3], v[8:9], -v[18:19]
	v_cndmask_b32_e64 v97, 0, v5, s[36:37]
	v_cndmask_b32_e32 v96, 0, v4, vcc
	v_mul_f64 v[4:5], v[2:3], s[46:47]
	v_rndne_f64_e32 v[4:5], v[4:5]
	v_fma_f64 v[6:7], s[42:43], v[4:5], v[2:3]
	v_fmac_f64_e32 v[6:7], s[44:45], v[4:5]
	v_fma_f64 v[8:9], s[38:39], v[6:7], v[20:21]
	v_fma_f64 v[8:9], v[6:7], v[8:9], s[48:49]
	;; [unrolled: 1-line block ×9, first 2 shown]
	v_fma_f64 v[8:9], v[6:7], v[8:9], 1.0
	v_fma_f64 v[6:7], v[6:7], v[8:9], 1.0
	v_cvt_i32_f64_e32 v4, v[4:5]
	v_ldexp_f64 v[4:5], v[6:7], v4
	v_cmp_nlt_f64_e32 vcc, s[62:63], v[2:3]
	v_cmp_ngt_f64_e64 s[36:37], s[64:65], v[2:3]
	v_cndmask_b32_e32 v5, v12, v5, vcc
	s_and_b64 vcc, s[36:37], vcc
	v_cndmask_b32_e64 v3, 0, v5, s[36:37]
	v_cndmask_b32_e32 v2, 0, v4, vcc
	buffer_store_dword v2, off, s[96:99], 0 offset:72 ; 4-byte Folded Spill
	s_nop 0
	buffer_store_dword v3, off, s[96:99], 0 offset:76 ; 4-byte Folded Spill
	v_add_f64 v[2:3], v[10:11], -v[18:19]
	v_mul_f64 v[4:5], v[2:3], s[46:47]
	v_rndne_f64_e32 v[4:5], v[4:5]
	v_fma_f64 v[6:7], s[42:43], v[4:5], v[2:3]
	v_fmac_f64_e32 v[6:7], s[44:45], v[4:5]
	v_fma_f64 v[8:9], s[38:39], v[6:7], v[20:21]
	v_fma_f64 v[8:9], v[6:7], v[8:9], s[48:49]
	;; [unrolled: 1-line block ×9, first 2 shown]
	v_fma_f64 v[8:9], v[6:7], v[8:9], 1.0
	v_fma_f64 v[6:7], v[6:7], v[8:9], 1.0
	v_cvt_i32_f64_e32 v4, v[4:5]
	v_ldexp_f64 v[4:5], v[6:7], v4
	v_cmp_nlt_f64_e32 vcc, s[62:63], v[2:3]
	v_cmp_ngt_f64_e64 s[36:37], s[64:65], v[2:3]
	v_cndmask_b32_e32 v5, v12, v5, vcc
	s_and_b64 vcc, s[36:37], vcc
	v_cndmask_b32_e64 v3, 0, v5, s[36:37]
	v_cndmask_b32_e32 v2, 0, v4, vcc
	buffer_store_dword v2, off, s[96:99], 0 offset:112 ; 4-byte Folded Spill
	s_nop 0
	buffer_store_dword v3, off, s[96:99], 0 offset:116 ; 4-byte Folded Spill
	buffer_load_dword v0, off, s[96:99], 0 offset:128 ; 4-byte Folded Reload
	buffer_load_dword v1, off, s[96:99], 0 offset:132 ; 4-byte Folded Reload
	s_waitcnt vmcnt(0)
	v_add_f64 v[2:3], v[0:1], -v[18:19]
	v_mul_f64 v[4:5], v[2:3], s[46:47]
	v_rndne_f64_e32 v[4:5], v[4:5]
	v_fma_f64 v[6:7], s[42:43], v[4:5], v[2:3]
	v_fmac_f64_e32 v[6:7], s[44:45], v[4:5]
	v_fma_f64 v[8:9], s[38:39], v[6:7], v[20:21]
	v_fma_f64 v[8:9], v[6:7], v[8:9], s[48:49]
	v_fma_f64 v[8:9], v[6:7], v[8:9], s[50:51]
	v_fma_f64 v[8:9], v[6:7], v[8:9], s[52:53]
	v_fma_f64 v[8:9], v[6:7], v[8:9], s[54:55]
	v_fma_f64 v[8:9], v[6:7], v[8:9], s[56:57]
	v_fma_f64 v[8:9], v[6:7], v[8:9], s[58:59]
	v_fma_f64 v[8:9], v[6:7], v[8:9], s[60:61]
	v_fma_f64 v[8:9], v[6:7], v[8:9], s[66:67]
	v_fma_f64 v[8:9], v[6:7], v[8:9], 1.0
	v_fma_f64 v[6:7], v[6:7], v[8:9], 1.0
	v_cvt_i32_f64_e32 v4, v[4:5]
	v_ldexp_f64 v[4:5], v[6:7], v4
	v_cmp_nlt_f64_e32 vcc, s[62:63], v[2:3]
	v_cmp_ngt_f64_e64 s[36:37], s[64:65], v[2:3]
	v_cndmask_b32_e32 v5, v12, v5, vcc
	s_and_b64 vcc, s[36:37], vcc
	v_cndmask_b32_e64 v3, 0, v5, s[36:37]
	v_cndmask_b32_e32 v2, 0, v4, vcc
	buffer_store_dword v2, off, s[96:99], 0 offset:128 ; 4-byte Folded Spill
	s_nop 0
	buffer_store_dword v3, off, s[96:99], 0 offset:132 ; 4-byte Folded Spill
	v_add_f64 v[2:3], v[38:39], -v[18:19]
	v_mul_f64 v[4:5], v[2:3], s[46:47]
	v_rndne_f64_e32 v[4:5], v[4:5]
	v_fma_f64 v[6:7], s[42:43], v[4:5], v[2:3]
	v_fmac_f64_e32 v[6:7], s[44:45], v[4:5]
	v_fma_f64 v[8:9], s[38:39], v[6:7], v[20:21]
	v_fma_f64 v[8:9], v[6:7], v[8:9], s[48:49]
	v_fma_f64 v[8:9], v[6:7], v[8:9], s[50:51]
	v_fma_f64 v[8:9], v[6:7], v[8:9], s[52:53]
	v_fma_f64 v[8:9], v[6:7], v[8:9], s[54:55]
	v_fma_f64 v[8:9], v[6:7], v[8:9], s[56:57]
	v_fma_f64 v[8:9], v[6:7], v[8:9], s[58:59]
	v_fma_f64 v[8:9], v[6:7], v[8:9], s[60:61]
	v_fma_f64 v[8:9], v[6:7], v[8:9], s[66:67]
	v_fma_f64 v[8:9], v[6:7], v[8:9], 1.0
	v_fma_f64 v[6:7], v[6:7], v[8:9], 1.0
	v_cvt_i32_f64_e32 v4, v[4:5]
	v_ldexp_f64 v[4:5], v[6:7], v4
	v_cmp_nlt_f64_e32 vcc, s[62:63], v[2:3]
	v_cmp_ngt_f64_e64 s[36:37], s[64:65], v[2:3]
	v_cndmask_b32_e32 v5, v12, v5, vcc
	s_and_b64 vcc, s[36:37], vcc
	v_cndmask_b32_e64 v3, 0, v5, s[36:37]
	v_cndmask_b32_e32 v2, 0, v4, vcc
	buffer_store_dword v2, off, s[96:99], 0 offset:136 ; 4-byte Folded Spill
	s_nop 0
	buffer_store_dword v3, off, s[96:99], 0 offset:140 ; 4-byte Folded Spill
	;; [unrolled: 27-line block ×4, first 2 shown]
	buffer_load_dword v0, off, s[96:99], 0 offset:176 ; 4-byte Folded Reload
	s_nop 0
	buffer_load_dword v1, off, s[96:99], 0 offset:180 ; 4-byte Folded Reload
	s_waitcnt vmcnt(0)
	v_add_f64 v[2:3], v[0:1], -v[18:19]
	v_mul_f64 v[4:5], v[2:3], s[46:47]
	v_rndne_f64_e32 v[4:5], v[4:5]
	v_fma_f64 v[6:7], s[42:43], v[4:5], v[2:3]
	v_fmac_f64_e32 v[6:7], s[44:45], v[4:5]
	v_fma_f64 v[8:9], s[38:39], v[6:7], v[20:21]
	v_fma_f64 v[8:9], v[6:7], v[8:9], s[48:49]
	;; [unrolled: 1-line block ×9, first 2 shown]
	v_fma_f64 v[8:9], v[6:7], v[8:9], 1.0
	v_fma_f64 v[6:7], v[6:7], v[8:9], 1.0
	v_cvt_i32_f64_e32 v4, v[4:5]
	v_ldexp_f64 v[4:5], v[6:7], v4
	v_cmp_nlt_f64_e32 vcc, s[62:63], v[2:3]
	v_cmp_ngt_f64_e64 s[36:37], s[64:65], v[2:3]
	v_cndmask_b32_e32 v5, v12, v5, vcc
	s_and_b64 vcc, s[36:37], vcc
	v_add_f64 v[2:3], v[28:29], -v[18:19]
	v_cndmask_b32_e64 v1, 0, v5, s[36:37]
	v_cndmask_b32_e32 v0, 0, v4, vcc
	v_mul_f64 v[4:5], v[2:3], s[46:47]
	v_rndne_f64_e32 v[4:5], v[4:5]
	v_fma_f64 v[6:7], s[42:43], v[4:5], v[2:3]
	v_fmac_f64_e32 v[6:7], s[44:45], v[4:5]
	v_fma_f64 v[8:9], s[38:39], v[6:7], v[20:21]
	v_fma_f64 v[8:9], v[6:7], v[8:9], s[48:49]
	v_fma_f64 v[8:9], v[6:7], v[8:9], s[50:51]
	v_fma_f64 v[8:9], v[6:7], v[8:9], s[52:53]
	v_fma_f64 v[8:9], v[6:7], v[8:9], s[54:55]
	v_fma_f64 v[8:9], v[6:7], v[8:9], s[56:57]
	v_fma_f64 v[8:9], v[6:7], v[8:9], s[58:59]
	v_fma_f64 v[8:9], v[6:7], v[8:9], s[60:61]
	v_fma_f64 v[8:9], v[6:7], v[8:9], s[66:67]
	v_fma_f64 v[8:9], v[6:7], v[8:9], 1.0
	v_fma_f64 v[6:7], v[6:7], v[8:9], 1.0
	v_cvt_i32_f64_e32 v4, v[4:5]
	v_ldexp_f64 v[4:5], v[6:7], v4
	v_cmp_nlt_f64_e32 vcc, s[62:63], v[2:3]
	v_cmp_ngt_f64_e64 s[36:37], s[64:65], v[2:3]
	buffer_store_dword v0, off, s[96:99], 0 offset:176 ; 4-byte Folded Spill
	s_nop 0
	buffer_store_dword v1, off, s[96:99], 0 offset:180 ; 4-byte Folded Spill
	v_cndmask_b32_e32 v5, v12, v5, vcc
	s_and_b64 vcc, s[36:37], vcc
	v_add_f64 v[2:3], v[84:85], -v[18:19]
	v_cndmask_b32_e64 v1, 0, v5, s[36:37]
	v_cndmask_b32_e32 v0, 0, v4, vcc
	v_mul_f64 v[4:5], v[2:3], s[46:47]
	v_rndne_f64_e32 v[4:5], v[4:5]
	v_fma_f64 v[6:7], s[42:43], v[4:5], v[2:3]
	v_fmac_f64_e32 v[6:7], s[44:45], v[4:5]
	v_fma_f64 v[8:9], s[38:39], v[6:7], v[20:21]
	v_fma_f64 v[8:9], v[6:7], v[8:9], s[48:49]
	v_fma_f64 v[8:9], v[6:7], v[8:9], s[50:51]
	v_fma_f64 v[8:9], v[6:7], v[8:9], s[52:53]
	v_fma_f64 v[8:9], v[6:7], v[8:9], s[54:55]
	v_fma_f64 v[8:9], v[6:7], v[8:9], s[56:57]
	v_fma_f64 v[8:9], v[6:7], v[8:9], s[58:59]
	v_fma_f64 v[8:9], v[6:7], v[8:9], s[60:61]
	v_fma_f64 v[8:9], v[6:7], v[8:9], s[66:67]
	v_fma_f64 v[8:9], v[6:7], v[8:9], 1.0
	v_fma_f64 v[6:7], v[6:7], v[8:9], 1.0
	v_cvt_i32_f64_e32 v4, v[4:5]
	v_ldexp_f64 v[4:5], v[6:7], v4
	v_cmp_nlt_f64_e32 vcc, s[62:63], v[2:3]
	v_cmp_ngt_f64_e64 s[36:37], s[64:65], v[2:3]
	buffer_store_dword v0, off, s[96:99], 0 offset:184 ; 4-byte Folded Spill
	s_nop 0
	buffer_store_dword v1, off, s[96:99], 0 offset:188 ; 4-byte Folded Spill
	;; [unrolled: 27-line block ×5, first 2 shown]
	v_cndmask_b32_e32 v5, v12, v5, vcc
	s_and_b64 vcc, s[36:37], vcc
	v_cndmask_b32_e64 v1, 0, v5, s[36:37]
	v_cndmask_b32_e32 v0, 0, v4, vcc
	buffer_store_dword v0, off, s[96:99], 0 offset:240 ; 4-byte Folded Spill
	s_nop 0
	buffer_store_dword v1, off, s[96:99], 0 offset:244 ; 4-byte Folded Spill
	buffer_load_dword v0, off, s[96:99], 0 offset:256 ; 4-byte Folded Reload
	s_nop 0
	buffer_load_dword v1, off, s[96:99], 0 offset:260 ; 4-byte Folded Reload
	s_waitcnt vmcnt(0)
	v_add_f64 v[2:3], v[0:1], -v[18:19]
	v_mul_f64 v[4:5], v[2:3], s[46:47]
	v_rndne_f64_e32 v[4:5], v[4:5]
	v_fma_f64 v[6:7], s[42:43], v[4:5], v[2:3]
	v_fmac_f64_e32 v[6:7], s[44:45], v[4:5]
	v_fma_f64 v[8:9], s[38:39], v[6:7], v[20:21]
	v_fma_f64 v[8:9], v[6:7], v[8:9], s[48:49]
	;; [unrolled: 1-line block ×9, first 2 shown]
	v_fma_f64 v[8:9], v[6:7], v[8:9], 1.0
	v_fma_f64 v[6:7], v[6:7], v[8:9], 1.0
	v_cvt_i32_f64_e32 v4, v[4:5]
	v_ldexp_f64 v[4:5], v[6:7], v4
	v_cmp_nlt_f64_e32 vcc, s[62:63], v[2:3]
	v_cmp_ngt_f64_e64 s[36:37], s[64:65], v[2:3]
	v_cndmask_b32_e32 v5, v12, v5, vcc
	s_and_b64 vcc, s[36:37], vcc
	v_add_f64 v[2:3], v[72:73], -v[18:19]
	v_cndmask_b32_e64 v1, 0, v5, s[36:37]
	v_cndmask_b32_e32 v0, 0, v4, vcc
	v_mul_f64 v[4:5], v[2:3], s[46:47]
	v_rndne_f64_e32 v[4:5], v[4:5]
	v_fma_f64 v[6:7], s[42:43], v[4:5], v[2:3]
	v_fmac_f64_e32 v[6:7], s[44:45], v[4:5]
	v_fma_f64 v[8:9], s[38:39], v[6:7], v[20:21]
	v_fma_f64 v[8:9], v[6:7], v[8:9], s[48:49]
	v_fma_f64 v[8:9], v[6:7], v[8:9], s[50:51]
	v_fma_f64 v[8:9], v[6:7], v[8:9], s[52:53]
	v_fma_f64 v[8:9], v[6:7], v[8:9], s[54:55]
	v_fma_f64 v[8:9], v[6:7], v[8:9], s[56:57]
	v_fma_f64 v[8:9], v[6:7], v[8:9], s[58:59]
	v_fma_f64 v[8:9], v[6:7], v[8:9], s[60:61]
	v_fma_f64 v[8:9], v[6:7], v[8:9], s[66:67]
	v_fma_f64 v[8:9], v[6:7], v[8:9], 1.0
	v_fma_f64 v[6:7], v[6:7], v[8:9], 1.0
	v_cvt_i32_f64_e32 v4, v[4:5]
	v_ldexp_f64 v[4:5], v[6:7], v4
	v_cmp_nlt_f64_e32 vcc, s[62:63], v[2:3]
	v_cmp_ngt_f64_e64 s[36:37], s[64:65], v[2:3]
	buffer_store_dword v0, off, s[96:99], 0 offset:256 ; 4-byte Folded Spill
	s_nop 0
	buffer_store_dword v1, off, s[96:99], 0 offset:260 ; 4-byte Folded Spill
	v_cndmask_b32_e32 v5, v12, v5, vcc
	s_and_b64 vcc, s[36:37], vcc
	v_add_f64 v[2:3], v[40:41], -v[18:19]
	v_cndmask_b32_e64 v1, 0, v5, s[36:37]
	v_cndmask_b32_e32 v0, 0, v4, vcc
	v_mul_f64 v[4:5], v[2:3], s[46:47]
	v_rndne_f64_e32 v[4:5], v[4:5]
	v_fma_f64 v[6:7], s[42:43], v[4:5], v[2:3]
	v_fmac_f64_e32 v[6:7], s[44:45], v[4:5]
	v_fma_f64 v[8:9], s[38:39], v[6:7], v[20:21]
	v_fma_f64 v[8:9], v[6:7], v[8:9], s[48:49]
	v_fma_f64 v[8:9], v[6:7], v[8:9], s[50:51]
	v_fma_f64 v[8:9], v[6:7], v[8:9], s[52:53]
	v_fma_f64 v[8:9], v[6:7], v[8:9], s[54:55]
	v_fma_f64 v[8:9], v[6:7], v[8:9], s[56:57]
	v_fma_f64 v[8:9], v[6:7], v[8:9], s[58:59]
	v_fma_f64 v[8:9], v[6:7], v[8:9], s[60:61]
	v_fma_f64 v[8:9], v[6:7], v[8:9], s[66:67]
	v_fma_f64 v[8:9], v[6:7], v[8:9], 1.0
	v_fma_f64 v[6:7], v[6:7], v[8:9], 1.0
	v_cvt_i32_f64_e32 v4, v[4:5]
	v_ldexp_f64 v[4:5], v[6:7], v4
	v_cmp_nlt_f64_e32 vcc, s[62:63], v[2:3]
	v_cmp_ngt_f64_e64 s[36:37], s[64:65], v[2:3]
	buffer_store_dword v0, off, s[96:99], 0 offset:264 ; 4-byte Folded Spill
	s_nop 0
	buffer_store_dword v1, off, s[96:99], 0 offset:268 ; 4-byte Folded Spill
	;; [unrolled: 27-line block ×6, first 2 shown]
	v_cndmask_b32_e32 v5, v12, v5, vcc
	s_and_b64 vcc, s[36:37], vcc
	v_add_f64 v[2:3], v[90:91], -v[18:19]
	v_cndmask_b32_e64 v1, 0, v5, s[36:37]
	v_cndmask_b32_e32 v0, 0, v4, vcc
	v_mul_f64 v[4:5], v[2:3], s[46:47]
	v_rndne_f64_e32 v[4:5], v[4:5]
	v_fma_f64 v[6:7], s[42:43], v[4:5], v[2:3]
	v_fmac_f64_e32 v[6:7], s[44:45], v[4:5]
	v_fma_f64 v[8:9], s[38:39], v[6:7], v[20:21]
	v_fma_f64 v[8:9], v[6:7], v[8:9], s[48:49]
	v_fma_f64 v[8:9], v[6:7], v[8:9], s[50:51]
	v_fma_f64 v[8:9], v[6:7], v[8:9], s[52:53]
	v_fma_f64 v[8:9], v[6:7], v[8:9], s[54:55]
	v_fma_f64 v[8:9], v[6:7], v[8:9], s[56:57]
	v_fma_f64 v[8:9], v[6:7], v[8:9], s[58:59]
	v_fma_f64 v[8:9], v[6:7], v[8:9], s[60:61]
	v_fma_f64 v[8:9], v[6:7], v[8:9], s[66:67]
	v_fma_f64 v[8:9], v[6:7], v[8:9], 1.0
	v_fma_f64 v[6:7], v[6:7], v[8:9], 1.0
	v_cvt_i32_f64_e32 v4, v[4:5]
	v_ldexp_f64 v[4:5], v[6:7], v4
	v_cmp_nlt_f64_e32 vcc, s[62:63], v[2:3]
	v_cmp_ngt_f64_e64 s[36:37], s[64:65], v[2:3]
	v_cndmask_b32_e32 v5, v12, v5, vcc
	s_and_b64 vcc, s[36:37], vcc
	v_add_f64 v[2:3], v[64:65], -v[18:19]
	v_cndmask_b32_e64 v41, 0, v5, s[36:37]
	v_cndmask_b32_e32 v40, 0, v4, vcc
	v_mul_f64 v[4:5], v[2:3], s[46:47]
	v_rndne_f64_e32 v[4:5], v[4:5]
	v_fma_f64 v[6:7], s[42:43], v[4:5], v[2:3]
	v_fmac_f64_e32 v[6:7], s[44:45], v[4:5]
	v_fma_f64 v[8:9], s[38:39], v[6:7], v[20:21]
	v_fma_f64 v[8:9], v[6:7], v[8:9], s[48:49]
	v_fma_f64 v[8:9], v[6:7], v[8:9], s[50:51]
	v_fma_f64 v[8:9], v[6:7], v[8:9], s[52:53]
	v_fma_f64 v[8:9], v[6:7], v[8:9], s[54:55]
	v_fma_f64 v[8:9], v[6:7], v[8:9], s[56:57]
	v_fma_f64 v[8:9], v[6:7], v[8:9], s[58:59]
	v_fma_f64 v[8:9], v[6:7], v[8:9], s[60:61]
	v_fma_f64 v[8:9], v[6:7], v[8:9], s[66:67]
	v_fma_f64 v[8:9], v[6:7], v[8:9], 1.0
	v_fma_f64 v[6:7], v[6:7], v[8:9], 1.0
	v_cvt_i32_f64_e32 v4, v[4:5]
	v_ldexp_f64 v[4:5], v[6:7], v4
	v_cmp_nlt_f64_e32 vcc, s[62:63], v[2:3]
	v_cmp_ngt_f64_e64 s[36:37], s[64:65], v[2:3]
	;; [unrolled: 24-line block ×7, first 2 shown]
	v_cndmask_b32_e32 v5, v12, v5, vcc
	s_and_b64 vcc, s[36:37], vcc
	v_add_f64 v[2:3], v[50:51], -v[18:19]
	v_cndmask_b32_e64 v91, 0, v5, s[36:37]
	v_cndmask_b32_e32 v90, 0, v4, vcc
	v_mul_f64 v[4:5], v[2:3], s[46:47]
	v_rndne_f64_e32 v[4:5], v[4:5]
	v_fma_f64 v[6:7], s[42:43], v[4:5], v[2:3]
	v_fmac_f64_e32 v[6:7], s[44:45], v[4:5]
	v_fma_f64 v[8:9], s[38:39], v[6:7], v[20:21]
	v_fma_f64 v[8:9], v[6:7], v[8:9], s[48:49]
	buffer_store_dword v0, off, s[96:99], 0 offset:24 ; 4-byte Folded Spill
	s_nop 0
	buffer_store_dword v1, off, s[96:99], 0 offset:28 ; 4-byte Folded Spill
	v_fma_f64 v[8:9], v[6:7], v[8:9], s[50:51]
	v_fma_f64 v[8:9], v[6:7], v[8:9], s[52:53]
	buffer_load_dword v0, off, s[96:99], 0  ; 4-byte Folded Reload
	buffer_load_dword v1, off, s[96:99], 0 offset:4 ; 4-byte Folded Reload
	v_fma_f64 v[8:9], v[6:7], v[8:9], s[54:55]
	v_fma_f64 v[8:9], v[6:7], v[8:9], s[56:57]
	v_fma_f64 v[8:9], v[6:7], v[8:9], s[58:59]
	v_fma_f64 v[8:9], v[6:7], v[8:9], s[60:61]
	v_fma_f64 v[8:9], v[6:7], v[8:9], s[66:67]
	v_fma_f64 v[8:9], v[6:7], v[8:9], 1.0
	v_fma_f64 v[6:7], v[6:7], v[8:9], 1.0
	v_cvt_i32_f64_e32 v4, v[4:5]
	v_ldexp_f64 v[4:5], v[6:7], v4
	v_cmp_nlt_f64_e32 vcc, s[62:63], v[2:3]
	v_cmp_ngt_f64_e64 s[36:37], s[64:65], v[2:3]
	v_cndmask_b32_e32 v5, v12, v5, vcc
	s_and_b64 vcc, s[36:37], vcc
	v_add_f64 v[2:3], v[26:27], -v[18:19]
	v_cndmask_b32_e64 v117, 0, v5, s[36:37]
	v_cndmask_b32_e32 v116, 0, v4, vcc
	v_mul_f64 v[4:5], v[2:3], s[46:47]
	v_rndne_f64_e32 v[4:5], v[4:5]
	v_fma_f64 v[6:7], s[42:43], v[4:5], v[2:3]
	v_fmac_f64_e32 v[6:7], s[44:45], v[4:5]
	v_fma_f64 v[8:9], s[38:39], v[6:7], v[20:21]
	v_fma_f64 v[8:9], v[6:7], v[8:9], s[48:49]
	v_fma_f64 v[8:9], v[6:7], v[8:9], s[50:51]
	v_fma_f64 v[8:9], v[6:7], v[8:9], s[52:53]
	v_fma_f64 v[8:9], v[6:7], v[8:9], s[54:55]
	v_fma_f64 v[8:9], v[6:7], v[8:9], s[56:57]
	v_fma_f64 v[8:9], v[6:7], v[8:9], s[58:59]
	v_fma_f64 v[8:9], v[6:7], v[8:9], s[60:61]
	v_fma_f64 v[8:9], v[6:7], v[8:9], s[66:67]
	v_fma_f64 v[8:9], v[6:7], v[8:9], 1.0
	v_fma_f64 v[6:7], v[6:7], v[8:9], 1.0
	v_cvt_i32_f64_e32 v4, v[4:5]
	v_ldexp_f64 v[4:5], v[6:7], v4
	v_cmp_nlt_f64_e32 vcc, s[62:63], v[2:3]
	v_cmp_ngt_f64_e64 s[36:37], s[64:65], v[2:3]
	v_cndmask_b32_e32 v5, v12, v5, vcc
	s_and_b64 vcc, s[36:37], vcc
	v_add_f64 v[2:3], v[60:61], -v[18:19]
	v_cndmask_b32_e64 v113, 0, v5, s[36:37]
	v_cndmask_b32_e32 v112, 0, v4, vcc
	v_mul_f64 v[4:5], v[2:3], s[46:47]
	v_rndne_f64_e32 v[4:5], v[4:5]
	v_fma_f64 v[6:7], s[42:43], v[4:5], v[2:3]
	v_fmac_f64_e32 v[6:7], s[44:45], v[4:5]
	v_fma_f64 v[8:9], s[38:39], v[6:7], v[20:21]
	v_fma_f64 v[8:9], v[6:7], v[8:9], s[48:49]
	v_fma_f64 v[8:9], v[6:7], v[8:9], s[50:51]
	v_fma_f64 v[8:9], v[6:7], v[8:9], s[52:53]
	;; [unrolled: 24-line block ×4, first 2 shown]
	v_fma_f64 v[8:9], v[6:7], v[8:9], s[54:55]
	v_fma_f64 v[8:9], v[6:7], v[8:9], s[56:57]
	v_fma_f64 v[8:9], v[6:7], v[8:9], s[58:59]
	v_fma_f64 v[8:9], v[6:7], v[8:9], s[60:61]
	v_fma_f64 v[8:9], v[6:7], v[8:9], s[66:67]
	v_fma_f64 v[8:9], v[6:7], v[8:9], 1.0
	v_fma_f64 v[6:7], v[6:7], v[8:9], 1.0
	v_cvt_i32_f64_e32 v4, v[4:5]
	v_ldexp_f64 v[4:5], v[6:7], v4
	v_cmp_nlt_f64_e32 vcc, s[62:63], v[2:3]
	v_cmp_ngt_f64_e64 s[36:37], s[64:65], v[2:3]
	v_cndmask_b32_e32 v5, v12, v5, vcc
	s_and_b64 vcc, s[36:37], vcc
	v_add_f64 v[2:3], v[68:69], -v[18:19]
	v_cndmask_b32_e64 v107, 0, v5, s[36:37]
	v_cndmask_b32_e32 v106, 0, v4, vcc
	v_mul_f64 v[4:5], v[2:3], s[46:47]
	v_rndne_f64_e32 v[4:5], v[4:5]
	v_fma_f64 v[6:7], s[42:43], v[4:5], v[2:3]
	v_cmp_nlt_f64_e32 vcc, s[62:63], v[2:3]
	v_cmp_ngt_f64_e64 s[36:37], s[64:65], v[2:3]
	s_waitcnt vmcnt(0)
	v_add_f64 v[2:3], v[0:1], -v[18:19]
	buffer_load_dword v0, off, s[96:99], 0 offset:272 ; 4-byte Folded Reload
	buffer_load_dword v1, off, s[96:99], 0 offset:276 ; 4-byte Folded Reload
	v_fmac_f64_e32 v[6:7], s[44:45], v[4:5]
	v_fma_f64 v[8:9], s[38:39], v[6:7], v[20:21]
	v_fma_f64 v[8:9], v[6:7], v[8:9], s[48:49]
	;; [unrolled: 1-line block ×9, first 2 shown]
	v_fma_f64 v[8:9], v[6:7], v[8:9], 1.0
	v_fma_f64 v[6:7], v[6:7], v[8:9], 1.0
	v_cvt_i32_f64_e32 v4, v[4:5]
	v_ldexp_f64 v[4:5], v[6:7], v4
	v_cndmask_b32_e32 v5, v12, v5, vcc
	s_and_b64 vcc, s[36:37], vcc
	v_cndmask_b32_e64 v105, 0, v5, s[36:37]
	v_cndmask_b32_e32 v104, 0, v4, vcc
	v_mul_f64 v[4:5], v[2:3], s[46:47]
	v_rndne_f64_e32 v[4:5], v[4:5]
	v_fma_f64 v[6:7], s[42:43], v[4:5], v[2:3]
	v_fmac_f64_e32 v[6:7], s[44:45], v[4:5]
	v_fma_f64 v[8:9], s[38:39], v[6:7], v[20:21]
	v_fma_f64 v[8:9], v[6:7], v[8:9], s[48:49]
	;; [unrolled: 1-line block ×9, first 2 shown]
	v_fma_f64 v[8:9], v[6:7], v[8:9], 1.0
	v_fma_f64 v[6:7], v[6:7], v[8:9], 1.0
	v_cvt_i32_f64_e32 v4, v[4:5]
	v_ldexp_f64 v[4:5], v[6:7], v4
	v_cmp_nlt_f64_e32 vcc, s[62:63], v[2:3]
	v_cmp_ngt_f64_e64 s[36:37], s[64:65], v[2:3]
	v_cndmask_b32_e32 v5, v12, v5, vcc
	s_and_b64 vcc, s[36:37], vcc
	v_add_f64 v[2:3], v[36:37], -v[18:19]
	v_cndmask_b32_e64 v23, 0, v5, s[36:37]
	v_cndmask_b32_e32 v22, 0, v4, vcc
	v_mul_f64 v[4:5], v[2:3], s[46:47]
	v_rndne_f64_e32 v[4:5], v[4:5]
	v_fma_f64 v[6:7], s[42:43], v[4:5], v[2:3]
	v_fmac_f64_e32 v[6:7], s[44:45], v[4:5]
	v_fma_f64 v[8:9], s[38:39], v[6:7], v[20:21]
	v_fma_f64 v[8:9], v[6:7], v[8:9], s[48:49]
	;; [unrolled: 1-line block ×9, first 2 shown]
	v_fma_f64 v[8:9], v[6:7], v[8:9], 1.0
	v_fma_f64 v[6:7], v[6:7], v[8:9], 1.0
	v_cvt_i32_f64_e32 v4, v[4:5]
	v_ldexp_f64 v[4:5], v[6:7], v4
	v_cmp_nlt_f64_e32 vcc, s[62:63], v[2:3]
	v_cmp_ngt_f64_e64 s[36:37], s[64:65], v[2:3]
	v_cndmask_b32_e32 v5, v12, v5, vcc
	s_and_b64 vcc, s[36:37], vcc
	v_cndmask_b32_e64 v73, 0, v5, s[36:37]
	v_cndmask_b32_e32 v72, 0, v4, vcc
	s_waitcnt vmcnt(0)
	v_add_f64 v[2:3], v[0:1], -v[18:19]
	v_mul_f64 v[4:5], v[2:3], s[46:47]
	v_rndne_f64_e32 v[4:5], v[4:5]
	v_fma_f64 v[6:7], s[42:43], v[4:5], v[2:3]
	v_fmac_f64_e32 v[6:7], s[44:45], v[4:5]
	v_fma_f64 v[8:9], s[38:39], v[6:7], v[20:21]
	v_fma_f64 v[8:9], v[6:7], v[8:9], s[48:49]
	v_fma_f64 v[8:9], v[6:7], v[8:9], s[50:51]
	v_fma_f64 v[8:9], v[6:7], v[8:9], s[52:53]
	v_fma_f64 v[8:9], v[6:7], v[8:9], s[54:55]
	v_fma_f64 v[8:9], v[6:7], v[8:9], s[56:57]
	v_fma_f64 v[8:9], v[6:7], v[8:9], s[58:59]
	v_fma_f64 v[8:9], v[6:7], v[8:9], s[60:61]
	v_fma_f64 v[8:9], v[6:7], v[8:9], s[66:67]
	v_fma_f64 v[8:9], v[6:7], v[8:9], 1.0
	v_fma_f64 v[6:7], v[6:7], v[8:9], 1.0
	v_cvt_i32_f64_e32 v4, v[4:5]
	v_ldexp_f64 v[4:5], v[6:7], v4
	v_cmp_nlt_f64_e32 vcc, s[62:63], v[2:3]
	v_cmp_ngt_f64_e64 s[36:37], s[64:65], v[2:3]
	v_cndmask_b32_e32 v5, v12, v5, vcc
	s_and_b64 vcc, s[36:37], vcc
	v_add_f64 v[2:3], v[24:25], -v[18:19]
	v_cndmask_b32_e64 v17, 0, v5, s[36:37]
	v_cndmask_b32_e32 v16, 0, v4, vcc
	v_mul_f64 v[4:5], v[2:3], s[46:47]
	v_rndne_f64_e32 v[4:5], v[4:5]
	v_fma_f64 v[6:7], s[42:43], v[4:5], v[2:3]
	v_fmac_f64_e32 v[6:7], s[44:45], v[4:5]
	v_fma_f64 v[8:9], s[38:39], v[6:7], v[20:21]
	v_fma_f64 v[8:9], v[6:7], v[8:9], s[48:49]
	v_fma_f64 v[8:9], v[6:7], v[8:9], s[50:51]
	v_fma_f64 v[8:9], v[6:7], v[8:9], s[52:53]
	v_fma_f64 v[8:9], v[6:7], v[8:9], s[54:55]
	v_fma_f64 v[8:9], v[6:7], v[8:9], s[56:57]
	v_fma_f64 v[8:9], v[6:7], v[8:9], s[58:59]
	v_fma_f64 v[8:9], v[6:7], v[8:9], s[60:61]
	v_fma_f64 v[8:9], v[6:7], v[8:9], s[66:67]
	v_fma_f64 v[8:9], v[6:7], v[8:9], 1.0
	v_fma_f64 v[6:7], v[6:7], v[8:9], 1.0
	v_cvt_i32_f64_e32 v4, v[4:5]
	v_ldexp_f64 v[4:5], v[6:7], v4
	v_cmp_nlt_f64_e32 vcc, s[62:63], v[2:3]
	v_cmp_ngt_f64_e64 s[36:37], s[64:65], v[2:3]
	v_cndmask_b32_e32 v5, v12, v5, vcc
	s_and_b64 vcc, s[36:37], vcc
	v_add_f64 v[2:3], v[44:45], -v[18:19]
	v_cndmask_b32_e64 v53, 0, v5, s[36:37]
	v_cndmask_b32_e32 v52, 0, v4, vcc
	;; [unrolled: 24-line block ×8, first 2 shown]
	v_mul_f64 v[4:5], v[2:3], s[46:47]
	v_rndne_f64_e32 v[4:5], v[4:5]
	v_fma_f64 v[6:7], s[42:43], v[4:5], v[2:3]
	v_fmac_f64_e32 v[6:7], s[44:45], v[4:5]
	v_fma_f64 v[8:9], s[38:39], v[6:7], v[20:21]
	buffer_load_dword v0, off, s[96:99], 0 offset:248 ; 4-byte Folded Reload
	buffer_load_dword v1, off, s[96:99], 0 offset:252 ; 4-byte Folded Reload
	v_fma_f64 v[8:9], v[6:7], v[8:9], s[48:49]
	v_fma_f64 v[8:9], v[6:7], v[8:9], s[50:51]
	v_fma_f64 v[8:9], v[6:7], v[8:9], s[52:53]
	v_fma_f64 v[8:9], v[6:7], v[8:9], s[54:55]
	v_fma_f64 v[8:9], v[6:7], v[8:9], s[56:57]
	v_fma_f64 v[8:9], v[6:7], v[8:9], s[58:59]
	v_fma_f64 v[8:9], v[6:7], v[8:9], s[60:61]
	v_fma_f64 v[8:9], v[6:7], v[8:9], s[66:67]
	v_fma_f64 v[8:9], v[6:7], v[8:9], 1.0
	v_fma_f64 v[6:7], v[6:7], v[8:9], 1.0
	v_cvt_i32_f64_e32 v4, v[4:5]
	v_ldexp_f64 v[4:5], v[6:7], v4
	v_cmp_nlt_f64_e32 vcc, s[62:63], v[2:3]
	v_cmp_ngt_f64_e64 s[36:37], s[64:65], v[2:3]
	v_cndmask_b32_e32 v5, v12, v5, vcc
	s_and_b64 vcc, s[36:37], vcc
	v_add_f64 v[2:3], v[88:89], -v[18:19]
	v_cndmask_b32_e64 v81, 0, v5, s[36:37]
	v_cndmask_b32_e32 v80, 0, v4, vcc
	v_mul_f64 v[4:5], v[2:3], s[46:47]
	v_rndne_f64_e32 v[4:5], v[4:5]
	v_fma_f64 v[6:7], s[42:43], v[4:5], v[2:3]
	v_fmac_f64_e32 v[6:7], s[44:45], v[4:5]
	v_fma_f64 v[8:9], s[38:39], v[6:7], v[20:21]
	v_fma_f64 v[8:9], v[6:7], v[8:9], s[48:49]
	v_fma_f64 v[8:9], v[6:7], v[8:9], s[50:51]
	v_fma_f64 v[8:9], v[6:7], v[8:9], s[52:53]
	v_fma_f64 v[8:9], v[6:7], v[8:9], s[54:55]
	v_fma_f64 v[8:9], v[6:7], v[8:9], s[56:57]
	v_fma_f64 v[8:9], v[6:7], v[8:9], s[58:59]
	v_fma_f64 v[8:9], v[6:7], v[8:9], s[60:61]
	v_fma_f64 v[8:9], v[6:7], v[8:9], s[66:67]
	v_fma_f64 v[8:9], v[6:7], v[8:9], 1.0
	v_fma_f64 v[6:7], v[6:7], v[8:9], 1.0
	v_cvt_i32_f64_e32 v4, v[4:5]
	v_ldexp_f64 v[4:5], v[6:7], v4
	v_cmp_nlt_f64_e32 vcc, s[62:63], v[2:3]
	v_cmp_ngt_f64_e64 s[36:37], s[64:65], v[2:3]
	v_cndmask_b32_e32 v5, v12, v5, vcc
	s_and_b64 vcc, s[36:37], vcc
	v_add_f64 v[2:3], v[94:95], -v[18:19]
	v_cndmask_b32_e64 v83, 0, v5, s[36:37]
	v_cndmask_b32_e32 v82, 0, v4, vcc
	v_mul_f64 v[4:5], v[2:3], s[46:47]
	v_rndne_f64_e32 v[4:5], v[4:5]
	v_fma_f64 v[6:7], s[42:43], v[4:5], v[2:3]
	v_fmac_f64_e32 v[6:7], s[44:45], v[4:5]
	v_fma_f64 v[8:9], s[38:39], v[6:7], v[20:21]
	;; [unrolled: 24-line block ×4, first 2 shown]
	v_fma_f64 v[8:9], v[6:7], v[8:9], s[48:49]
	v_fma_f64 v[8:9], v[6:7], v[8:9], s[50:51]
	;; [unrolled: 1-line block ×8, first 2 shown]
	v_fma_f64 v[8:9], v[6:7], v[8:9], 1.0
	v_fma_f64 v[6:7], v[6:7], v[8:9], 1.0
	v_cvt_i32_f64_e32 v4, v[4:5]
	v_ldexp_f64 v[4:5], v[6:7], v4
	v_cmp_nlt_f64_e32 vcc, s[62:63], v[2:3]
	v_cmp_ngt_f64_e64 s[36:37], s[64:65], v[2:3]
	v_cndmask_b32_e32 v5, v12, v5, vcc
	s_and_b64 vcc, s[36:37], vcc
	s_waitcnt vmcnt(0)
	v_add_f64 v[2:3], v[0:1], -v[18:19]
	v_cndmask_b32_e64 v93, 0, v5, s[36:37]
	v_cndmask_b32_e32 v92, 0, v4, vcc
	v_mul_f64 v[4:5], v[2:3], s[46:47]
	v_rndne_f64_e32 v[4:5], v[4:5]
	v_fma_f64 v[6:7], s[42:43], v[4:5], v[2:3]
	v_fmac_f64_e32 v[6:7], s[44:45], v[4:5]
	v_fma_f64 v[8:9], s[38:39], v[6:7], v[20:21]
	v_fma_f64 v[8:9], v[6:7], v[8:9], s[48:49]
	;; [unrolled: 1-line block ×9, first 2 shown]
	v_fma_f64 v[8:9], v[6:7], v[8:9], 1.0
	v_fma_f64 v[6:7], v[6:7], v[8:9], 1.0
	v_cvt_i32_f64_e32 v4, v[4:5]
	v_ldexp_f64 v[4:5], v[6:7], v4
	v_cmp_nlt_f64_e32 vcc, s[62:63], v[2:3]
	v_cmp_ngt_f64_e64 s[36:37], s[64:65], v[2:3]
	v_cndmask_b32_e32 v5, v12, v5, vcc
	s_and_b64 vcc, s[36:37], vcc
	v_add_f64 v[2:3], v[58:59], -v[18:19]
	v_cndmask_b32_e64 v39, 0, v5, s[36:37]
	v_cndmask_b32_e32 v38, 0, v4, vcc
	v_mul_f64 v[4:5], v[2:3], s[46:47]
	v_rndne_f64_e32 v[4:5], v[4:5]
	v_fma_f64 v[6:7], s[42:43], v[4:5], v[2:3]
	v_fmac_f64_e32 v[6:7], s[44:45], v[4:5]
	v_fma_f64 v[8:9], s[38:39], v[6:7], v[20:21]
	v_fma_f64 v[8:9], v[6:7], v[8:9], s[48:49]
	;; [unrolled: 1-line block ×9, first 2 shown]
	v_fma_f64 v[8:9], v[6:7], v[8:9], 1.0
	v_fma_f64 v[6:7], v[6:7], v[8:9], 1.0
	v_cvt_i32_f64_e32 v4, v[4:5]
	v_add_f64 v[0:1], v[102:103], -v[18:19]
	v_ldexp_f64 v[4:5], v[6:7], v4
	v_cmp_nlt_f64_e32 vcc, s[62:63], v[2:3]
	v_cmp_ngt_f64_e64 s[36:37], s[64:65], v[2:3]
	v_mul_f64 v[2:3], v[0:1], s[46:47]
	v_cndmask_b32_e32 v5, v12, v5, vcc
	s_and_b64 vcc, s[36:37], vcc
	v_rndne_f64_e32 v[2:3], v[2:3]
	v_cndmask_b32_e64 v45, 0, v5, s[36:37]
	v_cndmask_b32_e32 v44, 0, v4, vcc
	v_fma_f64 v[4:5], s[42:43], v[2:3], v[0:1]
	v_fmac_f64_e32 v[4:5], s[44:45], v[2:3]
	v_fma_f64 v[6:7], s[38:39], v[4:5], v[20:21]
	v_fma_f64 v[6:7], v[4:5], v[6:7], s[48:49]
	;; [unrolled: 1-line block ×9, first 2 shown]
	v_fma_f64 v[6:7], v[4:5], v[6:7], 1.0
	v_fma_f64 v[4:5], v[4:5], v[6:7], 1.0
	v_cvt_i32_f64_e32 v2, v[2:3]
	v_ldexp_f64 v[2:3], v[4:5], v2
	v_cmp_nlt_f64_e32 vcc, s[62:63], v[0:1]
	v_cmp_ngt_f64_e64 s[36:37], s[64:65], v[0:1]
	v_cndmask_b32_e32 v3, v12, v3, vcc
	s_and_b64 vcc, s[36:37], vcc
	v_add_f64 v[0:1], v[124:125], -v[18:19]
	v_cndmask_b32_e64 v47, 0, v3, s[36:37]
	v_cndmask_b32_e32 v46, 0, v2, vcc
	v_mul_f64 v[2:3], v[0:1], s[46:47]
	v_rndne_f64_e32 v[2:3], v[2:3]
	v_fma_f64 v[4:5], s[42:43], v[2:3], v[0:1]
	v_cmp_nlt_f64_e32 vcc, s[62:63], v[0:1]
	v_cmp_ngt_f64_e64 s[36:37], s[64:65], v[0:1]
	buffer_load_dword v0, off, s[96:99], 0 offset:192 ; 4-byte Folded Reload
	buffer_load_dword v1, off, s[96:99], 0 offset:196 ; 4-byte Folded Reload
	v_fmac_f64_e32 v[4:5], s[44:45], v[2:3]
	v_fma_f64 v[6:7], s[38:39], v[4:5], v[20:21]
	v_fma_f64 v[6:7], v[4:5], v[6:7], s[48:49]
	;; [unrolled: 1-line block ×9, first 2 shown]
	v_fma_f64 v[6:7], v[4:5], v[6:7], 1.0
	v_fma_f64 v[4:5], v[4:5], v[6:7], 1.0
	v_cvt_i32_f64_e32 v2, v[2:3]
	v_ldexp_f64 v[2:3], v[4:5], v2
	v_cndmask_b32_e32 v3, v12, v3, vcc
	s_and_b64 vcc, s[36:37], vcc
	v_cndmask_b32_e64 v101, 0, v3, s[36:37]
	v_cndmask_b32_e32 v100, 0, v2, vcc
	s_waitcnt vmcnt(0)
	v_add_f64 v[2:3], v[0:1], -v[18:19]
	buffer_load_dword v0, off, s[96:99], 0 offset:216 ; 4-byte Folded Reload
	buffer_load_dword v1, off, s[96:99], 0 offset:220 ; 4-byte Folded Reload
	v_mul_f64 v[4:5], v[2:3], s[46:47]
	v_rndne_f64_e32 v[4:5], v[4:5]
	v_fma_f64 v[6:7], s[42:43], v[4:5], v[2:3]
	v_cmp_nlt_f64_e32 vcc, s[62:63], v[2:3]
	v_cmp_ngt_f64_e64 s[36:37], s[64:65], v[2:3]
	v_fmac_f64_e32 v[6:7], s[44:45], v[4:5]
	v_fma_f64 v[8:9], s[38:39], v[6:7], v[20:21]
	v_fma_f64 v[8:9], v[6:7], v[8:9], s[48:49]
	;; [unrolled: 1-line block ×9, first 2 shown]
	v_fma_f64 v[8:9], v[6:7], v[8:9], 1.0
	v_fma_f64 v[6:7], v[6:7], v[8:9], 1.0
	v_cvt_i32_f64_e32 v4, v[4:5]
	v_ldexp_f64 v[4:5], v[6:7], v4
	v_cndmask_b32_e32 v5, v12, v5, vcc
	s_and_b64 vcc, s[36:37], vcc
	v_cndmask_b32_e64 v99, 0, v5, s[36:37]
	v_cndmask_b32_e32 v98, 0, v4, vcc
	s_waitcnt vmcnt(0)
	v_add_f64 v[2:3], v[0:1], -v[18:19]
	buffer_load_dword v0, off, s[96:99], 0 offset:168 ; 4-byte Folded Reload
	buffer_load_dword v1, off, s[96:99], 0 offset:172 ; 4-byte Folded Reload
	v_mul_f64 v[4:5], v[2:3], s[46:47]
	v_rndne_f64_e32 v[4:5], v[4:5]
	v_fma_f64 v[6:7], s[42:43], v[4:5], v[2:3]
	v_cmp_nlt_f64_e32 vcc, s[62:63], v[2:3]
	v_cmp_ngt_f64_e64 s[36:37], s[64:65], v[2:3]
	v_fmac_f64_e32 v[6:7], s[44:45], v[4:5]
	v_fma_f64 v[8:9], s[38:39], v[6:7], v[20:21]
	v_fma_f64 v[8:9], v[6:7], v[8:9], s[48:49]
	;; [unrolled: 1-line block ×9, first 2 shown]
	v_fma_f64 v[8:9], v[6:7], v[8:9], 1.0
	v_fma_f64 v[6:7], v[6:7], v[8:9], 1.0
	v_cvt_i32_f64_e32 v4, v[4:5]
	v_ldexp_f64 v[4:5], v[6:7], v4
	v_cndmask_b32_e32 v5, v12, v5, vcc
	s_and_b64 vcc, s[36:37], vcc
	v_cndmask_b32_e64 v103, 0, v5, s[36:37]
	v_cndmask_b32_e32 v102, 0, v4, vcc
	v_pk_mov_b32 v[6:7], v[26:27], v[26:27] op_sel:[0,1]
	v_pk_mov_b32 v[26:27], v[54:55], v[54:55] op_sel:[0,1]
	s_waitcnt vmcnt(0)
	v_add_f64 v[2:3], v[0:1], -v[18:19]
	buffer_load_dword v0, off, s[96:99], 0 offset:152 ; 4-byte Folded Reload
	buffer_load_dword v1, off, s[96:99], 0 offset:156 ; 4-byte Folded Reload
	v_mul_f64 v[4:5], v[2:3], s[46:47]
	v_rndne_f64_e32 v[4:5], v[4:5]
	v_fma_f64 v[8:9], s[42:43], v[4:5], v[2:3]
	v_cmp_nlt_f64_e32 vcc, s[62:63], v[2:3]
	v_cmp_ngt_f64_e64 s[36:37], s[64:65], v[2:3]
	v_fmac_f64_e32 v[8:9], s[44:45], v[4:5]
	v_fma_f64 v[10:11], s[38:39], v[8:9], v[20:21]
	v_fma_f64 v[10:11], v[8:9], v[10:11], s[48:49]
	v_fma_f64 v[10:11], v[8:9], v[10:11], s[50:51]
	v_fma_f64 v[10:11], v[8:9], v[10:11], s[52:53]
	v_fma_f64 v[10:11], v[8:9], v[10:11], s[54:55]
	v_fma_f64 v[10:11], v[8:9], v[10:11], s[56:57]
	v_fma_f64 v[10:11], v[8:9], v[10:11], s[58:59]
	v_fma_f64 v[10:11], v[8:9], v[10:11], s[60:61]
	v_fma_f64 v[10:11], v[8:9], v[10:11], s[66:67]
	v_fma_f64 v[10:11], v[8:9], v[10:11], 1.0
	v_fma_f64 v[8:9], v[8:9], v[10:11], 1.0
	v_cvt_i32_f64_e32 v4, v[4:5]
	v_ldexp_f64 v[4:5], v[8:9], v4
	v_cndmask_b32_e32 v5, v12, v5, vcc
	s_and_b64 vcc, s[36:37], vcc
	v_cndmask_b32_e64 v65, 0, v5, s[36:37]
	v_cndmask_b32_e32 v64, 0, v4, vcc
	s_waitcnt vmcnt(0)
	v_add_f64 v[2:3], v[0:1], -v[18:19]
	buffer_load_dword v0, off, s[96:99], 0 offset:144 ; 4-byte Folded Reload
	buffer_load_dword v1, off, s[96:99], 0 offset:148 ; 4-byte Folded Reload
	v_mul_f64 v[4:5], v[2:3], s[46:47]
	v_rndne_f64_e32 v[4:5], v[4:5]
	v_fma_f64 v[8:9], s[42:43], v[4:5], v[2:3]
	v_cmp_nlt_f64_e32 vcc, s[62:63], v[2:3]
	v_cmp_ngt_f64_e64 s[36:37], s[64:65], v[2:3]
	v_fmac_f64_e32 v[8:9], s[44:45], v[4:5]
	v_fma_f64 v[10:11], s[38:39], v[8:9], v[20:21]
	v_fma_f64 v[10:11], v[8:9], v[10:11], s[48:49]
	v_fma_f64 v[10:11], v[8:9], v[10:11], s[50:51]
	v_fma_f64 v[10:11], v[8:9], v[10:11], s[52:53]
	v_fma_f64 v[10:11], v[8:9], v[10:11], s[54:55]
	v_fma_f64 v[10:11], v[8:9], v[10:11], s[56:57]
	v_fma_f64 v[10:11], v[8:9], v[10:11], s[58:59]
	v_fma_f64 v[10:11], v[8:9], v[10:11], s[60:61]
	v_fma_f64 v[10:11], v[8:9], v[10:11], s[66:67]
	v_fma_f64 v[10:11], v[8:9], v[10:11], 1.0
	v_fma_f64 v[8:9], v[8:9], v[10:11], 1.0
	v_cvt_i32_f64_e32 v4, v[4:5]
	v_ldexp_f64 v[4:5], v[8:9], v4
	v_cndmask_b32_e32 v5, v12, v5, vcc
	s_and_b64 vcc, s[36:37], vcc
	v_cndmask_b32_e64 v125, 0, v5, s[36:37]
	v_cndmask_b32_e32 v124, 0, v4, vcc
	;; [unrolled: 27-line block ×3, first 2 shown]
	s_waitcnt vmcnt(0)
	v_add_f64 v[2:3], v[0:1], -v[18:19]
	buffer_load_dword v0, off, s[96:99], 0 offset:120 ; 4-byte Folded Reload
	buffer_load_dword v1, off, s[96:99], 0 offset:124 ; 4-byte Folded Reload
	v_mul_f64 v[4:5], v[2:3], s[46:47]
	v_rndne_f64_e32 v[4:5], v[4:5]
	v_fma_f64 v[8:9], s[42:43], v[4:5], v[2:3]
	v_fmac_f64_e32 v[8:9], s[44:45], v[4:5]
	v_fma_f64 v[10:11], s[38:39], v[8:9], v[20:21]
	v_fma_f64 v[10:11], v[8:9], v[10:11], s[48:49]
	;; [unrolled: 1-line block ×9, first 2 shown]
	v_fma_f64 v[10:11], v[8:9], v[10:11], 1.0
	v_fma_f64 v[8:9], v[8:9], v[10:11], 1.0
	v_cvt_i32_f64_e32 v4, v[4:5]
	v_ldexp_f64 v[4:5], v[8:9], v4
	v_cmp_nlt_f64_e32 vcc, s[62:63], v[2:3]
	v_cmp_ngt_f64_e64 s[36:37], s[64:65], v[2:3]
	v_cndmask_b32_e32 v5, v12, v5, vcc
	s_and_b64 vcc, s[36:37], vcc
	v_cndmask_b32_e64 v37, 0, v5, s[36:37]
	v_cndmask_b32_e32 v36, 0, v4, vcc
	s_waitcnt vmcnt(0)
	v_add_f64 v[4:5], v[0:1], -v[18:19]
	buffer_load_dword v0, off, s[96:99], 0 offset:104 ; 4-byte Folded Reload
	buffer_load_dword v1, off, s[96:99], 0 offset:108 ; 4-byte Folded Reload
	v_mul_f64 v[2:3], v[4:5], s[46:47]
	v_rndne_f64_e32 v[2:3], v[2:3]
	v_fma_f64 v[8:9], s[42:43], v[2:3], v[4:5]
	v_fmac_f64_e32 v[8:9], s[44:45], v[2:3]
	v_fmac_f64_e32 v[20:21], s[38:39], v[8:9]
	v_fma_f64 v[10:11], v[8:9], v[20:21], s[48:49]
	v_fma_f64 v[10:11], v[8:9], v[10:11], s[50:51]
	;; [unrolled: 1-line block ×8, first 2 shown]
	v_fma_f64 v[10:11], v[8:9], v[10:11], 1.0
	v_fma_f64 v[8:9], v[8:9], v[10:11], 1.0
	v_cvt_i32_f64_e32 v2, v[2:3]
	v_ldexp_f64 v[2:3], v[8:9], v2
	v_cmp_nlt_f64_e32 vcc, s[62:63], v[4:5]
	v_cmp_ngt_f64_e64 s[36:37], s[64:65], v[4:5]
	v_cndmask_b32_e32 v3, v12, v3, vcc
	s_and_b64 vcc, s[36:37], vcc
	v_cndmask_b32_e64 v15, 0, v3, s[36:37]
	v_cndmask_b32_e32 v14, 0, v2, vcc
	v_pk_mov_b32 v[20:21], v[96:97], v[96:97] op_sel:[0,1]
	s_waitcnt vmcnt(0)
	v_pk_mov_b32 v[10:11], v[0:1], v[0:1] op_sel:[0,1]
	v_add_f64 v[2:3], v[0:1], 0
	buffer_load_dword v0, off, s[96:99], 0 offset:72 ; 4-byte Folded Reload
	buffer_load_dword v1, off, s[96:99], 0 offset:76 ; 4-byte Folded Reload
	v_add_f64 v[2:3], v[2:3], v[120:121]
	v_add_f64 v[2:3], v[2:3], v[114:115]
	;; [unrolled: 1-line block ×5, first 2 shown]
	s_waitcnt vmcnt(0)
	v_pk_mov_b32 v[96:97], v[0:1], v[0:1] op_sel:[0,1]
	v_add_f64 v[2:3], v[2:3], v[0:1]
	buffer_load_dword v0, off, s[96:99], 0 offset:112 ; 4-byte Folded Reload
	buffer_load_dword v1, off, s[96:99], 0 offset:116 ; 4-byte Folded Reload
	s_waitcnt vmcnt(0)
	v_pk_mov_b32 v[12:13], v[0:1], v[0:1] op_sel:[0,1]
	v_add_f64 v[2:3], v[2:3], v[0:1]
	buffer_load_dword v0, off, s[96:99], 0 offset:128 ; 4-byte Folded Reload
	buffer_load_dword v1, off, s[96:99], 0 offset:132 ; 4-byte Folded Reload
	;; [unrolled: 5-line block ×11, first 2 shown]
	buffer_load_dword v74, off, s[96:99], 0 offset:264 ; 4-byte Folded Reload
	buffer_load_dword v75, off, s[96:99], 0 offset:268 ; 4-byte Folded Reload
	;; [unrolled: 1-line block ×4, first 2 shown]
	s_waitcnt vmcnt(4)
	v_add_f64 v[2:3], v[2:3], v[0:1]
	v_pk_mov_b32 v[50:51], v[0:1], v[0:1] op_sel:[0,1]
	s_waitcnt vmcnt(0)
	v_pk_mov_b32 v[0:1], v[4:5], v[4:5] op_sel:[0,1]
	v_add_f64 v[2:3], v[2:3], v[4:5]
	buffer_load_dword v4, off, s[96:99], 0 offset:40 ; 4-byte Folded Reload
	buffer_load_dword v5, off, s[96:99], 0 offset:44 ; 4-byte Folded Reload
	v_add_f64 v[2:3], v[2:3], v[74:75]
	s_waitcnt vmcnt(0)
	v_add_f64 v[2:3], v[2:3], v[4:5]
	buffer_load_dword v4, off, s[96:99], 0 offset:48 ; 4-byte Folded Reload
	buffer_load_dword v5, off, s[96:99], 0 offset:52 ; 4-byte Folded Reload
	s_waitcnt vmcnt(0)
	v_add_f64 v[2:3], v[2:3], v[4:5]
	buffer_load_dword v4, off, s[96:99], 0 offset:56 ; 4-byte Folded Reload
	buffer_load_dword v5, off, s[96:99], 0 offset:60 ; 4-byte Folded Reload
	;; [unrolled: 4-line block ×4, first 2 shown]
	s_nop 0
	buffer_store_dword v28, off, s[96:99], 0 offset:192 ; 4-byte Folded Spill
	s_nop 0
	buffer_store_dword v29, off, s[96:99], 0 offset:196 ; 4-byte Folded Spill
	buffer_store_dword v108, off, s[96:99], 0 offset:168 ; 4-byte Folded Spill
	s_nop 0
	buffer_store_dword v109, off, s[96:99], 0 offset:172 ; 4-byte Folded Spill
	;; [unrolled: 3-line block ×7, first 2 shown]
	buffer_store_dword v52, off, s[96:99], 0 ; 4-byte Folded Spill
	s_nop 0
	buffer_store_dword v53, off, s[96:99], 0 offset:4 ; 4-byte Folded Spill
	buffer_load_dword v8, off, s[96:99], 0 offset:80 ; 4-byte Folded Reload
	s_waitcnt vmcnt(17)
	v_add_f64 v[2:3], v[2:3], v[4:5]
	v_add_f64 v[2:3], v[2:3], v[40:41]
	;; [unrolled: 1-line block ×34, first 2 shown]
	v_pk_mov_b32 v[4:5], v[64:65], v[64:65] op_sel:[0,1]
	v_add_f64 v[2:3], v[2:3], v[102:103]
	v_pk_mov_b32 v[64:65], v[40:41], v[40:41] op_sel:[0,1]
	v_pk_mov_b32 v[40:41], v[90:91], v[90:91] op_sel:[0,1]
	;; [unrolled: 1-line block ×3, first 2 shown]
	v_add_f64 v[2:3], v[2:3], v[4:5]
	buffer_load_dword v5, off, s[96:99], 0 offset:84 ; 4-byte Folded Reload
	v_add_f64 v[2:3], v[2:3], v[124:125]
	v_add_f64 v[2:3], v[2:3], v[24:25]
	;; [unrolled: 1-line block ×4, first 2 shown]
	v_pk_mov_b32 v[28:29], v[32:33], v[32:33] op_sel:[0,1]
	v_pk_mov_b32 v[54:55], v[34:35], v[34:35] op_sel:[0,1]
	;; [unrolled: 1-line block ×5, first 2 shown]
	s_waitcnt vmcnt(1)
	v_cmp_lt_i32_e32 vcc, 0, v8
	s_waitcnt vmcnt(0)
	ds_bpermute_b32 v4, v5, v2
	ds_bpermute_b32 v5, v5, v3
	s_waitcnt lgkmcnt(0)
	v_add_f64 v[2:3], v[2:3], v[4:5]
	buffer_load_dword v5, off, s[96:99], 0 offset:88 ; 4-byte Folded Reload
	s_waitcnt vmcnt(0)
	ds_bpermute_b32 v4, v5, v2
	ds_bpermute_b32 v5, v5, v3
	s_waitcnt lgkmcnt(0)
	v_add_f64 v[2:3], v[2:3], v[4:5]
	buffer_load_dword v5, off, s[96:99], 0 offset:92 ; 4-byte Folded Reload
	;; [unrolled: 6-line block ×4, first 2 shown]
	s_waitcnt vmcnt(0)
	ds_bpermute_b32 v4, v5, v2
	ds_bpermute_b32 v5, v5, v3
	s_and_saveexec_b64 s[36:37], vcc
	s_cbranch_execz .LBB377_194
; %bb.129:
	s_and_b64 exec, exec, s[34:35]
	s_cbranch_execz .LBB377_194
; %bb.130:
	v_pk_mov_b32 v[16:17], v[10:11], v[10:11] op_sel:[0,1]
	buffer_load_dword v10, off, s[96:99], 0 offset:280 ; 4-byte Folded Reload
	buffer_load_dword v11, off, s[96:99], 0 offset:284 ; 4-byte Folded Reload
	s_waitcnt lgkmcnt(0)
	v_add_f64 v[104:105], v[2:3], v[4:5]
	v_div_scale_f64 v[2:3], s[34:35], v[104:105], v[104:105], v[16:17]
	v_rcp_f64_e32 v[4:5], v[2:3]
	v_mov_b32_e32 v8, s41
	v_cmp_eq_f64_e64 s[34:35], 0, v[104:105]
	s_waitcnt vmcnt(1)
	v_add_co_u32_e32 v32, vcc, s40, v10
	s_waitcnt vmcnt(0)
	v_addc_co_u32_e32 v33, vcc, v8, v11, vcc
	v_fma_f64 v[8:9], -v[2:3], v[4:5], 1.0
	v_fmac_f64_e32 v[4:5], v[4:5], v[8:9]
	v_fma_f64 v[8:9], -v[2:3], v[4:5], 1.0
	v_fmac_f64_e32 v[4:5], v[4:5], v[8:9]
	v_div_scale_f64 v[8:9], vcc, v[16:17], v[104:105], v[16:17]
	v_mul_f64 v[10:11], v[8:9], v[4:5]
	v_fma_f64 v[2:3], -v[2:3], v[10:11], v[8:9]
	s_nop 1
	v_div_fmas_f64 v[2:3], v[2:3], v[4:5], v[10:11]
	v_div_fixup_f64 v[4:5], v[2:3], v[104:105], v[16:17]
	v_mov_b32_e32 v2, 0x7ff80000
	v_cndmask_b32_e64 v5, v5, v2, s[34:35]
	v_cndmask_b32_e64 v4, v4, 0, s[34:35]
	global_store_dwordx2 v[32:33], v[4:5], off
	s_and_b64 exec, exec, s[30:31]
	s_cbranch_execz .LBB377_194
; %bb.131:
	v_div_scale_f64 v[4:5], s[30:31], v[104:105], v[104:105], v[120:121]
	v_rcp_f64_e32 v[8:9], v[4:5]
	v_div_scale_f64 v[10:11], vcc, v[120:121], v[104:105], v[120:121]
	v_fma_f64 v[16:17], -v[4:5], v[8:9], 1.0
	v_fmac_f64_e32 v[8:9], v[8:9], v[16:17]
	v_fma_f64 v[16:17], -v[4:5], v[8:9], 1.0
	v_fmac_f64_e32 v[8:9], v[8:9], v[16:17]
	v_mul_f64 v[16:17], v[10:11], v[8:9]
	v_fma_f64 v[4:5], -v[4:5], v[16:17], v[10:11]
	v_div_fmas_f64 v[4:5], v[4:5], v[8:9], v[16:17]
	v_div_fixup_f64 v[4:5], v[4:5], v[104:105], v[120:121]
	v_cndmask_b32_e64 v3, v5, v2, s[34:35]
	v_cndmask_b32_e64 v2, v4, 0, s[34:35]
	global_store_dwordx2 v[32:33], v[2:3], off offset:256
	s_and_b64 exec, exec, s[28:29]
	s_cbranch_execz .LBB377_194
; %bb.132:
	v_div_scale_f64 v[2:3], s[28:29], v[104:105], v[104:105], v[114:115]
	v_rcp_f64_e32 v[4:5], v[2:3]
	v_div_scale_f64 v[8:9], vcc, v[114:115], v[104:105], v[114:115]
	v_fma_f64 v[10:11], -v[2:3], v[4:5], 1.0
	v_fmac_f64_e32 v[4:5], v[4:5], v[10:11]
	v_fma_f64 v[10:11], -v[2:3], v[4:5], 1.0
	v_fmac_f64_e32 v[4:5], v[4:5], v[10:11]
	v_mul_f64 v[10:11], v[8:9], v[4:5]
	v_fma_f64 v[2:3], -v[2:3], v[10:11], v[8:9]
	v_div_fmas_f64 v[2:3], v[2:3], v[4:5], v[10:11]
	v_div_fixup_f64 v[4:5], v[2:3], v[104:105], v[114:115]
	v_mov_b32_e32 v2, 0x7ff80000
	v_cndmask_b32_e64 v5, v5, v2, s[34:35]
	v_cndmask_b32_e64 v4, v4, 0, s[34:35]
	global_store_dwordx2 v[32:33], v[4:5], off offset:512
	s_and_b64 exec, exec, s[26:27]
	s_cbranch_execz .LBB377_194
; %bb.133:
	v_div_scale_f64 v[4:5], s[26:27], v[104:105], v[104:105], v[66:67]
	v_rcp_f64_e32 v[8:9], v[4:5]
	v_div_scale_f64 v[10:11], vcc, v[66:67], v[104:105], v[66:67]
	v_fma_f64 v[16:17], -v[4:5], v[8:9], 1.0
	v_fmac_f64_e32 v[8:9], v[8:9], v[16:17]
	v_fma_f64 v[16:17], -v[4:5], v[8:9], 1.0
	v_fmac_f64_e32 v[8:9], v[8:9], v[16:17]
	v_mul_f64 v[16:17], v[10:11], v[8:9]
	v_fma_f64 v[4:5], -v[4:5], v[16:17], v[10:11]
	v_div_fmas_f64 v[4:5], v[4:5], v[8:9], v[16:17]
	v_div_fixup_f64 v[4:5], v[4:5], v[104:105], v[66:67]
	v_cndmask_b32_e64 v3, v5, v2, s[34:35]
	v_cndmask_b32_e64 v2, v4, 0, s[34:35]
	global_store_dwordx2 v[32:33], v[2:3], off offset:768
	s_and_b64 exec, exec, s[24:25]
	s_cbranch_execz .LBB377_194
; %bb.134:
	v_div_scale_f64 v[2:3], s[24:25], v[104:105], v[104:105], v[30:31]
	v_rcp_f64_e32 v[4:5], v[2:3]
	v_div_scale_f64 v[8:9], vcc, v[30:31], v[104:105], v[30:31]
	v_fma_f64 v[10:11], -v[2:3], v[4:5], 1.0
	v_fmac_f64_e32 v[4:5], v[4:5], v[10:11]
	v_fma_f64 v[10:11], -v[2:3], v[4:5], 1.0
	v_fmac_f64_e32 v[4:5], v[4:5], v[10:11]
	v_mul_f64 v[10:11], v[8:9], v[4:5]
	v_fma_f64 v[2:3], -v[2:3], v[10:11], v[8:9]
	v_div_fmas_f64 v[2:3], v[2:3], v[4:5], v[10:11]
	v_div_fixup_f64 v[4:5], v[2:3], v[104:105], v[30:31]
	v_mov_b32_e32 v2, 0x7ff80000
	v_cndmask_b32_e64 v5, v5, v2, s[34:35]
	v_cndmask_b32_e64 v4, v4, 0, s[34:35]
	global_store_dwordx2 v[32:33], v[4:5], off offset:1024
	;; [unrolled: 35-line block ×7, first 2 shown]
	s_and_b64 exec, exec, s[2:3]
	s_cbranch_execz .LBB377_194
; %bb.145:
	v_div_scale_f64 v[4:5], s[2:3], v[104:105], v[104:105], v[94:95]
	v_rcp_f64_e32 v[8:9], v[4:5]
	v_div_scale_f64 v[10:11], vcc, v[94:95], v[104:105], v[94:95]
	v_fma_f64 v[16:17], -v[4:5], v[8:9], 1.0
	v_fmac_f64_e32 v[8:9], v[8:9], v[16:17]
	v_fma_f64 v[16:17], -v[4:5], v[8:9], 1.0
	v_fmac_f64_e32 v[8:9], v[8:9], v[16:17]
	v_mul_f64 v[16:17], v[10:11], v[8:9]
	v_fma_f64 v[4:5], -v[4:5], v[16:17], v[10:11]
	v_div_fmas_f64 v[4:5], v[4:5], v[8:9], v[16:17]
	v_div_fixup_f64 v[4:5], v[4:5], v[104:105], v[94:95]
	v_cndmask_b32_e64 v3, v5, v2, s[34:35]
	v_cndmask_b32_e64 v2, v4, 0, s[34:35]
	global_store_dwordx2 v[32:33], v[2:3], off offset:3840
	s_and_b64 exec, exec, s[0:1]
	s_cbranch_execz .LBB377_194
; %bb.146:
	v_div_scale_f64 v[2:3], s[0:1], v[104:105], v[104:105], v[58:59]
	v_rcp_f64_e32 v[4:5], v[2:3]
	v_div_scale_f64 v[8:9], vcc, v[58:59], v[104:105], v[58:59]
	v_fma_f64 v[10:11], -v[2:3], v[4:5], 1.0
	v_fmac_f64_e32 v[4:5], v[4:5], v[10:11]
	v_fma_f64 v[10:11], -v[2:3], v[4:5], 1.0
	v_fmac_f64_e32 v[4:5], v[4:5], v[10:11]
	v_mul_f64 v[10:11], v[8:9], v[4:5]
	v_fma_f64 v[2:3], -v[2:3], v[10:11], v[8:9]
	v_div_fmas_f64 v[2:3], v[2:3], v[4:5], v[10:11]
	v_div_fixup_f64 v[4:5], v[2:3], v[104:105], v[58:59]
	v_mov_b32_e32 v2, 0x7ff80000
	v_add_co_u32_e32 v8, vcc, 0x1000, v32
	v_cndmask_b32_e64 v5, v5, v2, s[34:35]
	v_cndmask_b32_e64 v4, v4, 0, s[34:35]
	v_addc_co_u32_e32 v9, vcc, 0, v33, vcc
	global_store_dwordx2 v[8:9], v[4:5], off
	s_and_b64 exec, exec, s[94:95]
	s_cbranch_execz .LBB377_194
; %bb.147:
	v_div_scale_f64 v[4:5], s[0:1], v[104:105], v[104:105], v[50:51]
	v_rcp_f64_e32 v[8:9], v[4:5]
	v_div_scale_f64 v[10:11], vcc, v[50:51], v[104:105], v[50:51]
	v_fma_f64 v[16:17], -v[4:5], v[8:9], 1.0
	v_fmac_f64_e32 v[8:9], v[8:9], v[16:17]
	v_fma_f64 v[16:17], -v[4:5], v[8:9], 1.0
	v_fmac_f64_e32 v[8:9], v[8:9], v[16:17]
	v_mul_f64 v[16:17], v[10:11], v[8:9]
	v_fma_f64 v[4:5], -v[4:5], v[16:17], v[10:11]
	v_div_fmas_f64 v[4:5], v[4:5], v[8:9], v[16:17]
	v_div_fixup_f64 v[4:5], v[4:5], v[104:105], v[50:51]
	v_cndmask_b32_e64 v3, v5, v2, s[34:35]
	v_cndmask_b32_e64 v2, v4, 0, s[34:35]
	v_add_co_u32_e32 v4, vcc, 0x1000, v32
	v_addc_co_u32_e32 v5, vcc, 0, v33, vcc
	global_store_dwordx2 v[4:5], v[2:3], off offset:256
	s_and_b64 exec, exec, s[92:93]
	s_cbranch_execz .LBB377_194
; %bb.148:
	v_div_scale_f64 v[2:3], s[0:1], v[104:105], v[104:105], v[0:1]
	v_rcp_f64_e32 v[4:5], v[2:3]
	v_div_scale_f64 v[8:9], vcc, v[0:1], v[104:105], v[0:1]
	v_fma_f64 v[10:11], -v[2:3], v[4:5], 1.0
	v_fmac_f64_e32 v[4:5], v[4:5], v[10:11]
	v_fma_f64 v[10:11], -v[2:3], v[4:5], 1.0
	v_fmac_f64_e32 v[4:5], v[4:5], v[10:11]
	v_mul_f64 v[10:11], v[8:9], v[4:5]
	v_fma_f64 v[2:3], -v[2:3], v[10:11], v[8:9]
	v_div_fmas_f64 v[2:3], v[2:3], v[4:5], v[10:11]
	v_div_fixup_f64 v[4:5], v[2:3], v[104:105], v[0:1]
	v_mov_b32_e32 v2, 0x7ff80000
	v_add_co_u32_e32 v8, vcc, 0x1000, v32
	v_cndmask_b32_e64 v5, v5, v2, s[34:35]
	v_cndmask_b32_e64 v4, v4, 0, s[34:35]
	v_addc_co_u32_e32 v9, vcc, 0, v33, vcc
	global_store_dwordx2 v[8:9], v[4:5], off offset:512
	s_and_b64 exec, exec, s[90:91]
	s_cbranch_execz .LBB377_194
; %bb.149:
	v_div_scale_f64 v[4:5], s[0:1], v[104:105], v[104:105], v[74:75]
	v_rcp_f64_e32 v[8:9], v[4:5]
	v_div_scale_f64 v[10:11], vcc, v[74:75], v[104:105], v[74:75]
	v_fma_f64 v[16:17], -v[4:5], v[8:9], 1.0
	v_fmac_f64_e32 v[8:9], v[8:9], v[16:17]
	v_fma_f64 v[16:17], -v[4:5], v[8:9], 1.0
	v_fmac_f64_e32 v[8:9], v[8:9], v[16:17]
	v_mul_f64 v[16:17], v[10:11], v[8:9]
	v_fma_f64 v[4:5], -v[4:5], v[16:17], v[10:11]
	v_div_fmas_f64 v[4:5], v[4:5], v[8:9], v[16:17]
	v_div_fixup_f64 v[4:5], v[4:5], v[104:105], v[74:75]
	v_cndmask_b32_e64 v3, v5, v2, s[34:35]
	v_cndmask_b32_e64 v2, v4, 0, s[34:35]
	v_add_co_u32_e32 v4, vcc, 0x1000, v32
	v_addc_co_u32_e32 v5, vcc, 0, v33, vcc
	global_store_dwordx2 v[4:5], v[2:3], off offset:768
	s_and_b64 exec, exec, s[88:89]
	s_cbranch_execz .LBB377_194
; %bb.150:
	buffer_load_dword v12, off, s[96:99], 0 offset:40 ; 4-byte Folded Reload
	buffer_load_dword v13, off, s[96:99], 0 offset:44 ; 4-byte Folded Reload
	s_waitcnt vmcnt(0)
	v_div_scale_f64 v[2:3], s[0:1], v[104:105], v[104:105], v[12:13]
	v_rcp_f64_e32 v[4:5], v[2:3]
	v_div_scale_f64 v[8:9], vcc, v[12:13], v[104:105], v[12:13]
	v_fma_f64 v[10:11], -v[2:3], v[4:5], 1.0
	v_fmac_f64_e32 v[4:5], v[4:5], v[10:11]
	v_fma_f64 v[10:11], -v[2:3], v[4:5], 1.0
	v_fmac_f64_e32 v[4:5], v[4:5], v[10:11]
	v_mul_f64 v[10:11], v[8:9], v[4:5]
	v_fma_f64 v[2:3], -v[2:3], v[10:11], v[8:9]
	v_div_fmas_f64 v[2:3], v[2:3], v[4:5], v[10:11]
	v_div_fixup_f64 v[4:5], v[2:3], v[104:105], v[12:13]
	v_mov_b32_e32 v2, 0x7ff80000
	v_add_co_u32_e32 v8, vcc, 0x1000, v32
	v_cndmask_b32_e64 v5, v5, v2, s[34:35]
	v_cndmask_b32_e64 v4, v4, 0, s[34:35]
	v_addc_co_u32_e32 v9, vcc, 0, v33, vcc
	global_store_dwordx2 v[8:9], v[4:5], off offset:1024
	s_and_b64 exec, exec, s[86:87]
	s_cbranch_execz .LBB377_194
; %bb.151:
	buffer_load_dword v12, off, s[96:99], 0 offset:48 ; 4-byte Folded Reload
	buffer_load_dword v13, off, s[96:99], 0 offset:52 ; 4-byte Folded Reload
	s_waitcnt vmcnt(0)
	v_div_scale_f64 v[4:5], s[0:1], v[104:105], v[104:105], v[12:13]
	v_rcp_f64_e32 v[8:9], v[4:5]
	v_div_scale_f64 v[10:11], vcc, v[12:13], v[104:105], v[12:13]
	v_fma_f64 v[16:17], -v[4:5], v[8:9], 1.0
	v_fmac_f64_e32 v[8:9], v[8:9], v[16:17]
	v_fma_f64 v[16:17], -v[4:5], v[8:9], 1.0
	v_fmac_f64_e32 v[8:9], v[8:9], v[16:17]
	v_mul_f64 v[16:17], v[10:11], v[8:9]
	v_fma_f64 v[4:5], -v[4:5], v[16:17], v[10:11]
	v_div_fmas_f64 v[4:5], v[4:5], v[8:9], v[16:17]
	v_div_fixup_f64 v[4:5], v[4:5], v[104:105], v[12:13]
	v_cndmask_b32_e64 v3, v5, v2, s[34:35]
	v_cndmask_b32_e64 v2, v4, 0, s[34:35]
	v_add_co_u32_e32 v4, vcc, 0x1000, v32
	v_addc_co_u32_e32 v5, vcc, 0, v33, vcc
	global_store_dwordx2 v[4:5], v[2:3], off offset:1280
	s_and_b64 exec, exec, s[84:85]
	s_cbranch_execz .LBB377_194
; %bb.152:
	buffer_load_dword v0, off, s[96:99], 0 offset:56 ; 4-byte Folded Reload
	buffer_load_dword v1, off, s[96:99], 0 offset:60 ; 4-byte Folded Reload
	s_waitcnt vmcnt(0)
	v_div_scale_f64 v[2:3], s[0:1], v[104:105], v[104:105], v[0:1]
	v_rcp_f64_e32 v[4:5], v[2:3]
	v_div_scale_f64 v[8:9], vcc, v[0:1], v[104:105], v[0:1]
	v_fma_f64 v[10:11], -v[2:3], v[4:5], 1.0
	v_fmac_f64_e32 v[4:5], v[4:5], v[10:11]
	v_fma_f64 v[10:11], -v[2:3], v[4:5], 1.0
	v_fmac_f64_e32 v[4:5], v[4:5], v[10:11]
	v_mul_f64 v[10:11], v[8:9], v[4:5]
	v_fma_f64 v[2:3], -v[2:3], v[10:11], v[8:9]
	v_div_fmas_f64 v[2:3], v[2:3], v[4:5], v[10:11]
	v_div_fixup_f64 v[4:5], v[2:3], v[104:105], v[0:1]
	v_mov_b32_e32 v2, 0x7ff80000
	v_add_co_u32_e32 v8, vcc, 0x1000, v32
	v_cndmask_b32_e64 v5, v5, v2, s[34:35]
	v_cndmask_b32_e64 v4, v4, 0, s[34:35]
	v_addc_co_u32_e32 v9, vcc, 0, v33, vcc
	global_store_dwordx2 v[8:9], v[4:5], off offset:1536
	s_and_b64 exec, exec, s[82:83]
	s_cbranch_execz .LBB377_194
; %bb.153:
	buffer_load_dword v0, off, s[96:99], 0 offset:32 ; 4-byte Folded Reload
	buffer_load_dword v1, off, s[96:99], 0 offset:36 ; 4-byte Folded Reload
	s_waitcnt vmcnt(0)
	v_div_scale_f64 v[4:5], s[0:1], v[104:105], v[104:105], v[0:1]
	v_rcp_f64_e32 v[8:9], v[4:5]
	v_div_scale_f64 v[10:11], vcc, v[0:1], v[104:105], v[0:1]
	v_fma_f64 v[16:17], -v[4:5], v[8:9], 1.0
	v_fmac_f64_e32 v[8:9], v[8:9], v[16:17]
	v_fma_f64 v[16:17], -v[4:5], v[8:9], 1.0
	v_fmac_f64_e32 v[8:9], v[8:9], v[16:17]
	v_mul_f64 v[16:17], v[10:11], v[8:9]
	v_fma_f64 v[4:5], -v[4:5], v[16:17], v[10:11]
	v_div_fmas_f64 v[4:5], v[4:5], v[8:9], v[16:17]
	v_div_fixup_f64 v[4:5], v[4:5], v[104:105], v[0:1]
	v_cndmask_b32_e64 v3, v5, v2, s[34:35]
	v_cndmask_b32_e64 v2, v4, 0, s[34:35]
	v_add_co_u32_e32 v4, vcc, 0x1000, v32
	v_addc_co_u32_e32 v5, vcc, 0, v33, vcc
	global_store_dwordx2 v[4:5], v[2:3], off offset:1792
	s_and_b64 exec, exec, s[80:81]
	s_cbranch_execz .LBB377_194
; %bb.154:
	buffer_load_dword v0, off, s[96:99], 0 offset:24 ; 4-byte Folded Reload
	buffer_load_dword v1, off, s[96:99], 0 offset:28 ; 4-byte Folded Reload
	s_waitcnt vmcnt(0)
	v_div_scale_f64 v[2:3], s[0:1], v[104:105], v[104:105], v[0:1]
	v_rcp_f64_e32 v[4:5], v[2:3]
	v_div_scale_f64 v[8:9], vcc, v[0:1], v[104:105], v[0:1]
	v_fma_f64 v[10:11], -v[2:3], v[4:5], 1.0
	v_fmac_f64_e32 v[4:5], v[4:5], v[10:11]
	v_fma_f64 v[10:11], -v[2:3], v[4:5], 1.0
	v_fmac_f64_e32 v[4:5], v[4:5], v[10:11]
	v_mul_f64 v[10:11], v[8:9], v[4:5]
	v_fma_f64 v[2:3], -v[2:3], v[10:11], v[8:9]
	v_div_fmas_f64 v[2:3], v[2:3], v[4:5], v[10:11]
	v_div_fixup_f64 v[4:5], v[2:3], v[104:105], v[0:1]
	v_mov_b32_e32 v2, 0x7ff80000
	v_add_co_u32_e32 v8, vcc, 0x1000, v32
	v_cndmask_b32_e64 v5, v5, v2, s[34:35]
	v_cndmask_b32_e64 v4, v4, 0, s[34:35]
	v_addc_co_u32_e32 v9, vcc, 0, v33, vcc
	global_store_dwordx2 v[8:9], v[4:5], off offset:2048
	s_and_b64 exec, exec, s[78:79]
	s_cbranch_execz .LBB377_194
; %bb.155:
	v_div_scale_f64 v[4:5], s[0:1], v[104:105], v[104:105], v[64:65]
	v_rcp_f64_e32 v[8:9], v[4:5]
	v_div_scale_f64 v[10:11], vcc, v[64:65], v[104:105], v[64:65]
	v_fma_f64 v[16:17], -v[4:5], v[8:9], 1.0
	v_fmac_f64_e32 v[8:9], v[8:9], v[16:17]
	v_fma_f64 v[16:17], -v[4:5], v[8:9], 1.0
	v_fmac_f64_e32 v[8:9], v[8:9], v[16:17]
	v_mul_f64 v[16:17], v[10:11], v[8:9]
	v_fma_f64 v[4:5], -v[4:5], v[16:17], v[10:11]
	v_div_fmas_f64 v[4:5], v[4:5], v[8:9], v[16:17]
	v_div_fixup_f64 v[4:5], v[4:5], v[104:105], v[64:65]
	v_cndmask_b32_e64 v3, v5, v2, s[34:35]
	v_cndmask_b32_e64 v2, v4, 0, s[34:35]
	v_add_co_u32_e32 v4, vcc, 0x1000, v32
	v_addc_co_u32_e32 v5, vcc, 0, v33, vcc
	global_store_dwordx2 v[4:5], v[2:3], off offset:2304
	s_and_b64 exec, exec, s[76:77]
	s_cbranch_execz .LBB377_194
; %bb.156:
	buffer_load_dword v0, off, s[96:99], 0 offset:192 ; 4-byte Folded Reload
	buffer_load_dword v1, off, s[96:99], 0 offset:196 ; 4-byte Folded Reload
	s_waitcnt vmcnt(0)
	v_div_scale_f64 v[2:3], s[0:1], v[104:105], v[104:105], v[0:1]
	v_rcp_f64_e32 v[4:5], v[2:3]
	v_div_scale_f64 v[8:9], vcc, v[0:1], v[104:105], v[0:1]
	v_fma_f64 v[10:11], -v[2:3], v[4:5], 1.0
	v_fmac_f64_e32 v[4:5], v[4:5], v[10:11]
	v_fma_f64 v[10:11], -v[2:3], v[4:5], 1.0
	v_fmac_f64_e32 v[4:5], v[4:5], v[10:11]
	v_mul_f64 v[10:11], v[8:9], v[4:5]
	v_fma_f64 v[2:3], -v[2:3], v[10:11], v[8:9]
	v_div_fmas_f64 v[2:3], v[2:3], v[4:5], v[10:11]
	v_div_fixup_f64 v[4:5], v[2:3], v[104:105], v[0:1]
	v_mov_b32_e32 v2, 0x7ff80000
	v_add_co_u32_e32 v8, vcc, 0x1000, v32
	v_cndmask_b32_e64 v5, v5, v2, s[34:35]
	v_cndmask_b32_e64 v4, v4, 0, s[34:35]
	v_addc_co_u32_e32 v9, vcc, 0, v33, vcc
	global_store_dwordx2 v[8:9], v[4:5], off offset:2560
	s_and_b64 exec, exec, s[74:75]
	s_cbranch_execz .LBB377_194
; %bb.157:
	v_div_scale_f64 v[4:5], s[0:1], v[104:105], v[104:105], v[28:29]
	v_rcp_f64_e32 v[8:9], v[4:5]
	v_div_scale_f64 v[10:11], vcc, v[28:29], v[104:105], v[28:29]
	v_fma_f64 v[16:17], -v[4:5], v[8:9], 1.0
	v_fmac_f64_e32 v[8:9], v[8:9], v[16:17]
	v_fma_f64 v[16:17], -v[4:5], v[8:9], 1.0
	v_fmac_f64_e32 v[8:9], v[8:9], v[16:17]
	v_mul_f64 v[16:17], v[10:11], v[8:9]
	v_fma_f64 v[4:5], -v[4:5], v[16:17], v[10:11]
	v_div_fmas_f64 v[4:5], v[4:5], v[8:9], v[16:17]
	v_div_fixup_f64 v[4:5], v[4:5], v[104:105], v[28:29]
	v_cndmask_b32_e64 v3, v5, v2, s[34:35]
	v_cndmask_b32_e64 v2, v4, 0, s[34:35]
	v_add_co_u32_e32 v4, vcc, 0x1000, v32
	v_addc_co_u32_e32 v5, vcc, 0, v33, vcc
	global_store_dwordx2 v[4:5], v[2:3], off offset:2816
	s_and_b64 exec, exec, s[72:73]
	s_cbranch_execz .LBB377_194
; %bb.158:
	v_div_scale_f64 v[2:3], s[0:1], v[104:105], v[104:105], v[26:27]
	v_rcp_f64_e32 v[4:5], v[2:3]
	v_div_scale_f64 v[8:9], vcc, v[26:27], v[104:105], v[26:27]
	v_fma_f64 v[10:11], -v[2:3], v[4:5], 1.0
	v_fmac_f64_e32 v[4:5], v[4:5], v[10:11]
	v_fma_f64 v[10:11], -v[2:3], v[4:5], 1.0
	v_fmac_f64_e32 v[4:5], v[4:5], v[10:11]
	v_mul_f64 v[10:11], v[8:9], v[4:5]
	v_fma_f64 v[2:3], -v[2:3], v[10:11], v[8:9]
	v_div_fmas_f64 v[2:3], v[2:3], v[4:5], v[10:11]
	v_div_fixup_f64 v[4:5], v[2:3], v[104:105], v[26:27]
	v_mov_b32_e32 v2, 0x7ff80000
	v_add_co_u32_e32 v8, vcc, 0x1000, v32
	v_cndmask_b32_e64 v5, v5, v2, s[34:35]
	v_cndmask_b32_e64 v4, v4, 0, s[34:35]
	v_addc_co_u32_e32 v9, vcc, 0, v33, vcc
	global_store_dwordx2 v[8:9], v[4:5], off offset:3072
	s_and_b64 exec, exec, s[70:71]
	s_cbranch_execz .LBB377_194
; %bb.159:
	v_div_scale_f64 v[4:5], s[0:1], v[104:105], v[104:105], v[54:55]
	v_rcp_f64_e32 v[8:9], v[4:5]
	v_div_scale_f64 v[10:11], vcc, v[54:55], v[104:105], v[54:55]
	v_fma_f64 v[16:17], -v[4:5], v[8:9], 1.0
	v_fmac_f64_e32 v[8:9], v[8:9], v[16:17]
	v_fma_f64 v[16:17], -v[4:5], v[8:9], 1.0
	v_fmac_f64_e32 v[8:9], v[8:9], v[16:17]
	v_mul_f64 v[16:17], v[10:11], v[8:9]
	v_fma_f64 v[4:5], -v[4:5], v[16:17], v[10:11]
	v_div_fmas_f64 v[4:5], v[4:5], v[8:9], v[16:17]
	v_div_fixup_f64 v[4:5], v[4:5], v[104:105], v[54:55]
	v_cndmask_b32_e64 v3, v5, v2, s[34:35]
	v_cndmask_b32_e64 v2, v4, 0, s[34:35]
	v_add_co_u32_e32 v4, vcc, 0x1000, v32
	v_addc_co_u32_e32 v5, vcc, 0, v33, vcc
	global_store_dwordx2 v[4:5], v[2:3], off offset:3328
	s_and_b64 exec, exec, s[68:69]
	s_cbranch_execz .LBB377_194
; %bb.160:
	v_div_scale_f64 v[2:3], s[0:1], v[104:105], v[104:105], v[34:35]
	v_rcp_f64_e32 v[4:5], v[2:3]
	v_div_scale_f64 v[8:9], vcc, v[34:35], v[104:105], v[34:35]
	v_readlane_b32 s0, v126, 0
	v_fma_f64 v[10:11], -v[2:3], v[4:5], 1.0
	v_fmac_f64_e32 v[4:5], v[4:5], v[10:11]
	v_fma_f64 v[10:11], -v[2:3], v[4:5], 1.0
	v_fmac_f64_e32 v[4:5], v[4:5], v[10:11]
	v_mul_f64 v[10:11], v[8:9], v[4:5]
	v_fma_f64 v[2:3], -v[2:3], v[10:11], v[8:9]
	v_div_fmas_f64 v[2:3], v[2:3], v[4:5], v[10:11]
	v_div_fixup_f64 v[4:5], v[2:3], v[104:105], v[34:35]
	v_mov_b32_e32 v2, 0x7ff80000
	v_add_co_u32_e32 v8, vcc, 0x1000, v32
	v_cndmask_b32_e64 v5, v5, v2, s[34:35]
	v_cndmask_b32_e64 v4, v4, 0, s[34:35]
	v_addc_co_u32_e32 v9, vcc, 0, v33, vcc
	v_readlane_b32 s1, v126, 1
	global_store_dwordx2 v[8:9], v[4:5], off offset:3584
	s_and_b64 exec, exec, s[0:1]
	s_cbranch_execz .LBB377_194
; %bb.161:
	v_div_scale_f64 v[4:5], s[0:1], v[104:105], v[104:105], v[40:41]
	v_rcp_f64_e32 v[8:9], v[4:5]
	v_div_scale_f64 v[10:11], vcc, v[40:41], v[104:105], v[40:41]
	v_readlane_b32 s0, v126, 2
	v_fma_f64 v[16:17], -v[4:5], v[8:9], 1.0
	v_fmac_f64_e32 v[8:9], v[8:9], v[16:17]
	v_fma_f64 v[16:17], -v[4:5], v[8:9], 1.0
	v_fmac_f64_e32 v[8:9], v[8:9], v[16:17]
	v_mul_f64 v[16:17], v[10:11], v[8:9]
	v_fma_f64 v[4:5], -v[4:5], v[16:17], v[10:11]
	v_div_fmas_f64 v[4:5], v[4:5], v[8:9], v[16:17]
	v_div_fixup_f64 v[4:5], v[4:5], v[104:105], v[40:41]
	v_cndmask_b32_e64 v3, v5, v2, s[34:35]
	v_cndmask_b32_e64 v2, v4, 0, s[34:35]
	v_add_co_u32_e32 v4, vcc, 0x1000, v32
	v_addc_co_u32_e32 v5, vcc, 0, v33, vcc
	v_readlane_b32 s1, v126, 3
	global_store_dwordx2 v[4:5], v[2:3], off offset:3840
	s_and_b64 exec, exec, s[0:1]
	s_cbranch_execz .LBB377_194
; %bb.162:
	v_div_scale_f64 v[2:3], s[0:1], v[104:105], v[104:105], v[86:87]
	v_rcp_f64_e32 v[4:5], v[2:3]
	v_div_scale_f64 v[8:9], vcc, v[86:87], v[104:105], v[86:87]
	v_readlane_b32 s0, v126, 4
	v_fma_f64 v[10:11], -v[2:3], v[4:5], 1.0
	v_fmac_f64_e32 v[4:5], v[4:5], v[10:11]
	v_fma_f64 v[10:11], -v[2:3], v[4:5], 1.0
	v_fmac_f64_e32 v[4:5], v[4:5], v[10:11]
	v_mul_f64 v[10:11], v[8:9], v[4:5]
	v_fma_f64 v[2:3], -v[2:3], v[10:11], v[8:9]
	v_div_fmas_f64 v[2:3], v[2:3], v[4:5], v[10:11]
	v_div_fixup_f64 v[4:5], v[2:3], v[104:105], v[86:87]
	v_mov_b32_e32 v2, 0x7ff80000
	v_add_co_u32_e32 v8, vcc, 0x2000, v32
	v_cndmask_b32_e64 v5, v5, v2, s[34:35]
	v_cndmask_b32_e64 v4, v4, 0, s[34:35]
	v_addc_co_u32_e32 v9, vcc, 0, v33, vcc
	v_readlane_b32 s1, v126, 5
	global_store_dwordx2 v[8:9], v[4:5], off
	s_and_b64 exec, exec, s[0:1]
	s_cbranch_execz .LBB377_194
; %bb.163:
	v_div_scale_f64 v[4:5], s[0:1], v[104:105], v[104:105], v[116:117]
	v_rcp_f64_e32 v[8:9], v[4:5]
	v_div_scale_f64 v[10:11], vcc, v[116:117], v[104:105], v[116:117]
	v_readlane_b32 s0, v126, 6
	v_fma_f64 v[16:17], -v[4:5], v[8:9], 1.0
	v_fmac_f64_e32 v[8:9], v[8:9], v[16:17]
	v_fma_f64 v[16:17], -v[4:5], v[8:9], 1.0
	v_fmac_f64_e32 v[8:9], v[8:9], v[16:17]
	v_mul_f64 v[16:17], v[10:11], v[8:9]
	v_fma_f64 v[4:5], -v[4:5], v[16:17], v[10:11]
	v_div_fmas_f64 v[4:5], v[4:5], v[8:9], v[16:17]
	v_div_fixup_f64 v[4:5], v[4:5], v[104:105], v[116:117]
	v_cndmask_b32_e64 v3, v5, v2, s[34:35]
	v_cndmask_b32_e64 v2, v4, 0, s[34:35]
	v_add_co_u32_e32 v4, vcc, 0x2000, v32
	v_addc_co_u32_e32 v5, vcc, 0, v33, vcc
	v_readlane_b32 s1, v126, 7
	global_store_dwordx2 v[4:5], v[2:3], off offset:256
	s_and_b64 exec, exec, s[0:1]
	s_cbranch_execz .LBB377_194
; %bb.164:
	v_div_scale_f64 v[2:3], s[0:1], v[104:105], v[104:105], v[6:7]
	v_rcp_f64_e32 v[4:5], v[2:3]
	v_div_scale_f64 v[8:9], vcc, v[6:7], v[104:105], v[6:7]
	v_readlane_b32 s0, v126, 8
	v_fma_f64 v[10:11], -v[2:3], v[4:5], 1.0
	v_fmac_f64_e32 v[4:5], v[4:5], v[10:11]
	v_fma_f64 v[10:11], -v[2:3], v[4:5], 1.0
	v_fmac_f64_e32 v[4:5], v[4:5], v[10:11]
	v_mul_f64 v[10:11], v[8:9], v[4:5]
	v_fma_f64 v[2:3], -v[2:3], v[10:11], v[8:9]
	v_div_fmas_f64 v[2:3], v[2:3], v[4:5], v[10:11]
	v_div_fixup_f64 v[4:5], v[2:3], v[104:105], v[6:7]
	v_mov_b32_e32 v2, 0x7ff80000
	v_add_co_u32_e32 v8, vcc, 0x2000, v32
	v_cndmask_b32_e64 v5, v5, v2, s[34:35]
	v_cndmask_b32_e64 v4, v4, 0, s[34:35]
	v_addc_co_u32_e32 v9, vcc, 0, v33, vcc
	v_readlane_b32 s1, v126, 9
	global_store_dwordx2 v[8:9], v[4:5], off offset:512
	s_and_b64 exec, exec, s[0:1]
	s_cbranch_execz .LBB377_194
; %bb.165:
	buffer_load_dword v12, off, s[96:99], 0 offset:168 ; 4-byte Folded Reload
	buffer_load_dword v13, off, s[96:99], 0 offset:172 ; 4-byte Folded Reload
	s_waitcnt vmcnt(0)
	v_div_scale_f64 v[4:5], s[0:1], v[104:105], v[104:105], v[12:13]
	v_rcp_f64_e32 v[8:9], v[4:5]
	v_div_scale_f64 v[10:11], vcc, v[12:13], v[104:105], v[12:13]
	v_readlane_b32 s0, v126, 10
	v_fma_f64 v[16:17], -v[4:5], v[8:9], 1.0
	v_fmac_f64_e32 v[8:9], v[8:9], v[16:17]
	v_fma_f64 v[16:17], -v[4:5], v[8:9], 1.0
	v_fmac_f64_e32 v[8:9], v[8:9], v[16:17]
	v_mul_f64 v[16:17], v[10:11], v[8:9]
	v_fma_f64 v[4:5], -v[4:5], v[16:17], v[10:11]
	v_div_fmas_f64 v[4:5], v[4:5], v[8:9], v[16:17]
	v_div_fixup_f64 v[4:5], v[4:5], v[104:105], v[12:13]
	v_cndmask_b32_e64 v3, v5, v2, s[34:35]
	v_cndmask_b32_e64 v2, v4, 0, s[34:35]
	v_add_co_u32_e32 v4, vcc, 0x2000, v32
	v_addc_co_u32_e32 v5, vcc, 0, v33, vcc
	v_readlane_b32 s1, v126, 11
	global_store_dwordx2 v[4:5], v[2:3], off offset:768
	s_and_b64 exec, exec, s[0:1]
	s_cbranch_execz .LBB377_194
; %bb.166:
	buffer_load_dword v12, off, s[96:99], 0 offset:152 ; 4-byte Folded Reload
	buffer_load_dword v13, off, s[96:99], 0 offset:156 ; 4-byte Folded Reload
	s_waitcnt vmcnt(0)
	v_div_scale_f64 v[2:3], s[0:1], v[104:105], v[104:105], v[12:13]
	v_rcp_f64_e32 v[4:5], v[2:3]
	v_div_scale_f64 v[8:9], vcc, v[12:13], v[104:105], v[12:13]
	v_readlane_b32 s0, v126, 12
	v_fma_f64 v[10:11], -v[2:3], v[4:5], 1.0
	v_fmac_f64_e32 v[4:5], v[4:5], v[10:11]
	v_fma_f64 v[10:11], -v[2:3], v[4:5], 1.0
	v_fmac_f64_e32 v[4:5], v[4:5], v[10:11]
	v_mul_f64 v[10:11], v[8:9], v[4:5]
	v_fma_f64 v[2:3], -v[2:3], v[10:11], v[8:9]
	v_div_fmas_f64 v[2:3], v[2:3], v[4:5], v[10:11]
	v_div_fixup_f64 v[4:5], v[2:3], v[104:105], v[12:13]
	v_mov_b32_e32 v2, 0x7ff80000
	v_add_co_u32_e32 v8, vcc, 0x2000, v32
	v_cndmask_b32_e64 v5, v5, v2, s[34:35]
	v_cndmask_b32_e64 v4, v4, 0, s[34:35]
	v_addc_co_u32_e32 v9, vcc, 0, v33, vcc
	v_readlane_b32 s1, v126, 13
	global_store_dwordx2 v[8:9], v[4:5], off offset:1024
	s_and_b64 exec, exec, s[0:1]
	s_cbranch_execz .LBB377_194
; %bb.167:
	buffer_load_dword v12, off, s[96:99], 0 offset:144 ; 4-byte Folded Reload
	buffer_load_dword v13, off, s[96:99], 0 offset:148 ; 4-byte Folded Reload
	s_waitcnt vmcnt(0)
	v_div_scale_f64 v[4:5], s[0:1], v[104:105], v[104:105], v[12:13]
	v_rcp_f64_e32 v[8:9], v[4:5]
	v_div_scale_f64 v[10:11], vcc, v[12:13], v[104:105], v[12:13]
	v_readlane_b32 s0, v126, 14
	v_fma_f64 v[16:17], -v[4:5], v[8:9], 1.0
	v_fmac_f64_e32 v[8:9], v[8:9], v[16:17]
	v_fma_f64 v[16:17], -v[4:5], v[8:9], 1.0
	v_fmac_f64_e32 v[8:9], v[8:9], v[16:17]
	v_mul_f64 v[16:17], v[10:11], v[8:9]
	v_fma_f64 v[4:5], -v[4:5], v[16:17], v[10:11]
	v_div_fmas_f64 v[4:5], v[4:5], v[8:9], v[16:17]
	v_div_fixup_f64 v[4:5], v[4:5], v[104:105], v[12:13]
	v_cndmask_b32_e64 v3, v5, v2, s[34:35]
	v_cndmask_b32_e64 v2, v4, 0, s[34:35]
	v_add_co_u32_e32 v4, vcc, 0x2000, v32
	v_addc_co_u32_e32 v5, vcc, 0, v33, vcc
	v_readlane_b32 s1, v126, 15
	global_store_dwordx2 v[4:5], v[2:3], off offset:1280
	s_and_b64 exec, exec, s[0:1]
	s_cbranch_execz .LBB377_194
; %bb.168:
	buffer_load_dword v12, off, s[96:99], 0 offset:120 ; 4-byte Folded Reload
	buffer_load_dword v13, off, s[96:99], 0 offset:124 ; 4-byte Folded Reload
	s_waitcnt vmcnt(0)
	;; [unrolled: 49-line block ×3, first 2 shown]
	v_div_scale_f64 v[2:3], s[0:1], v[104:105], v[104:105], v[12:13]
	v_rcp_f64_e32 v[4:5], v[2:3]
	v_div_scale_f64 v[8:9], vcc, v[12:13], v[104:105], v[12:13]
	v_readlane_b32 s0, v126, 20
	v_fma_f64 v[10:11], -v[2:3], v[4:5], 1.0
	v_fmac_f64_e32 v[4:5], v[4:5], v[10:11]
	v_fma_f64 v[10:11], -v[2:3], v[4:5], 1.0
	v_fmac_f64_e32 v[4:5], v[4:5], v[10:11]
	v_mul_f64 v[10:11], v[8:9], v[4:5]
	v_fma_f64 v[2:3], -v[2:3], v[10:11], v[8:9]
	v_div_fmas_f64 v[2:3], v[2:3], v[4:5], v[10:11]
	v_div_fixup_f64 v[4:5], v[2:3], v[104:105], v[12:13]
	v_mov_b32_e32 v2, 0x7ff80000
	v_add_co_u32_e32 v8, vcc, 0x2000, v32
	v_cndmask_b32_e64 v5, v5, v2, s[34:35]
	v_cndmask_b32_e64 v4, v4, 0, s[34:35]
	v_addc_co_u32_e32 v9, vcc, 0, v33, vcc
	v_readlane_b32 s1, v126, 21
	global_store_dwordx2 v[8:9], v[4:5], off offset:2048
	s_and_b64 exec, exec, s[0:1]
	s_cbranch_execz .LBB377_194
; %bb.171:
	buffer_load_dword v12, off, s[96:99], 0 ; 4-byte Folded Reload
	buffer_load_dword v13, off, s[96:99], 0 offset:4 ; 4-byte Folded Reload
	s_waitcnt vmcnt(0)
	v_div_scale_f64 v[4:5], s[0:1], v[104:105], v[104:105], v[12:13]
	v_rcp_f64_e32 v[8:9], v[4:5]
	v_div_scale_f64 v[10:11], vcc, v[12:13], v[104:105], v[12:13]
	v_readlane_b32 s0, v126, 22
	v_fma_f64 v[16:17], -v[4:5], v[8:9], 1.0
	v_fmac_f64_e32 v[8:9], v[8:9], v[16:17]
	v_fma_f64 v[16:17], -v[4:5], v[8:9], 1.0
	v_fmac_f64_e32 v[8:9], v[8:9], v[16:17]
	v_mul_f64 v[16:17], v[10:11], v[8:9]
	v_fma_f64 v[4:5], -v[4:5], v[16:17], v[10:11]
	v_div_fmas_f64 v[4:5], v[4:5], v[8:9], v[16:17]
	v_div_fixup_f64 v[4:5], v[4:5], v[104:105], v[12:13]
	v_cndmask_b32_e64 v3, v5, v2, s[34:35]
	v_cndmask_b32_e64 v2, v4, 0, s[34:35]
	v_add_co_u32_e32 v4, vcc, 0x2000, v32
	v_addc_co_u32_e32 v5, vcc, 0, v33, vcc
	v_readlane_b32 s1, v126, 23
	global_store_dwordx2 v[4:5], v[2:3], off offset:2304
	s_and_b64 exec, exec, s[0:1]
	s_cbranch_execz .LBB377_194
; %bb.172:
	v_div_scale_f64 v[2:3], s[0:1], v[104:105], v[104:105], v[110:111]
	v_rcp_f64_e32 v[4:5], v[2:3]
	v_div_scale_f64 v[8:9], vcc, v[110:111], v[104:105], v[110:111]
	v_readlane_b32 s0, v126, 24
	v_fma_f64 v[10:11], -v[2:3], v[4:5], 1.0
	v_fmac_f64_e32 v[4:5], v[4:5], v[10:11]
	v_fma_f64 v[10:11], -v[2:3], v[4:5], 1.0
	v_fmac_f64_e32 v[4:5], v[4:5], v[10:11]
	v_mul_f64 v[10:11], v[8:9], v[4:5]
	v_fma_f64 v[2:3], -v[2:3], v[10:11], v[8:9]
	v_div_fmas_f64 v[2:3], v[2:3], v[4:5], v[10:11]
	v_div_fixup_f64 v[4:5], v[2:3], v[104:105], v[110:111]
	v_mov_b32_e32 v2, 0x7ff80000
	v_add_co_u32_e32 v8, vcc, 0x2000, v32
	v_cndmask_b32_e64 v5, v5, v2, s[34:35]
	v_cndmask_b32_e64 v4, v4, 0, s[34:35]
	v_addc_co_u32_e32 v9, vcc, 0, v33, vcc
	v_readlane_b32 s1, v126, 25
	global_store_dwordx2 v[8:9], v[4:5], off offset:2560
	s_and_b64 exec, exec, s[0:1]
	s_cbranch_execz .LBB377_194
; %bb.173:
	v_div_scale_f64 v[4:5], s[0:1], v[104:105], v[104:105], v[56:57]
	v_rcp_f64_e32 v[8:9], v[4:5]
	v_div_scale_f64 v[10:11], vcc, v[56:57], v[104:105], v[56:57]
	v_readlane_b32 s0, v126, 26
	v_fma_f64 v[16:17], -v[4:5], v[8:9], 1.0
	v_fmac_f64_e32 v[8:9], v[8:9], v[16:17]
	v_fma_f64 v[16:17], -v[4:5], v[8:9], 1.0
	v_fmac_f64_e32 v[8:9], v[8:9], v[16:17]
	v_mul_f64 v[16:17], v[10:11], v[8:9]
	v_fma_f64 v[4:5], -v[4:5], v[16:17], v[10:11]
	v_div_fmas_f64 v[4:5], v[4:5], v[8:9], v[16:17]
	v_div_fixup_f64 v[4:5], v[4:5], v[104:105], v[56:57]
	v_cndmask_b32_e64 v3, v5, v2, s[34:35]
	v_cndmask_b32_e64 v2, v4, 0, s[34:35]
	v_add_co_u32_e32 v4, vcc, 0x2000, v32
	v_addc_co_u32_e32 v5, vcc, 0, v33, vcc
	v_readlane_b32 s1, v126, 27
	global_store_dwordx2 v[4:5], v[2:3], off offset:2816
	s_and_b64 exec, exec, s[0:1]
	s_cbranch_execz .LBB377_194
; %bb.174:
	v_div_scale_f64 v[2:3], s[0:1], v[104:105], v[104:105], v[70:71]
	v_rcp_f64_e32 v[4:5], v[2:3]
	v_div_scale_f64 v[8:9], vcc, v[70:71], v[104:105], v[70:71]
	v_readlane_b32 s0, v126, 28
	v_fma_f64 v[10:11], -v[2:3], v[4:5], 1.0
	v_fmac_f64_e32 v[4:5], v[4:5], v[10:11]
	v_fma_f64 v[10:11], -v[2:3], v[4:5], 1.0
	v_fmac_f64_e32 v[4:5], v[4:5], v[10:11]
	v_mul_f64 v[10:11], v[8:9], v[4:5]
	v_fma_f64 v[2:3], -v[2:3], v[10:11], v[8:9]
	v_div_fmas_f64 v[2:3], v[2:3], v[4:5], v[10:11]
	v_div_fixup_f64 v[4:5], v[2:3], v[104:105], v[70:71]
	v_mov_b32_e32 v2, 0x7ff80000
	v_add_co_u32_e32 v8, vcc, 0x2000, v32
	v_cndmask_b32_e64 v5, v5, v2, s[34:35]
	v_cndmask_b32_e64 v4, v4, 0, s[34:35]
	v_addc_co_u32_e32 v9, vcc, 0, v33, vcc
	v_readlane_b32 s1, v126, 29
	global_store_dwordx2 v[8:9], v[4:5], off offset:3072
	s_and_b64 exec, exec, s[0:1]
	s_cbranch_execz .LBB377_194
; %bb.175:
	;; [unrolled: 43-line block ×3, first 2 shown]
	v_div_scale_f64 v[4:5], s[0:1], v[104:105], v[104:105], v[78:79]
	v_rcp_f64_e32 v[8:9], v[4:5]
	v_div_scale_f64 v[10:11], vcc, v[78:79], v[104:105], v[78:79]
	v_readlane_b32 s0, v126, 34
	v_fma_f64 v[16:17], -v[4:5], v[8:9], 1.0
	v_fmac_f64_e32 v[8:9], v[8:9], v[16:17]
	v_fma_f64 v[16:17], -v[4:5], v[8:9], 1.0
	v_fmac_f64_e32 v[8:9], v[8:9], v[16:17]
	v_mul_f64 v[16:17], v[10:11], v[8:9]
	v_fma_f64 v[4:5], -v[4:5], v[16:17], v[10:11]
	v_div_fmas_f64 v[4:5], v[4:5], v[8:9], v[16:17]
	v_div_fixup_f64 v[4:5], v[4:5], v[104:105], v[78:79]
	v_cndmask_b32_e64 v3, v5, v2, s[34:35]
	v_cndmask_b32_e64 v2, v4, 0, s[34:35]
	v_add_co_u32_e32 v4, vcc, 0x2000, v32
	v_addc_co_u32_e32 v5, vcc, 0, v33, vcc
	v_readlane_b32 s1, v126, 35
	global_store_dwordx2 v[4:5], v[2:3], off offset:3840
	s_and_b64 exec, exec, s[0:1]
	s_cbranch_execz .LBB377_194
; %bb.178:
	v_div_scale_f64 v[2:3], s[0:1], v[104:105], v[104:105], v[80:81]
	v_rcp_f64_e32 v[4:5], v[2:3]
	v_div_scale_f64 v[8:9], vcc, v[80:81], v[104:105], v[80:81]
	v_readlane_b32 s0, v126, 36
	v_fma_f64 v[10:11], -v[2:3], v[4:5], 1.0
	v_fmac_f64_e32 v[4:5], v[4:5], v[10:11]
	v_fma_f64 v[10:11], -v[2:3], v[4:5], 1.0
	v_fmac_f64_e32 v[4:5], v[4:5], v[10:11]
	v_mul_f64 v[10:11], v[8:9], v[4:5]
	v_fma_f64 v[2:3], -v[2:3], v[10:11], v[8:9]
	v_div_fmas_f64 v[2:3], v[2:3], v[4:5], v[10:11]
	v_div_fixup_f64 v[4:5], v[2:3], v[104:105], v[80:81]
	v_mov_b32_e32 v2, 0x7ff80000
	v_add_co_u32_e32 v8, vcc, 0x3000, v32
	v_cndmask_b32_e64 v5, v5, v2, s[34:35]
	v_cndmask_b32_e64 v4, v4, 0, s[34:35]
	v_addc_co_u32_e32 v9, vcc, 0, v33, vcc
	v_readlane_b32 s1, v126, 37
	global_store_dwordx2 v[8:9], v[4:5], off
	s_and_b64 exec, exec, s[0:1]
	s_cbranch_execz .LBB377_194
; %bb.179:
	v_div_scale_f64 v[4:5], s[0:1], v[104:105], v[104:105], v[82:83]
	v_rcp_f64_e32 v[8:9], v[4:5]
	v_div_scale_f64 v[10:11], vcc, v[82:83], v[104:105], v[82:83]
	v_readlane_b32 s0, v126, 38
	v_fma_f64 v[16:17], -v[4:5], v[8:9], 1.0
	v_fmac_f64_e32 v[8:9], v[8:9], v[16:17]
	v_fma_f64 v[16:17], -v[4:5], v[8:9], 1.0
	v_fmac_f64_e32 v[8:9], v[8:9], v[16:17]
	v_mul_f64 v[16:17], v[10:11], v[8:9]
	v_fma_f64 v[4:5], -v[4:5], v[16:17], v[10:11]
	v_div_fmas_f64 v[4:5], v[4:5], v[8:9], v[16:17]
	v_div_fixup_f64 v[4:5], v[4:5], v[104:105], v[82:83]
	v_cndmask_b32_e64 v3, v5, v2, s[34:35]
	v_cndmask_b32_e64 v2, v4, 0, s[34:35]
	v_add_co_u32_e32 v4, vcc, 0x3000, v32
	v_addc_co_u32_e32 v5, vcc, 0, v33, vcc
	v_readlane_b32 s1, v126, 39
	global_store_dwordx2 v[4:5], v[2:3], off offset:256
	s_and_b64 exec, exec, s[0:1]
	s_cbranch_execz .LBB377_194
; %bb.180:
	v_div_scale_f64 v[2:3], s[0:1], v[104:105], v[104:105], v[84:85]
	v_rcp_f64_e32 v[4:5], v[2:3]
	v_div_scale_f64 v[8:9], vcc, v[84:85], v[104:105], v[84:85]
	v_readlane_b32 s0, v126, 40
	v_fma_f64 v[10:11], -v[2:3], v[4:5], 1.0
	v_fmac_f64_e32 v[4:5], v[4:5], v[10:11]
	v_fma_f64 v[10:11], -v[2:3], v[4:5], 1.0
	v_fmac_f64_e32 v[4:5], v[4:5], v[10:11]
	v_mul_f64 v[10:11], v[8:9], v[4:5]
	v_fma_f64 v[2:3], -v[2:3], v[10:11], v[8:9]
	v_div_fmas_f64 v[2:3], v[2:3], v[4:5], v[10:11]
	v_div_fixup_f64 v[4:5], v[2:3], v[104:105], v[84:85]
	v_mov_b32_e32 v2, 0x7ff80000
	v_add_co_u32_e32 v8, vcc, 0x3000, v32
	v_cndmask_b32_e64 v5, v5, v2, s[34:35]
	v_cndmask_b32_e64 v4, v4, 0, s[34:35]
	v_addc_co_u32_e32 v9, vcc, 0, v33, vcc
	v_readlane_b32 s1, v126, 41
	global_store_dwordx2 v[8:9], v[4:5], off offset:512
	s_and_b64 exec, exec, s[0:1]
	s_cbranch_execz .LBB377_194
; %bb.181:
	v_div_scale_f64 v[4:5], s[0:1], v[104:105], v[104:105], v[88:89]
	v_rcp_f64_e32 v[8:9], v[4:5]
	v_div_scale_f64 v[10:11], vcc, v[88:89], v[104:105], v[88:89]
	v_readlane_b32 s0, v126, 42
	v_fma_f64 v[16:17], -v[4:5], v[8:9], 1.0
	v_fmac_f64_e32 v[8:9], v[8:9], v[16:17]
	v_fma_f64 v[16:17], -v[4:5], v[8:9], 1.0
	v_fmac_f64_e32 v[8:9], v[8:9], v[16:17]
	v_mul_f64 v[16:17], v[10:11], v[8:9]
	v_fma_f64 v[4:5], -v[4:5], v[16:17], v[10:11]
	v_div_fmas_f64 v[4:5], v[4:5], v[8:9], v[16:17]
	v_div_fixup_f64 v[4:5], v[4:5], v[104:105], v[88:89]
	v_cndmask_b32_e64 v3, v5, v2, s[34:35]
	v_cndmask_b32_e64 v2, v4, 0, s[34:35]
	v_add_co_u32_e32 v4, vcc, 0x3000, v32
	v_addc_co_u32_e32 v5, vcc, 0, v33, vcc
	v_readlane_b32 s1, v126, 43
	global_store_dwordx2 v[4:5], v[2:3], off offset:768
	s_and_b64 exec, exec, s[0:1]
	s_cbranch_execz .LBB377_194
; %bb.182:
	v_div_scale_f64 v[2:3], s[0:1], v[104:105], v[104:105], v[92:93]
	v_rcp_f64_e32 v[4:5], v[2:3]
	v_div_scale_f64 v[8:9], vcc, v[92:93], v[104:105], v[92:93]
	v_readlane_b32 s0, v126, 44
	v_fma_f64 v[10:11], -v[2:3], v[4:5], 1.0
	v_fmac_f64_e32 v[4:5], v[4:5], v[10:11]
	v_fma_f64 v[10:11], -v[2:3], v[4:5], 1.0
	v_fmac_f64_e32 v[4:5], v[4:5], v[10:11]
	v_mul_f64 v[10:11], v[8:9], v[4:5]
	v_fma_f64 v[2:3], -v[2:3], v[10:11], v[8:9]
	v_div_fmas_f64 v[2:3], v[2:3], v[4:5], v[10:11]
	v_div_fixup_f64 v[4:5], v[2:3], v[104:105], v[92:93]
	v_mov_b32_e32 v2, 0x7ff80000
	v_add_co_u32_e32 v8, vcc, 0x3000, v32
	v_cndmask_b32_e64 v5, v5, v2, s[34:35]
	v_cndmask_b32_e64 v4, v4, 0, s[34:35]
	v_addc_co_u32_e32 v9, vcc, 0, v33, vcc
	v_readlane_b32 s1, v126, 45
	global_store_dwordx2 v[8:9], v[4:5], off offset:1024
	;; [unrolled: 43-line block ×3, first 2 shown]
	s_and_b64 exec, exec, s[0:1]
	s_cbranch_execz .LBB377_194
; %bb.185:
	v_div_scale_f64 v[4:5], s[0:1], v[104:105], v[104:105], v[46:47]
	v_rcp_f64_e32 v[8:9], v[4:5]
	v_div_scale_f64 v[10:11], vcc, v[46:47], v[104:105], v[46:47]
	v_readlane_b32 s0, v126, 50
	v_fma_f64 v[16:17], -v[4:5], v[8:9], 1.0
	v_fmac_f64_e32 v[8:9], v[8:9], v[16:17]
	v_fma_f64 v[16:17], -v[4:5], v[8:9], 1.0
	v_fmac_f64_e32 v[8:9], v[8:9], v[16:17]
	v_mul_f64 v[16:17], v[10:11], v[8:9]
	v_fma_f64 v[4:5], -v[4:5], v[16:17], v[10:11]
	v_div_fmas_f64 v[4:5], v[4:5], v[8:9], v[16:17]
	v_div_fixup_f64 v[4:5], v[4:5], v[104:105], v[46:47]
	v_cndmask_b32_e64 v3, v5, v2, s[34:35]
	v_cndmask_b32_e64 v2, v4, 0, s[34:35]
	v_add_co_u32_e32 v4, vcc, 0x3000, v32
	v_addc_co_u32_e32 v5, vcc, 0, v33, vcc
	v_readlane_b32 s1, v126, 51
	global_store_dwordx2 v[4:5], v[2:3], off offset:1792
	s_and_b64 exec, exec, s[0:1]
	s_cbranch_execz .LBB377_194
; %bb.186:
	v_div_scale_f64 v[2:3], s[0:1], v[104:105], v[104:105], v[100:101]
	v_rcp_f64_e32 v[4:5], v[2:3]
	v_div_scale_f64 v[8:9], vcc, v[100:101], v[104:105], v[100:101]
	v_mov_b32_e32 v0, 0x7ff80000
	v_fma_f64 v[10:11], -v[2:3], v[4:5], 1.0
	v_fmac_f64_e32 v[4:5], v[4:5], v[10:11]
	v_fma_f64 v[10:11], -v[2:3], v[4:5], 1.0
	v_fmac_f64_e32 v[4:5], v[4:5], v[10:11]
	v_mul_f64 v[10:11], v[8:9], v[4:5]
	v_fma_f64 v[2:3], -v[2:3], v[10:11], v[8:9]
	v_div_fmas_f64 v[2:3], v[2:3], v[4:5], v[10:11]
	v_div_fixup_f64 v[2:3], v[2:3], v[104:105], v[100:101]
	v_add_co_u32_e32 v4, vcc, 0x3000, v32
	v_readlane_b32 s0, v126, 52
	v_cndmask_b32_e64 v3, v3, v0, s[34:35]
	v_cndmask_b32_e64 v2, v2, 0, s[34:35]
	v_addc_co_u32_e32 v5, vcc, 0, v33, vcc
	v_readlane_b32 s1, v126, 53
	global_store_dwordx2 v[4:5], v[2:3], off offset:2048
	s_and_b64 exec, exec, s[0:1]
	s_cbranch_execz .LBB377_194
; %bb.187:
	v_div_scale_f64 v[2:3], s[0:1], v[104:105], v[104:105], v[98:99]
	v_rcp_f64_e32 v[4:5], v[2:3]
	v_div_scale_f64 v[8:9], vcc, v[98:99], v[104:105], v[98:99]
	v_readlane_b32 s0, v126, 54
	v_fma_f64 v[10:11], -v[2:3], v[4:5], 1.0
	v_fmac_f64_e32 v[4:5], v[4:5], v[10:11]
	v_fma_f64 v[10:11], -v[2:3], v[4:5], 1.0
	v_fmac_f64_e32 v[4:5], v[4:5], v[10:11]
	v_mul_f64 v[10:11], v[8:9], v[4:5]
	v_fma_f64 v[2:3], -v[2:3], v[10:11], v[8:9]
	v_div_fmas_f64 v[2:3], v[2:3], v[4:5], v[10:11]
	v_div_fixup_f64 v[2:3], v[2:3], v[104:105], v[98:99]
	v_cndmask_b32_e64 v1, v3, v0, s[34:35]
	v_cndmask_b32_e64 v0, v2, 0, s[34:35]
	v_add_co_u32_e32 v2, vcc, 0x3000, v32
	v_addc_co_u32_e32 v3, vcc, 0, v33, vcc
	v_readlane_b32 s1, v126, 55
	global_store_dwordx2 v[2:3], v[0:1], off offset:2304
	s_and_b64 exec, exec, s[0:1]
	s_cbranch_execz .LBB377_194
; %bb.188:
	v_div_scale_f64 v[0:1], s[0:1], v[104:105], v[104:105], v[102:103]
	v_rcp_f64_e32 v[2:3], v[0:1]
	v_div_scale_f64 v[4:5], vcc, v[102:103], v[104:105], v[102:103]
	v_readlane_b32 s0, v126, 56
	v_fma_f64 v[8:9], -v[0:1], v[2:3], 1.0
	v_fmac_f64_e32 v[2:3], v[2:3], v[8:9]
	v_fma_f64 v[8:9], -v[0:1], v[2:3], 1.0
	v_fmac_f64_e32 v[2:3], v[2:3], v[8:9]
	v_mul_f64 v[8:9], v[4:5], v[2:3]
	v_fma_f64 v[0:1], -v[0:1], v[8:9], v[4:5]
	v_div_fmas_f64 v[0:1], v[0:1], v[2:3], v[8:9]
	v_div_fixup_f64 v[2:3], v[0:1], v[104:105], v[102:103]
	v_mov_b32_e32 v0, 0x7ff80000
	v_add_co_u32_e32 v4, vcc, 0x3000, v32
	v_cndmask_b32_e64 v3, v3, v0, s[34:35]
	v_cndmask_b32_e64 v2, v2, 0, s[34:35]
	v_addc_co_u32_e32 v5, vcc, 0, v33, vcc
	v_readlane_b32 s1, v126, 57
	global_store_dwordx2 v[4:5], v[2:3], off offset:2560
	s_and_b64 exec, exec, s[0:1]
	s_cbranch_execz .LBB377_194
; %bb.189:
	v_div_scale_f64 v[2:3], s[0:1], v[104:105], v[104:105], v[90:91]
	v_rcp_f64_e32 v[4:5], v[2:3]
	v_div_scale_f64 v[10:11], vcc, v[90:91], v[104:105], v[90:91]
	v_readlane_b32 s0, v126, 58
	v_fma_f64 v[8:9], -v[2:3], v[4:5], 1.0
	v_fmac_f64_e32 v[4:5], v[4:5], v[8:9]
	v_fma_f64 v[8:9], -v[2:3], v[4:5], 1.0
	v_fmac_f64_e32 v[4:5], v[4:5], v[8:9]
	v_mul_f64 v[8:9], v[10:11], v[4:5]
	v_fma_f64 v[2:3], -v[2:3], v[8:9], v[10:11]
	v_div_fmas_f64 v[2:3], v[2:3], v[4:5], v[8:9]
	v_div_fixup_f64 v[2:3], v[2:3], v[104:105], v[90:91]
	v_cndmask_b32_e64 v1, v3, v0, s[34:35]
	v_cndmask_b32_e64 v0, v2, 0, s[34:35]
	v_add_co_u32_e32 v2, vcc, 0x3000, v32
	v_addc_co_u32_e32 v3, vcc, 0, v33, vcc
	v_readlane_b32 s1, v126, 59
	global_store_dwordx2 v[2:3], v[0:1], off offset:2816
	s_and_b64 exec, exec, s[0:1]
	s_cbranch_execz .LBB377_194
; %bb.190:
	v_div_scale_f64 v[0:1], s[0:1], v[104:105], v[104:105], v[124:125]
	v_rcp_f64_e32 v[2:3], v[0:1]
	v_div_scale_f64 v[4:5], vcc, v[124:125], v[104:105], v[124:125]
	v_readlane_b32 s0, v126, 60
	v_fma_f64 v[6:7], -v[0:1], v[2:3], 1.0
	v_fmac_f64_e32 v[2:3], v[2:3], v[6:7]
	v_fma_f64 v[6:7], -v[0:1], v[2:3], 1.0
	v_fmac_f64_e32 v[2:3], v[2:3], v[6:7]
	v_mul_f64 v[6:7], v[4:5], v[2:3]
	v_fma_f64 v[0:1], -v[0:1], v[6:7], v[4:5]
	v_div_fmas_f64 v[0:1], v[0:1], v[2:3], v[6:7]
	v_div_fixup_f64 v[2:3], v[0:1], v[104:105], v[124:125]
	v_mov_b32_e32 v0, 0x7ff80000
	v_add_co_u32_e32 v4, vcc, 0x3000, v32
	;; [unrolled: 43-line block ×3, first 2 shown]
	v_cndmask_b32_e64 v3, v3, v0, s[34:35]
	v_cndmask_b32_e64 v2, v2, 0, s[34:35]
	v_addc_co_u32_e32 v5, vcc, 0, v33, vcc
	v_readlane_b32 s1, v127, 1
	global_store_dwordx2 v[4:5], v[2:3], off offset:3584
	s_and_b64 exec, exec, s[0:1]
	s_cbranch_execz .LBB377_194
; %bb.193:
	v_div_scale_f64 v[2:3], s[0:1], v[104:105], v[104:105], v[14:15]
	v_rcp_f64_e32 v[4:5], v[2:3]
	v_div_scale_f64 v[6:7], vcc, v[14:15], v[104:105], v[14:15]
	v_fma_f64 v[8:9], -v[2:3], v[4:5], 1.0
	v_fmac_f64_e32 v[4:5], v[4:5], v[8:9]
	v_fma_f64 v[8:9], -v[2:3], v[4:5], 1.0
	v_fmac_f64_e32 v[4:5], v[4:5], v[8:9]
	v_mul_f64 v[8:9], v[6:7], v[4:5]
	v_fma_f64 v[2:3], -v[2:3], v[8:9], v[6:7]
	v_div_fmas_f64 v[2:3], v[2:3], v[4:5], v[8:9]
	v_div_fixup_f64 v[2:3], v[2:3], v[104:105], v[14:15]
	v_cndmask_b32_e64 v1, v3, v0, s[34:35]
	v_cndmask_b32_e64 v0, v2, 0, s[34:35]
	v_add_co_u32_e32 v2, vcc, 0x3000, v32
	v_addc_co_u32_e32 v3, vcc, 0, v33, vcc
	global_store_dwordx2 v[2:3], v[0:1], off offset:3840
.LBB377_194:
	s_endpgm
	.section	.rodata,"a",@progbits
	.p2align	6, 0x0
	.amdhsa_kernel _ZN12_GLOBAL__N_120softmax_warp_forwardIdddLi11ELb0ELb0ELi32EEEvPT0_PKT_iiiPKbib
		.amdhsa_group_segment_fixed_size 0
		.amdhsa_private_segment_fixed_size 292
		.amdhsa_kernarg_size 304
		.amdhsa_user_sgpr_count 6
		.amdhsa_user_sgpr_private_segment_buffer 1
		.amdhsa_user_sgpr_dispatch_ptr 0
		.amdhsa_user_sgpr_queue_ptr 0
		.amdhsa_user_sgpr_kernarg_segment_ptr 1
		.amdhsa_user_sgpr_dispatch_id 0
		.amdhsa_user_sgpr_flat_scratch_init 0
		.amdhsa_user_sgpr_kernarg_preload_length 0
		.amdhsa_user_sgpr_kernarg_preload_offset 0
		.amdhsa_user_sgpr_private_segment_size 0
		.amdhsa_uses_dynamic_stack 0
		.amdhsa_system_sgpr_private_segment_wavefront_offset 1
		.amdhsa_system_sgpr_workgroup_id_x 1
		.amdhsa_system_sgpr_workgroup_id_y 0
		.amdhsa_system_sgpr_workgroup_id_z 0
		.amdhsa_system_sgpr_workgroup_info 0
		.amdhsa_system_vgpr_workitem_id 1
		.amdhsa_next_free_vgpr 128
		.amdhsa_next_free_sgpr 100
		.amdhsa_accum_offset 128
		.amdhsa_reserve_vcc 1
		.amdhsa_reserve_flat_scratch 0
		.amdhsa_float_round_mode_32 0
		.amdhsa_float_round_mode_16_64 0
		.amdhsa_float_denorm_mode_32 3
		.amdhsa_float_denorm_mode_16_64 3
		.amdhsa_dx10_clamp 1
		.amdhsa_ieee_mode 1
		.amdhsa_fp16_overflow 0
		.amdhsa_tg_split 0
		.amdhsa_exception_fp_ieee_invalid_op 0
		.amdhsa_exception_fp_denorm_src 0
		.amdhsa_exception_fp_ieee_div_zero 0
		.amdhsa_exception_fp_ieee_overflow 0
		.amdhsa_exception_fp_ieee_underflow 0
		.amdhsa_exception_fp_ieee_inexact 0
		.amdhsa_exception_int_div_zero 0
	.end_amdhsa_kernel
	.section	.text._ZN12_GLOBAL__N_120softmax_warp_forwardIdddLi11ELb0ELb0ELi32EEEvPT0_PKT_iiiPKbib,"axG",@progbits,_ZN12_GLOBAL__N_120softmax_warp_forwardIdddLi11ELb0ELb0ELi32EEEvPT0_PKT_iiiPKbib,comdat
.Lfunc_end377:
	.size	_ZN12_GLOBAL__N_120softmax_warp_forwardIdddLi11ELb0ELb0ELi32EEEvPT0_PKT_iiiPKbib, .Lfunc_end377-_ZN12_GLOBAL__N_120softmax_warp_forwardIdddLi11ELb0ELb0ELi32EEEvPT0_PKT_iiiPKbib
                                        ; -- End function
	.section	.AMDGPU.csdata,"",@progbits
; Kernel info:
; codeLenInByte = 27928
; NumSgprs: 104
; NumVgprs: 128
; NumAgprs: 0
; TotalNumVgprs: 128
; ScratchSize: 292
; MemoryBound: 0
; FloatMode: 240
; IeeeMode: 1
; LDSByteSize: 0 bytes/workgroup (compile time only)
; SGPRBlocks: 12
; VGPRBlocks: 15
; NumSGPRsForWavesPerEU: 104
; NumVGPRsForWavesPerEU: 128
; AccumOffset: 128
; Occupancy: 4
; WaveLimiterHint : 0
; COMPUTE_PGM_RSRC2:SCRATCH_EN: 1
; COMPUTE_PGM_RSRC2:USER_SGPR: 6
; COMPUTE_PGM_RSRC2:TRAP_HANDLER: 0
; COMPUTE_PGM_RSRC2:TGID_X_EN: 1
; COMPUTE_PGM_RSRC2:TGID_Y_EN: 0
; COMPUTE_PGM_RSRC2:TGID_Z_EN: 0
; COMPUTE_PGM_RSRC2:TIDIG_COMP_CNT: 1
; COMPUTE_PGM_RSRC3_GFX90A:ACCUM_OFFSET: 31
; COMPUTE_PGM_RSRC3_GFX90A:TG_SPLIT: 0
	.section	.text._ZN2at6native12_GLOBAL__N_123cunn_SoftMaxForwardGmemILi2EdddNS1_29SoftMaxForwardWithMulEpilogueElEEvPT2_PKT0_T4_,"axG",@progbits,_ZN2at6native12_GLOBAL__N_123cunn_SoftMaxForwardGmemILi2EdddNS1_29SoftMaxForwardWithMulEpilogueElEEvPT2_PKT0_T4_,comdat
	.globl	_ZN2at6native12_GLOBAL__N_123cunn_SoftMaxForwardGmemILi2EdddNS1_29SoftMaxForwardWithMulEpilogueElEEvPT2_PKT0_T4_ ; -- Begin function _ZN2at6native12_GLOBAL__N_123cunn_SoftMaxForwardGmemILi2EdddNS1_29SoftMaxForwardWithMulEpilogueElEEvPT2_PKT0_T4_
	.p2align	8
	.type	_ZN2at6native12_GLOBAL__N_123cunn_SoftMaxForwardGmemILi2EdddNS1_29SoftMaxForwardWithMulEpilogueElEEvPT2_PKT0_T4_,@function
_ZN2at6native12_GLOBAL__N_123cunn_SoftMaxForwardGmemILi2EdddNS1_29SoftMaxForwardWithMulEpilogueElEEvPT2_PKT0_T4_: ; @_ZN2at6native12_GLOBAL__N_123cunn_SoftMaxForwardGmemILi2EdddNS1_29SoftMaxForwardWithMulEpilogueElEEvPT2_PKT0_T4_
; %bb.0:
	s_load_dwordx4 s[12:15], s[4:5], 0x0
	s_load_dwordx2 s[10:11], s[4:5], 0x10
	v_mov_b32_e32 v1, 0
	s_mov_b32 s8, -1
	v_lshlrev_b32_e32 v2, 1, v0
	v_mov_b32_e32 v3, v1
	s_mov_b32 s9, 0xffefffff
	s_mov_b32 s19, 0
	s_waitcnt lgkmcnt(0)
	v_cmp_gt_i64_e64 s[0:1], s[10:11], v[2:3]
	v_pk_mov_b32 v[2:3], s[8:9], s[8:9] op_sel:[0,1]
	s_mul_i32 s22, s11, s6
	s_mul_hi_u32 s23, s10, s6
	s_mul_i32 s16, s10, s6
	v_lshlrev_b32_e32 v10, 4, v0
	s_and_saveexec_b64 s[2:3], s[0:1]
	s_cbranch_execz .LBB378_4
; %bb.1:
	s_load_dword s18, s[4:5], 0x24
	s_add_i32 s17, s23, s22
	s_lshl_b64 s[6:7], s[16:17], 3
	v_mov_b32_e32 v8, s19
	v_mov_b32_e32 v9, s19
	s_waitcnt lgkmcnt(0)
	s_and_b32 s17, s18, 0xffff
	s_add_u32 s6, s14, s6
	s_addc_u32 s7, s15, s7
	v_mov_b32_e32 v2, s7
	v_add_co_u32_e32 v3, vcc, s6, v10
	v_addc_co_u32_e32 v2, vcc, 0, v2, vcc
	v_add_co_u32_e32 v4, vcc, 8, v3
	v_addc_co_u32_e32 v5, vcc, 0, v2, vcc
	s_lshl_b32 s18, s17, 4
	s_mov_b64 s[6:7], 0
	v_pk_mov_b32 v[2:3], s[8:9], s[8:9] op_sel:[0,1]
	v_pk_mov_b32 v[6:7], v[0:1], v[0:1] op_sel:[0,1]
.LBB378_2:                              ; =>This Inner Loop Header: Depth=1
	global_load_dwordx4 v[12:15], v[4:5], off offset:-8
	v_add_co_u32_e32 v6, vcc, s17, v6
	v_addc_co_u32_e32 v7, vcc, v7, v8, vcc
	v_add_co_u32_e32 v4, vcc, s18, v4
	v_max_f64 v[2:3], v[2:3], v[2:3]
	v_addc_co_u32_e32 v5, vcc, v5, v9, vcc
	v_lshlrev_b64 v[16:17], 1, v[6:7]
	v_cmp_le_i64_e32 vcc, s[10:11], v[16:17]
	s_or_b64 s[6:7], vcc, s[6:7]
	s_waitcnt vmcnt(0)
	v_max_f64 v[12:13], v[12:13], v[12:13]
	v_max_f64 v[14:15], v[14:15], v[14:15]
	;; [unrolled: 1-line block ×4, first 2 shown]
	s_andn2_b64 exec, exec, s[6:7]
	s_cbranch_execnz .LBB378_2
; %bb.3:
	s_or_b64 exec, exec, s[6:7]
.LBB378_4:
	s_or_b64 exec, exec, s[2:3]
	v_mbcnt_lo_u32_b32 v4, -1, 0
	v_mbcnt_hi_u32_b32 v7, -1, v4
	v_and_b32_e32 v8, 63, v7
	v_cmp_gt_u32_e32 vcc, 32, v8
	v_cndmask_b32_e64 v4, 0, 1, vcc
	v_lshlrev_b32_e32 v4, 5, v4
	v_add_lshl_u32 v11, v4, v7, 2
	ds_bpermute_b32 v4, v11, v2
	ds_bpermute_b32 v5, v11, v3
	v_and_b32_e32 v6, 63, v0
	s_mov_b32 s6, -1
	v_lshrrev_b32_e32 v17, 3, v0
	s_waitcnt lgkmcnt(0)
	v_cmp_lt_f64_e32 vcc, v[2:3], v[4:5]
	v_cndmask_b32_e32 v3, v3, v5, vcc
	v_cndmask_b32_e32 v2, v2, v4, vcc
	v_cmp_gt_u32_e32 vcc, 48, v8
	v_cndmask_b32_e64 v4, 0, 1, vcc
	v_lshlrev_b32_e32 v4, 4, v4
	v_add_lshl_u32 v12, v4, v7, 2
	ds_bpermute_b32 v5, v12, v3
	ds_bpermute_b32 v4, v12, v2
	s_barrier
	s_waitcnt lgkmcnt(0)
	v_cmp_lt_f64_e32 vcc, v[2:3], v[4:5]
	v_cndmask_b32_e32 v3, v3, v5, vcc
	v_cndmask_b32_e32 v2, v2, v4, vcc
	v_cmp_gt_u32_e32 vcc, 56, v8
	v_cndmask_b32_e64 v4, 0, 1, vcc
	v_lshlrev_b32_e32 v4, 3, v4
	v_add_lshl_u32 v13, v4, v7, 2
	ds_bpermute_b32 v4, v13, v2
	ds_bpermute_b32 v5, v13, v3
	s_waitcnt lgkmcnt(0)
	v_cmp_lt_f64_e32 vcc, v[2:3], v[4:5]
	v_cndmask_b32_e32 v3, v3, v5, vcc
	v_cndmask_b32_e32 v2, v2, v4, vcc
	v_cmp_gt_u32_e32 vcc, 60, v8
	v_cndmask_b32_e64 v4, 0, 1, vcc
	v_lshlrev_b32_e32 v4, 2, v4
	v_add_lshl_u32 v14, v4, v7, 2
	ds_bpermute_b32 v4, v14, v2
	ds_bpermute_b32 v5, v14, v3
	;; [unrolled: 10-line block ×3, first 2 shown]
	s_waitcnt lgkmcnt(0)
	v_cmp_lt_f64_e32 vcc, v[2:3], v[4:5]
	v_cndmask_b32_e32 v3, v3, v5, vcc
	v_cndmask_b32_e32 v2, v2, v4, vcc
	v_cmp_ne_u32_e32 vcc, 63, v8
	v_addc_co_u32_e32 v4, vcc, 0, v7, vcc
	v_lshlrev_b32_e32 v16, 2, v4
	ds_bpermute_b32 v4, v16, v2
	ds_bpermute_b32 v5, v16, v3
	v_cmp_eq_u32_e32 vcc, 0, v6
	s_and_saveexec_b64 s[8:9], vcc
	s_cbranch_execz .LBB378_6
; %bb.5:
	s_waitcnt lgkmcnt(0)
	v_cmp_lt_f64_e64 s[2:3], v[2:3], v[4:5]
	v_add_u32_e32 v7, 0, v17
	v_cndmask_b32_e64 v3, v3, v5, s[2:3]
	v_cndmask_b32_e64 v2, v2, v4, s[2:3]
	ds_write_b64 v7, v[2:3]
.LBB378_6:
	s_or_b64 exec, exec, s[8:9]
	s_waitcnt lgkmcnt(0)
	s_barrier
	s_load_dword s24, s[4:5], 0x24
	s_mov_b32 s7, 0xffefffff
	v_pk_mov_b32 v[2:3], s[6:7], s[6:7] op_sel:[0,1]
	v_lshl_add_u32 v18, v6, 3, 0
	s_waitcnt lgkmcnt(0)
	s_bfe_u32 s2, s24, 0xa0006
	v_cmp_gt_u32_e64 s[2:3], s2, v0
	s_and_saveexec_b64 s[4:5], s[2:3]
	s_cbranch_execnz .LBB378_24
; %bb.7:
	s_or_b64 exec, exec, s[4:5]
	v_cmp_gt_u32_e64 s[4:5], 64, v0
	s_and_saveexec_b64 s[8:9], s[4:5]
	s_cbranch_execnz .LBB378_25
.LBB378_8:
	s_or_b64 exec, exec, s[8:9]
	v_cmp_eq_u32_e64 s[6:7], 0, v0
	s_and_saveexec_b64 s[8:9], s[6:7]
	s_cbranch_execz .LBB378_10
.LBB378_9:
	v_mov_b32_e32 v4, 0
	s_waitcnt lgkmcnt(0)
	ds_write_b64 v4, v[2:3]
.LBB378_10:
	s_or_b64 exec, exec, s[8:9]
	s_waitcnt lgkmcnt(0)
	v_mov_b32_e32 v2, 0
	s_barrier
	ds_read_b64 v[2:3], v2
	s_mov_b32 s26, 0
	v_pk_mov_b32 v[4:5], 0, 0
	s_and_saveexec_b64 s[18:19], s[0:1]
	s_cbranch_execz .LBB378_14
; %bb.11:
	s_add_i32 s17, s23, s22
	s_and_b32 s25, s24, 0xffff
	s_lshl_b64 s[8:9], s[16:17], 3
	s_add_u32 s8, s14, s8
	s_addc_u32 s9, s15, s9
	v_mov_b32_e32 v4, s9
	v_add_co_u32_e64 v5, s[8:9], s8, v10
	v_addc_co_u32_e64 v4, s[8:9], 0, v4, s[8:9]
	v_add_co_u32_e64 v6, s[8:9], 8, v5
	v_addc_co_u32_e64 v7, s[8:9], 0, v4, s[8:9]
	s_lshl_b32 s17, s25, 4
	s_mov_b64 s[20:21], 0
	v_pk_mov_b32 v[4:5], 0, 0
	v_mov_b32_e32 v19, s26
	v_mov_b32_e32 v20, s26
	v_pk_mov_b32 v[8:9], v[0:1], v[0:1] op_sel:[0,1]
.LBB378_12:                             ; =>This Inner Loop Header: Depth=1
	global_load_dwordx4 v[22:25], v[6:7], off offset:-8
	v_add_co_u32_e64 v8, s[8:9], s25, v8
	v_addc_co_u32_e64 v9, s[8:9], v9, v19, s[8:9]
	v_add_co_u32_e64 v6, s[8:9], s17, v6
	v_addc_co_u32_e64 v7, s[8:9], v7, v20, s[8:9]
	v_lshlrev_b64 v[26:27], 1, v[8:9]
	v_cmp_le_i64_e64 s[8:9], s[10:11], v[26:27]
	s_or_b64 s[20:21], s[8:9], s[20:21]
	s_waitcnt vmcnt(0) lgkmcnt(0)
	v_add_f64 v[22:23], v[22:23], -v[2:3]
	v_add_f64 v[24:25], v[24:25], -v[2:3]
	v_cvt_f32_f64_e32 v21, v[22:23]
	v_cvt_f32_f64_e32 v22, v[24:25]
	v_mul_f32_e32 v21, 0x3fb8aa3b, v21
	v_mul_f32_e32 v22, 0x3fb8aa3b, v22
	v_exp_f32_e32 v21, v21
	v_exp_f32_e32 v24, v22
	v_cvt_f64_f32_e32 v[22:23], v21
	v_cvt_f64_f32_e32 v[24:25], v24
	v_add_f64 v[4:5], v[4:5], v[22:23]
	v_add_f64 v[4:5], v[4:5], v[24:25]
	s_andn2_b64 exec, exec, s[20:21]
	s_cbranch_execnz .LBB378_12
; %bb.13:
	s_or_b64 exec, exec, s[20:21]
.LBB378_14:
	s_or_b64 exec, exec, s[18:19]
	ds_bpermute_b32 v6, v11, v4
	ds_bpermute_b32 v7, v11, v5
	s_waitcnt lgkmcnt(0)
	s_barrier
	v_add_f64 v[4:5], v[4:5], v[6:7]
	ds_bpermute_b32 v6, v12, v4
	ds_bpermute_b32 v7, v12, v5
	s_waitcnt lgkmcnt(0)
	v_add_f64 v[4:5], v[4:5], v[6:7]
	ds_bpermute_b32 v6, v13, v4
	ds_bpermute_b32 v7, v13, v5
	s_waitcnt lgkmcnt(0)
	;; [unrolled: 4-line block ×4, first 2 shown]
	v_add_f64 v[4:5], v[4:5], v[6:7]
	ds_bpermute_b32 v6, v16, v4
	ds_bpermute_b32 v7, v16, v5
	s_and_saveexec_b64 s[8:9], vcc
	s_cbranch_execz .LBB378_16
; %bb.15:
	v_add_u32_e32 v8, 0, v17
	s_waitcnt lgkmcnt(0)
	v_add_f64 v[4:5], v[4:5], v[6:7]
	ds_write_b64 v8, v[4:5]
.LBB378_16:
	s_or_b64 exec, exec, s[8:9]
	v_pk_mov_b32 v[4:5], 0, 0
	s_waitcnt lgkmcnt(0)
	s_barrier
	s_and_saveexec_b64 s[8:9], s[2:3]
	s_cbranch_execnz .LBB378_26
; %bb.17:
	s_or_b64 exec, exec, s[8:9]
	s_and_saveexec_b64 s[2:3], s[4:5]
	s_cbranch_execnz .LBB378_27
.LBB378_18:
	s_or_b64 exec, exec, s[2:3]
	s_and_saveexec_b64 s[2:3], s[6:7]
	s_cbranch_execz .LBB378_20
.LBB378_19:
	s_waitcnt lgkmcnt(0)
	v_div_scale_f64 v[6:7], s[4:5], v[4:5], v[4:5], 1.0
	v_rcp_f64_e32 v[8:9], v[6:7]
	v_div_scale_f64 v[12:13], vcc, 1.0, v[4:5], 1.0
	v_fma_f64 v[14:15], -v[6:7], v[8:9], 1.0
	v_fmac_f64_e32 v[8:9], v[8:9], v[14:15]
	v_fma_f64 v[14:15], -v[6:7], v[8:9], 1.0
	v_fmac_f64_e32 v[8:9], v[8:9], v[14:15]
	v_mul_f64 v[14:15], v[12:13], v[8:9]
	v_fma_f64 v[6:7], -v[6:7], v[14:15], v[12:13]
	v_div_fmas_f64 v[6:7], v[6:7], v[8:9], v[14:15]
	v_div_fixup_f64 v[4:5], v[6:7], v[4:5], 1.0
	v_mov_b32_e32 v6, 0
	ds_write_b64 v6, v[4:5]
.LBB378_20:
	s_or_b64 exec, exec, s[2:3]
	s_waitcnt lgkmcnt(0)
	s_barrier
	s_and_saveexec_b64 s[2:3], s[0:1]
	s_cbranch_execz .LBB378_23
; %bb.21:
	v_mov_b32_e32 v4, 0
	s_and_b32 s2, s24, 0xffff
	ds_read_b64 v[4:5], v4
	s_add_u32 s3, s14, 8
	s_addc_u32 s6, s15, 0
	s_add_i32 s17, s23, s22
	s_lshl_b64 s[0:1], s[16:17], 3
	s_mov_b32 s5, 0
	v_mov_b32_e32 v7, s1
	v_add_co_u32_e32 v6, vcc, s0, v10
	v_addc_co_u32_e32 v7, vcc, 0, v7, vcc
	s_lshl_b32 s4, s2, 4
	s_mov_b64 s[0:1], 0
	v_mov_b32_e32 v8, s6
	v_mov_b32_e32 v9, s13
	;; [unrolled: 1-line block ×4, first 2 shown]
.LBB378_22:                             ; =>This Inner Loop Header: Depth=1
	v_add_co_u32_e32 v12, vcc, s3, v6
	v_addc_co_u32_e32 v13, vcc, v8, v7, vcc
	global_load_dwordx4 v[12:15], v[12:13], off offset:-8
	v_add_co_u32_e32 v16, vcc, s12, v6
	v_addc_co_u32_e32 v17, vcc, v9, v7, vcc
	v_add_co_u32_e32 v0, vcc, s2, v0
	v_addc_co_u32_e32 v1, vcc, v1, v10, vcc
	;; [unrolled: 2-line block ×3, first 2 shown]
	v_lshlrev_b64 v[18:19], 1, v[0:1]
	v_cmp_le_i64_e32 vcc, s[10:11], v[18:19]
	s_or_b64 s[0:1], vcc, s[0:1]
	s_waitcnt vmcnt(0)
	v_add_f64 v[12:13], v[12:13], -v[2:3]
	v_add_f64 v[14:15], v[14:15], -v[2:3]
	v_cvt_f32_f64_e32 v12, v[12:13]
	v_cvt_f32_f64_e32 v13, v[14:15]
	v_mul_f32_e32 v12, 0x3fb8aa3b, v12
	v_mul_f32_e32 v13, 0x3fb8aa3b, v13
	v_exp_f32_e32 v12, v12
	v_exp_f32_e32 v14, v13
	v_cvt_f64_f32_e32 v[12:13], v12
	v_cvt_f64_f32_e32 v[14:15], v14
	s_waitcnt lgkmcnt(0)
	v_mul_f64 v[12:13], v[4:5], v[12:13]
	v_mul_f64 v[14:15], v[4:5], v[14:15]
	global_store_dwordx4 v[16:17], v[12:15], off
	s_andn2_b64 exec, exec, s[0:1]
	s_cbranch_execnz .LBB378_22
.LBB378_23:
	s_endpgm
.LBB378_24:
	ds_read_b64 v[2:3], v18
	s_or_b64 exec, exec, s[4:5]
	v_cmp_gt_u32_e64 s[4:5], 64, v0
	s_and_saveexec_b64 s[8:9], s[4:5]
	s_cbranch_execz .LBB378_8
.LBB378_25:
	s_waitcnt lgkmcnt(0)
	ds_bpermute_b32 v4, v11, v2
	ds_bpermute_b32 v5, v11, v3
	s_waitcnt lgkmcnt(0)
	v_cmp_lt_f64_e64 s[6:7], v[2:3], v[4:5]
	v_cndmask_b32_e64 v3, v3, v5, s[6:7]
	v_cndmask_b32_e64 v2, v2, v4, s[6:7]
	ds_bpermute_b32 v5, v12, v3
	ds_bpermute_b32 v4, v12, v2
	s_waitcnt lgkmcnt(0)
	v_cmp_lt_f64_e64 s[6:7], v[2:3], v[4:5]
	v_cndmask_b32_e64 v3, v3, v5, s[6:7]
	v_cndmask_b32_e64 v2, v2, v4, s[6:7]
	;; [unrolled: 6-line block ×6, first 2 shown]
	s_or_b64 exec, exec, s[8:9]
	v_cmp_eq_u32_e64 s[6:7], 0, v0
	s_and_saveexec_b64 s[8:9], s[6:7]
	s_cbranch_execnz .LBB378_9
	s_branch .LBB378_10
.LBB378_26:
	ds_read_b64 v[4:5], v18
	s_or_b64 exec, exec, s[8:9]
	s_and_saveexec_b64 s[2:3], s[4:5]
	s_cbranch_execz .LBB378_18
.LBB378_27:
	s_waitcnt lgkmcnt(0)
	ds_bpermute_b32 v6, v11, v4
	ds_bpermute_b32 v7, v11, v5
	s_waitcnt lgkmcnt(0)
	v_add_f64 v[4:5], v[4:5], v[6:7]
	ds_bpermute_b32 v6, v12, v4
	ds_bpermute_b32 v7, v12, v5
	s_waitcnt lgkmcnt(0)
	v_add_f64 v[4:5], v[4:5], v[6:7]
	;; [unrolled: 4-line block ×6, first 2 shown]
	s_or_b64 exec, exec, s[2:3]
	s_and_saveexec_b64 s[2:3], s[6:7]
	s_cbranch_execnz .LBB378_19
	s_branch .LBB378_20
	.section	.rodata,"a",@progbits
	.p2align	6, 0x0
	.amdhsa_kernel _ZN2at6native12_GLOBAL__N_123cunn_SoftMaxForwardGmemILi2EdddNS1_29SoftMaxForwardWithMulEpilogueElEEvPT2_PKT0_T4_
		.amdhsa_group_segment_fixed_size 0
		.amdhsa_private_segment_fixed_size 0
		.amdhsa_kernarg_size 280
		.amdhsa_user_sgpr_count 6
		.amdhsa_user_sgpr_private_segment_buffer 1
		.amdhsa_user_sgpr_dispatch_ptr 0
		.amdhsa_user_sgpr_queue_ptr 0
		.amdhsa_user_sgpr_kernarg_segment_ptr 1
		.amdhsa_user_sgpr_dispatch_id 0
		.amdhsa_user_sgpr_flat_scratch_init 0
		.amdhsa_user_sgpr_kernarg_preload_length 0
		.amdhsa_user_sgpr_kernarg_preload_offset 0
		.amdhsa_user_sgpr_private_segment_size 0
		.amdhsa_uses_dynamic_stack 0
		.amdhsa_system_sgpr_private_segment_wavefront_offset 0
		.amdhsa_system_sgpr_workgroup_id_x 1
		.amdhsa_system_sgpr_workgroup_id_y 0
		.amdhsa_system_sgpr_workgroup_id_z 0
		.amdhsa_system_sgpr_workgroup_info 0
		.amdhsa_system_vgpr_workitem_id 0
		.amdhsa_next_free_vgpr 28
		.amdhsa_next_free_sgpr 27
		.amdhsa_accum_offset 28
		.amdhsa_reserve_vcc 1
		.amdhsa_reserve_flat_scratch 0
		.amdhsa_float_round_mode_32 0
		.amdhsa_float_round_mode_16_64 0
		.amdhsa_float_denorm_mode_32 3
		.amdhsa_float_denorm_mode_16_64 3
		.amdhsa_dx10_clamp 1
		.amdhsa_ieee_mode 1
		.amdhsa_fp16_overflow 0
		.amdhsa_tg_split 0
		.amdhsa_exception_fp_ieee_invalid_op 0
		.amdhsa_exception_fp_denorm_src 0
		.amdhsa_exception_fp_ieee_div_zero 0
		.amdhsa_exception_fp_ieee_overflow 0
		.amdhsa_exception_fp_ieee_underflow 0
		.amdhsa_exception_fp_ieee_inexact 0
		.amdhsa_exception_int_div_zero 0
	.end_amdhsa_kernel
	.section	.text._ZN2at6native12_GLOBAL__N_123cunn_SoftMaxForwardGmemILi2EdddNS1_29SoftMaxForwardWithMulEpilogueElEEvPT2_PKT0_T4_,"axG",@progbits,_ZN2at6native12_GLOBAL__N_123cunn_SoftMaxForwardGmemILi2EdddNS1_29SoftMaxForwardWithMulEpilogueElEEvPT2_PKT0_T4_,comdat
.Lfunc_end378:
	.size	_ZN2at6native12_GLOBAL__N_123cunn_SoftMaxForwardGmemILi2EdddNS1_29SoftMaxForwardWithMulEpilogueElEEvPT2_PKT0_T4_, .Lfunc_end378-_ZN2at6native12_GLOBAL__N_123cunn_SoftMaxForwardGmemILi2EdddNS1_29SoftMaxForwardWithMulEpilogueElEEvPT2_PKT0_T4_
                                        ; -- End function
	.section	.AMDGPU.csdata,"",@progbits
; Kernel info:
; codeLenInByte = 2204
; NumSgprs: 31
; NumVgprs: 28
; NumAgprs: 0
; TotalNumVgprs: 28
; ScratchSize: 0
; MemoryBound: 0
; FloatMode: 240
; IeeeMode: 1
; LDSByteSize: 0 bytes/workgroup (compile time only)
; SGPRBlocks: 3
; VGPRBlocks: 3
; NumSGPRsForWavesPerEU: 31
; NumVGPRsForWavesPerEU: 28
; AccumOffset: 28
; Occupancy: 8
; WaveLimiterHint : 0
; COMPUTE_PGM_RSRC2:SCRATCH_EN: 0
; COMPUTE_PGM_RSRC2:USER_SGPR: 6
; COMPUTE_PGM_RSRC2:TRAP_HANDLER: 0
; COMPUTE_PGM_RSRC2:TGID_X_EN: 1
; COMPUTE_PGM_RSRC2:TGID_Y_EN: 0
; COMPUTE_PGM_RSRC2:TGID_Z_EN: 0
; COMPUTE_PGM_RSRC2:TIDIG_COMP_CNT: 0
; COMPUTE_PGM_RSRC3_GFX90A:ACCUM_OFFSET: 6
; COMPUTE_PGM_RSRC3_GFX90A:TG_SPLIT: 0
	.section	.text._ZN2at6native12_GLOBAL__N_123cunn_SoftMaxForwardFastILi2EdddNS1_29SoftMaxForwardWithMulEpilogueEEEvPT2_PKT0_i,"axG",@progbits,_ZN2at6native12_GLOBAL__N_123cunn_SoftMaxForwardFastILi2EdddNS1_29SoftMaxForwardWithMulEpilogueEEEvPT2_PKT0_i,comdat
	.globl	_ZN2at6native12_GLOBAL__N_123cunn_SoftMaxForwardFastILi2EdddNS1_29SoftMaxForwardWithMulEpilogueEEEvPT2_PKT0_i ; -- Begin function _ZN2at6native12_GLOBAL__N_123cunn_SoftMaxForwardFastILi2EdddNS1_29SoftMaxForwardWithMulEpilogueEEEvPT2_PKT0_i
	.p2align	8
	.type	_ZN2at6native12_GLOBAL__N_123cunn_SoftMaxForwardFastILi2EdddNS1_29SoftMaxForwardWithMulEpilogueEEEvPT2_PKT0_i,@function
_ZN2at6native12_GLOBAL__N_123cunn_SoftMaxForwardFastILi2EdddNS1_29SoftMaxForwardWithMulEpilogueEEEvPT2_PKT0_i: ; @_ZN2at6native12_GLOBAL__N_123cunn_SoftMaxForwardFastILi2EdddNS1_29SoftMaxForwardWithMulEpilogueEEEvPT2_PKT0_i
; %bb.0:
	s_load_dword s22, s[4:5], 0x10
	s_load_dwordx4 s[12:15], s[4:5], 0x0
	s_waitcnt lgkmcnt(0)
	s_ashr_i32 s0, s22, 31
	s_mul_hi_u32 s1, s22, s6
	s_mul_i32 s0, s0, s6
	s_add_i32 s1, s1, s0
	s_mul_i32 s0, s22, s6
	s_lshl_b64 s[16:17], s[0:1], 3
	s_add_u32 s10, s14, s16
	s_addc_u32 s11, s15, s17
	s_bitcmp1_b32 s10, 3
	s_cselect_b64 s[14:15], -1, 0
	s_and_b64 vcc, exec, s[14:15]
	v_cmp_ge_i32_e64 s[0:1], s22, v0
	s_cbranch_vccz .LBB379_4
; %bb.1:
	v_cmp_ne_u32_e32 vcc, 0, v0
	s_and_b64 s[8:9], vcc, s[0:1]
	s_mov_b32 s0, -1
	s_mov_b32 s1, 0xffefffff
	v_pk_mov_b32 v[2:3], s[0:1], s[0:1] op_sel:[0,1]
	s_and_saveexec_b64 s[2:3], s[8:9]
	s_cbranch_execz .LBB379_3
; %bb.2:
	v_lshlrev_b32_e32 v1, 3, v0
	global_load_dwordx2 v[2:3], v1, s[10:11] offset:-8
	s_waitcnt vmcnt(0)
	v_max_f64 v[2:3], v[2:3], v[2:3]
	v_max_f64 v[2:3], v[2:3], s[0:1]
.LBB379_3:
	s_or_b64 exec, exec, s[2:3]
	s_load_dword s0, s[4:5], 0x24
	s_add_i32 s1, s22, 1
	s_add_u32 s2, s4, 24
	s_addc_u32 s3, s5, 0
	s_waitcnt lgkmcnt(0)
	s_and_b32 s0, s0, 0xffff
	v_mov_b32_e32 v1, s0
	s_lshl_b32 s0, s0, 3
	s_add_u32 s0, s10, s0
	v_sub_u32_e64 v1, s1, v1 clamp
	s_addc_u32 s1, s11, 0
	s_add_u32 s0, s0, -8
	v_readfirstlane_b32 s7, v1
	s_addc_u32 s1, s1, -1
	s_branch .LBB379_6
.LBB379_4:
                                        ; implicit-def: $sgpr0_sgpr1
                                        ; implicit-def: $sgpr7
                                        ; implicit-def: $vgpr2_vgpr3
                                        ; implicit-def: $sgpr2_sgpr3
	s_cbranch_execz .LBB379_6
; %bb.5:
	s_mov_b32 s0, -1
	s_add_u32 s2, s4, 24
	s_mov_b32 s1, 0xffefffff
	s_addc_u32 s3, s5, 0
	v_pk_mov_b32 v[2:3], s[0:1], s[0:1] op_sel:[0,1]
	s_mov_b32 s7, s22
	s_mov_b64 s[0:1], s[10:11]
.LBB379_6:
	s_load_dword s8, s[2:3], 0x0
	v_mov_b32_e32 v1, 0
	v_lshlrev_b32_e32 v6, 1, v0
	s_waitcnt lgkmcnt(0)
	s_cmp_lt_u32 s6, s8
	s_cselect_b32 s8, 12, 18
	s_add_u32 s2, s2, s8
	s_addc_u32 s3, s3, 0
	global_load_ushort v1, v1, s[2:3]
	s_waitcnt vmcnt(0)
	v_readfirstlane_b32 s2, v1
	s_lshl_b32 s2, s2, 1
	v_cvt_f32_u32_e32 v4, s2
	s_sub_i32 s3, 0, s2
	v_rcp_iflag_f32_e32 v4, v4
	v_mul_f32_e32 v4, 0x4f7ffffe, v4
	v_cvt_u32_f32_e32 v4, v4
	v_readfirstlane_b32 s8, v4
	s_mul_i32 s3, s3, s8
	s_mul_hi_u32 s3, s8, s3
	s_add_i32 s8, s8, s3
	s_mul_hi_u32 s3, s7, s8
	s_mul_i32 s3, s3, s2
	s_sub_i32 s3, s7, s3
	s_sub_i32 s8, s3, s2
	s_cmp_ge_u32 s3, s2
	s_cselect_b32 s3, s8, s3
	s_sub_i32 s8, s3, s2
	s_cmp_ge_u32 s3, s2
	s_cselect_b32 s2, s8, s3
	s_sub_i32 s18, s7, s2
	v_cmp_gt_i32_e32 vcc, s18, v6
	s_and_saveexec_b64 s[2:3], vcc
	s_cbranch_execz .LBB379_10
; %bb.7:
	s_mov_b64 s[8:9], 0
	v_mov_b32_e32 v7, s1
	v_mov_b32_e32 v4, v0
.LBB379_8:                              ; =>This Inner Loop Header: Depth=1
	v_ashrrev_i32_e32 v5, 31, v4
	v_lshlrev_b64 v[8:9], 4, v[4:5]
	v_add_co_u32_e32 v8, vcc, s0, v8
	v_addc_co_u32_e32 v9, vcc, v7, v9, vcc
	global_load_dwordx4 v[8:11], v[8:9], off
	v_add_u32_e32 v4, v4, v1
	v_max_f64 v[2:3], v[2:3], v[2:3]
	v_lshlrev_b32_e32 v5, 1, v4
	v_cmp_le_i32_e32 vcc, s18, v5
	s_or_b64 s[8:9], vcc, s[8:9]
	s_waitcnt vmcnt(0)
	v_max_f64 v[8:9], v[8:9], v[8:9]
	v_max_f64 v[10:11], v[10:11], v[10:11]
	;; [unrolled: 1-line block ×4, first 2 shown]
	s_andn2_b64 exec, exec, s[8:9]
	s_cbranch_execnz .LBB379_8
; %bb.9:
	s_or_b64 exec, exec, s[8:9]
.LBB379_10:
	s_or_b64 exec, exec, s[2:3]
	v_add_u32_e32 v4, s18, v0
	v_cmp_gt_i32_e32 vcc, s7, v4
	s_and_saveexec_b64 s[2:3], vcc
	s_cbranch_execz .LBB379_14
; %bb.11:
	s_mov_b64 s[8:9], 0
	v_mov_b32_e32 v7, s1
.LBB379_12:                             ; =>This Inner Loop Header: Depth=1
	v_ashrrev_i32_e32 v5, 31, v4
	v_lshlrev_b64 v[8:9], 3, v[4:5]
	v_add_co_u32_e32 v8, vcc, s0, v8
	v_addc_co_u32_e32 v9, vcc, v7, v9, vcc
	global_load_dwordx2 v[8:9], v[8:9], off
	v_add_u32_e32 v4, v4, v1
	v_max_f64 v[2:3], v[2:3], v[2:3]
	v_cmp_le_i32_e32 vcc, s7, v4
	s_or_b64 s[8:9], vcc, s[8:9]
	s_waitcnt vmcnt(0)
	v_max_f64 v[8:9], v[8:9], v[8:9]
	v_max_f64 v[2:3], v[2:3], v[8:9]
	s_andn2_b64 exec, exec, s[8:9]
	s_cbranch_execnz .LBB379_12
; %bb.13:
	s_or_b64 exec, exec, s[8:9]
.LBB379_14:
	s_or_b64 exec, exec, s[2:3]
	v_mbcnt_lo_u32_b32 v1, -1, 0
	v_mbcnt_hi_u32_b32 v12, -1, v1
	v_and_b32_e32 v13, 63, v12
	v_cmp_gt_u32_e32 vcc, 32, v13
	v_cndmask_b32_e64 v1, 0, 1, vcc
	v_lshlrev_b32_e32 v1, 5, v1
	v_add_lshl_u32 v1, v1, v12, 2
	ds_bpermute_b32 v4, v1, v2
	ds_bpermute_b32 v5, v1, v3
	v_and_b32_e32 v7, 63, v0
	s_mov_b32 s8, -1
	v_cmp_eq_u32_e64 s[0:1], 0, v7
	s_waitcnt lgkmcnt(0)
	v_cmp_lt_f64_e32 vcc, v[2:3], v[4:5]
	v_cndmask_b32_e32 v3, v3, v5, vcc
	v_cndmask_b32_e32 v2, v2, v4, vcc
	v_cmp_gt_u32_e32 vcc, 48, v13
	v_cndmask_b32_e64 v4, 0, 1, vcc
	v_lshlrev_b32_e32 v4, 4, v4
	v_add_lshl_u32 v8, v4, v12, 2
	ds_bpermute_b32 v5, v8, v3
	ds_bpermute_b32 v4, v8, v2
	s_barrier
	s_waitcnt lgkmcnt(0)
	v_cmp_lt_f64_e32 vcc, v[2:3], v[4:5]
	v_cndmask_b32_e32 v3, v3, v5, vcc
	v_cndmask_b32_e32 v2, v2, v4, vcc
	v_cmp_gt_u32_e32 vcc, 56, v13
	v_cndmask_b32_e64 v4, 0, 1, vcc
	v_lshlrev_b32_e32 v4, 3, v4
	v_add_lshl_u32 v9, v4, v12, 2
	ds_bpermute_b32 v4, v9, v2
	ds_bpermute_b32 v5, v9, v3
	s_waitcnt lgkmcnt(0)
	v_cmp_lt_f64_e32 vcc, v[2:3], v[4:5]
	v_cndmask_b32_e32 v3, v3, v5, vcc
	v_cndmask_b32_e32 v2, v2, v4, vcc
	v_cmp_gt_u32_e32 vcc, 60, v13
	v_cndmask_b32_e64 v4, 0, 1, vcc
	v_lshlrev_b32_e32 v4, 2, v4
	v_add_lshl_u32 v10, v4, v12, 2
	ds_bpermute_b32 v4, v10, v2
	ds_bpermute_b32 v5, v10, v3
	;; [unrolled: 10-line block ×3, first 2 shown]
	s_waitcnt lgkmcnt(0)
	v_cmp_lt_f64_e32 vcc, v[2:3], v[4:5]
	v_cndmask_b32_e32 v3, v3, v5, vcc
	v_cndmask_b32_e32 v2, v2, v4, vcc
	v_cmp_ne_u32_e32 vcc, 63, v13
	v_addc_co_u32_e32 v4, vcc, 0, v12, vcc
	v_lshlrev_b32_e32 v12, 2, v4
	ds_bpermute_b32 v4, v12, v2
	ds_bpermute_b32 v5, v12, v3
	v_lshrrev_b32_e32 v13, 3, v0
	s_and_saveexec_b64 s[2:3], s[0:1]
	s_cbranch_execz .LBB379_16
; %bb.15:
	s_waitcnt lgkmcnt(0)
	v_cmp_lt_f64_e32 vcc, v[2:3], v[4:5]
	v_add_u32_e32 v14, 0, v13
	v_cndmask_b32_e32 v3, v3, v5, vcc
	v_cndmask_b32_e32 v2, v2, v4, vcc
	ds_write_b64 v14, v[2:3]
.LBB379_16:
	s_or_b64 exec, exec, s[2:3]
	s_waitcnt lgkmcnt(0)
	s_barrier
	s_load_dword s7, s[4:5], 0x24
	s_add_u32 s18, s4, 24
	s_addc_u32 s19, s5, 0
	s_mov_b32 s9, 0xffefffff
	v_pk_mov_b32 v[2:3], s[8:9], s[8:9] op_sel:[0,1]
	s_waitcnt lgkmcnt(0)
	s_bfe_u32 s2, s7, 0xa0006
	v_cmp_gt_u32_e64 s[2:3], s2, v0
	v_lshl_add_u32 v14, v7, 3, 0
	s_and_saveexec_b64 s[4:5], s[2:3]
	s_cbranch_execnz .LBB379_24
; %bb.17:
	s_or_b64 exec, exec, s[4:5]
	v_cmp_gt_u32_e64 s[4:5], 64, v0
	s_and_saveexec_b64 s[8:9], s[4:5]
	s_cbranch_execnz .LBB379_25
.LBB379_18:
	s_or_b64 exec, exec, s[8:9]
	v_cmp_eq_u32_e64 s[8:9], 0, v0
	s_and_saveexec_b64 s[20:21], s[8:9]
	s_cbranch_execz .LBB379_20
.LBB379_19:
	v_mov_b32_e32 v4, 0
	s_waitcnt lgkmcnt(0)
	ds_write_b64 v4, v[2:3]
.LBB379_20:
	s_or_b64 exec, exec, s[20:21]
	s_waitcnt lgkmcnt(0)
	v_mov_b32_e32 v2, 0
	s_barrier
	ds_read_b64 v[2:3], v2
	s_and_b32 s20, s7, 0xffff
	s_andn2_b64 vcc, exec, s[14:15]
	v_pk_mov_b32 v[4:5], 0, 0
	s_cbranch_vccnz .LBB379_26
; %bb.21:
	v_cmp_ge_i32_e32 vcc, s22, v0
	s_xor_b64 s[14:15], s[8:9], -1
	s_and_b64 s[24:25], s[14:15], vcc
	v_pk_mov_b32 v[4:5], 0, 0
	s_and_saveexec_b64 s[14:15], s[24:25]
	s_cbranch_execz .LBB379_23
; %bb.22:
	v_lshlrev_b32_e32 v4, 3, v0
	global_load_dwordx2 v[4:5], v4, s[10:11] offset:-8
	s_waitcnt vmcnt(0) lgkmcnt(0)
	v_add_f64 v[4:5], v[4:5], -v[2:3]
	v_cvt_f32_f64_e32 v4, v[4:5]
	v_mul_f32_e32 v4, 0x3fb8aa3b, v4
	v_exp_f32_e32 v4, v4
	v_cvt_f64_f32_e32 v[4:5], v4
	v_add_f64 v[4:5], v[4:5], 0
.LBB379_23:
	s_or_b64 exec, exec, s[14:15]
	s_add_i32 s7, s22, 1
	v_mov_b32_e32 v7, s20
	v_sub_u32_e64 v7, s7, v7 clamp
	s_lshl_b32 s7, s20, 3
	s_add_u32 s7, s10, s7
	s_addc_u32 s15, s11, 0
	s_add_u32 s14, s7, -8
	v_readfirstlane_b32 s21, v7
	s_addc_u32 s15, s15, -1
	s_branch .LBB379_27
.LBB379_24:
	ds_read_b64 v[2:3], v14
	s_or_b64 exec, exec, s[4:5]
	v_cmp_gt_u32_e64 s[4:5], 64, v0
	s_and_saveexec_b64 s[8:9], s[4:5]
	s_cbranch_execz .LBB379_18
.LBB379_25:
	s_waitcnt lgkmcnt(0)
	ds_bpermute_b32 v4, v1, v2
	ds_bpermute_b32 v5, v1, v3
	s_waitcnt lgkmcnt(0)
	v_cmp_lt_f64_e32 vcc, v[2:3], v[4:5]
	v_cndmask_b32_e32 v3, v3, v5, vcc
	v_cndmask_b32_e32 v2, v2, v4, vcc
	ds_bpermute_b32 v5, v8, v3
	ds_bpermute_b32 v4, v8, v2
	s_waitcnt lgkmcnt(0)
	v_cmp_lt_f64_e32 vcc, v[2:3], v[4:5]
	v_cndmask_b32_e32 v3, v3, v5, vcc
	v_cndmask_b32_e32 v2, v2, v4, vcc
	;; [unrolled: 6-line block ×6, first 2 shown]
	s_or_b64 exec, exec, s[8:9]
	v_cmp_eq_u32_e64 s[8:9], 0, v0
	s_and_saveexec_b64 s[20:21], s[8:9]
	s_cbranch_execnz .LBB379_19
	s_branch .LBB379_20
.LBB379_26:
	s_mov_b64 s[14:15], s[10:11]
	s_mov_b32 s21, s22
.LBB379_27:
	s_load_dword s7, s[18:19], 0x0
	v_mov_b32_e32 v7, 0
	s_waitcnt lgkmcnt(0)
	s_cmp_lt_u32 s6, s7
	s_cselect_b32 s6, 12, 18
	s_add_u32 s6, s18, s6
	s_addc_u32 s7, s19, 0
	global_load_ushort v15, v7, s[6:7]
	s_waitcnt vmcnt(0)
	v_readfirstlane_b32 s6, v15
	s_lshl_b32 s6, s6, 1
	v_cvt_f32_u32_e32 v7, s6
	s_sub_i32 s7, 0, s6
	v_rcp_iflag_f32_e32 v7, v7
	v_mul_f32_e32 v7, 0x4f7ffffe, v7
	v_cvt_u32_f32_e32 v7, v7
	v_readfirstlane_b32 s18, v7
	s_mul_i32 s7, s7, s18
	s_mul_hi_u32 s7, s18, s7
	s_add_i32 s18, s18, s7
	s_mul_hi_u32 s7, s21, s18
	s_mul_i32 s7, s7, s6
	s_sub_i32 s7, s21, s7
	s_sub_i32 s18, s7, s6
	s_cmp_ge_u32 s7, s6
	s_cselect_b32 s7, s18, s7
	s_sub_i32 s18, s7, s6
	s_cmp_ge_u32 s7, s6
	s_cselect_b32 s6, s18, s7
	s_sub_i32 s23, s21, s6
	v_cmp_gt_i32_e32 vcc, s23, v6
	s_and_saveexec_b64 s[6:7], vcc
	s_cbranch_execz .LBB379_31
; %bb.28:
	s_mov_b64 s[18:19], 0
	v_mov_b32_e32 v16, s15
	v_mov_b32_e32 v6, v0
.LBB379_29:                             ; =>This Inner Loop Header: Depth=1
	v_ashrrev_i32_e32 v7, 31, v6
	v_lshlrev_b64 v[18:19], 4, v[6:7]
	v_add_co_u32_e32 v18, vcc, s14, v18
	v_addc_co_u32_e32 v19, vcc, v16, v19, vcc
	global_load_dwordx4 v[18:21], v[18:19], off
	v_add_u32_e32 v6, v6, v15
	v_lshlrev_b32_e32 v7, 1, v6
	v_cmp_le_i32_e32 vcc, s23, v7
	s_or_b64 s[18:19], vcc, s[18:19]
	s_waitcnt vmcnt(0)
	v_add_f64 v[18:19], v[18:19], -v[2:3]
	v_add_f64 v[20:21], v[20:21], -v[2:3]
	v_cvt_f32_f64_e32 v7, v[18:19]
	v_cvt_f32_f64_e32 v17, v[20:21]
	v_mul_f32_e32 v7, 0x3fb8aa3b, v7
	v_mul_f32_e32 v17, 0x3fb8aa3b, v17
	v_exp_f32_e32 v7, v7
	v_exp_f32_e32 v17, v17
	v_cvt_f64_f32_e32 v[18:19], v7
	v_cvt_f64_f32_e32 v[20:21], v17
	v_add_f64 v[4:5], v[4:5], v[18:19]
	v_add_f64 v[4:5], v[4:5], v[20:21]
	s_andn2_b64 exec, exec, s[18:19]
	s_cbranch_execnz .LBB379_29
; %bb.30:
	s_or_b64 exec, exec, s[18:19]
.LBB379_31:
	s_or_b64 exec, exec, s[6:7]
	v_add_u32_e32 v6, s23, v0
	v_cmp_gt_i32_e32 vcc, s21, v6
	s_and_saveexec_b64 s[6:7], vcc
	s_cbranch_execz .LBB379_35
; %bb.32:
	s_mov_b64 s[18:19], 0
	v_mov_b32_e32 v16, s15
.LBB379_33:                             ; =>This Inner Loop Header: Depth=1
	v_ashrrev_i32_e32 v7, 31, v6
	v_lshlrev_b64 v[18:19], 3, v[6:7]
	v_add_co_u32_e32 v18, vcc, s14, v18
	v_addc_co_u32_e32 v19, vcc, v16, v19, vcc
	global_load_dwordx2 v[18:19], v[18:19], off
	v_add_u32_e32 v6, v6, v15
	v_cmp_le_i32_e32 vcc, s21, v6
	s_or_b64 s[18:19], vcc, s[18:19]
	s_waitcnt vmcnt(0)
	v_add_f64 v[18:19], v[18:19], -v[2:3]
	v_cvt_f32_f64_e32 v7, v[18:19]
	v_mul_f32_e32 v7, 0x3fb8aa3b, v7
	v_exp_f32_e32 v7, v7
	v_cvt_f64_f32_e32 v[18:19], v7
	v_add_f64 v[4:5], v[4:5], v[18:19]
	s_andn2_b64 exec, exec, s[18:19]
	s_cbranch_execnz .LBB379_33
; %bb.34:
	s_or_b64 exec, exec, s[18:19]
.LBB379_35:
	s_or_b64 exec, exec, s[6:7]
	ds_bpermute_b32 v6, v1, v4
	ds_bpermute_b32 v7, v1, v5
	s_waitcnt lgkmcnt(0)
	s_barrier
	v_add_f64 v[4:5], v[4:5], v[6:7]
	ds_bpermute_b32 v6, v8, v4
	ds_bpermute_b32 v7, v8, v5
	s_waitcnt lgkmcnt(0)
	v_add_f64 v[4:5], v[4:5], v[6:7]
	ds_bpermute_b32 v6, v9, v4
	ds_bpermute_b32 v7, v9, v5
	s_waitcnt lgkmcnt(0)
	;; [unrolled: 4-line block ×4, first 2 shown]
	v_add_f64 v[4:5], v[4:5], v[6:7]
	ds_bpermute_b32 v6, v12, v4
	ds_bpermute_b32 v7, v12, v5
	s_and_saveexec_b64 s[6:7], s[0:1]
	s_cbranch_execz .LBB379_37
; %bb.36:
	v_add_u32_e32 v13, 0, v13
	s_waitcnt lgkmcnt(0)
	v_add_f64 v[4:5], v[4:5], v[6:7]
	ds_write_b64 v13, v[4:5]
.LBB379_37:
	s_or_b64 exec, exec, s[6:7]
	v_pk_mov_b32 v[4:5], 0, 0
	s_waitcnt lgkmcnt(0)
	s_barrier
	s_and_saveexec_b64 s[0:1], s[2:3]
	s_cbranch_execnz .LBB379_45
; %bb.38:
	s_or_b64 exec, exec, s[0:1]
	s_and_saveexec_b64 s[0:1], s[4:5]
	s_cbranch_execnz .LBB379_46
.LBB379_39:
	s_or_b64 exec, exec, s[0:1]
	s_and_saveexec_b64 s[0:1], s[8:9]
	s_cbranch_execz .LBB379_41
.LBB379_40:
	s_waitcnt lgkmcnt(0)
	v_div_scale_f64 v[6:7], s[2:3], v[4:5], v[4:5], 1.0
	v_rcp_f64_e32 v[8:9], v[6:7]
	v_div_scale_f64 v[10:11], vcc, 1.0, v[4:5], 1.0
	v_mov_b32_e32 v1, 0
	v_fma_f64 v[12:13], -v[6:7], v[8:9], 1.0
	v_fmac_f64_e32 v[8:9], v[8:9], v[12:13]
	v_fma_f64 v[12:13], -v[6:7], v[8:9], 1.0
	v_fmac_f64_e32 v[8:9], v[8:9], v[12:13]
	v_mul_f64 v[12:13], v[10:11], v[8:9]
	v_fma_f64 v[6:7], -v[6:7], v[12:13], v[10:11]
	v_div_fmas_f64 v[6:7], v[6:7], v[8:9], v[12:13]
	v_div_fixup_f64 v[4:5], v[6:7], v[4:5], 1.0
	ds_write_b64 v1, v[4:5]
.LBB379_41:
	s_or_b64 exec, exec, s[0:1]
	v_cmp_gt_i32_e32 vcc, s22, v0
	s_waitcnt lgkmcnt(0)
	s_barrier
	s_and_saveexec_b64 s[0:1], vcc
	s_cbranch_execz .LBB379_44
; %bb.42:
	v_mov_b32_e32 v1, 0
	ds_read_b64 v[4:5], v1
	s_add_u32 s2, s12, s16
	s_addc_u32 s3, s13, s17
	s_mov_b64 s[0:1], 0
	v_mov_b32_e32 v6, s11
	v_mov_b32_e32 v7, s3
.LBB379_43:                             ; =>This Inner Loop Header: Depth=1
	v_ashrrev_i32_e32 v1, 31, v0
	v_lshlrev_b64 v[8:9], 3, v[0:1]
	v_add_co_u32_e32 v10, vcc, s10, v8
	v_addc_co_u32_e32 v11, vcc, v6, v9, vcc
	global_load_dwordx2 v[10:11], v[10:11], off
	v_add_co_u32_e32 v8, vcc, s2, v8
	v_add_u32_e32 v0, s20, v0
	v_addc_co_u32_e32 v9, vcc, v7, v9, vcc
	v_cmp_le_i32_e32 vcc, s22, v0
	s_or_b64 s[0:1], vcc, s[0:1]
	s_waitcnt vmcnt(0)
	v_add_f64 v[10:11], v[10:11], -v[2:3]
	v_cvt_f32_f64_e32 v1, v[10:11]
	v_mul_f32_e32 v1, 0x3fb8aa3b, v1
	v_exp_f32_e32 v1, v1
	v_cvt_f64_f32_e32 v[10:11], v1
	s_waitcnt lgkmcnt(0)
	v_mul_f64 v[10:11], v[4:5], v[10:11]
	global_store_dwordx2 v[8:9], v[10:11], off
	s_andn2_b64 exec, exec, s[0:1]
	s_cbranch_execnz .LBB379_43
.LBB379_44:
	s_endpgm
.LBB379_45:
	ds_read_b64 v[4:5], v14
	s_or_b64 exec, exec, s[0:1]
	s_and_saveexec_b64 s[0:1], s[4:5]
	s_cbranch_execz .LBB379_39
.LBB379_46:
	s_waitcnt lgkmcnt(0)
	ds_bpermute_b32 v6, v1, v4
	ds_bpermute_b32 v7, v1, v5
	s_waitcnt lgkmcnt(0)
	v_add_f64 v[4:5], v[4:5], v[6:7]
	ds_bpermute_b32 v6, v8, v4
	ds_bpermute_b32 v7, v8, v5
	s_waitcnt lgkmcnt(0)
	v_add_f64 v[4:5], v[4:5], v[6:7]
	;; [unrolled: 4-line block ×6, first 2 shown]
	s_or_b64 exec, exec, s[0:1]
	s_and_saveexec_b64 s[0:1], s[8:9]
	s_cbranch_execnz .LBB379_40
	s_branch .LBB379_41
	.section	.rodata,"a",@progbits
	.p2align	6, 0x0
	.amdhsa_kernel _ZN2at6native12_GLOBAL__N_123cunn_SoftMaxForwardFastILi2EdddNS1_29SoftMaxForwardWithMulEpilogueEEEvPT2_PKT0_i
		.amdhsa_group_segment_fixed_size 0
		.amdhsa_private_segment_fixed_size 0
		.amdhsa_kernarg_size 280
		.amdhsa_user_sgpr_count 6
		.amdhsa_user_sgpr_private_segment_buffer 1
		.amdhsa_user_sgpr_dispatch_ptr 0
		.amdhsa_user_sgpr_queue_ptr 0
		.amdhsa_user_sgpr_kernarg_segment_ptr 1
		.amdhsa_user_sgpr_dispatch_id 0
		.amdhsa_user_sgpr_flat_scratch_init 0
		.amdhsa_user_sgpr_kernarg_preload_length 0
		.amdhsa_user_sgpr_kernarg_preload_offset 0
		.amdhsa_user_sgpr_private_segment_size 0
		.amdhsa_uses_dynamic_stack 0
		.amdhsa_system_sgpr_private_segment_wavefront_offset 0
		.amdhsa_system_sgpr_workgroup_id_x 1
		.amdhsa_system_sgpr_workgroup_id_y 0
		.amdhsa_system_sgpr_workgroup_id_z 0
		.amdhsa_system_sgpr_workgroup_info 0
		.amdhsa_system_vgpr_workitem_id 0
		.amdhsa_next_free_vgpr 22
		.amdhsa_next_free_sgpr 26
		.amdhsa_accum_offset 24
		.amdhsa_reserve_vcc 1
		.amdhsa_reserve_flat_scratch 0
		.amdhsa_float_round_mode_32 0
		.amdhsa_float_round_mode_16_64 0
		.amdhsa_float_denorm_mode_32 3
		.amdhsa_float_denorm_mode_16_64 3
		.amdhsa_dx10_clamp 1
		.amdhsa_ieee_mode 1
		.amdhsa_fp16_overflow 0
		.amdhsa_tg_split 0
		.amdhsa_exception_fp_ieee_invalid_op 0
		.amdhsa_exception_fp_denorm_src 0
		.amdhsa_exception_fp_ieee_div_zero 0
		.amdhsa_exception_fp_ieee_overflow 0
		.amdhsa_exception_fp_ieee_underflow 0
		.amdhsa_exception_fp_ieee_inexact 0
		.amdhsa_exception_int_div_zero 0
	.end_amdhsa_kernel
	.section	.text._ZN2at6native12_GLOBAL__N_123cunn_SoftMaxForwardFastILi2EdddNS1_29SoftMaxForwardWithMulEpilogueEEEvPT2_PKT0_i,"axG",@progbits,_ZN2at6native12_GLOBAL__N_123cunn_SoftMaxForwardFastILi2EdddNS1_29SoftMaxForwardWithMulEpilogueEEEvPT2_PKT0_i,comdat
.Lfunc_end379:
	.size	_ZN2at6native12_GLOBAL__N_123cunn_SoftMaxForwardFastILi2EdddNS1_29SoftMaxForwardWithMulEpilogueEEEvPT2_PKT0_i, .Lfunc_end379-_ZN2at6native12_GLOBAL__N_123cunn_SoftMaxForwardFastILi2EdddNS1_29SoftMaxForwardWithMulEpilogueEEEvPT2_PKT0_i
                                        ; -- End function
	.section	.AMDGPU.csdata,"",@progbits
; Kernel info:
; codeLenInByte = 2712
; NumSgprs: 30
; NumVgprs: 22
; NumAgprs: 0
; TotalNumVgprs: 22
; ScratchSize: 0
; MemoryBound: 0
; FloatMode: 240
; IeeeMode: 1
; LDSByteSize: 0 bytes/workgroup (compile time only)
; SGPRBlocks: 3
; VGPRBlocks: 2
; NumSGPRsForWavesPerEU: 30
; NumVGPRsForWavesPerEU: 22
; AccumOffset: 24
; Occupancy: 8
; WaveLimiterHint : 0
; COMPUTE_PGM_RSRC2:SCRATCH_EN: 0
; COMPUTE_PGM_RSRC2:USER_SGPR: 6
; COMPUTE_PGM_RSRC2:TRAP_HANDLER: 0
; COMPUTE_PGM_RSRC2:TGID_X_EN: 1
; COMPUTE_PGM_RSRC2:TGID_Y_EN: 0
; COMPUTE_PGM_RSRC2:TGID_Z_EN: 0
; COMPUTE_PGM_RSRC2:TIDIG_COMP_CNT: 0
; COMPUTE_PGM_RSRC3_GFX90A:ACCUM_OFFSET: 5
; COMPUTE_PGM_RSRC3_GFX90A:TG_SPLIT: 0
	.section	.text._ZN12_GLOBAL__N_120softmax_warp_forwardIfffLi0ELb0ELb0ELi64EEEvPT0_PKT_iiiPKbib,"axG",@progbits,_ZN12_GLOBAL__N_120softmax_warp_forwardIfffLi0ELb0ELb0ELi64EEEvPT0_PKT_iiiPKbib,comdat
	.globl	_ZN12_GLOBAL__N_120softmax_warp_forwardIfffLi0ELb0ELb0ELi64EEEvPT0_PKT_iiiPKbib ; -- Begin function _ZN12_GLOBAL__N_120softmax_warp_forwardIfffLi0ELb0ELb0ELi64EEEvPT0_PKT_iiiPKbib
	.p2align	8
	.type	_ZN12_GLOBAL__N_120softmax_warp_forwardIfffLi0ELb0ELb0ELi64EEEvPT0_PKT_iiiPKbib,@function
_ZN12_GLOBAL__N_120softmax_warp_forwardIfffLi0ELb0ELb0ELi64EEEvPT0_PKT_iiiPKbib: ; @_ZN12_GLOBAL__N_120softmax_warp_forwardIfffLi0ELb0ELb0ELi64EEEvPT0_PKT_iiiPKbib
; %bb.0:
	s_load_dword s0, s[4:5], 0x3c
	s_load_dwordx8 s[8:15], s[4:5], 0x0
	v_bfe_u32 v1, v0, 10, 10
	v_and_b32_e32 v2, 0x3ff, v0
	s_waitcnt lgkmcnt(0)
	s_lshr_b32 s0, s0, 16
	s_mul_i32 s6, s6, s0
	v_add_lshl_u32 v1, s6, v1, 1
	v_sub_u32_e32 v6, s12, v1
	v_mad_u64_u32 v[0:1], s[0:1], v1, s13, v[2:3]
	v_ashrrev_i32_e32 v1, 31, v0
	v_lshlrev_b64 v[0:1], 2, v[0:1]
	v_mov_b32_e32 v3, s11
	v_add_co_u32_e32 v4, vcc, s10, v0
	v_addc_co_u32_e32 v5, vcc, v3, v1, vcc
	v_cmp_gt_i32_e64 s[0:1], s14, v2
	v_cmp_lt_i32_e32 vcc, 0, v6
	s_and_b64 s[4:5], s[0:1], vcc
	v_mov_b32_e32 v3, 0xff800000
	v_mov_b32_e32 v2, 0xff800000
	s_and_saveexec_b64 s[2:3], s[4:5]
	s_cbranch_execz .LBB380_2
; %bb.1:
	global_load_dword v2, v[4:5], off
.LBB380_2:
	s_or_b64 exec, exec, s[2:3]
	v_cmp_lt_i32_e64 s[2:3], 1, v6
	s_and_b64 s[2:3], s[0:1], s[2:3]
	s_and_saveexec_b64 s[4:5], s[2:3]
	s_cbranch_execz .LBB380_4
; %bb.3:
	s_mov_b32 s15, 0
	s_lshl_b64 s[2:3], s[14:15], 2
	v_mov_b32_e32 v3, s3
	v_add_co_u32_e64 v4, s[2:3], s2, v4
	v_addc_co_u32_e64 v5, s[2:3], v5, v3, s[2:3]
	global_load_dword v3, v[4:5], off
.LBB380_4:
	s_or_b64 exec, exec, s[4:5]
	s_and_saveexec_b64 s[2:3], vcc
	s_cbranch_execz .LBB380_12
; %bb.5:
	s_waitcnt vmcnt(0)
	v_pk_add_f32 v[4:5], v[2:3], v[2:3] neg_lo:[0,1] neg_hi:[0,1]
	s_mov_b32 s2, 0x3fb8aa3b
	v_mul_f32_e32 v2, 0x3fb8aa3b, v5
	v_fma_f32 v3, v5, s2, -v2
	v_rndne_f32_e32 v7, v2
	v_fmac_f32_e32 v3, 0x32a5705f, v5
	v_sub_f32_e32 v2, v2, v7
	v_add_f32_e32 v2, v2, v3
	v_exp_f32_e32 v2, v2
	v_cvt_i32_f32_e32 v3, v7
	s_mov_b32 s3, 0xc2ce8ed0
	v_cmp_ngt_f32_e32 vcc, s3, v5
	s_mov_b32 s4, 0x42b17218
	v_ldexp_f32 v2, v2, v3
	v_mul_f32_e32 v3, 0x3fb8aa3b, v4
	v_fma_f32 v7, v4, s2, -v3
	v_rndne_f32_e32 v8, v3
	v_fmac_f32_e32 v7, 0x32a5705f, v4
	v_sub_f32_e32 v3, v3, v8
	v_add_f32_e32 v3, v3, v7
	v_exp_f32_e32 v3, v3
	v_cvt_i32_f32_e32 v7, v8
	v_cndmask_b32_e32 v2, 0, v2, vcc
	v_mov_b32_e32 v8, 0x7f800000
	v_cmp_nlt_f32_e32 vcc, s4, v5
	v_cndmask_b32_e32 v2, v8, v2, vcc
	v_ldexp_f32 v3, v3, v7
	v_cmp_ngt_f32_e32 vcc, s3, v4
	v_cndmask_b32_e32 v3, 0, v3, vcc
	v_cmp_nlt_f32_e32 vcc, s4, v4
	v_cndmask_b32_e32 v3, v8, v3, vcc
	v_mov_b32_e32 v4, s9
	v_add_co_u32_e32 v0, vcc, s8, v0
	v_addc_co_u32_e32 v1, vcc, v4, v1, vcc
	s_and_saveexec_b64 s[2:3], s[0:1]
	s_cbranch_execz .LBB380_9
; %bb.6:
	v_cmp_neq_f32_e32 vcc, 0, v3
	v_mov_b32_e32 v4, 0x7fc00000
	s_and_saveexec_b64 s[4:5], vcc
; %bb.7:
	v_div_scale_f32 v4, vcc, v3, v3, v3
	v_rcp_f32_e32 v5, v4
	v_fma_f32 v7, -v4, v5, 1.0
	v_fmac_f32_e32 v5, v7, v5
	v_mul_f32_e32 v7, v4, v5
	v_fma_f32 v8, -v4, v7, v4
	v_fmac_f32_e32 v7, v8, v5
	v_fma_f32 v4, -v4, v7, v4
	v_div_fmas_f32 v4, v4, v5, v7
	v_div_fixup_f32 v4, v4, v3, v3
; %bb.8:
	s_or_b64 exec, exec, s[4:5]
	global_store_dword v[0:1], v4, off
.LBB380_9:
	s_or_b64 exec, exec, s[2:3]
	v_cmp_ne_u32_e32 vcc, 1, v6
	s_and_b64 exec, exec, vcc
	s_cbranch_execz .LBB380_12
; %bb.10:
	s_and_b64 exec, exec, s[0:1]
	s_cbranch_execz .LBB380_12
; %bb.11:
	v_div_scale_f32 v3, vcc, v2, v2, v2
	v_rcp_f32_e32 v4, v3
	s_mov_b32 s15, 0
	s_lshl_b64 s[0:1], s[14:15], 2
	v_fma_f32 v5, -v3, v4, 1.0
	v_fmac_f32_e32 v4, v5, v4
	v_mul_f32_e32 v5, v3, v4
	v_fma_f32 v6, -v3, v5, v3
	v_fmac_f32_e32 v5, v6, v4
	v_fma_f32 v3, -v3, v5, v3
	v_div_fmas_f32 v3, v3, v4, v5
	v_mov_b32_e32 v4, s1
	v_add_co_u32_e32 v0, vcc, s0, v0
	v_addc_co_u32_e32 v1, vcc, v1, v4, vcc
	v_div_fixup_f32 v3, v3, v2, v2
	v_mov_b32_e32 v4, 0x7fc00000
	v_cmp_neq_f32_e32 vcc, 0, v2
	v_cndmask_b32_e32 v2, v4, v3, vcc
	global_store_dword v[0:1], v2, off
.LBB380_12:
	s_endpgm
	.section	.rodata,"a",@progbits
	.p2align	6, 0x0
	.amdhsa_kernel _ZN12_GLOBAL__N_120softmax_warp_forwardIfffLi0ELb0ELb0ELi64EEEvPT0_PKT_iiiPKbib
		.amdhsa_group_segment_fixed_size 0
		.amdhsa_private_segment_fixed_size 0
		.amdhsa_kernarg_size 304
		.amdhsa_user_sgpr_count 6
		.amdhsa_user_sgpr_private_segment_buffer 1
		.amdhsa_user_sgpr_dispatch_ptr 0
		.amdhsa_user_sgpr_queue_ptr 0
		.amdhsa_user_sgpr_kernarg_segment_ptr 1
		.amdhsa_user_sgpr_dispatch_id 0
		.amdhsa_user_sgpr_flat_scratch_init 0
		.amdhsa_user_sgpr_kernarg_preload_length 0
		.amdhsa_user_sgpr_kernarg_preload_offset 0
		.amdhsa_user_sgpr_private_segment_size 0
		.amdhsa_uses_dynamic_stack 0
		.amdhsa_system_sgpr_private_segment_wavefront_offset 0
		.amdhsa_system_sgpr_workgroup_id_x 1
		.amdhsa_system_sgpr_workgroup_id_y 0
		.amdhsa_system_sgpr_workgroup_id_z 0
		.amdhsa_system_sgpr_workgroup_info 0
		.amdhsa_system_vgpr_workitem_id 1
		.amdhsa_next_free_vgpr 9
		.amdhsa_next_free_sgpr 16
		.amdhsa_accum_offset 12
		.amdhsa_reserve_vcc 1
		.amdhsa_reserve_flat_scratch 0
		.amdhsa_float_round_mode_32 0
		.amdhsa_float_round_mode_16_64 0
		.amdhsa_float_denorm_mode_32 3
		.amdhsa_float_denorm_mode_16_64 3
		.amdhsa_dx10_clamp 1
		.amdhsa_ieee_mode 1
		.amdhsa_fp16_overflow 0
		.amdhsa_tg_split 0
		.amdhsa_exception_fp_ieee_invalid_op 0
		.amdhsa_exception_fp_denorm_src 0
		.amdhsa_exception_fp_ieee_div_zero 0
		.amdhsa_exception_fp_ieee_overflow 0
		.amdhsa_exception_fp_ieee_underflow 0
		.amdhsa_exception_fp_ieee_inexact 0
		.amdhsa_exception_int_div_zero 0
	.end_amdhsa_kernel
	.section	.text._ZN12_GLOBAL__N_120softmax_warp_forwardIfffLi0ELb0ELb0ELi64EEEvPT0_PKT_iiiPKbib,"axG",@progbits,_ZN12_GLOBAL__N_120softmax_warp_forwardIfffLi0ELb0ELb0ELi64EEEvPT0_PKT_iiiPKbib,comdat
.Lfunc_end380:
	.size	_ZN12_GLOBAL__N_120softmax_warp_forwardIfffLi0ELb0ELb0ELi64EEEvPT0_PKT_iiiPKbib, .Lfunc_end380-_ZN12_GLOBAL__N_120softmax_warp_forwardIfffLi0ELb0ELb0ELi64EEEvPT0_PKT_iiiPKbib
                                        ; -- End function
	.section	.AMDGPU.csdata,"",@progbits
; Kernel info:
; codeLenInByte = 636
; NumSgprs: 20
; NumVgprs: 9
; NumAgprs: 0
; TotalNumVgprs: 9
; ScratchSize: 0
; MemoryBound: 0
; FloatMode: 240
; IeeeMode: 1
; LDSByteSize: 0 bytes/workgroup (compile time only)
; SGPRBlocks: 2
; VGPRBlocks: 1
; NumSGPRsForWavesPerEU: 20
; NumVGPRsForWavesPerEU: 9
; AccumOffset: 12
; Occupancy: 8
; WaveLimiterHint : 0
; COMPUTE_PGM_RSRC2:SCRATCH_EN: 0
; COMPUTE_PGM_RSRC2:USER_SGPR: 6
; COMPUTE_PGM_RSRC2:TRAP_HANDLER: 0
; COMPUTE_PGM_RSRC2:TGID_X_EN: 1
; COMPUTE_PGM_RSRC2:TGID_Y_EN: 0
; COMPUTE_PGM_RSRC2:TGID_Z_EN: 0
; COMPUTE_PGM_RSRC2:TIDIG_COMP_CNT: 1
; COMPUTE_PGM_RSRC3_GFX90A:ACCUM_OFFSET: 2
; COMPUTE_PGM_RSRC3_GFX90A:TG_SPLIT: 0
	.section	.text._ZN12_GLOBAL__N_120softmax_warp_forwardIfffLi0ELb0ELb0ELi32EEEvPT0_PKT_iiiPKbib,"axG",@progbits,_ZN12_GLOBAL__N_120softmax_warp_forwardIfffLi0ELb0ELb0ELi32EEEvPT0_PKT_iiiPKbib,comdat
	.globl	_ZN12_GLOBAL__N_120softmax_warp_forwardIfffLi0ELb0ELb0ELi32EEEvPT0_PKT_iiiPKbib ; -- Begin function _ZN12_GLOBAL__N_120softmax_warp_forwardIfffLi0ELb0ELb0ELi32EEEvPT0_PKT_iiiPKbib
	.p2align	8
	.type	_ZN12_GLOBAL__N_120softmax_warp_forwardIfffLi0ELb0ELb0ELi32EEEvPT0_PKT_iiiPKbib,@function
_ZN12_GLOBAL__N_120softmax_warp_forwardIfffLi0ELb0ELb0ELi32EEEvPT0_PKT_iiiPKbib: ; @_ZN12_GLOBAL__N_120softmax_warp_forwardIfffLi0ELb0ELb0ELi32EEEvPT0_PKT_iiiPKbib
; %bb.0:
	s_load_dword s0, s[4:5], 0x3c
	s_load_dwordx8 s[8:15], s[4:5], 0x0
	v_bfe_u32 v1, v0, 10, 10
	v_and_b32_e32 v2, 0x3ff, v0
	s_waitcnt lgkmcnt(0)
	s_lshr_b32 s0, s0, 16
	s_mul_i32 s6, s6, s0
	v_add_lshl_u32 v1, s6, v1, 1
	v_sub_u32_e32 v6, s12, v1
	v_mad_u64_u32 v[0:1], s[0:1], v1, s13, v[2:3]
	v_ashrrev_i32_e32 v1, 31, v0
	v_lshlrev_b64 v[0:1], 2, v[0:1]
	v_mov_b32_e32 v3, s11
	v_add_co_u32_e32 v4, vcc, s10, v0
	v_addc_co_u32_e32 v5, vcc, v3, v1, vcc
	v_cmp_gt_i32_e64 s[0:1], s14, v2
	v_cmp_lt_i32_e32 vcc, 0, v6
	s_and_b64 s[4:5], s[0:1], vcc
	v_mov_b32_e32 v3, 0xff800000
	v_mov_b32_e32 v2, 0xff800000
	s_and_saveexec_b64 s[2:3], s[4:5]
	s_cbranch_execz .LBB381_2
; %bb.1:
	global_load_dword v2, v[4:5], off
.LBB381_2:
	s_or_b64 exec, exec, s[2:3]
	v_cmp_lt_i32_e64 s[2:3], 1, v6
	s_and_b64 s[2:3], s[0:1], s[2:3]
	s_and_saveexec_b64 s[4:5], s[2:3]
	s_cbranch_execz .LBB381_4
; %bb.3:
	s_mov_b32 s15, 0
	s_lshl_b64 s[2:3], s[14:15], 2
	v_mov_b32_e32 v3, s3
	v_add_co_u32_e64 v4, s[2:3], s2, v4
	v_addc_co_u32_e64 v5, s[2:3], v5, v3, s[2:3]
	global_load_dword v3, v[4:5], off
.LBB381_4:
	s_or_b64 exec, exec, s[4:5]
	s_and_saveexec_b64 s[2:3], vcc
	s_cbranch_execz .LBB381_12
; %bb.5:
	s_waitcnt vmcnt(0)
	v_pk_add_f32 v[4:5], v[2:3], v[2:3] neg_lo:[0,1] neg_hi:[0,1]
	s_mov_b32 s2, 0x3fb8aa3b
	v_mul_f32_e32 v2, 0x3fb8aa3b, v5
	v_fma_f32 v3, v5, s2, -v2
	v_rndne_f32_e32 v7, v2
	v_fmac_f32_e32 v3, 0x32a5705f, v5
	v_sub_f32_e32 v2, v2, v7
	v_add_f32_e32 v2, v2, v3
	v_exp_f32_e32 v2, v2
	v_cvt_i32_f32_e32 v3, v7
	s_mov_b32 s3, 0xc2ce8ed0
	v_cmp_ngt_f32_e32 vcc, s3, v5
	s_mov_b32 s4, 0x42b17218
	v_ldexp_f32 v2, v2, v3
	v_mul_f32_e32 v3, 0x3fb8aa3b, v4
	v_fma_f32 v7, v4, s2, -v3
	v_rndne_f32_e32 v8, v3
	v_fmac_f32_e32 v7, 0x32a5705f, v4
	v_sub_f32_e32 v3, v3, v8
	v_add_f32_e32 v3, v3, v7
	v_exp_f32_e32 v3, v3
	v_cvt_i32_f32_e32 v7, v8
	v_cndmask_b32_e32 v2, 0, v2, vcc
	v_mov_b32_e32 v8, 0x7f800000
	v_cmp_nlt_f32_e32 vcc, s4, v5
	v_cndmask_b32_e32 v2, v8, v2, vcc
	v_ldexp_f32 v3, v3, v7
	v_cmp_ngt_f32_e32 vcc, s3, v4
	v_cndmask_b32_e32 v3, 0, v3, vcc
	v_cmp_nlt_f32_e32 vcc, s4, v4
	v_cndmask_b32_e32 v3, v8, v3, vcc
	v_mov_b32_e32 v4, s9
	v_add_co_u32_e32 v0, vcc, s8, v0
	v_addc_co_u32_e32 v1, vcc, v4, v1, vcc
	s_and_saveexec_b64 s[2:3], s[0:1]
	s_cbranch_execz .LBB381_9
; %bb.6:
	v_cmp_neq_f32_e32 vcc, 0, v3
	v_mov_b32_e32 v4, 0x7fc00000
	s_and_saveexec_b64 s[4:5], vcc
; %bb.7:
	v_div_scale_f32 v4, vcc, v3, v3, v3
	v_rcp_f32_e32 v5, v4
	v_fma_f32 v7, -v4, v5, 1.0
	v_fmac_f32_e32 v5, v7, v5
	v_mul_f32_e32 v7, v4, v5
	v_fma_f32 v8, -v4, v7, v4
	v_fmac_f32_e32 v7, v8, v5
	v_fma_f32 v4, -v4, v7, v4
	v_div_fmas_f32 v4, v4, v5, v7
	v_div_fixup_f32 v4, v4, v3, v3
; %bb.8:
	s_or_b64 exec, exec, s[4:5]
	global_store_dword v[0:1], v4, off
.LBB381_9:
	s_or_b64 exec, exec, s[2:3]
	v_cmp_ne_u32_e32 vcc, 1, v6
	s_and_b64 exec, exec, vcc
	s_cbranch_execz .LBB381_12
; %bb.10:
	s_and_b64 exec, exec, s[0:1]
	s_cbranch_execz .LBB381_12
; %bb.11:
	v_div_scale_f32 v3, vcc, v2, v2, v2
	v_rcp_f32_e32 v4, v3
	s_mov_b32 s15, 0
	s_lshl_b64 s[0:1], s[14:15], 2
	v_fma_f32 v5, -v3, v4, 1.0
	v_fmac_f32_e32 v4, v5, v4
	v_mul_f32_e32 v5, v3, v4
	v_fma_f32 v6, -v3, v5, v3
	v_fmac_f32_e32 v5, v6, v4
	v_fma_f32 v3, -v3, v5, v3
	v_div_fmas_f32 v3, v3, v4, v5
	v_mov_b32_e32 v4, s1
	v_add_co_u32_e32 v0, vcc, s0, v0
	v_addc_co_u32_e32 v1, vcc, v1, v4, vcc
	v_div_fixup_f32 v3, v3, v2, v2
	v_mov_b32_e32 v4, 0x7fc00000
	v_cmp_neq_f32_e32 vcc, 0, v2
	v_cndmask_b32_e32 v2, v4, v3, vcc
	global_store_dword v[0:1], v2, off
.LBB381_12:
	s_endpgm
	.section	.rodata,"a",@progbits
	.p2align	6, 0x0
	.amdhsa_kernel _ZN12_GLOBAL__N_120softmax_warp_forwardIfffLi0ELb0ELb0ELi32EEEvPT0_PKT_iiiPKbib
		.amdhsa_group_segment_fixed_size 0
		.amdhsa_private_segment_fixed_size 0
		.amdhsa_kernarg_size 304
		.amdhsa_user_sgpr_count 6
		.amdhsa_user_sgpr_private_segment_buffer 1
		.amdhsa_user_sgpr_dispatch_ptr 0
		.amdhsa_user_sgpr_queue_ptr 0
		.amdhsa_user_sgpr_kernarg_segment_ptr 1
		.amdhsa_user_sgpr_dispatch_id 0
		.amdhsa_user_sgpr_flat_scratch_init 0
		.amdhsa_user_sgpr_kernarg_preload_length 0
		.amdhsa_user_sgpr_kernarg_preload_offset 0
		.amdhsa_user_sgpr_private_segment_size 0
		.amdhsa_uses_dynamic_stack 0
		.amdhsa_system_sgpr_private_segment_wavefront_offset 0
		.amdhsa_system_sgpr_workgroup_id_x 1
		.amdhsa_system_sgpr_workgroup_id_y 0
		.amdhsa_system_sgpr_workgroup_id_z 0
		.amdhsa_system_sgpr_workgroup_info 0
		.amdhsa_system_vgpr_workitem_id 1
		.amdhsa_next_free_vgpr 9
		.amdhsa_next_free_sgpr 16
		.amdhsa_accum_offset 12
		.amdhsa_reserve_vcc 1
		.amdhsa_reserve_flat_scratch 0
		.amdhsa_float_round_mode_32 0
		.amdhsa_float_round_mode_16_64 0
		.amdhsa_float_denorm_mode_32 3
		.amdhsa_float_denorm_mode_16_64 3
		.amdhsa_dx10_clamp 1
		.amdhsa_ieee_mode 1
		.amdhsa_fp16_overflow 0
		.amdhsa_tg_split 0
		.amdhsa_exception_fp_ieee_invalid_op 0
		.amdhsa_exception_fp_denorm_src 0
		.amdhsa_exception_fp_ieee_div_zero 0
		.amdhsa_exception_fp_ieee_overflow 0
		.amdhsa_exception_fp_ieee_underflow 0
		.amdhsa_exception_fp_ieee_inexact 0
		.amdhsa_exception_int_div_zero 0
	.end_amdhsa_kernel
	.section	.text._ZN12_GLOBAL__N_120softmax_warp_forwardIfffLi0ELb0ELb0ELi32EEEvPT0_PKT_iiiPKbib,"axG",@progbits,_ZN12_GLOBAL__N_120softmax_warp_forwardIfffLi0ELb0ELb0ELi32EEEvPT0_PKT_iiiPKbib,comdat
.Lfunc_end381:
	.size	_ZN12_GLOBAL__N_120softmax_warp_forwardIfffLi0ELb0ELb0ELi32EEEvPT0_PKT_iiiPKbib, .Lfunc_end381-_ZN12_GLOBAL__N_120softmax_warp_forwardIfffLi0ELb0ELb0ELi32EEEvPT0_PKT_iiiPKbib
                                        ; -- End function
	.section	.AMDGPU.csdata,"",@progbits
; Kernel info:
; codeLenInByte = 636
; NumSgprs: 20
; NumVgprs: 9
; NumAgprs: 0
; TotalNumVgprs: 9
; ScratchSize: 0
; MemoryBound: 0
; FloatMode: 240
; IeeeMode: 1
; LDSByteSize: 0 bytes/workgroup (compile time only)
; SGPRBlocks: 2
; VGPRBlocks: 1
; NumSGPRsForWavesPerEU: 20
; NumVGPRsForWavesPerEU: 9
; AccumOffset: 12
; Occupancy: 8
; WaveLimiterHint : 0
; COMPUTE_PGM_RSRC2:SCRATCH_EN: 0
; COMPUTE_PGM_RSRC2:USER_SGPR: 6
; COMPUTE_PGM_RSRC2:TRAP_HANDLER: 0
; COMPUTE_PGM_RSRC2:TGID_X_EN: 1
; COMPUTE_PGM_RSRC2:TGID_Y_EN: 0
; COMPUTE_PGM_RSRC2:TGID_Z_EN: 0
; COMPUTE_PGM_RSRC2:TIDIG_COMP_CNT: 1
; COMPUTE_PGM_RSRC3_GFX90A:ACCUM_OFFSET: 2
; COMPUTE_PGM_RSRC3_GFX90A:TG_SPLIT: 0
	.section	.text._ZN12_GLOBAL__N_120softmax_warp_forwardIfffLi1ELb0ELb0ELi64EEEvPT0_PKT_iiiPKbib,"axG",@progbits,_ZN12_GLOBAL__N_120softmax_warp_forwardIfffLi1ELb0ELb0ELi64EEEvPT0_PKT_iiiPKbib,comdat
	.globl	_ZN12_GLOBAL__N_120softmax_warp_forwardIfffLi1ELb0ELb0ELi64EEEvPT0_PKT_iiiPKbib ; -- Begin function _ZN12_GLOBAL__N_120softmax_warp_forwardIfffLi1ELb0ELb0ELi64EEEvPT0_PKT_iiiPKbib
	.p2align	8
	.type	_ZN12_GLOBAL__N_120softmax_warp_forwardIfffLi1ELb0ELb0ELi64EEEvPT0_PKT_iiiPKbib,@function
_ZN12_GLOBAL__N_120softmax_warp_forwardIfffLi1ELb0ELb0ELi64EEEvPT0_PKT_iiiPKbib: ; @_ZN12_GLOBAL__N_120softmax_warp_forwardIfffLi1ELb0ELb0ELi64EEEvPT0_PKT_iiiPKbib
; %bb.0:
	s_load_dword s0, s[4:5], 0x3c
	s_load_dwordx8 s[8:15], s[4:5], 0x0
	v_bfe_u32 v1, v0, 10, 10
	v_and_b32_e32 v2, 0x3ff, v0
	s_waitcnt lgkmcnt(0)
	s_lshr_b32 s0, s0, 16
	s_mul_i32 s6, s6, s0
	v_add_lshl_u32 v1, s6, v1, 1
	v_sub_u32_e32 v6, s12, v1
	v_mad_u64_u32 v[0:1], s[0:1], v1, s13, v[2:3]
	v_ashrrev_i32_e32 v1, 31, v0
	v_lshlrev_b64 v[0:1], 2, v[0:1]
	v_mov_b32_e32 v3, s11
	v_add_co_u32_e32 v4, vcc, s10, v0
	v_addc_co_u32_e32 v5, vcc, v3, v1, vcc
	v_cmp_gt_i32_e64 s[0:1], s14, v2
	v_cmp_lt_i32_e32 vcc, 0, v6
	s_and_b64 s[4:5], s[0:1], vcc
	v_mov_b32_e32 v3, 0xff800000
	v_mov_b32_e32 v2, 0xff800000
	s_and_saveexec_b64 s[2:3], s[4:5]
	s_cbranch_execz .LBB382_2
; %bb.1:
	global_load_dword v2, v[4:5], off
.LBB382_2:
	s_or_b64 exec, exec, s[2:3]
	v_cmp_lt_i32_e64 s[2:3], 1, v6
	s_and_b64 s[2:3], s[0:1], s[2:3]
	s_and_saveexec_b64 s[4:5], s[2:3]
	s_cbranch_execz .LBB382_4
; %bb.3:
	s_mov_b32 s15, 0
	s_lshl_b64 s[2:3], s[14:15], 2
	v_mov_b32_e32 v3, s3
	v_add_co_u32_e64 v4, s[2:3], s2, v4
	v_addc_co_u32_e64 v5, s[2:3], v5, v3, s[2:3]
	global_load_dword v3, v[4:5], off
.LBB382_4:
	s_or_b64 exec, exec, s[4:5]
	v_mbcnt_lo_u32_b32 v4, -1, 0
	v_mbcnt_hi_u32_b32 v4, -1, v4
	v_and_b32_e32 v7, 0x7e, v4
	v_xor_b32_e32 v5, 1, v4
	v_add_u32_e32 v7, 2, v7
	v_cmp_lt_i32_e64 s[2:3], v5, v7
	v_cndmask_b32_e64 v4, v4, v5, s[2:3]
	v_lshlrev_b32_e32 v7, 2, v4
	s_waitcnt vmcnt(0)
	ds_bpermute_b32 v4, v7, v3
	ds_bpermute_b32 v8, v7, v2
	s_mov_b32 s4, 0x3fb8aa3b
	s_mov_b32 s5, 0xc2ce8ed0
	;; [unrolled: 1-line block ×3, first 2 shown]
	s_waitcnt lgkmcnt(1)
	v_cmp_lt_f32_e64 s[2:3], v3, v4
	v_cndmask_b32_e64 v5, v3, v4, s[2:3]
	s_waitcnt lgkmcnt(0)
	v_cmp_lt_f32_e64 s[2:3], v2, v8
	v_cndmask_b32_e64 v4, v2, v8, s[2:3]
	v_pk_add_f32 v[2:3], v[2:3], v[4:5] neg_lo:[0,1] neg_hi:[0,1]
	v_mul_f32_e32 v4, 0x3fb8aa3b, v3
	v_fma_f32 v5, v3, s4, -v4
	v_rndne_f32_e32 v8, v4
	v_fmac_f32_e32 v5, 0x32a5705f, v3
	v_sub_f32_e32 v4, v4, v8
	v_add_f32_e32 v4, v4, v5
	v_exp_f32_e32 v4, v4
	v_cvt_i32_f32_e32 v5, v8
	v_cmp_ngt_f32_e64 s[2:3], s5, v3
	v_ldexp_f32 v4, v4, v5
	v_mul_f32_e32 v5, 0x3fb8aa3b, v2
	v_fma_f32 v8, v2, s4, -v5
	v_rndne_f32_e32 v9, v5
	v_fmac_f32_e32 v8, 0x32a5705f, v2
	v_sub_f32_e32 v5, v5, v9
	v_add_f32_e32 v5, v5, v8
	v_exp_f32_e32 v5, v5
	v_cvt_i32_f32_e32 v8, v9
	v_cndmask_b32_e64 v4, 0, v4, s[2:3]
	v_mov_b32_e32 v9, 0x7f800000
	v_cmp_nlt_f32_e64 s[2:3], s6, v3
	v_cndmask_b32_e64 v3, v9, v4, s[2:3]
	v_ldexp_f32 v4, v5, v8
	v_cmp_ngt_f32_e64 s[2:3], s5, v2
	v_cndmask_b32_e64 v4, 0, v4, s[2:3]
	v_cmp_nlt_f32_e64 s[2:3], s6, v2
	v_cndmask_b32_e64 v2, v9, v4, s[2:3]
	ds_bpermute_b32 v4, v7, v2
	ds_bpermute_b32 v5, v7, v3
	s_and_saveexec_b64 s[2:3], vcc
	s_cbranch_execz .LBB382_12
; %bb.5:
	v_mov_b32_e32 v7, s9
	v_add_co_u32_e32 v0, vcc, s8, v0
	v_addc_co_u32_e32 v1, vcc, v7, v1, vcc
	s_waitcnt lgkmcnt(0)
	v_pk_add_f32 v[4:5], v[2:3], v[4:5]
	s_and_saveexec_b64 s[2:3], s[0:1]
	s_cbranch_execz .LBB382_9
; %bb.6:
	v_cmp_neq_f32_e32 vcc, 0, v4
	v_mov_b32_e32 v7, 0x7fc00000
	s_and_saveexec_b64 s[4:5], vcc
; %bb.7:
	v_div_scale_f32 v7, s[6:7], v4, v4, v2
	v_rcp_f32_e32 v8, v7
	v_div_scale_f32 v9, vcc, v2, v4, v2
	v_fma_f32 v10, -v7, v8, 1.0
	v_fmac_f32_e32 v8, v10, v8
	v_mul_f32_e32 v10, v9, v8
	v_fma_f32 v11, -v7, v10, v9
	v_fmac_f32_e32 v10, v11, v8
	v_fma_f32 v7, -v7, v10, v9
	v_div_fmas_f32 v7, v7, v8, v10
	v_div_fixup_f32 v7, v7, v4, v2
; %bb.8:
	s_or_b64 exec, exec, s[4:5]
	global_store_dword v[0:1], v7, off
.LBB382_9:
	s_or_b64 exec, exec, s[2:3]
	v_cmp_ne_u32_e32 vcc, 1, v6
	s_and_b64 exec, exec, vcc
	s_cbranch_execz .LBB382_12
; %bb.10:
	s_and_b64 exec, exec, s[0:1]
	s_cbranch_execz .LBB382_12
; %bb.11:
	v_div_scale_f32 v2, s[0:1], v5, v5, v3
	v_rcp_f32_e32 v4, v2
	v_div_scale_f32 v6, vcc, v3, v5, v3
	s_mov_b32 s15, 0
	v_fma_f32 v7, -v2, v4, 1.0
	v_fmac_f32_e32 v4, v7, v4
	v_mul_f32_e32 v7, v6, v4
	v_fma_f32 v8, -v2, v7, v6
	v_fmac_f32_e32 v7, v8, v4
	v_fma_f32 v2, -v2, v7, v6
	v_div_fmas_f32 v2, v2, v4, v7
	s_lshl_b64 s[0:1], s[14:15], 2
	v_div_fixup_f32 v2, v2, v5, v3
	v_mov_b32_e32 v3, s1
	v_add_co_u32_e32 v0, vcc, s0, v0
	v_addc_co_u32_e32 v1, vcc, v1, v3, vcc
	v_mov_b32_e32 v3, 0x7fc00000
	v_cmp_neq_f32_e32 vcc, 0, v5
	v_cndmask_b32_e32 v2, v3, v2, vcc
	global_store_dword v[0:1], v2, off
.LBB382_12:
	s_endpgm
	.section	.rodata,"a",@progbits
	.p2align	6, 0x0
	.amdhsa_kernel _ZN12_GLOBAL__N_120softmax_warp_forwardIfffLi1ELb0ELb0ELi64EEEvPT0_PKT_iiiPKbib
		.amdhsa_group_segment_fixed_size 0
		.amdhsa_private_segment_fixed_size 0
		.amdhsa_kernarg_size 304
		.amdhsa_user_sgpr_count 6
		.amdhsa_user_sgpr_private_segment_buffer 1
		.amdhsa_user_sgpr_dispatch_ptr 0
		.amdhsa_user_sgpr_queue_ptr 0
		.amdhsa_user_sgpr_kernarg_segment_ptr 1
		.amdhsa_user_sgpr_dispatch_id 0
		.amdhsa_user_sgpr_flat_scratch_init 0
		.amdhsa_user_sgpr_kernarg_preload_length 0
		.amdhsa_user_sgpr_kernarg_preload_offset 0
		.amdhsa_user_sgpr_private_segment_size 0
		.amdhsa_uses_dynamic_stack 0
		.amdhsa_system_sgpr_private_segment_wavefront_offset 0
		.amdhsa_system_sgpr_workgroup_id_x 1
		.amdhsa_system_sgpr_workgroup_id_y 0
		.amdhsa_system_sgpr_workgroup_id_z 0
		.amdhsa_system_sgpr_workgroup_info 0
		.amdhsa_system_vgpr_workitem_id 1
		.amdhsa_next_free_vgpr 12
		.amdhsa_next_free_sgpr 16
		.amdhsa_accum_offset 12
		.amdhsa_reserve_vcc 1
		.amdhsa_reserve_flat_scratch 0
		.amdhsa_float_round_mode_32 0
		.amdhsa_float_round_mode_16_64 0
		.amdhsa_float_denorm_mode_32 3
		.amdhsa_float_denorm_mode_16_64 3
		.amdhsa_dx10_clamp 1
		.amdhsa_ieee_mode 1
		.amdhsa_fp16_overflow 0
		.amdhsa_tg_split 0
		.amdhsa_exception_fp_ieee_invalid_op 0
		.amdhsa_exception_fp_denorm_src 0
		.amdhsa_exception_fp_ieee_div_zero 0
		.amdhsa_exception_fp_ieee_overflow 0
		.amdhsa_exception_fp_ieee_underflow 0
		.amdhsa_exception_fp_ieee_inexact 0
		.amdhsa_exception_int_div_zero 0
	.end_amdhsa_kernel
	.section	.text._ZN12_GLOBAL__N_120softmax_warp_forwardIfffLi1ELb0ELb0ELi64EEEvPT0_PKT_iiiPKbib,"axG",@progbits,_ZN12_GLOBAL__N_120softmax_warp_forwardIfffLi1ELb0ELb0ELi64EEEvPT0_PKT_iiiPKbib,comdat
.Lfunc_end382:
	.size	_ZN12_GLOBAL__N_120softmax_warp_forwardIfffLi1ELb0ELb0ELi64EEEvPT0_PKT_iiiPKbib, .Lfunc_end382-_ZN12_GLOBAL__N_120softmax_warp_forwardIfffLi1ELb0ELb0ELi64EEEvPT0_PKT_iiiPKbib
                                        ; -- End function
	.section	.AMDGPU.csdata,"",@progbits
; Kernel info:
; codeLenInByte = 820
; NumSgprs: 20
; NumVgprs: 12
; NumAgprs: 0
; TotalNumVgprs: 12
; ScratchSize: 0
; MemoryBound: 0
; FloatMode: 240
; IeeeMode: 1
; LDSByteSize: 0 bytes/workgroup (compile time only)
; SGPRBlocks: 2
; VGPRBlocks: 1
; NumSGPRsForWavesPerEU: 20
; NumVGPRsForWavesPerEU: 12
; AccumOffset: 12
; Occupancy: 8
; WaveLimiterHint : 0
; COMPUTE_PGM_RSRC2:SCRATCH_EN: 0
; COMPUTE_PGM_RSRC2:USER_SGPR: 6
; COMPUTE_PGM_RSRC2:TRAP_HANDLER: 0
; COMPUTE_PGM_RSRC2:TGID_X_EN: 1
; COMPUTE_PGM_RSRC2:TGID_Y_EN: 0
; COMPUTE_PGM_RSRC2:TGID_Z_EN: 0
; COMPUTE_PGM_RSRC2:TIDIG_COMP_CNT: 1
; COMPUTE_PGM_RSRC3_GFX90A:ACCUM_OFFSET: 2
; COMPUTE_PGM_RSRC3_GFX90A:TG_SPLIT: 0
	.section	.text._ZN12_GLOBAL__N_120softmax_warp_forwardIfffLi1ELb0ELb0ELi32EEEvPT0_PKT_iiiPKbib,"axG",@progbits,_ZN12_GLOBAL__N_120softmax_warp_forwardIfffLi1ELb0ELb0ELi32EEEvPT0_PKT_iiiPKbib,comdat
	.globl	_ZN12_GLOBAL__N_120softmax_warp_forwardIfffLi1ELb0ELb0ELi32EEEvPT0_PKT_iiiPKbib ; -- Begin function _ZN12_GLOBAL__N_120softmax_warp_forwardIfffLi1ELb0ELb0ELi32EEEvPT0_PKT_iiiPKbib
	.p2align	8
	.type	_ZN12_GLOBAL__N_120softmax_warp_forwardIfffLi1ELb0ELb0ELi32EEEvPT0_PKT_iiiPKbib,@function
_ZN12_GLOBAL__N_120softmax_warp_forwardIfffLi1ELb0ELb0ELi32EEEvPT0_PKT_iiiPKbib: ; @_ZN12_GLOBAL__N_120softmax_warp_forwardIfffLi1ELb0ELb0ELi32EEEvPT0_PKT_iiiPKbib
; %bb.0:
	s_load_dword s0, s[4:5], 0x3c
	s_load_dwordx8 s[8:15], s[4:5], 0x0
	v_bfe_u32 v1, v0, 10, 10
	v_and_b32_e32 v2, 0x3ff, v0
	s_waitcnt lgkmcnt(0)
	s_lshr_b32 s0, s0, 16
	s_mul_i32 s6, s6, s0
	v_add_lshl_u32 v1, s6, v1, 1
	v_sub_u32_e32 v6, s12, v1
	v_mad_u64_u32 v[0:1], s[0:1], v1, s13, v[2:3]
	v_ashrrev_i32_e32 v1, 31, v0
	v_lshlrev_b64 v[0:1], 2, v[0:1]
	v_mov_b32_e32 v3, s11
	v_add_co_u32_e32 v4, vcc, s10, v0
	v_addc_co_u32_e32 v5, vcc, v3, v1, vcc
	v_cmp_gt_i32_e64 s[0:1], s14, v2
	v_cmp_lt_i32_e32 vcc, 0, v6
	s_and_b64 s[4:5], s[0:1], vcc
	v_mov_b32_e32 v3, 0xff800000
	v_mov_b32_e32 v2, 0xff800000
	s_and_saveexec_b64 s[2:3], s[4:5]
	s_cbranch_execz .LBB383_2
; %bb.1:
	global_load_dword v2, v[4:5], off
.LBB383_2:
	s_or_b64 exec, exec, s[2:3]
	v_cmp_lt_i32_e64 s[2:3], 1, v6
	s_and_b64 s[2:3], s[0:1], s[2:3]
	s_and_saveexec_b64 s[4:5], s[2:3]
	s_cbranch_execz .LBB383_4
; %bb.3:
	s_mov_b32 s15, 0
	s_lshl_b64 s[2:3], s[14:15], 2
	v_mov_b32_e32 v3, s3
	v_add_co_u32_e64 v4, s[2:3], s2, v4
	v_addc_co_u32_e64 v5, s[2:3], v5, v3, s[2:3]
	global_load_dword v3, v[4:5], off
.LBB383_4:
	s_or_b64 exec, exec, s[4:5]
	v_mbcnt_lo_u32_b32 v4, -1, 0
	v_mbcnt_hi_u32_b32 v4, -1, v4
	v_and_b32_e32 v7, 0x7e, v4
	v_xor_b32_e32 v5, 1, v4
	v_add_u32_e32 v7, 2, v7
	v_cmp_lt_i32_e64 s[2:3], v5, v7
	v_cndmask_b32_e64 v4, v4, v5, s[2:3]
	v_lshlrev_b32_e32 v7, 2, v4
	s_waitcnt vmcnt(0)
	ds_bpermute_b32 v4, v7, v3
	ds_bpermute_b32 v8, v7, v2
	s_mov_b32 s4, 0x3fb8aa3b
	s_mov_b32 s5, 0xc2ce8ed0
	;; [unrolled: 1-line block ×3, first 2 shown]
	s_waitcnt lgkmcnt(1)
	v_cmp_lt_f32_e64 s[2:3], v3, v4
	v_cndmask_b32_e64 v5, v3, v4, s[2:3]
	s_waitcnt lgkmcnt(0)
	v_cmp_lt_f32_e64 s[2:3], v2, v8
	v_cndmask_b32_e64 v4, v2, v8, s[2:3]
	v_pk_add_f32 v[2:3], v[2:3], v[4:5] neg_lo:[0,1] neg_hi:[0,1]
	v_mul_f32_e32 v4, 0x3fb8aa3b, v3
	v_fma_f32 v5, v3, s4, -v4
	v_rndne_f32_e32 v8, v4
	v_fmac_f32_e32 v5, 0x32a5705f, v3
	v_sub_f32_e32 v4, v4, v8
	v_add_f32_e32 v4, v4, v5
	v_exp_f32_e32 v4, v4
	v_cvt_i32_f32_e32 v5, v8
	v_cmp_ngt_f32_e64 s[2:3], s5, v3
	v_ldexp_f32 v4, v4, v5
	v_mul_f32_e32 v5, 0x3fb8aa3b, v2
	v_fma_f32 v8, v2, s4, -v5
	v_rndne_f32_e32 v9, v5
	v_fmac_f32_e32 v8, 0x32a5705f, v2
	v_sub_f32_e32 v5, v5, v9
	v_add_f32_e32 v5, v5, v8
	v_exp_f32_e32 v5, v5
	v_cvt_i32_f32_e32 v8, v9
	v_cndmask_b32_e64 v4, 0, v4, s[2:3]
	v_mov_b32_e32 v9, 0x7f800000
	v_cmp_nlt_f32_e64 s[2:3], s6, v3
	v_cndmask_b32_e64 v3, v9, v4, s[2:3]
	v_ldexp_f32 v4, v5, v8
	v_cmp_ngt_f32_e64 s[2:3], s5, v2
	v_cndmask_b32_e64 v4, 0, v4, s[2:3]
	v_cmp_nlt_f32_e64 s[2:3], s6, v2
	v_cndmask_b32_e64 v2, v9, v4, s[2:3]
	ds_bpermute_b32 v4, v7, v2
	ds_bpermute_b32 v5, v7, v3
	s_and_saveexec_b64 s[2:3], vcc
	s_cbranch_execz .LBB383_12
; %bb.5:
	v_mov_b32_e32 v7, s9
	v_add_co_u32_e32 v0, vcc, s8, v0
	v_addc_co_u32_e32 v1, vcc, v7, v1, vcc
	s_waitcnt lgkmcnt(0)
	v_pk_add_f32 v[4:5], v[2:3], v[4:5]
	s_and_saveexec_b64 s[2:3], s[0:1]
	s_cbranch_execz .LBB383_9
; %bb.6:
	v_cmp_neq_f32_e32 vcc, 0, v4
	v_mov_b32_e32 v7, 0x7fc00000
	s_and_saveexec_b64 s[4:5], vcc
; %bb.7:
	v_div_scale_f32 v7, s[6:7], v4, v4, v2
	v_rcp_f32_e32 v8, v7
	v_div_scale_f32 v9, vcc, v2, v4, v2
	v_fma_f32 v10, -v7, v8, 1.0
	v_fmac_f32_e32 v8, v10, v8
	v_mul_f32_e32 v10, v9, v8
	v_fma_f32 v11, -v7, v10, v9
	v_fmac_f32_e32 v10, v11, v8
	v_fma_f32 v7, -v7, v10, v9
	v_div_fmas_f32 v7, v7, v8, v10
	v_div_fixup_f32 v7, v7, v4, v2
; %bb.8:
	s_or_b64 exec, exec, s[4:5]
	global_store_dword v[0:1], v7, off
.LBB383_9:
	s_or_b64 exec, exec, s[2:3]
	v_cmp_ne_u32_e32 vcc, 1, v6
	s_and_b64 exec, exec, vcc
	s_cbranch_execz .LBB383_12
; %bb.10:
	s_and_b64 exec, exec, s[0:1]
	s_cbranch_execz .LBB383_12
; %bb.11:
	v_div_scale_f32 v2, s[0:1], v5, v5, v3
	v_rcp_f32_e32 v4, v2
	v_div_scale_f32 v6, vcc, v3, v5, v3
	s_mov_b32 s15, 0
	v_fma_f32 v7, -v2, v4, 1.0
	v_fmac_f32_e32 v4, v7, v4
	v_mul_f32_e32 v7, v6, v4
	v_fma_f32 v8, -v2, v7, v6
	v_fmac_f32_e32 v7, v8, v4
	v_fma_f32 v2, -v2, v7, v6
	v_div_fmas_f32 v2, v2, v4, v7
	s_lshl_b64 s[0:1], s[14:15], 2
	v_div_fixup_f32 v2, v2, v5, v3
	v_mov_b32_e32 v3, s1
	v_add_co_u32_e32 v0, vcc, s0, v0
	v_addc_co_u32_e32 v1, vcc, v1, v3, vcc
	v_mov_b32_e32 v3, 0x7fc00000
	v_cmp_neq_f32_e32 vcc, 0, v5
	v_cndmask_b32_e32 v2, v3, v2, vcc
	global_store_dword v[0:1], v2, off
.LBB383_12:
	s_endpgm
	.section	.rodata,"a",@progbits
	.p2align	6, 0x0
	.amdhsa_kernel _ZN12_GLOBAL__N_120softmax_warp_forwardIfffLi1ELb0ELb0ELi32EEEvPT0_PKT_iiiPKbib
		.amdhsa_group_segment_fixed_size 0
		.amdhsa_private_segment_fixed_size 0
		.amdhsa_kernarg_size 304
		.amdhsa_user_sgpr_count 6
		.amdhsa_user_sgpr_private_segment_buffer 1
		.amdhsa_user_sgpr_dispatch_ptr 0
		.amdhsa_user_sgpr_queue_ptr 0
		.amdhsa_user_sgpr_kernarg_segment_ptr 1
		.amdhsa_user_sgpr_dispatch_id 0
		.amdhsa_user_sgpr_flat_scratch_init 0
		.amdhsa_user_sgpr_kernarg_preload_length 0
		.amdhsa_user_sgpr_kernarg_preload_offset 0
		.amdhsa_user_sgpr_private_segment_size 0
		.amdhsa_uses_dynamic_stack 0
		.amdhsa_system_sgpr_private_segment_wavefront_offset 0
		.amdhsa_system_sgpr_workgroup_id_x 1
		.amdhsa_system_sgpr_workgroup_id_y 0
		.amdhsa_system_sgpr_workgroup_id_z 0
		.amdhsa_system_sgpr_workgroup_info 0
		.amdhsa_system_vgpr_workitem_id 1
		.amdhsa_next_free_vgpr 12
		.amdhsa_next_free_sgpr 16
		.amdhsa_accum_offset 12
		.amdhsa_reserve_vcc 1
		.amdhsa_reserve_flat_scratch 0
		.amdhsa_float_round_mode_32 0
		.amdhsa_float_round_mode_16_64 0
		.amdhsa_float_denorm_mode_32 3
		.amdhsa_float_denorm_mode_16_64 3
		.amdhsa_dx10_clamp 1
		.amdhsa_ieee_mode 1
		.amdhsa_fp16_overflow 0
		.amdhsa_tg_split 0
		.amdhsa_exception_fp_ieee_invalid_op 0
		.amdhsa_exception_fp_denorm_src 0
		.amdhsa_exception_fp_ieee_div_zero 0
		.amdhsa_exception_fp_ieee_overflow 0
		.amdhsa_exception_fp_ieee_underflow 0
		.amdhsa_exception_fp_ieee_inexact 0
		.amdhsa_exception_int_div_zero 0
	.end_amdhsa_kernel
	.section	.text._ZN12_GLOBAL__N_120softmax_warp_forwardIfffLi1ELb0ELb0ELi32EEEvPT0_PKT_iiiPKbib,"axG",@progbits,_ZN12_GLOBAL__N_120softmax_warp_forwardIfffLi1ELb0ELb0ELi32EEEvPT0_PKT_iiiPKbib,comdat
.Lfunc_end383:
	.size	_ZN12_GLOBAL__N_120softmax_warp_forwardIfffLi1ELb0ELb0ELi32EEEvPT0_PKT_iiiPKbib, .Lfunc_end383-_ZN12_GLOBAL__N_120softmax_warp_forwardIfffLi1ELb0ELb0ELi32EEEvPT0_PKT_iiiPKbib
                                        ; -- End function
	.section	.AMDGPU.csdata,"",@progbits
; Kernel info:
; codeLenInByte = 820
; NumSgprs: 20
; NumVgprs: 12
; NumAgprs: 0
; TotalNumVgprs: 12
; ScratchSize: 0
; MemoryBound: 0
; FloatMode: 240
; IeeeMode: 1
; LDSByteSize: 0 bytes/workgroup (compile time only)
; SGPRBlocks: 2
; VGPRBlocks: 1
; NumSGPRsForWavesPerEU: 20
; NumVGPRsForWavesPerEU: 12
; AccumOffset: 12
; Occupancy: 8
; WaveLimiterHint : 0
; COMPUTE_PGM_RSRC2:SCRATCH_EN: 0
; COMPUTE_PGM_RSRC2:USER_SGPR: 6
; COMPUTE_PGM_RSRC2:TRAP_HANDLER: 0
; COMPUTE_PGM_RSRC2:TGID_X_EN: 1
; COMPUTE_PGM_RSRC2:TGID_Y_EN: 0
; COMPUTE_PGM_RSRC2:TGID_Z_EN: 0
; COMPUTE_PGM_RSRC2:TIDIG_COMP_CNT: 1
; COMPUTE_PGM_RSRC3_GFX90A:ACCUM_OFFSET: 2
; COMPUTE_PGM_RSRC3_GFX90A:TG_SPLIT: 0
	.section	.text._ZN12_GLOBAL__N_120softmax_warp_forwardIfffLi2ELb0ELb0ELi64EEEvPT0_PKT_iiiPKbib,"axG",@progbits,_ZN12_GLOBAL__N_120softmax_warp_forwardIfffLi2ELb0ELb0ELi64EEEvPT0_PKT_iiiPKbib,comdat
	.globl	_ZN12_GLOBAL__N_120softmax_warp_forwardIfffLi2ELb0ELb0ELi64EEEvPT0_PKT_iiiPKbib ; -- Begin function _ZN12_GLOBAL__N_120softmax_warp_forwardIfffLi2ELb0ELb0ELi64EEEvPT0_PKT_iiiPKbib
	.p2align	8
	.type	_ZN12_GLOBAL__N_120softmax_warp_forwardIfffLi2ELb0ELb0ELi64EEEvPT0_PKT_iiiPKbib,@function
_ZN12_GLOBAL__N_120softmax_warp_forwardIfffLi2ELb0ELb0ELi64EEEvPT0_PKT_iiiPKbib: ; @_ZN12_GLOBAL__N_120softmax_warp_forwardIfffLi2ELb0ELb0ELi64EEEvPT0_PKT_iiiPKbib
; %bb.0:
	s_load_dword s0, s[4:5], 0x3c
	s_load_dwordx8 s[8:15], s[4:5], 0x0
	v_bfe_u32 v1, v0, 10, 10
	v_and_b32_e32 v2, 0x3ff, v0
	s_waitcnt lgkmcnt(0)
	s_lshr_b32 s0, s0, 16
	s_mul_i32 s6, s6, s0
	v_add_lshl_u32 v1, s6, v1, 1
	v_sub_u32_e32 v8, s12, v1
	v_mad_u64_u32 v[0:1], s[0:1], v1, s13, v[2:3]
	v_ashrrev_i32_e32 v1, 31, v0
	v_lshlrev_b64 v[0:1], 2, v[0:1]
	v_mov_b32_e32 v3, s11
	v_add_co_u32_e32 v4, vcc, s10, v0
	v_addc_co_u32_e32 v5, vcc, v3, v1, vcc
	v_cmp_gt_i32_e64 s[0:1], s14, v2
	v_cmp_lt_i32_e32 vcc, 0, v8
	s_and_b64 s[4:5], s[0:1], vcc
	v_mov_b32_e32 v3, 0xff800000
	v_mov_b32_e32 v2, 0xff800000
	s_and_saveexec_b64 s[2:3], s[4:5]
	s_cbranch_execz .LBB384_2
; %bb.1:
	global_load_dword v2, v[4:5], off
.LBB384_2:
	s_or_b64 exec, exec, s[2:3]
	v_cmp_lt_i32_e64 s[2:3], 1, v8
	s_and_b64 s[2:3], s[0:1], s[2:3]
	s_and_saveexec_b64 s[4:5], s[2:3]
	s_cbranch_execz .LBB384_4
; %bb.3:
	s_mov_b32 s15, 0
	s_lshl_b64 s[2:3], s[14:15], 2
	v_mov_b32_e32 v3, s3
	v_add_co_u32_e64 v4, s[2:3], s2, v4
	v_addc_co_u32_e64 v5, s[2:3], v5, v3, s[2:3]
	global_load_dword v3, v[4:5], off
.LBB384_4:
	s_or_b64 exec, exec, s[4:5]
	v_mbcnt_lo_u32_b32 v4, -1, 0
	v_mbcnt_hi_u32_b32 v4, -1, v4
	v_and_b32_e32 v5, 0x7c, v4
	v_add_u32_e32 v5, 4, v5
	v_xor_b32_e32 v6, 2, v4
	v_cmp_lt_i32_e64 s[2:3], v6, v5
	v_cndmask_b32_e64 v6, v4, v6, s[2:3]
	v_lshlrev_b32_e32 v6, 2, v6
	s_waitcnt vmcnt(0)
	ds_bpermute_b32 v9, v6, v3
	ds_bpermute_b32 v7, v6, v2
	v_xor_b32_e32 v10, 1, v4
	v_cmp_lt_i32_e64 s[2:3], v10, v5
	v_cndmask_b32_e64 v4, v4, v10, s[2:3]
	s_waitcnt lgkmcnt(1)
	v_cmp_lt_f32_e64 s[2:3], v3, v9
	v_lshlrev_b32_e32 v10, 2, v4
	v_cndmask_b32_e64 v4, v3, v9, s[2:3]
	s_waitcnt lgkmcnt(0)
	v_cmp_lt_f32_e64 s[2:3], v2, v7
	ds_bpermute_b32 v5, v10, v4
	v_cndmask_b32_e64 v7, v2, v7, s[2:3]
	ds_bpermute_b32 v9, v10, v7
	s_mov_b32 s4, 0x3fb8aa3b
	s_mov_b32 s5, 0xc2ce8ed0
	s_waitcnt lgkmcnt(1)
	v_cmp_lt_f32_e64 s[2:3], v4, v5
	v_cndmask_b32_e64 v5, v4, v5, s[2:3]
	s_waitcnt lgkmcnt(0)
	v_cmp_lt_f32_e64 s[2:3], v7, v9
	v_cndmask_b32_e64 v4, v7, v9, s[2:3]
	v_pk_add_f32 v[2:3], v[2:3], v[4:5] neg_lo:[0,1] neg_hi:[0,1]
	v_mul_f32_e32 v4, 0x3fb8aa3b, v3
	v_fma_f32 v5, v3, s4, -v4
	v_rndne_f32_e32 v7, v4
	v_fmac_f32_e32 v5, 0x32a5705f, v3
	v_sub_f32_e32 v4, v4, v7
	v_add_f32_e32 v4, v4, v5
	v_exp_f32_e32 v4, v4
	v_cvt_i32_f32_e32 v5, v7
	v_cmp_ngt_f32_e64 s[2:3], s5, v3
	s_mov_b32 s6, 0x42b17218
	v_ldexp_f32 v4, v4, v5
	v_mul_f32_e32 v5, 0x3fb8aa3b, v2
	v_fma_f32 v7, v2, s4, -v5
	v_rndne_f32_e32 v9, v5
	v_fmac_f32_e32 v7, 0x32a5705f, v2
	v_sub_f32_e32 v5, v5, v9
	v_add_f32_e32 v5, v5, v7
	v_exp_f32_e32 v5, v5
	v_cvt_i32_f32_e32 v7, v9
	v_cndmask_b32_e64 v4, 0, v4, s[2:3]
	v_mov_b32_e32 v9, 0x7f800000
	v_cmp_nlt_f32_e64 s[2:3], s6, v3
	v_cndmask_b32_e64 v3, v9, v4, s[2:3]
	v_ldexp_f32 v4, v5, v7
	v_cmp_ngt_f32_e64 s[2:3], s5, v2
	v_cndmask_b32_e64 v4, 0, v4, s[2:3]
	v_cmp_nlt_f32_e64 s[2:3], s6, v2
	v_cndmask_b32_e64 v2, v9, v4, s[2:3]
	ds_bpermute_b32 v4, v6, v2
	ds_bpermute_b32 v5, v6, v3
	s_waitcnt lgkmcnt(0)
	v_pk_add_f32 v[4:5], v[2:3], v[4:5]
	ds_bpermute_b32 v6, v10, v4
	ds_bpermute_b32 v7, v10, v5
	s_and_saveexec_b64 s[2:3], vcc
	s_cbranch_execz .LBB384_12
; %bb.5:
	v_mov_b32_e32 v9, s9
	v_add_co_u32_e32 v0, vcc, s8, v0
	v_addc_co_u32_e32 v1, vcc, v9, v1, vcc
	s_waitcnt lgkmcnt(0)
	v_pk_add_f32 v[4:5], v[4:5], v[6:7]
	s_and_saveexec_b64 s[2:3], s[0:1]
	s_cbranch_execz .LBB384_9
; %bb.6:
	v_cmp_neq_f32_e32 vcc, 0, v4
	v_mov_b32_e32 v6, 0x7fc00000
	s_and_saveexec_b64 s[4:5], vcc
; %bb.7:
	v_div_scale_f32 v6, s[6:7], v4, v4, v2
	v_rcp_f32_e32 v7, v6
	v_div_scale_f32 v9, vcc, v2, v4, v2
	v_fma_f32 v10, -v6, v7, 1.0
	v_fmac_f32_e32 v7, v10, v7
	v_mul_f32_e32 v10, v9, v7
	v_fma_f32 v11, -v6, v10, v9
	v_fmac_f32_e32 v10, v11, v7
	v_fma_f32 v6, -v6, v10, v9
	v_div_fmas_f32 v6, v6, v7, v10
	v_div_fixup_f32 v6, v6, v4, v2
; %bb.8:
	s_or_b64 exec, exec, s[4:5]
	global_store_dword v[0:1], v6, off
.LBB384_9:
	s_or_b64 exec, exec, s[2:3]
	v_cmp_ne_u32_e32 vcc, 1, v8
	s_and_b64 exec, exec, vcc
	s_cbranch_execz .LBB384_12
; %bb.10:
	s_and_b64 exec, exec, s[0:1]
	s_cbranch_execz .LBB384_12
; %bb.11:
	v_div_scale_f32 v2, s[0:1], v5, v5, v3
	v_rcp_f32_e32 v4, v2
	v_div_scale_f32 v6, vcc, v3, v5, v3
	s_mov_b32 s15, 0
	v_fma_f32 v7, -v2, v4, 1.0
	v_fmac_f32_e32 v4, v7, v4
	v_mul_f32_e32 v7, v6, v4
	v_fma_f32 v8, -v2, v7, v6
	v_fmac_f32_e32 v7, v8, v4
	v_fma_f32 v2, -v2, v7, v6
	v_div_fmas_f32 v2, v2, v4, v7
	s_lshl_b64 s[0:1], s[14:15], 2
	v_div_fixup_f32 v2, v2, v5, v3
	v_mov_b32_e32 v3, s1
	v_add_co_u32_e32 v0, vcc, s0, v0
	v_addc_co_u32_e32 v1, vcc, v1, v3, vcc
	v_mov_b32_e32 v3, 0x7fc00000
	v_cmp_neq_f32_e32 vcc, 0, v5
	v_cndmask_b32_e32 v2, v3, v2, vcc
	global_store_dword v[0:1], v2, off
.LBB384_12:
	s_endpgm
	.section	.rodata,"a",@progbits
	.p2align	6, 0x0
	.amdhsa_kernel _ZN12_GLOBAL__N_120softmax_warp_forwardIfffLi2ELb0ELb0ELi64EEEvPT0_PKT_iiiPKbib
		.amdhsa_group_segment_fixed_size 0
		.amdhsa_private_segment_fixed_size 0
		.amdhsa_kernarg_size 304
		.amdhsa_user_sgpr_count 6
		.amdhsa_user_sgpr_private_segment_buffer 1
		.amdhsa_user_sgpr_dispatch_ptr 0
		.amdhsa_user_sgpr_queue_ptr 0
		.amdhsa_user_sgpr_kernarg_segment_ptr 1
		.amdhsa_user_sgpr_dispatch_id 0
		.amdhsa_user_sgpr_flat_scratch_init 0
		.amdhsa_user_sgpr_kernarg_preload_length 0
		.amdhsa_user_sgpr_kernarg_preload_offset 0
		.amdhsa_user_sgpr_private_segment_size 0
		.amdhsa_uses_dynamic_stack 0
		.amdhsa_system_sgpr_private_segment_wavefront_offset 0
		.amdhsa_system_sgpr_workgroup_id_x 1
		.amdhsa_system_sgpr_workgroup_id_y 0
		.amdhsa_system_sgpr_workgroup_id_z 0
		.amdhsa_system_sgpr_workgroup_info 0
		.amdhsa_system_vgpr_workitem_id 1
		.amdhsa_next_free_vgpr 12
		.amdhsa_next_free_sgpr 16
		.amdhsa_accum_offset 12
		.amdhsa_reserve_vcc 1
		.amdhsa_reserve_flat_scratch 0
		.amdhsa_float_round_mode_32 0
		.amdhsa_float_round_mode_16_64 0
		.amdhsa_float_denorm_mode_32 3
		.amdhsa_float_denorm_mode_16_64 3
		.amdhsa_dx10_clamp 1
		.amdhsa_ieee_mode 1
		.amdhsa_fp16_overflow 0
		.amdhsa_tg_split 0
		.amdhsa_exception_fp_ieee_invalid_op 0
		.amdhsa_exception_fp_denorm_src 0
		.amdhsa_exception_fp_ieee_div_zero 0
		.amdhsa_exception_fp_ieee_overflow 0
		.amdhsa_exception_fp_ieee_underflow 0
		.amdhsa_exception_fp_ieee_inexact 0
		.amdhsa_exception_int_div_zero 0
	.end_amdhsa_kernel
	.section	.text._ZN12_GLOBAL__N_120softmax_warp_forwardIfffLi2ELb0ELb0ELi64EEEvPT0_PKT_iiiPKbib,"axG",@progbits,_ZN12_GLOBAL__N_120softmax_warp_forwardIfffLi2ELb0ELb0ELi64EEEvPT0_PKT_iiiPKbib,comdat
.Lfunc_end384:
	.size	_ZN12_GLOBAL__N_120softmax_warp_forwardIfffLi2ELb0ELb0ELi64EEEvPT0_PKT_iiiPKbib, .Lfunc_end384-_ZN12_GLOBAL__N_120softmax_warp_forwardIfffLi2ELb0ELb0ELi64EEEvPT0_PKT_iiiPKbib
                                        ; -- End function
	.section	.AMDGPU.csdata,"",@progbits
; Kernel info:
; codeLenInByte = 928
; NumSgprs: 20
; NumVgprs: 12
; NumAgprs: 0
; TotalNumVgprs: 12
; ScratchSize: 0
; MemoryBound: 0
; FloatMode: 240
; IeeeMode: 1
; LDSByteSize: 0 bytes/workgroup (compile time only)
; SGPRBlocks: 2
; VGPRBlocks: 1
; NumSGPRsForWavesPerEU: 20
; NumVGPRsForWavesPerEU: 12
; AccumOffset: 12
; Occupancy: 8
; WaveLimiterHint : 0
; COMPUTE_PGM_RSRC2:SCRATCH_EN: 0
; COMPUTE_PGM_RSRC2:USER_SGPR: 6
; COMPUTE_PGM_RSRC2:TRAP_HANDLER: 0
; COMPUTE_PGM_RSRC2:TGID_X_EN: 1
; COMPUTE_PGM_RSRC2:TGID_Y_EN: 0
; COMPUTE_PGM_RSRC2:TGID_Z_EN: 0
; COMPUTE_PGM_RSRC2:TIDIG_COMP_CNT: 1
; COMPUTE_PGM_RSRC3_GFX90A:ACCUM_OFFSET: 2
; COMPUTE_PGM_RSRC3_GFX90A:TG_SPLIT: 0
	.section	.text._ZN12_GLOBAL__N_120softmax_warp_forwardIfffLi2ELb0ELb0ELi32EEEvPT0_PKT_iiiPKbib,"axG",@progbits,_ZN12_GLOBAL__N_120softmax_warp_forwardIfffLi2ELb0ELb0ELi32EEEvPT0_PKT_iiiPKbib,comdat
	.globl	_ZN12_GLOBAL__N_120softmax_warp_forwardIfffLi2ELb0ELb0ELi32EEEvPT0_PKT_iiiPKbib ; -- Begin function _ZN12_GLOBAL__N_120softmax_warp_forwardIfffLi2ELb0ELb0ELi32EEEvPT0_PKT_iiiPKbib
	.p2align	8
	.type	_ZN12_GLOBAL__N_120softmax_warp_forwardIfffLi2ELb0ELb0ELi32EEEvPT0_PKT_iiiPKbib,@function
_ZN12_GLOBAL__N_120softmax_warp_forwardIfffLi2ELb0ELb0ELi32EEEvPT0_PKT_iiiPKbib: ; @_ZN12_GLOBAL__N_120softmax_warp_forwardIfffLi2ELb0ELb0ELi32EEEvPT0_PKT_iiiPKbib
; %bb.0:
	s_load_dword s0, s[4:5], 0x3c
	s_load_dwordx8 s[8:15], s[4:5], 0x0
	v_bfe_u32 v1, v0, 10, 10
	v_and_b32_e32 v2, 0x3ff, v0
	s_waitcnt lgkmcnt(0)
	s_lshr_b32 s0, s0, 16
	s_mul_i32 s6, s6, s0
	v_add_lshl_u32 v1, s6, v1, 1
	v_sub_u32_e32 v8, s12, v1
	v_mad_u64_u32 v[0:1], s[0:1], v1, s13, v[2:3]
	v_ashrrev_i32_e32 v1, 31, v0
	v_lshlrev_b64 v[0:1], 2, v[0:1]
	v_mov_b32_e32 v3, s11
	v_add_co_u32_e32 v4, vcc, s10, v0
	v_addc_co_u32_e32 v5, vcc, v3, v1, vcc
	v_cmp_gt_i32_e64 s[0:1], s14, v2
	v_cmp_lt_i32_e32 vcc, 0, v8
	s_and_b64 s[4:5], s[0:1], vcc
	v_mov_b32_e32 v3, 0xff800000
	v_mov_b32_e32 v2, 0xff800000
	s_and_saveexec_b64 s[2:3], s[4:5]
	s_cbranch_execz .LBB385_2
; %bb.1:
	global_load_dword v2, v[4:5], off
.LBB385_2:
	s_or_b64 exec, exec, s[2:3]
	v_cmp_lt_i32_e64 s[2:3], 1, v8
	s_and_b64 s[2:3], s[0:1], s[2:3]
	s_and_saveexec_b64 s[4:5], s[2:3]
	s_cbranch_execz .LBB385_4
; %bb.3:
	s_mov_b32 s15, 0
	s_lshl_b64 s[2:3], s[14:15], 2
	v_mov_b32_e32 v3, s3
	v_add_co_u32_e64 v4, s[2:3], s2, v4
	v_addc_co_u32_e64 v5, s[2:3], v5, v3, s[2:3]
	global_load_dword v3, v[4:5], off
.LBB385_4:
	s_or_b64 exec, exec, s[4:5]
	v_mbcnt_lo_u32_b32 v4, -1, 0
	v_mbcnt_hi_u32_b32 v4, -1, v4
	v_and_b32_e32 v5, 0x7c, v4
	v_add_u32_e32 v5, 4, v5
	v_xor_b32_e32 v6, 2, v4
	v_cmp_lt_i32_e64 s[2:3], v6, v5
	v_cndmask_b32_e64 v6, v4, v6, s[2:3]
	v_lshlrev_b32_e32 v6, 2, v6
	s_waitcnt vmcnt(0)
	ds_bpermute_b32 v9, v6, v3
	ds_bpermute_b32 v7, v6, v2
	v_xor_b32_e32 v10, 1, v4
	v_cmp_lt_i32_e64 s[2:3], v10, v5
	v_cndmask_b32_e64 v4, v4, v10, s[2:3]
	s_waitcnt lgkmcnt(1)
	v_cmp_lt_f32_e64 s[2:3], v3, v9
	v_lshlrev_b32_e32 v10, 2, v4
	v_cndmask_b32_e64 v4, v3, v9, s[2:3]
	s_waitcnt lgkmcnt(0)
	v_cmp_lt_f32_e64 s[2:3], v2, v7
	ds_bpermute_b32 v5, v10, v4
	v_cndmask_b32_e64 v7, v2, v7, s[2:3]
	ds_bpermute_b32 v9, v10, v7
	s_mov_b32 s4, 0x3fb8aa3b
	s_mov_b32 s5, 0xc2ce8ed0
	s_waitcnt lgkmcnt(1)
	v_cmp_lt_f32_e64 s[2:3], v4, v5
	v_cndmask_b32_e64 v5, v4, v5, s[2:3]
	s_waitcnt lgkmcnt(0)
	v_cmp_lt_f32_e64 s[2:3], v7, v9
	v_cndmask_b32_e64 v4, v7, v9, s[2:3]
	v_pk_add_f32 v[2:3], v[2:3], v[4:5] neg_lo:[0,1] neg_hi:[0,1]
	v_mul_f32_e32 v4, 0x3fb8aa3b, v3
	v_fma_f32 v5, v3, s4, -v4
	v_rndne_f32_e32 v7, v4
	v_fmac_f32_e32 v5, 0x32a5705f, v3
	v_sub_f32_e32 v4, v4, v7
	v_add_f32_e32 v4, v4, v5
	v_exp_f32_e32 v4, v4
	v_cvt_i32_f32_e32 v5, v7
	v_cmp_ngt_f32_e64 s[2:3], s5, v3
	s_mov_b32 s6, 0x42b17218
	v_ldexp_f32 v4, v4, v5
	v_mul_f32_e32 v5, 0x3fb8aa3b, v2
	v_fma_f32 v7, v2, s4, -v5
	v_rndne_f32_e32 v9, v5
	v_fmac_f32_e32 v7, 0x32a5705f, v2
	v_sub_f32_e32 v5, v5, v9
	v_add_f32_e32 v5, v5, v7
	v_exp_f32_e32 v5, v5
	v_cvt_i32_f32_e32 v7, v9
	v_cndmask_b32_e64 v4, 0, v4, s[2:3]
	v_mov_b32_e32 v9, 0x7f800000
	v_cmp_nlt_f32_e64 s[2:3], s6, v3
	v_cndmask_b32_e64 v3, v9, v4, s[2:3]
	v_ldexp_f32 v4, v5, v7
	v_cmp_ngt_f32_e64 s[2:3], s5, v2
	v_cndmask_b32_e64 v4, 0, v4, s[2:3]
	v_cmp_nlt_f32_e64 s[2:3], s6, v2
	v_cndmask_b32_e64 v2, v9, v4, s[2:3]
	ds_bpermute_b32 v4, v6, v2
	ds_bpermute_b32 v5, v6, v3
	s_waitcnt lgkmcnt(0)
	v_pk_add_f32 v[4:5], v[2:3], v[4:5]
	ds_bpermute_b32 v6, v10, v4
	ds_bpermute_b32 v7, v10, v5
	s_and_saveexec_b64 s[2:3], vcc
	s_cbranch_execz .LBB385_12
; %bb.5:
	v_mov_b32_e32 v9, s9
	v_add_co_u32_e32 v0, vcc, s8, v0
	v_addc_co_u32_e32 v1, vcc, v9, v1, vcc
	s_waitcnt lgkmcnt(0)
	v_pk_add_f32 v[4:5], v[4:5], v[6:7]
	s_and_saveexec_b64 s[2:3], s[0:1]
	s_cbranch_execz .LBB385_9
; %bb.6:
	v_cmp_neq_f32_e32 vcc, 0, v4
	v_mov_b32_e32 v6, 0x7fc00000
	s_and_saveexec_b64 s[4:5], vcc
; %bb.7:
	v_div_scale_f32 v6, s[6:7], v4, v4, v2
	v_rcp_f32_e32 v7, v6
	v_div_scale_f32 v9, vcc, v2, v4, v2
	v_fma_f32 v10, -v6, v7, 1.0
	v_fmac_f32_e32 v7, v10, v7
	v_mul_f32_e32 v10, v9, v7
	v_fma_f32 v11, -v6, v10, v9
	v_fmac_f32_e32 v10, v11, v7
	v_fma_f32 v6, -v6, v10, v9
	v_div_fmas_f32 v6, v6, v7, v10
	v_div_fixup_f32 v6, v6, v4, v2
; %bb.8:
	s_or_b64 exec, exec, s[4:5]
	global_store_dword v[0:1], v6, off
.LBB385_9:
	s_or_b64 exec, exec, s[2:3]
	v_cmp_ne_u32_e32 vcc, 1, v8
	s_and_b64 exec, exec, vcc
	s_cbranch_execz .LBB385_12
; %bb.10:
	s_and_b64 exec, exec, s[0:1]
	s_cbranch_execz .LBB385_12
; %bb.11:
	v_div_scale_f32 v2, s[0:1], v5, v5, v3
	v_rcp_f32_e32 v4, v2
	v_div_scale_f32 v6, vcc, v3, v5, v3
	s_mov_b32 s15, 0
	v_fma_f32 v7, -v2, v4, 1.0
	v_fmac_f32_e32 v4, v7, v4
	v_mul_f32_e32 v7, v6, v4
	v_fma_f32 v8, -v2, v7, v6
	v_fmac_f32_e32 v7, v8, v4
	v_fma_f32 v2, -v2, v7, v6
	v_div_fmas_f32 v2, v2, v4, v7
	s_lshl_b64 s[0:1], s[14:15], 2
	v_div_fixup_f32 v2, v2, v5, v3
	v_mov_b32_e32 v3, s1
	v_add_co_u32_e32 v0, vcc, s0, v0
	v_addc_co_u32_e32 v1, vcc, v1, v3, vcc
	v_mov_b32_e32 v3, 0x7fc00000
	v_cmp_neq_f32_e32 vcc, 0, v5
	v_cndmask_b32_e32 v2, v3, v2, vcc
	global_store_dword v[0:1], v2, off
.LBB385_12:
	s_endpgm
	.section	.rodata,"a",@progbits
	.p2align	6, 0x0
	.amdhsa_kernel _ZN12_GLOBAL__N_120softmax_warp_forwardIfffLi2ELb0ELb0ELi32EEEvPT0_PKT_iiiPKbib
		.amdhsa_group_segment_fixed_size 0
		.amdhsa_private_segment_fixed_size 0
		.amdhsa_kernarg_size 304
		.amdhsa_user_sgpr_count 6
		.amdhsa_user_sgpr_private_segment_buffer 1
		.amdhsa_user_sgpr_dispatch_ptr 0
		.amdhsa_user_sgpr_queue_ptr 0
		.amdhsa_user_sgpr_kernarg_segment_ptr 1
		.amdhsa_user_sgpr_dispatch_id 0
		.amdhsa_user_sgpr_flat_scratch_init 0
		.amdhsa_user_sgpr_kernarg_preload_length 0
		.amdhsa_user_sgpr_kernarg_preload_offset 0
		.amdhsa_user_sgpr_private_segment_size 0
		.amdhsa_uses_dynamic_stack 0
		.amdhsa_system_sgpr_private_segment_wavefront_offset 0
		.amdhsa_system_sgpr_workgroup_id_x 1
		.amdhsa_system_sgpr_workgroup_id_y 0
		.amdhsa_system_sgpr_workgroup_id_z 0
		.amdhsa_system_sgpr_workgroup_info 0
		.amdhsa_system_vgpr_workitem_id 1
		.amdhsa_next_free_vgpr 12
		.amdhsa_next_free_sgpr 16
		.amdhsa_accum_offset 12
		.amdhsa_reserve_vcc 1
		.amdhsa_reserve_flat_scratch 0
		.amdhsa_float_round_mode_32 0
		.amdhsa_float_round_mode_16_64 0
		.amdhsa_float_denorm_mode_32 3
		.amdhsa_float_denorm_mode_16_64 3
		.amdhsa_dx10_clamp 1
		.amdhsa_ieee_mode 1
		.amdhsa_fp16_overflow 0
		.amdhsa_tg_split 0
		.amdhsa_exception_fp_ieee_invalid_op 0
		.amdhsa_exception_fp_denorm_src 0
		.amdhsa_exception_fp_ieee_div_zero 0
		.amdhsa_exception_fp_ieee_overflow 0
		.amdhsa_exception_fp_ieee_underflow 0
		.amdhsa_exception_fp_ieee_inexact 0
		.amdhsa_exception_int_div_zero 0
	.end_amdhsa_kernel
	.section	.text._ZN12_GLOBAL__N_120softmax_warp_forwardIfffLi2ELb0ELb0ELi32EEEvPT0_PKT_iiiPKbib,"axG",@progbits,_ZN12_GLOBAL__N_120softmax_warp_forwardIfffLi2ELb0ELb0ELi32EEEvPT0_PKT_iiiPKbib,comdat
.Lfunc_end385:
	.size	_ZN12_GLOBAL__N_120softmax_warp_forwardIfffLi2ELb0ELb0ELi32EEEvPT0_PKT_iiiPKbib, .Lfunc_end385-_ZN12_GLOBAL__N_120softmax_warp_forwardIfffLi2ELb0ELb0ELi32EEEvPT0_PKT_iiiPKbib
                                        ; -- End function
	.section	.AMDGPU.csdata,"",@progbits
; Kernel info:
; codeLenInByte = 928
; NumSgprs: 20
; NumVgprs: 12
; NumAgprs: 0
; TotalNumVgprs: 12
; ScratchSize: 0
; MemoryBound: 0
; FloatMode: 240
; IeeeMode: 1
; LDSByteSize: 0 bytes/workgroup (compile time only)
; SGPRBlocks: 2
; VGPRBlocks: 1
; NumSGPRsForWavesPerEU: 20
; NumVGPRsForWavesPerEU: 12
; AccumOffset: 12
; Occupancy: 8
; WaveLimiterHint : 0
; COMPUTE_PGM_RSRC2:SCRATCH_EN: 0
; COMPUTE_PGM_RSRC2:USER_SGPR: 6
; COMPUTE_PGM_RSRC2:TRAP_HANDLER: 0
; COMPUTE_PGM_RSRC2:TGID_X_EN: 1
; COMPUTE_PGM_RSRC2:TGID_Y_EN: 0
; COMPUTE_PGM_RSRC2:TGID_Z_EN: 0
; COMPUTE_PGM_RSRC2:TIDIG_COMP_CNT: 1
; COMPUTE_PGM_RSRC3_GFX90A:ACCUM_OFFSET: 2
; COMPUTE_PGM_RSRC3_GFX90A:TG_SPLIT: 0
	.section	.text._ZN12_GLOBAL__N_120softmax_warp_forwardIfffLi3ELb0ELb0ELi64EEEvPT0_PKT_iiiPKbib,"axG",@progbits,_ZN12_GLOBAL__N_120softmax_warp_forwardIfffLi3ELb0ELb0ELi64EEEvPT0_PKT_iiiPKbib,comdat
	.globl	_ZN12_GLOBAL__N_120softmax_warp_forwardIfffLi3ELb0ELb0ELi64EEEvPT0_PKT_iiiPKbib ; -- Begin function _ZN12_GLOBAL__N_120softmax_warp_forwardIfffLi3ELb0ELb0ELi64EEEvPT0_PKT_iiiPKbib
	.p2align	8
	.type	_ZN12_GLOBAL__N_120softmax_warp_forwardIfffLi3ELb0ELb0ELi64EEEvPT0_PKT_iiiPKbib,@function
_ZN12_GLOBAL__N_120softmax_warp_forwardIfffLi3ELb0ELb0ELi64EEEvPT0_PKT_iiiPKbib: ; @_ZN12_GLOBAL__N_120softmax_warp_forwardIfffLi3ELb0ELb0ELi64EEEvPT0_PKT_iiiPKbib
; %bb.0:
	s_load_dword s0, s[4:5], 0x3c
	s_load_dwordx8 s[8:15], s[4:5], 0x0
	v_bfe_u32 v1, v0, 10, 10
	v_and_b32_e32 v2, 0x3ff, v0
	s_waitcnt lgkmcnt(0)
	s_lshr_b32 s0, s0, 16
	s_mul_i32 s6, s6, s0
	v_add_lshl_u32 v1, s6, v1, 1
	v_sub_u32_e32 v8, s12, v1
	v_mad_u64_u32 v[0:1], s[0:1], v1, s13, v[2:3]
	v_ashrrev_i32_e32 v1, 31, v0
	v_lshlrev_b64 v[0:1], 2, v[0:1]
	v_mov_b32_e32 v3, s11
	v_add_co_u32_e32 v4, vcc, s10, v0
	v_addc_co_u32_e32 v5, vcc, v3, v1, vcc
	v_cmp_gt_i32_e64 s[0:1], s14, v2
	v_cmp_lt_i32_e32 vcc, 0, v8
	s_and_b64 s[4:5], s[0:1], vcc
	v_mov_b32_e32 v3, 0xff800000
	v_mov_b32_e32 v2, 0xff800000
	s_and_saveexec_b64 s[2:3], s[4:5]
	s_cbranch_execz .LBB386_2
; %bb.1:
	global_load_dword v2, v[4:5], off
.LBB386_2:
	s_or_b64 exec, exec, s[2:3]
	v_cmp_lt_i32_e64 s[2:3], 1, v8
	s_and_b64 s[2:3], s[0:1], s[2:3]
	s_and_saveexec_b64 s[4:5], s[2:3]
	s_cbranch_execz .LBB386_4
; %bb.3:
	s_mov_b32 s15, 0
	s_lshl_b64 s[2:3], s[14:15], 2
	v_mov_b32_e32 v3, s3
	v_add_co_u32_e64 v4, s[2:3], s2, v4
	v_addc_co_u32_e64 v5, s[2:3], v5, v3, s[2:3]
	global_load_dword v3, v[4:5], off
.LBB386_4:
	s_or_b64 exec, exec, s[4:5]
	v_mbcnt_lo_u32_b32 v4, -1, 0
	v_mbcnt_hi_u32_b32 v4, -1, v4
	v_and_b32_e32 v5, 0x78, v4
	v_add_u32_e32 v5, 8, v5
	v_xor_b32_e32 v6, 4, v4
	v_cmp_lt_i32_e64 s[2:3], v6, v5
	v_cndmask_b32_e64 v6, v4, v6, s[2:3]
	v_lshlrev_b32_e32 v6, 2, v6
	s_waitcnt vmcnt(0)
	ds_bpermute_b32 v9, v6, v3
	ds_bpermute_b32 v7, v6, v2
	v_xor_b32_e32 v10, 2, v4
	v_cmp_lt_i32_e64 s[2:3], v10, v5
	v_xor_b32_e32 v11, 1, v4
	v_cndmask_b32_e64 v10, v4, v10, s[2:3]
	v_cmp_lt_i32_e64 s[2:3], v11, v5
	v_cndmask_b32_e64 v4, v4, v11, s[2:3]
	s_waitcnt lgkmcnt(1)
	v_cmp_lt_f32_e64 s[2:3], v3, v9
	v_lshlrev_b32_e32 v10, 2, v10
	v_cndmask_b32_e64 v5, v3, v9, s[2:3]
	s_waitcnt lgkmcnt(0)
	v_cmp_lt_f32_e64 s[2:3], v2, v7
	ds_bpermute_b32 v9, v10, v5
	v_cndmask_b32_e64 v7, v2, v7, s[2:3]
	ds_bpermute_b32 v11, v10, v7
	v_lshlrev_b32_e32 v12, 2, v4
	s_mov_b32 s4, 0x3fb8aa3b
	s_waitcnt lgkmcnt(1)
	v_cmp_lt_f32_e64 s[2:3], v5, v9
	v_cndmask_b32_e64 v4, v5, v9, s[2:3]
	s_waitcnt lgkmcnt(0)
	v_cmp_lt_f32_e64 s[2:3], v7, v11
	ds_bpermute_b32 v5, v12, v4
	v_cndmask_b32_e64 v7, v7, v11, s[2:3]
	ds_bpermute_b32 v9, v12, v7
	s_mov_b32 s5, 0xc2ce8ed0
	s_mov_b32 s6, 0x42b17218
	s_waitcnt lgkmcnt(1)
	v_cmp_lt_f32_e64 s[2:3], v4, v5
	v_cndmask_b32_e64 v5, v4, v5, s[2:3]
	s_waitcnt lgkmcnt(0)
	v_cmp_lt_f32_e64 s[2:3], v7, v9
	v_cndmask_b32_e64 v4, v7, v9, s[2:3]
	v_pk_add_f32 v[2:3], v[2:3], v[4:5] neg_lo:[0,1] neg_hi:[0,1]
	v_mul_f32_e32 v4, 0x3fb8aa3b, v3
	v_fma_f32 v5, v3, s4, -v4
	v_rndne_f32_e32 v7, v4
	v_fmac_f32_e32 v5, 0x32a5705f, v3
	v_sub_f32_e32 v4, v4, v7
	v_add_f32_e32 v4, v4, v5
	v_exp_f32_e32 v4, v4
	v_cvt_i32_f32_e32 v5, v7
	v_cmp_ngt_f32_e64 s[2:3], s5, v3
	v_ldexp_f32 v4, v4, v5
	v_mul_f32_e32 v5, 0x3fb8aa3b, v2
	v_fma_f32 v7, v2, s4, -v5
	v_rndne_f32_e32 v9, v5
	v_fmac_f32_e32 v7, 0x32a5705f, v2
	v_sub_f32_e32 v5, v5, v9
	v_add_f32_e32 v5, v5, v7
	v_exp_f32_e32 v5, v5
	v_cvt_i32_f32_e32 v7, v9
	v_cndmask_b32_e64 v4, 0, v4, s[2:3]
	v_mov_b32_e32 v9, 0x7f800000
	v_cmp_nlt_f32_e64 s[2:3], s6, v3
	v_cndmask_b32_e64 v3, v9, v4, s[2:3]
	v_ldexp_f32 v4, v5, v7
	v_cmp_ngt_f32_e64 s[2:3], s5, v2
	v_cndmask_b32_e64 v4, 0, v4, s[2:3]
	v_cmp_nlt_f32_e64 s[2:3], s6, v2
	v_cndmask_b32_e64 v2, v9, v4, s[2:3]
	ds_bpermute_b32 v4, v6, v2
	ds_bpermute_b32 v5, v6, v3
	s_waitcnt lgkmcnt(0)
	v_pk_add_f32 v[4:5], v[2:3], v[4:5]
	ds_bpermute_b32 v6, v10, v4
	ds_bpermute_b32 v7, v10, v5
	s_waitcnt lgkmcnt(0)
	v_pk_add_f32 v[4:5], v[4:5], v[6:7]
	ds_bpermute_b32 v6, v12, v4
	ds_bpermute_b32 v7, v12, v5
	s_and_saveexec_b64 s[2:3], vcc
	s_cbranch_execz .LBB386_12
; %bb.5:
	v_mov_b32_e32 v9, s9
	v_add_co_u32_e32 v0, vcc, s8, v0
	v_addc_co_u32_e32 v1, vcc, v9, v1, vcc
	s_waitcnt lgkmcnt(0)
	v_pk_add_f32 v[4:5], v[4:5], v[6:7]
	s_and_saveexec_b64 s[2:3], s[0:1]
	s_cbranch_execz .LBB386_9
; %bb.6:
	v_cmp_neq_f32_e32 vcc, 0, v4
	v_mov_b32_e32 v6, 0x7fc00000
	s_and_saveexec_b64 s[4:5], vcc
; %bb.7:
	v_div_scale_f32 v6, s[6:7], v4, v4, v2
	v_rcp_f32_e32 v7, v6
	v_div_scale_f32 v9, vcc, v2, v4, v2
	v_fma_f32 v10, -v6, v7, 1.0
	v_fmac_f32_e32 v7, v10, v7
	v_mul_f32_e32 v10, v9, v7
	v_fma_f32 v11, -v6, v10, v9
	v_fmac_f32_e32 v10, v11, v7
	v_fma_f32 v6, -v6, v10, v9
	v_div_fmas_f32 v6, v6, v7, v10
	v_div_fixup_f32 v6, v6, v4, v2
; %bb.8:
	s_or_b64 exec, exec, s[4:5]
	global_store_dword v[0:1], v6, off
.LBB386_9:
	s_or_b64 exec, exec, s[2:3]
	v_cmp_ne_u32_e32 vcc, 1, v8
	s_and_b64 exec, exec, vcc
	s_cbranch_execz .LBB386_12
; %bb.10:
	s_and_b64 exec, exec, s[0:1]
	s_cbranch_execz .LBB386_12
; %bb.11:
	v_div_scale_f32 v2, s[0:1], v5, v5, v3
	v_rcp_f32_e32 v4, v2
	v_div_scale_f32 v6, vcc, v3, v5, v3
	s_mov_b32 s15, 0
	v_fma_f32 v7, -v2, v4, 1.0
	v_fmac_f32_e32 v4, v7, v4
	v_mul_f32_e32 v7, v6, v4
	v_fma_f32 v8, -v2, v7, v6
	v_fmac_f32_e32 v7, v8, v4
	v_fma_f32 v2, -v2, v7, v6
	v_div_fmas_f32 v2, v2, v4, v7
	s_lshl_b64 s[0:1], s[14:15], 2
	v_div_fixup_f32 v2, v2, v5, v3
	v_mov_b32_e32 v3, s1
	v_add_co_u32_e32 v0, vcc, s0, v0
	v_addc_co_u32_e32 v1, vcc, v1, v3, vcc
	v_mov_b32_e32 v3, 0x7fc00000
	v_cmp_neq_f32_e32 vcc, 0, v5
	v_cndmask_b32_e32 v2, v3, v2, vcc
	global_store_dword v[0:1], v2, off
.LBB386_12:
	s_endpgm
	.section	.rodata,"a",@progbits
	.p2align	6, 0x0
	.amdhsa_kernel _ZN12_GLOBAL__N_120softmax_warp_forwardIfffLi3ELb0ELb0ELi64EEEvPT0_PKT_iiiPKbib
		.amdhsa_group_segment_fixed_size 0
		.amdhsa_private_segment_fixed_size 0
		.amdhsa_kernarg_size 304
		.amdhsa_user_sgpr_count 6
		.amdhsa_user_sgpr_private_segment_buffer 1
		.amdhsa_user_sgpr_dispatch_ptr 0
		.amdhsa_user_sgpr_queue_ptr 0
		.amdhsa_user_sgpr_kernarg_segment_ptr 1
		.amdhsa_user_sgpr_dispatch_id 0
		.amdhsa_user_sgpr_flat_scratch_init 0
		.amdhsa_user_sgpr_kernarg_preload_length 0
		.amdhsa_user_sgpr_kernarg_preload_offset 0
		.amdhsa_user_sgpr_private_segment_size 0
		.amdhsa_uses_dynamic_stack 0
		.amdhsa_system_sgpr_private_segment_wavefront_offset 0
		.amdhsa_system_sgpr_workgroup_id_x 1
		.amdhsa_system_sgpr_workgroup_id_y 0
		.amdhsa_system_sgpr_workgroup_id_z 0
		.amdhsa_system_sgpr_workgroup_info 0
		.amdhsa_system_vgpr_workitem_id 1
		.amdhsa_next_free_vgpr 13
		.amdhsa_next_free_sgpr 16
		.amdhsa_accum_offset 16
		.amdhsa_reserve_vcc 1
		.amdhsa_reserve_flat_scratch 0
		.amdhsa_float_round_mode_32 0
		.amdhsa_float_round_mode_16_64 0
		.amdhsa_float_denorm_mode_32 3
		.amdhsa_float_denorm_mode_16_64 3
		.amdhsa_dx10_clamp 1
		.amdhsa_ieee_mode 1
		.amdhsa_fp16_overflow 0
		.amdhsa_tg_split 0
		.amdhsa_exception_fp_ieee_invalid_op 0
		.amdhsa_exception_fp_denorm_src 0
		.amdhsa_exception_fp_ieee_div_zero 0
		.amdhsa_exception_fp_ieee_overflow 0
		.amdhsa_exception_fp_ieee_underflow 0
		.amdhsa_exception_fp_ieee_inexact 0
		.amdhsa_exception_int_div_zero 0
	.end_amdhsa_kernel
	.section	.text._ZN12_GLOBAL__N_120softmax_warp_forwardIfffLi3ELb0ELb0ELi64EEEvPT0_PKT_iiiPKbib,"axG",@progbits,_ZN12_GLOBAL__N_120softmax_warp_forwardIfffLi3ELb0ELb0ELi64EEEvPT0_PKT_iiiPKbib,comdat
.Lfunc_end386:
	.size	_ZN12_GLOBAL__N_120softmax_warp_forwardIfffLi3ELb0ELb0ELi64EEEvPT0_PKT_iiiPKbib, .Lfunc_end386-_ZN12_GLOBAL__N_120softmax_warp_forwardIfffLi3ELb0ELb0ELi64EEEvPT0_PKT_iiiPKbib
                                        ; -- End function
	.section	.AMDGPU.csdata,"",@progbits
; Kernel info:
; codeLenInByte = 1036
; NumSgprs: 20
; NumVgprs: 13
; NumAgprs: 0
; TotalNumVgprs: 13
; ScratchSize: 0
; MemoryBound: 0
; FloatMode: 240
; IeeeMode: 1
; LDSByteSize: 0 bytes/workgroup (compile time only)
; SGPRBlocks: 2
; VGPRBlocks: 1
; NumSGPRsForWavesPerEU: 20
; NumVGPRsForWavesPerEU: 13
; AccumOffset: 16
; Occupancy: 8
; WaveLimiterHint : 0
; COMPUTE_PGM_RSRC2:SCRATCH_EN: 0
; COMPUTE_PGM_RSRC2:USER_SGPR: 6
; COMPUTE_PGM_RSRC2:TRAP_HANDLER: 0
; COMPUTE_PGM_RSRC2:TGID_X_EN: 1
; COMPUTE_PGM_RSRC2:TGID_Y_EN: 0
; COMPUTE_PGM_RSRC2:TGID_Z_EN: 0
; COMPUTE_PGM_RSRC2:TIDIG_COMP_CNT: 1
; COMPUTE_PGM_RSRC3_GFX90A:ACCUM_OFFSET: 3
; COMPUTE_PGM_RSRC3_GFX90A:TG_SPLIT: 0
	.section	.text._ZN12_GLOBAL__N_120softmax_warp_forwardIfffLi3ELb0ELb0ELi32EEEvPT0_PKT_iiiPKbib,"axG",@progbits,_ZN12_GLOBAL__N_120softmax_warp_forwardIfffLi3ELb0ELb0ELi32EEEvPT0_PKT_iiiPKbib,comdat
	.globl	_ZN12_GLOBAL__N_120softmax_warp_forwardIfffLi3ELb0ELb0ELi32EEEvPT0_PKT_iiiPKbib ; -- Begin function _ZN12_GLOBAL__N_120softmax_warp_forwardIfffLi3ELb0ELb0ELi32EEEvPT0_PKT_iiiPKbib
	.p2align	8
	.type	_ZN12_GLOBAL__N_120softmax_warp_forwardIfffLi3ELb0ELb0ELi32EEEvPT0_PKT_iiiPKbib,@function
_ZN12_GLOBAL__N_120softmax_warp_forwardIfffLi3ELb0ELb0ELi32EEEvPT0_PKT_iiiPKbib: ; @_ZN12_GLOBAL__N_120softmax_warp_forwardIfffLi3ELb0ELb0ELi32EEEvPT0_PKT_iiiPKbib
; %bb.0:
	s_load_dword s0, s[4:5], 0x3c
	s_load_dwordx8 s[8:15], s[4:5], 0x0
	v_bfe_u32 v1, v0, 10, 10
	v_and_b32_e32 v2, 0x3ff, v0
	s_waitcnt lgkmcnt(0)
	s_lshr_b32 s0, s0, 16
	s_mul_i32 s6, s6, s0
	v_add_lshl_u32 v1, s6, v1, 1
	v_sub_u32_e32 v8, s12, v1
	v_mad_u64_u32 v[0:1], s[0:1], v1, s13, v[2:3]
	v_ashrrev_i32_e32 v1, 31, v0
	v_lshlrev_b64 v[0:1], 2, v[0:1]
	v_mov_b32_e32 v3, s11
	v_add_co_u32_e32 v4, vcc, s10, v0
	v_addc_co_u32_e32 v5, vcc, v3, v1, vcc
	v_cmp_gt_i32_e64 s[0:1], s14, v2
	v_cmp_lt_i32_e32 vcc, 0, v8
	s_and_b64 s[4:5], s[0:1], vcc
	v_mov_b32_e32 v3, 0xff800000
	v_mov_b32_e32 v2, 0xff800000
	s_and_saveexec_b64 s[2:3], s[4:5]
	s_cbranch_execz .LBB387_2
; %bb.1:
	global_load_dword v2, v[4:5], off
.LBB387_2:
	s_or_b64 exec, exec, s[2:3]
	v_cmp_lt_i32_e64 s[2:3], 1, v8
	s_and_b64 s[2:3], s[0:1], s[2:3]
	s_and_saveexec_b64 s[4:5], s[2:3]
	s_cbranch_execz .LBB387_4
; %bb.3:
	s_mov_b32 s15, 0
	s_lshl_b64 s[2:3], s[14:15], 2
	v_mov_b32_e32 v3, s3
	v_add_co_u32_e64 v4, s[2:3], s2, v4
	v_addc_co_u32_e64 v5, s[2:3], v5, v3, s[2:3]
	global_load_dword v3, v[4:5], off
.LBB387_4:
	s_or_b64 exec, exec, s[4:5]
	v_mbcnt_lo_u32_b32 v4, -1, 0
	v_mbcnt_hi_u32_b32 v4, -1, v4
	v_and_b32_e32 v5, 0x78, v4
	v_add_u32_e32 v5, 8, v5
	v_xor_b32_e32 v6, 4, v4
	v_cmp_lt_i32_e64 s[2:3], v6, v5
	v_cndmask_b32_e64 v6, v4, v6, s[2:3]
	v_lshlrev_b32_e32 v6, 2, v6
	s_waitcnt vmcnt(0)
	ds_bpermute_b32 v9, v6, v3
	ds_bpermute_b32 v7, v6, v2
	v_xor_b32_e32 v10, 2, v4
	v_cmp_lt_i32_e64 s[2:3], v10, v5
	v_xor_b32_e32 v11, 1, v4
	v_cndmask_b32_e64 v10, v4, v10, s[2:3]
	v_cmp_lt_i32_e64 s[2:3], v11, v5
	v_cndmask_b32_e64 v4, v4, v11, s[2:3]
	s_waitcnt lgkmcnt(1)
	v_cmp_lt_f32_e64 s[2:3], v3, v9
	v_lshlrev_b32_e32 v10, 2, v10
	v_cndmask_b32_e64 v5, v3, v9, s[2:3]
	s_waitcnt lgkmcnt(0)
	v_cmp_lt_f32_e64 s[2:3], v2, v7
	ds_bpermute_b32 v9, v10, v5
	v_cndmask_b32_e64 v7, v2, v7, s[2:3]
	ds_bpermute_b32 v11, v10, v7
	v_lshlrev_b32_e32 v12, 2, v4
	s_mov_b32 s4, 0x3fb8aa3b
	s_waitcnt lgkmcnt(1)
	v_cmp_lt_f32_e64 s[2:3], v5, v9
	v_cndmask_b32_e64 v4, v5, v9, s[2:3]
	s_waitcnt lgkmcnt(0)
	v_cmp_lt_f32_e64 s[2:3], v7, v11
	ds_bpermute_b32 v5, v12, v4
	v_cndmask_b32_e64 v7, v7, v11, s[2:3]
	ds_bpermute_b32 v9, v12, v7
	s_mov_b32 s5, 0xc2ce8ed0
	s_mov_b32 s6, 0x42b17218
	s_waitcnt lgkmcnt(1)
	v_cmp_lt_f32_e64 s[2:3], v4, v5
	v_cndmask_b32_e64 v5, v4, v5, s[2:3]
	s_waitcnt lgkmcnt(0)
	v_cmp_lt_f32_e64 s[2:3], v7, v9
	v_cndmask_b32_e64 v4, v7, v9, s[2:3]
	v_pk_add_f32 v[2:3], v[2:3], v[4:5] neg_lo:[0,1] neg_hi:[0,1]
	v_mul_f32_e32 v4, 0x3fb8aa3b, v3
	v_fma_f32 v5, v3, s4, -v4
	v_rndne_f32_e32 v7, v4
	v_fmac_f32_e32 v5, 0x32a5705f, v3
	v_sub_f32_e32 v4, v4, v7
	v_add_f32_e32 v4, v4, v5
	v_exp_f32_e32 v4, v4
	v_cvt_i32_f32_e32 v5, v7
	v_cmp_ngt_f32_e64 s[2:3], s5, v3
	v_ldexp_f32 v4, v4, v5
	v_mul_f32_e32 v5, 0x3fb8aa3b, v2
	v_fma_f32 v7, v2, s4, -v5
	v_rndne_f32_e32 v9, v5
	v_fmac_f32_e32 v7, 0x32a5705f, v2
	v_sub_f32_e32 v5, v5, v9
	v_add_f32_e32 v5, v5, v7
	v_exp_f32_e32 v5, v5
	v_cvt_i32_f32_e32 v7, v9
	v_cndmask_b32_e64 v4, 0, v4, s[2:3]
	v_mov_b32_e32 v9, 0x7f800000
	v_cmp_nlt_f32_e64 s[2:3], s6, v3
	v_cndmask_b32_e64 v3, v9, v4, s[2:3]
	v_ldexp_f32 v4, v5, v7
	v_cmp_ngt_f32_e64 s[2:3], s5, v2
	v_cndmask_b32_e64 v4, 0, v4, s[2:3]
	v_cmp_nlt_f32_e64 s[2:3], s6, v2
	v_cndmask_b32_e64 v2, v9, v4, s[2:3]
	ds_bpermute_b32 v4, v6, v2
	ds_bpermute_b32 v5, v6, v3
	s_waitcnt lgkmcnt(0)
	v_pk_add_f32 v[4:5], v[2:3], v[4:5]
	ds_bpermute_b32 v6, v10, v4
	ds_bpermute_b32 v7, v10, v5
	s_waitcnt lgkmcnt(0)
	v_pk_add_f32 v[4:5], v[4:5], v[6:7]
	ds_bpermute_b32 v6, v12, v4
	ds_bpermute_b32 v7, v12, v5
	s_and_saveexec_b64 s[2:3], vcc
	s_cbranch_execz .LBB387_12
; %bb.5:
	v_mov_b32_e32 v9, s9
	v_add_co_u32_e32 v0, vcc, s8, v0
	v_addc_co_u32_e32 v1, vcc, v9, v1, vcc
	s_waitcnt lgkmcnt(0)
	v_pk_add_f32 v[4:5], v[4:5], v[6:7]
	s_and_saveexec_b64 s[2:3], s[0:1]
	s_cbranch_execz .LBB387_9
; %bb.6:
	v_cmp_neq_f32_e32 vcc, 0, v4
	v_mov_b32_e32 v6, 0x7fc00000
	s_and_saveexec_b64 s[4:5], vcc
; %bb.7:
	v_div_scale_f32 v6, s[6:7], v4, v4, v2
	v_rcp_f32_e32 v7, v6
	v_div_scale_f32 v9, vcc, v2, v4, v2
	v_fma_f32 v10, -v6, v7, 1.0
	v_fmac_f32_e32 v7, v10, v7
	v_mul_f32_e32 v10, v9, v7
	v_fma_f32 v11, -v6, v10, v9
	v_fmac_f32_e32 v10, v11, v7
	v_fma_f32 v6, -v6, v10, v9
	v_div_fmas_f32 v6, v6, v7, v10
	v_div_fixup_f32 v6, v6, v4, v2
; %bb.8:
	s_or_b64 exec, exec, s[4:5]
	global_store_dword v[0:1], v6, off
.LBB387_9:
	s_or_b64 exec, exec, s[2:3]
	v_cmp_ne_u32_e32 vcc, 1, v8
	s_and_b64 exec, exec, vcc
	s_cbranch_execz .LBB387_12
; %bb.10:
	s_and_b64 exec, exec, s[0:1]
	s_cbranch_execz .LBB387_12
; %bb.11:
	v_div_scale_f32 v2, s[0:1], v5, v5, v3
	v_rcp_f32_e32 v4, v2
	v_div_scale_f32 v6, vcc, v3, v5, v3
	s_mov_b32 s15, 0
	v_fma_f32 v7, -v2, v4, 1.0
	v_fmac_f32_e32 v4, v7, v4
	v_mul_f32_e32 v7, v6, v4
	v_fma_f32 v8, -v2, v7, v6
	v_fmac_f32_e32 v7, v8, v4
	v_fma_f32 v2, -v2, v7, v6
	v_div_fmas_f32 v2, v2, v4, v7
	s_lshl_b64 s[0:1], s[14:15], 2
	v_div_fixup_f32 v2, v2, v5, v3
	v_mov_b32_e32 v3, s1
	v_add_co_u32_e32 v0, vcc, s0, v0
	v_addc_co_u32_e32 v1, vcc, v1, v3, vcc
	v_mov_b32_e32 v3, 0x7fc00000
	v_cmp_neq_f32_e32 vcc, 0, v5
	v_cndmask_b32_e32 v2, v3, v2, vcc
	global_store_dword v[0:1], v2, off
.LBB387_12:
	s_endpgm
	.section	.rodata,"a",@progbits
	.p2align	6, 0x0
	.amdhsa_kernel _ZN12_GLOBAL__N_120softmax_warp_forwardIfffLi3ELb0ELb0ELi32EEEvPT0_PKT_iiiPKbib
		.amdhsa_group_segment_fixed_size 0
		.amdhsa_private_segment_fixed_size 0
		.amdhsa_kernarg_size 304
		.amdhsa_user_sgpr_count 6
		.amdhsa_user_sgpr_private_segment_buffer 1
		.amdhsa_user_sgpr_dispatch_ptr 0
		.amdhsa_user_sgpr_queue_ptr 0
		.amdhsa_user_sgpr_kernarg_segment_ptr 1
		.amdhsa_user_sgpr_dispatch_id 0
		.amdhsa_user_sgpr_flat_scratch_init 0
		.amdhsa_user_sgpr_kernarg_preload_length 0
		.amdhsa_user_sgpr_kernarg_preload_offset 0
		.amdhsa_user_sgpr_private_segment_size 0
		.amdhsa_uses_dynamic_stack 0
		.amdhsa_system_sgpr_private_segment_wavefront_offset 0
		.amdhsa_system_sgpr_workgroup_id_x 1
		.amdhsa_system_sgpr_workgroup_id_y 0
		.amdhsa_system_sgpr_workgroup_id_z 0
		.amdhsa_system_sgpr_workgroup_info 0
		.amdhsa_system_vgpr_workitem_id 1
		.amdhsa_next_free_vgpr 13
		.amdhsa_next_free_sgpr 16
		.amdhsa_accum_offset 16
		.amdhsa_reserve_vcc 1
		.amdhsa_reserve_flat_scratch 0
		.amdhsa_float_round_mode_32 0
		.amdhsa_float_round_mode_16_64 0
		.amdhsa_float_denorm_mode_32 3
		.amdhsa_float_denorm_mode_16_64 3
		.amdhsa_dx10_clamp 1
		.amdhsa_ieee_mode 1
		.amdhsa_fp16_overflow 0
		.amdhsa_tg_split 0
		.amdhsa_exception_fp_ieee_invalid_op 0
		.amdhsa_exception_fp_denorm_src 0
		.amdhsa_exception_fp_ieee_div_zero 0
		.amdhsa_exception_fp_ieee_overflow 0
		.amdhsa_exception_fp_ieee_underflow 0
		.amdhsa_exception_fp_ieee_inexact 0
		.amdhsa_exception_int_div_zero 0
	.end_amdhsa_kernel
	.section	.text._ZN12_GLOBAL__N_120softmax_warp_forwardIfffLi3ELb0ELb0ELi32EEEvPT0_PKT_iiiPKbib,"axG",@progbits,_ZN12_GLOBAL__N_120softmax_warp_forwardIfffLi3ELb0ELb0ELi32EEEvPT0_PKT_iiiPKbib,comdat
.Lfunc_end387:
	.size	_ZN12_GLOBAL__N_120softmax_warp_forwardIfffLi3ELb0ELb0ELi32EEEvPT0_PKT_iiiPKbib, .Lfunc_end387-_ZN12_GLOBAL__N_120softmax_warp_forwardIfffLi3ELb0ELb0ELi32EEEvPT0_PKT_iiiPKbib
                                        ; -- End function
	.section	.AMDGPU.csdata,"",@progbits
; Kernel info:
; codeLenInByte = 1036
; NumSgprs: 20
; NumVgprs: 13
; NumAgprs: 0
; TotalNumVgprs: 13
; ScratchSize: 0
; MemoryBound: 0
; FloatMode: 240
; IeeeMode: 1
; LDSByteSize: 0 bytes/workgroup (compile time only)
; SGPRBlocks: 2
; VGPRBlocks: 1
; NumSGPRsForWavesPerEU: 20
; NumVGPRsForWavesPerEU: 13
; AccumOffset: 16
; Occupancy: 8
; WaveLimiterHint : 0
; COMPUTE_PGM_RSRC2:SCRATCH_EN: 0
; COMPUTE_PGM_RSRC2:USER_SGPR: 6
; COMPUTE_PGM_RSRC2:TRAP_HANDLER: 0
; COMPUTE_PGM_RSRC2:TGID_X_EN: 1
; COMPUTE_PGM_RSRC2:TGID_Y_EN: 0
; COMPUTE_PGM_RSRC2:TGID_Z_EN: 0
; COMPUTE_PGM_RSRC2:TIDIG_COMP_CNT: 1
; COMPUTE_PGM_RSRC3_GFX90A:ACCUM_OFFSET: 3
; COMPUTE_PGM_RSRC3_GFX90A:TG_SPLIT: 0
	.section	.text._ZN12_GLOBAL__N_120softmax_warp_forwardIfffLi4ELb0ELb0ELi64EEEvPT0_PKT_iiiPKbib,"axG",@progbits,_ZN12_GLOBAL__N_120softmax_warp_forwardIfffLi4ELb0ELb0ELi64EEEvPT0_PKT_iiiPKbib,comdat
	.globl	_ZN12_GLOBAL__N_120softmax_warp_forwardIfffLi4ELb0ELb0ELi64EEEvPT0_PKT_iiiPKbib ; -- Begin function _ZN12_GLOBAL__N_120softmax_warp_forwardIfffLi4ELb0ELb0ELi64EEEvPT0_PKT_iiiPKbib
	.p2align	8
	.type	_ZN12_GLOBAL__N_120softmax_warp_forwardIfffLi4ELb0ELb0ELi64EEEvPT0_PKT_iiiPKbib,@function
_ZN12_GLOBAL__N_120softmax_warp_forwardIfffLi4ELb0ELb0ELi64EEEvPT0_PKT_iiiPKbib: ; @_ZN12_GLOBAL__N_120softmax_warp_forwardIfffLi4ELb0ELb0ELi64EEEvPT0_PKT_iiiPKbib
; %bb.0:
	s_load_dword s0, s[4:5], 0x3c
	s_load_dwordx8 s[8:15], s[4:5], 0x0
	v_bfe_u32 v1, v0, 10, 10
	v_and_b32_e32 v2, 0x3ff, v0
	s_waitcnt lgkmcnt(0)
	s_lshr_b32 s0, s0, 16
	s_mul_i32 s6, s6, s0
	v_add_lshl_u32 v1, s6, v1, 1
	v_sub_u32_e32 v8, s12, v1
	v_mad_u64_u32 v[0:1], s[0:1], v1, s13, v[2:3]
	v_ashrrev_i32_e32 v1, 31, v0
	v_lshlrev_b64 v[0:1], 2, v[0:1]
	v_mov_b32_e32 v3, s11
	v_add_co_u32_e32 v4, vcc, s10, v0
	v_addc_co_u32_e32 v5, vcc, v3, v1, vcc
	v_cmp_gt_i32_e64 s[0:1], s14, v2
	v_cmp_lt_i32_e32 vcc, 0, v8
	s_and_b64 s[4:5], s[0:1], vcc
	v_mov_b32_e32 v3, 0xff800000
	v_mov_b32_e32 v2, 0xff800000
	s_and_saveexec_b64 s[2:3], s[4:5]
	s_cbranch_execz .LBB388_2
; %bb.1:
	global_load_dword v2, v[4:5], off
.LBB388_2:
	s_or_b64 exec, exec, s[2:3]
	v_cmp_lt_i32_e64 s[2:3], 1, v8
	s_and_b64 s[2:3], s[0:1], s[2:3]
	s_and_saveexec_b64 s[4:5], s[2:3]
	s_cbranch_execz .LBB388_4
; %bb.3:
	s_mov_b32 s15, 0
	s_lshl_b64 s[2:3], s[14:15], 2
	v_mov_b32_e32 v3, s3
	v_add_co_u32_e64 v4, s[2:3], s2, v4
	v_addc_co_u32_e64 v5, s[2:3], v5, v3, s[2:3]
	global_load_dword v3, v[4:5], off
.LBB388_4:
	s_or_b64 exec, exec, s[4:5]
	v_mbcnt_lo_u32_b32 v4, -1, 0
	v_mbcnt_hi_u32_b32 v4, -1, v4
	v_and_b32_e32 v5, 0x70, v4
	v_add_u32_e32 v5, 16, v5
	v_xor_b32_e32 v6, 8, v4
	v_cmp_lt_i32_e64 s[2:3], v6, v5
	v_cndmask_b32_e64 v6, v4, v6, s[2:3]
	v_lshlrev_b32_e32 v6, 2, v6
	s_waitcnt vmcnt(0)
	ds_bpermute_b32 v9, v6, v3
	ds_bpermute_b32 v7, v6, v2
	v_xor_b32_e32 v10, 4, v4
	v_cmp_lt_i32_e64 s[2:3], v10, v5
	v_xor_b32_e32 v11, 2, v4
	v_cndmask_b32_e64 v10, v4, v10, s[2:3]
	v_cmp_lt_i32_e64 s[2:3], v11, v5
	v_cndmask_b32_e64 v11, v4, v11, s[2:3]
	s_waitcnt lgkmcnt(1)
	v_cmp_lt_f32_e64 s[2:3], v3, v9
	v_lshlrev_b32_e32 v10, 2, v10
	v_cndmask_b32_e64 v9, v3, v9, s[2:3]
	s_waitcnt lgkmcnt(0)
	v_cmp_lt_f32_e64 s[2:3], v2, v7
	ds_bpermute_b32 v13, v10, v9
	v_cndmask_b32_e64 v7, v2, v7, s[2:3]
	ds_bpermute_b32 v14, v10, v7
	v_xor_b32_e32 v12, 1, v4
	v_cmp_lt_i32_e64 s[2:3], v12, v5
	v_cndmask_b32_e64 v4, v4, v12, s[2:3]
	s_waitcnt lgkmcnt(1)
	v_cmp_lt_f32_e64 s[2:3], v9, v13
	v_lshlrev_b32_e32 v11, 2, v11
	v_cndmask_b32_e64 v5, v9, v13, s[2:3]
	s_waitcnt lgkmcnt(0)
	v_cmp_lt_f32_e64 s[2:3], v7, v14
	ds_bpermute_b32 v9, v11, v5
	v_cndmask_b32_e64 v7, v7, v14, s[2:3]
	ds_bpermute_b32 v12, v11, v7
	v_lshlrev_b32_e32 v13, 2, v4
	s_mov_b32 s4, 0x3fb8aa3b
	s_waitcnt lgkmcnt(1)
	v_cmp_lt_f32_e64 s[2:3], v5, v9
	v_cndmask_b32_e64 v4, v5, v9, s[2:3]
	s_waitcnt lgkmcnt(0)
	v_cmp_lt_f32_e64 s[2:3], v7, v12
	ds_bpermute_b32 v5, v13, v4
	v_cndmask_b32_e64 v7, v7, v12, s[2:3]
	ds_bpermute_b32 v9, v13, v7
	s_mov_b32 s5, 0xc2ce8ed0
	s_mov_b32 s6, 0x42b17218
	s_waitcnt lgkmcnt(1)
	v_cmp_lt_f32_e64 s[2:3], v4, v5
	v_cndmask_b32_e64 v5, v4, v5, s[2:3]
	s_waitcnt lgkmcnt(0)
	v_cmp_lt_f32_e64 s[2:3], v7, v9
	v_cndmask_b32_e64 v4, v7, v9, s[2:3]
	v_pk_add_f32 v[2:3], v[2:3], v[4:5] neg_lo:[0,1] neg_hi:[0,1]
	v_mul_f32_e32 v4, 0x3fb8aa3b, v3
	v_fma_f32 v5, v3, s4, -v4
	v_rndne_f32_e32 v7, v4
	v_fmac_f32_e32 v5, 0x32a5705f, v3
	v_sub_f32_e32 v4, v4, v7
	v_add_f32_e32 v4, v4, v5
	v_exp_f32_e32 v4, v4
	v_cvt_i32_f32_e32 v5, v7
	v_cmp_ngt_f32_e64 s[2:3], s5, v3
	v_ldexp_f32 v4, v4, v5
	v_mul_f32_e32 v5, 0x3fb8aa3b, v2
	v_fma_f32 v7, v2, s4, -v5
	v_rndne_f32_e32 v9, v5
	v_fmac_f32_e32 v7, 0x32a5705f, v2
	v_sub_f32_e32 v5, v5, v9
	v_add_f32_e32 v5, v5, v7
	v_exp_f32_e32 v5, v5
	v_cvt_i32_f32_e32 v7, v9
	v_cndmask_b32_e64 v4, 0, v4, s[2:3]
	v_mov_b32_e32 v9, 0x7f800000
	v_cmp_nlt_f32_e64 s[2:3], s6, v3
	v_cndmask_b32_e64 v3, v9, v4, s[2:3]
	v_ldexp_f32 v4, v5, v7
	v_cmp_ngt_f32_e64 s[2:3], s5, v2
	v_cndmask_b32_e64 v4, 0, v4, s[2:3]
	v_cmp_nlt_f32_e64 s[2:3], s6, v2
	v_cndmask_b32_e64 v2, v9, v4, s[2:3]
	ds_bpermute_b32 v4, v6, v2
	ds_bpermute_b32 v5, v6, v3
	s_waitcnt lgkmcnt(0)
	v_pk_add_f32 v[4:5], v[2:3], v[4:5]
	ds_bpermute_b32 v6, v10, v4
	ds_bpermute_b32 v7, v10, v5
	s_waitcnt lgkmcnt(0)
	v_pk_add_f32 v[4:5], v[4:5], v[6:7]
	;; [unrolled: 4-line block ×3, first 2 shown]
	ds_bpermute_b32 v6, v13, v4
	ds_bpermute_b32 v7, v13, v5
	s_and_saveexec_b64 s[2:3], vcc
	s_cbranch_execz .LBB388_12
; %bb.5:
	v_mov_b32_e32 v9, s9
	v_add_co_u32_e32 v0, vcc, s8, v0
	v_addc_co_u32_e32 v1, vcc, v9, v1, vcc
	s_waitcnt lgkmcnt(0)
	v_pk_add_f32 v[4:5], v[4:5], v[6:7]
	s_and_saveexec_b64 s[2:3], s[0:1]
	s_cbranch_execz .LBB388_9
; %bb.6:
	v_cmp_neq_f32_e32 vcc, 0, v4
	v_mov_b32_e32 v6, 0x7fc00000
	s_and_saveexec_b64 s[4:5], vcc
; %bb.7:
	v_div_scale_f32 v6, s[6:7], v4, v4, v2
	v_rcp_f32_e32 v7, v6
	v_div_scale_f32 v9, vcc, v2, v4, v2
	v_fma_f32 v10, -v6, v7, 1.0
	v_fmac_f32_e32 v7, v10, v7
	v_mul_f32_e32 v10, v9, v7
	v_fma_f32 v11, -v6, v10, v9
	v_fmac_f32_e32 v10, v11, v7
	v_fma_f32 v6, -v6, v10, v9
	v_div_fmas_f32 v6, v6, v7, v10
	v_div_fixup_f32 v6, v6, v4, v2
; %bb.8:
	s_or_b64 exec, exec, s[4:5]
	global_store_dword v[0:1], v6, off
.LBB388_9:
	s_or_b64 exec, exec, s[2:3]
	v_cmp_ne_u32_e32 vcc, 1, v8
	s_and_b64 exec, exec, vcc
	s_cbranch_execz .LBB388_12
; %bb.10:
	s_and_b64 exec, exec, s[0:1]
	s_cbranch_execz .LBB388_12
; %bb.11:
	v_div_scale_f32 v2, s[0:1], v5, v5, v3
	v_rcp_f32_e32 v4, v2
	v_div_scale_f32 v6, vcc, v3, v5, v3
	s_mov_b32 s15, 0
	v_fma_f32 v7, -v2, v4, 1.0
	v_fmac_f32_e32 v4, v7, v4
	v_mul_f32_e32 v7, v6, v4
	v_fma_f32 v8, -v2, v7, v6
	v_fmac_f32_e32 v7, v8, v4
	v_fma_f32 v2, -v2, v7, v6
	v_div_fmas_f32 v2, v2, v4, v7
	s_lshl_b64 s[0:1], s[14:15], 2
	v_div_fixup_f32 v2, v2, v5, v3
	v_mov_b32_e32 v3, s1
	v_add_co_u32_e32 v0, vcc, s0, v0
	v_addc_co_u32_e32 v1, vcc, v1, v3, vcc
	v_mov_b32_e32 v3, 0x7fc00000
	v_cmp_neq_f32_e32 vcc, 0, v5
	v_cndmask_b32_e32 v2, v3, v2, vcc
	global_store_dword v[0:1], v2, off
.LBB388_12:
	s_endpgm
	.section	.rodata,"a",@progbits
	.p2align	6, 0x0
	.amdhsa_kernel _ZN12_GLOBAL__N_120softmax_warp_forwardIfffLi4ELb0ELb0ELi64EEEvPT0_PKT_iiiPKbib
		.amdhsa_group_segment_fixed_size 0
		.amdhsa_private_segment_fixed_size 0
		.amdhsa_kernarg_size 304
		.amdhsa_user_sgpr_count 6
		.amdhsa_user_sgpr_private_segment_buffer 1
		.amdhsa_user_sgpr_dispatch_ptr 0
		.amdhsa_user_sgpr_queue_ptr 0
		.amdhsa_user_sgpr_kernarg_segment_ptr 1
		.amdhsa_user_sgpr_dispatch_id 0
		.amdhsa_user_sgpr_flat_scratch_init 0
		.amdhsa_user_sgpr_kernarg_preload_length 0
		.amdhsa_user_sgpr_kernarg_preload_offset 0
		.amdhsa_user_sgpr_private_segment_size 0
		.amdhsa_uses_dynamic_stack 0
		.amdhsa_system_sgpr_private_segment_wavefront_offset 0
		.amdhsa_system_sgpr_workgroup_id_x 1
		.amdhsa_system_sgpr_workgroup_id_y 0
		.amdhsa_system_sgpr_workgroup_id_z 0
		.amdhsa_system_sgpr_workgroup_info 0
		.amdhsa_system_vgpr_workitem_id 1
		.amdhsa_next_free_vgpr 15
		.amdhsa_next_free_sgpr 16
		.amdhsa_accum_offset 16
		.amdhsa_reserve_vcc 1
		.amdhsa_reserve_flat_scratch 0
		.amdhsa_float_round_mode_32 0
		.amdhsa_float_round_mode_16_64 0
		.amdhsa_float_denorm_mode_32 3
		.amdhsa_float_denorm_mode_16_64 3
		.amdhsa_dx10_clamp 1
		.amdhsa_ieee_mode 1
		.amdhsa_fp16_overflow 0
		.amdhsa_tg_split 0
		.amdhsa_exception_fp_ieee_invalid_op 0
		.amdhsa_exception_fp_denorm_src 0
		.amdhsa_exception_fp_ieee_div_zero 0
		.amdhsa_exception_fp_ieee_overflow 0
		.amdhsa_exception_fp_ieee_underflow 0
		.amdhsa_exception_fp_ieee_inexact 0
		.amdhsa_exception_int_div_zero 0
	.end_amdhsa_kernel
	.section	.text._ZN12_GLOBAL__N_120softmax_warp_forwardIfffLi4ELb0ELb0ELi64EEEvPT0_PKT_iiiPKbib,"axG",@progbits,_ZN12_GLOBAL__N_120softmax_warp_forwardIfffLi4ELb0ELb0ELi64EEEvPT0_PKT_iiiPKbib,comdat
.Lfunc_end388:
	.size	_ZN12_GLOBAL__N_120softmax_warp_forwardIfffLi4ELb0ELb0ELi64EEEvPT0_PKT_iiiPKbib, .Lfunc_end388-_ZN12_GLOBAL__N_120softmax_warp_forwardIfffLi4ELb0ELb0ELi64EEEvPT0_PKT_iiiPKbib
                                        ; -- End function
	.section	.AMDGPU.csdata,"",@progbits
; Kernel info:
; codeLenInByte = 1144
; NumSgprs: 20
; NumVgprs: 15
; NumAgprs: 0
; TotalNumVgprs: 15
; ScratchSize: 0
; MemoryBound: 0
; FloatMode: 240
; IeeeMode: 1
; LDSByteSize: 0 bytes/workgroup (compile time only)
; SGPRBlocks: 2
; VGPRBlocks: 1
; NumSGPRsForWavesPerEU: 20
; NumVGPRsForWavesPerEU: 15
; AccumOffset: 16
; Occupancy: 8
; WaveLimiterHint : 0
; COMPUTE_PGM_RSRC2:SCRATCH_EN: 0
; COMPUTE_PGM_RSRC2:USER_SGPR: 6
; COMPUTE_PGM_RSRC2:TRAP_HANDLER: 0
; COMPUTE_PGM_RSRC2:TGID_X_EN: 1
; COMPUTE_PGM_RSRC2:TGID_Y_EN: 0
; COMPUTE_PGM_RSRC2:TGID_Z_EN: 0
; COMPUTE_PGM_RSRC2:TIDIG_COMP_CNT: 1
; COMPUTE_PGM_RSRC3_GFX90A:ACCUM_OFFSET: 3
; COMPUTE_PGM_RSRC3_GFX90A:TG_SPLIT: 0
	.section	.text._ZN12_GLOBAL__N_120softmax_warp_forwardIfffLi4ELb0ELb0ELi32EEEvPT0_PKT_iiiPKbib,"axG",@progbits,_ZN12_GLOBAL__N_120softmax_warp_forwardIfffLi4ELb0ELb0ELi32EEEvPT0_PKT_iiiPKbib,comdat
	.globl	_ZN12_GLOBAL__N_120softmax_warp_forwardIfffLi4ELb0ELb0ELi32EEEvPT0_PKT_iiiPKbib ; -- Begin function _ZN12_GLOBAL__N_120softmax_warp_forwardIfffLi4ELb0ELb0ELi32EEEvPT0_PKT_iiiPKbib
	.p2align	8
	.type	_ZN12_GLOBAL__N_120softmax_warp_forwardIfffLi4ELb0ELb0ELi32EEEvPT0_PKT_iiiPKbib,@function
_ZN12_GLOBAL__N_120softmax_warp_forwardIfffLi4ELb0ELb0ELi32EEEvPT0_PKT_iiiPKbib: ; @_ZN12_GLOBAL__N_120softmax_warp_forwardIfffLi4ELb0ELb0ELi32EEEvPT0_PKT_iiiPKbib
; %bb.0:
	s_load_dword s0, s[4:5], 0x3c
	s_load_dwordx8 s[8:15], s[4:5], 0x0
	v_bfe_u32 v1, v0, 10, 10
	v_and_b32_e32 v2, 0x3ff, v0
	s_waitcnt lgkmcnt(0)
	s_lshr_b32 s0, s0, 16
	s_mul_i32 s6, s6, s0
	v_add_lshl_u32 v1, s6, v1, 1
	v_sub_u32_e32 v8, s12, v1
	v_mad_u64_u32 v[0:1], s[0:1], v1, s13, v[2:3]
	v_ashrrev_i32_e32 v1, 31, v0
	v_lshlrev_b64 v[0:1], 2, v[0:1]
	v_mov_b32_e32 v3, s11
	v_add_co_u32_e32 v4, vcc, s10, v0
	v_addc_co_u32_e32 v5, vcc, v3, v1, vcc
	v_cmp_gt_i32_e64 s[0:1], s14, v2
	v_cmp_lt_i32_e32 vcc, 0, v8
	s_and_b64 s[4:5], s[0:1], vcc
	v_mov_b32_e32 v3, 0xff800000
	v_mov_b32_e32 v2, 0xff800000
	s_and_saveexec_b64 s[2:3], s[4:5]
	s_cbranch_execz .LBB389_2
; %bb.1:
	global_load_dword v2, v[4:5], off
.LBB389_2:
	s_or_b64 exec, exec, s[2:3]
	v_cmp_lt_i32_e64 s[2:3], 1, v8
	s_and_b64 s[2:3], s[0:1], s[2:3]
	s_and_saveexec_b64 s[4:5], s[2:3]
	s_cbranch_execz .LBB389_4
; %bb.3:
	s_mov_b32 s15, 0
	s_lshl_b64 s[2:3], s[14:15], 2
	v_mov_b32_e32 v3, s3
	v_add_co_u32_e64 v4, s[2:3], s2, v4
	v_addc_co_u32_e64 v5, s[2:3], v5, v3, s[2:3]
	global_load_dword v3, v[4:5], off
.LBB389_4:
	s_or_b64 exec, exec, s[4:5]
	v_mbcnt_lo_u32_b32 v4, -1, 0
	v_mbcnt_hi_u32_b32 v4, -1, v4
	v_and_b32_e32 v5, 0x70, v4
	v_add_u32_e32 v5, 16, v5
	v_xor_b32_e32 v6, 8, v4
	v_cmp_lt_i32_e64 s[2:3], v6, v5
	v_cndmask_b32_e64 v6, v4, v6, s[2:3]
	v_lshlrev_b32_e32 v6, 2, v6
	s_waitcnt vmcnt(0)
	ds_bpermute_b32 v9, v6, v3
	ds_bpermute_b32 v7, v6, v2
	v_xor_b32_e32 v10, 4, v4
	v_cmp_lt_i32_e64 s[2:3], v10, v5
	v_xor_b32_e32 v11, 2, v4
	v_cndmask_b32_e64 v10, v4, v10, s[2:3]
	v_cmp_lt_i32_e64 s[2:3], v11, v5
	v_cndmask_b32_e64 v11, v4, v11, s[2:3]
	s_waitcnt lgkmcnt(1)
	v_cmp_lt_f32_e64 s[2:3], v3, v9
	v_lshlrev_b32_e32 v10, 2, v10
	v_cndmask_b32_e64 v9, v3, v9, s[2:3]
	s_waitcnt lgkmcnt(0)
	v_cmp_lt_f32_e64 s[2:3], v2, v7
	ds_bpermute_b32 v13, v10, v9
	v_cndmask_b32_e64 v7, v2, v7, s[2:3]
	ds_bpermute_b32 v14, v10, v7
	v_xor_b32_e32 v12, 1, v4
	v_cmp_lt_i32_e64 s[2:3], v12, v5
	v_cndmask_b32_e64 v4, v4, v12, s[2:3]
	s_waitcnt lgkmcnt(1)
	v_cmp_lt_f32_e64 s[2:3], v9, v13
	v_lshlrev_b32_e32 v11, 2, v11
	v_cndmask_b32_e64 v5, v9, v13, s[2:3]
	s_waitcnt lgkmcnt(0)
	v_cmp_lt_f32_e64 s[2:3], v7, v14
	ds_bpermute_b32 v9, v11, v5
	v_cndmask_b32_e64 v7, v7, v14, s[2:3]
	ds_bpermute_b32 v12, v11, v7
	v_lshlrev_b32_e32 v13, 2, v4
	s_mov_b32 s4, 0x3fb8aa3b
	s_waitcnt lgkmcnt(1)
	v_cmp_lt_f32_e64 s[2:3], v5, v9
	v_cndmask_b32_e64 v4, v5, v9, s[2:3]
	s_waitcnt lgkmcnt(0)
	v_cmp_lt_f32_e64 s[2:3], v7, v12
	ds_bpermute_b32 v5, v13, v4
	v_cndmask_b32_e64 v7, v7, v12, s[2:3]
	ds_bpermute_b32 v9, v13, v7
	s_mov_b32 s5, 0xc2ce8ed0
	s_mov_b32 s6, 0x42b17218
	s_waitcnt lgkmcnt(1)
	v_cmp_lt_f32_e64 s[2:3], v4, v5
	v_cndmask_b32_e64 v5, v4, v5, s[2:3]
	s_waitcnt lgkmcnt(0)
	v_cmp_lt_f32_e64 s[2:3], v7, v9
	v_cndmask_b32_e64 v4, v7, v9, s[2:3]
	v_pk_add_f32 v[2:3], v[2:3], v[4:5] neg_lo:[0,1] neg_hi:[0,1]
	v_mul_f32_e32 v4, 0x3fb8aa3b, v3
	v_fma_f32 v5, v3, s4, -v4
	v_rndne_f32_e32 v7, v4
	v_fmac_f32_e32 v5, 0x32a5705f, v3
	v_sub_f32_e32 v4, v4, v7
	v_add_f32_e32 v4, v4, v5
	v_exp_f32_e32 v4, v4
	v_cvt_i32_f32_e32 v5, v7
	v_cmp_ngt_f32_e64 s[2:3], s5, v3
	v_ldexp_f32 v4, v4, v5
	v_mul_f32_e32 v5, 0x3fb8aa3b, v2
	v_fma_f32 v7, v2, s4, -v5
	v_rndne_f32_e32 v9, v5
	v_fmac_f32_e32 v7, 0x32a5705f, v2
	v_sub_f32_e32 v5, v5, v9
	v_add_f32_e32 v5, v5, v7
	v_exp_f32_e32 v5, v5
	v_cvt_i32_f32_e32 v7, v9
	v_cndmask_b32_e64 v4, 0, v4, s[2:3]
	v_mov_b32_e32 v9, 0x7f800000
	v_cmp_nlt_f32_e64 s[2:3], s6, v3
	v_cndmask_b32_e64 v3, v9, v4, s[2:3]
	v_ldexp_f32 v4, v5, v7
	v_cmp_ngt_f32_e64 s[2:3], s5, v2
	v_cndmask_b32_e64 v4, 0, v4, s[2:3]
	v_cmp_nlt_f32_e64 s[2:3], s6, v2
	v_cndmask_b32_e64 v2, v9, v4, s[2:3]
	ds_bpermute_b32 v4, v6, v2
	ds_bpermute_b32 v5, v6, v3
	s_waitcnt lgkmcnt(0)
	v_pk_add_f32 v[4:5], v[2:3], v[4:5]
	ds_bpermute_b32 v6, v10, v4
	ds_bpermute_b32 v7, v10, v5
	s_waitcnt lgkmcnt(0)
	v_pk_add_f32 v[4:5], v[4:5], v[6:7]
	ds_bpermute_b32 v6, v11, v4
	ds_bpermute_b32 v7, v11, v5
	s_waitcnt lgkmcnt(0)
	v_pk_add_f32 v[4:5], v[4:5], v[6:7]
	ds_bpermute_b32 v6, v13, v4
	ds_bpermute_b32 v7, v13, v5
	s_and_saveexec_b64 s[2:3], vcc
	s_cbranch_execz .LBB389_12
; %bb.5:
	v_mov_b32_e32 v9, s9
	v_add_co_u32_e32 v0, vcc, s8, v0
	v_addc_co_u32_e32 v1, vcc, v9, v1, vcc
	s_waitcnt lgkmcnt(0)
	v_pk_add_f32 v[4:5], v[4:5], v[6:7]
	s_and_saveexec_b64 s[2:3], s[0:1]
	s_cbranch_execz .LBB389_9
; %bb.6:
	v_cmp_neq_f32_e32 vcc, 0, v4
	v_mov_b32_e32 v6, 0x7fc00000
	s_and_saveexec_b64 s[4:5], vcc
; %bb.7:
	v_div_scale_f32 v6, s[6:7], v4, v4, v2
	v_rcp_f32_e32 v7, v6
	v_div_scale_f32 v9, vcc, v2, v4, v2
	v_fma_f32 v10, -v6, v7, 1.0
	v_fmac_f32_e32 v7, v10, v7
	v_mul_f32_e32 v10, v9, v7
	v_fma_f32 v11, -v6, v10, v9
	v_fmac_f32_e32 v10, v11, v7
	v_fma_f32 v6, -v6, v10, v9
	v_div_fmas_f32 v6, v6, v7, v10
	v_div_fixup_f32 v6, v6, v4, v2
; %bb.8:
	s_or_b64 exec, exec, s[4:5]
	global_store_dword v[0:1], v6, off
.LBB389_9:
	s_or_b64 exec, exec, s[2:3]
	v_cmp_ne_u32_e32 vcc, 1, v8
	s_and_b64 exec, exec, vcc
	s_cbranch_execz .LBB389_12
; %bb.10:
	s_and_b64 exec, exec, s[0:1]
	s_cbranch_execz .LBB389_12
; %bb.11:
	v_div_scale_f32 v2, s[0:1], v5, v5, v3
	v_rcp_f32_e32 v4, v2
	v_div_scale_f32 v6, vcc, v3, v5, v3
	s_mov_b32 s15, 0
	v_fma_f32 v7, -v2, v4, 1.0
	v_fmac_f32_e32 v4, v7, v4
	v_mul_f32_e32 v7, v6, v4
	v_fma_f32 v8, -v2, v7, v6
	v_fmac_f32_e32 v7, v8, v4
	v_fma_f32 v2, -v2, v7, v6
	v_div_fmas_f32 v2, v2, v4, v7
	s_lshl_b64 s[0:1], s[14:15], 2
	v_div_fixup_f32 v2, v2, v5, v3
	v_mov_b32_e32 v3, s1
	v_add_co_u32_e32 v0, vcc, s0, v0
	v_addc_co_u32_e32 v1, vcc, v1, v3, vcc
	v_mov_b32_e32 v3, 0x7fc00000
	v_cmp_neq_f32_e32 vcc, 0, v5
	v_cndmask_b32_e32 v2, v3, v2, vcc
	global_store_dword v[0:1], v2, off
.LBB389_12:
	s_endpgm
	.section	.rodata,"a",@progbits
	.p2align	6, 0x0
	.amdhsa_kernel _ZN12_GLOBAL__N_120softmax_warp_forwardIfffLi4ELb0ELb0ELi32EEEvPT0_PKT_iiiPKbib
		.amdhsa_group_segment_fixed_size 0
		.amdhsa_private_segment_fixed_size 0
		.amdhsa_kernarg_size 304
		.amdhsa_user_sgpr_count 6
		.amdhsa_user_sgpr_private_segment_buffer 1
		.amdhsa_user_sgpr_dispatch_ptr 0
		.amdhsa_user_sgpr_queue_ptr 0
		.amdhsa_user_sgpr_kernarg_segment_ptr 1
		.amdhsa_user_sgpr_dispatch_id 0
		.amdhsa_user_sgpr_flat_scratch_init 0
		.amdhsa_user_sgpr_kernarg_preload_length 0
		.amdhsa_user_sgpr_kernarg_preload_offset 0
		.amdhsa_user_sgpr_private_segment_size 0
		.amdhsa_uses_dynamic_stack 0
		.amdhsa_system_sgpr_private_segment_wavefront_offset 0
		.amdhsa_system_sgpr_workgroup_id_x 1
		.amdhsa_system_sgpr_workgroup_id_y 0
		.amdhsa_system_sgpr_workgroup_id_z 0
		.amdhsa_system_sgpr_workgroup_info 0
		.amdhsa_system_vgpr_workitem_id 1
		.amdhsa_next_free_vgpr 15
		.amdhsa_next_free_sgpr 16
		.amdhsa_accum_offset 16
		.amdhsa_reserve_vcc 1
		.amdhsa_reserve_flat_scratch 0
		.amdhsa_float_round_mode_32 0
		.amdhsa_float_round_mode_16_64 0
		.amdhsa_float_denorm_mode_32 3
		.amdhsa_float_denorm_mode_16_64 3
		.amdhsa_dx10_clamp 1
		.amdhsa_ieee_mode 1
		.amdhsa_fp16_overflow 0
		.amdhsa_tg_split 0
		.amdhsa_exception_fp_ieee_invalid_op 0
		.amdhsa_exception_fp_denorm_src 0
		.amdhsa_exception_fp_ieee_div_zero 0
		.amdhsa_exception_fp_ieee_overflow 0
		.amdhsa_exception_fp_ieee_underflow 0
		.amdhsa_exception_fp_ieee_inexact 0
		.amdhsa_exception_int_div_zero 0
	.end_amdhsa_kernel
	.section	.text._ZN12_GLOBAL__N_120softmax_warp_forwardIfffLi4ELb0ELb0ELi32EEEvPT0_PKT_iiiPKbib,"axG",@progbits,_ZN12_GLOBAL__N_120softmax_warp_forwardIfffLi4ELb0ELb0ELi32EEEvPT0_PKT_iiiPKbib,comdat
.Lfunc_end389:
	.size	_ZN12_GLOBAL__N_120softmax_warp_forwardIfffLi4ELb0ELb0ELi32EEEvPT0_PKT_iiiPKbib, .Lfunc_end389-_ZN12_GLOBAL__N_120softmax_warp_forwardIfffLi4ELb0ELb0ELi32EEEvPT0_PKT_iiiPKbib
                                        ; -- End function
	.section	.AMDGPU.csdata,"",@progbits
; Kernel info:
; codeLenInByte = 1144
; NumSgprs: 20
; NumVgprs: 15
; NumAgprs: 0
; TotalNumVgprs: 15
; ScratchSize: 0
; MemoryBound: 0
; FloatMode: 240
; IeeeMode: 1
; LDSByteSize: 0 bytes/workgroup (compile time only)
; SGPRBlocks: 2
; VGPRBlocks: 1
; NumSGPRsForWavesPerEU: 20
; NumVGPRsForWavesPerEU: 15
; AccumOffset: 16
; Occupancy: 8
; WaveLimiterHint : 0
; COMPUTE_PGM_RSRC2:SCRATCH_EN: 0
; COMPUTE_PGM_RSRC2:USER_SGPR: 6
; COMPUTE_PGM_RSRC2:TRAP_HANDLER: 0
; COMPUTE_PGM_RSRC2:TGID_X_EN: 1
; COMPUTE_PGM_RSRC2:TGID_Y_EN: 0
; COMPUTE_PGM_RSRC2:TGID_Z_EN: 0
; COMPUTE_PGM_RSRC2:TIDIG_COMP_CNT: 1
; COMPUTE_PGM_RSRC3_GFX90A:ACCUM_OFFSET: 3
; COMPUTE_PGM_RSRC3_GFX90A:TG_SPLIT: 0
	.section	.text._ZN12_GLOBAL__N_120softmax_warp_forwardIfffLi5ELb0ELb0ELi64EEEvPT0_PKT_iiiPKbib,"axG",@progbits,_ZN12_GLOBAL__N_120softmax_warp_forwardIfffLi5ELb0ELb0ELi64EEEvPT0_PKT_iiiPKbib,comdat
	.globl	_ZN12_GLOBAL__N_120softmax_warp_forwardIfffLi5ELb0ELb0ELi64EEEvPT0_PKT_iiiPKbib ; -- Begin function _ZN12_GLOBAL__N_120softmax_warp_forwardIfffLi5ELb0ELb0ELi64EEEvPT0_PKT_iiiPKbib
	.p2align	8
	.type	_ZN12_GLOBAL__N_120softmax_warp_forwardIfffLi5ELb0ELb0ELi64EEEvPT0_PKT_iiiPKbib,@function
_ZN12_GLOBAL__N_120softmax_warp_forwardIfffLi5ELb0ELb0ELi64EEEvPT0_PKT_iiiPKbib: ; @_ZN12_GLOBAL__N_120softmax_warp_forwardIfffLi5ELb0ELb0ELi64EEEvPT0_PKT_iiiPKbib
; %bb.0:
	s_load_dword s0, s[4:5], 0x3c
	s_load_dwordx8 s[8:15], s[4:5], 0x0
	v_bfe_u32 v1, v0, 10, 10
	v_and_b32_e32 v2, 0x3ff, v0
	s_waitcnt lgkmcnt(0)
	s_lshr_b32 s0, s0, 16
	s_mul_i32 s6, s6, s0
	v_add_lshl_u32 v1, s6, v1, 1
	v_sub_u32_e32 v8, s12, v1
	v_mad_u64_u32 v[0:1], s[0:1], v1, s13, v[2:3]
	v_ashrrev_i32_e32 v1, 31, v0
	v_lshlrev_b64 v[0:1], 2, v[0:1]
	v_mov_b32_e32 v3, s11
	v_add_co_u32_e32 v4, vcc, s10, v0
	v_addc_co_u32_e32 v5, vcc, v3, v1, vcc
	v_cmp_gt_i32_e64 s[0:1], s14, v2
	v_cmp_lt_i32_e32 vcc, 0, v8
	s_and_b64 s[4:5], s[0:1], vcc
	v_mov_b32_e32 v3, 0xff800000
	v_mov_b32_e32 v2, 0xff800000
	s_and_saveexec_b64 s[2:3], s[4:5]
	s_cbranch_execz .LBB390_2
; %bb.1:
	global_load_dword v2, v[4:5], off
.LBB390_2:
	s_or_b64 exec, exec, s[2:3]
	v_cmp_lt_i32_e64 s[2:3], 1, v8
	s_and_b64 s[2:3], s[0:1], s[2:3]
	s_and_saveexec_b64 s[4:5], s[2:3]
	s_cbranch_execz .LBB390_4
; %bb.3:
	s_mov_b32 s15, 0
	s_lshl_b64 s[2:3], s[14:15], 2
	v_mov_b32_e32 v3, s3
	v_add_co_u32_e64 v4, s[2:3], s2, v4
	v_addc_co_u32_e64 v5, s[2:3], v5, v3, s[2:3]
	global_load_dword v3, v[4:5], off
.LBB390_4:
	s_or_b64 exec, exec, s[4:5]
	v_mbcnt_lo_u32_b32 v4, -1, 0
	v_mbcnt_hi_u32_b32 v4, -1, v4
	v_and_b32_e32 v5, 0x60, v4
	v_add_u32_e32 v5, 32, v5
	v_xor_b32_e32 v6, 16, v4
	v_cmp_lt_i32_e64 s[2:3], v6, v5
	v_cndmask_b32_e64 v6, v4, v6, s[2:3]
	v_lshlrev_b32_e32 v6, 2, v6
	s_waitcnt vmcnt(0)
	ds_bpermute_b32 v9, v6, v3
	ds_bpermute_b32 v7, v6, v2
	v_xor_b32_e32 v10, 8, v4
	v_cmp_lt_i32_e64 s[2:3], v10, v5
	v_xor_b32_e32 v11, 4, v4
	v_cndmask_b32_e64 v10, v4, v10, s[2:3]
	v_cmp_lt_i32_e64 s[2:3], v11, v5
	v_xor_b32_e32 v12, 2, v4
	v_cndmask_b32_e64 v11, v4, v11, s[2:3]
	v_cmp_lt_i32_e64 s[2:3], v12, v5
	v_cndmask_b32_e64 v12, v4, v12, s[2:3]
	s_waitcnt lgkmcnt(1)
	v_cmp_lt_f32_e64 s[2:3], v3, v9
	v_lshlrev_b32_e32 v10, 2, v10
	v_cndmask_b32_e64 v9, v3, v9, s[2:3]
	s_waitcnt lgkmcnt(0)
	v_cmp_lt_f32_e64 s[2:3], v2, v7
	ds_bpermute_b32 v13, v10, v9
	v_cndmask_b32_e64 v7, v2, v7, s[2:3]
	ds_bpermute_b32 v14, v10, v7
	v_lshlrev_b32_e32 v11, 2, v11
	v_xor_b32_e32 v15, 1, v4
	s_waitcnt lgkmcnt(1)
	v_cmp_lt_f32_e64 s[2:3], v9, v13
	v_cndmask_b32_e64 v9, v9, v13, s[2:3]
	s_waitcnt lgkmcnt(0)
	v_cmp_lt_f32_e64 s[2:3], v7, v14
	ds_bpermute_b32 v13, v11, v9
	v_cndmask_b32_e64 v7, v7, v14, s[2:3]
	ds_bpermute_b32 v14, v11, v7
	v_cmp_lt_i32_e64 s[2:3], v15, v5
	v_cndmask_b32_e64 v4, v4, v15, s[2:3]
	s_waitcnt lgkmcnt(1)
	v_cmp_lt_f32_e64 s[2:3], v9, v13
	v_lshlrev_b32_e32 v12, 2, v12
	v_cndmask_b32_e64 v5, v9, v13, s[2:3]
	s_waitcnt lgkmcnt(0)
	v_cmp_lt_f32_e64 s[2:3], v7, v14
	ds_bpermute_b32 v9, v12, v5
	v_cndmask_b32_e64 v7, v7, v14, s[2:3]
	ds_bpermute_b32 v13, v12, v7
	v_lshlrev_b32_e32 v14, 2, v4
	s_mov_b32 s4, 0x3fb8aa3b
	s_waitcnt lgkmcnt(1)
	v_cmp_lt_f32_e64 s[2:3], v5, v9
	v_cndmask_b32_e64 v4, v5, v9, s[2:3]
	s_waitcnt lgkmcnt(0)
	v_cmp_lt_f32_e64 s[2:3], v7, v13
	ds_bpermute_b32 v5, v14, v4
	v_cndmask_b32_e64 v7, v7, v13, s[2:3]
	ds_bpermute_b32 v9, v14, v7
	s_mov_b32 s5, 0xc2ce8ed0
	s_mov_b32 s6, 0x42b17218
	s_waitcnt lgkmcnt(1)
	v_cmp_lt_f32_e64 s[2:3], v4, v5
	v_cndmask_b32_e64 v5, v4, v5, s[2:3]
	s_waitcnt lgkmcnt(0)
	v_cmp_lt_f32_e64 s[2:3], v7, v9
	v_cndmask_b32_e64 v4, v7, v9, s[2:3]
	v_pk_add_f32 v[2:3], v[2:3], v[4:5] neg_lo:[0,1] neg_hi:[0,1]
	v_mul_f32_e32 v4, 0x3fb8aa3b, v3
	v_fma_f32 v5, v3, s4, -v4
	v_rndne_f32_e32 v7, v4
	v_fmac_f32_e32 v5, 0x32a5705f, v3
	v_sub_f32_e32 v4, v4, v7
	v_add_f32_e32 v4, v4, v5
	v_exp_f32_e32 v4, v4
	v_cvt_i32_f32_e32 v5, v7
	v_cmp_ngt_f32_e64 s[2:3], s5, v3
	v_ldexp_f32 v4, v4, v5
	v_mul_f32_e32 v5, 0x3fb8aa3b, v2
	v_fma_f32 v7, v2, s4, -v5
	v_rndne_f32_e32 v9, v5
	v_fmac_f32_e32 v7, 0x32a5705f, v2
	v_sub_f32_e32 v5, v5, v9
	v_add_f32_e32 v5, v5, v7
	v_exp_f32_e32 v5, v5
	v_cvt_i32_f32_e32 v7, v9
	v_cndmask_b32_e64 v4, 0, v4, s[2:3]
	v_mov_b32_e32 v9, 0x7f800000
	v_cmp_nlt_f32_e64 s[2:3], s6, v3
	v_cndmask_b32_e64 v3, v9, v4, s[2:3]
	v_ldexp_f32 v4, v5, v7
	v_cmp_ngt_f32_e64 s[2:3], s5, v2
	v_cndmask_b32_e64 v4, 0, v4, s[2:3]
	v_cmp_nlt_f32_e64 s[2:3], s6, v2
	v_cndmask_b32_e64 v2, v9, v4, s[2:3]
	ds_bpermute_b32 v4, v6, v2
	ds_bpermute_b32 v5, v6, v3
	s_waitcnt lgkmcnt(0)
	v_pk_add_f32 v[4:5], v[2:3], v[4:5]
	ds_bpermute_b32 v6, v10, v4
	ds_bpermute_b32 v7, v10, v5
	s_waitcnt lgkmcnt(0)
	v_pk_add_f32 v[4:5], v[4:5], v[6:7]
	;; [unrolled: 4-line block ×4, first 2 shown]
	ds_bpermute_b32 v6, v14, v4
	ds_bpermute_b32 v7, v14, v5
	s_and_saveexec_b64 s[2:3], vcc
	s_cbranch_execz .LBB390_12
; %bb.5:
	v_mov_b32_e32 v9, s9
	v_add_co_u32_e32 v0, vcc, s8, v0
	v_addc_co_u32_e32 v1, vcc, v9, v1, vcc
	s_waitcnt lgkmcnt(0)
	v_pk_add_f32 v[4:5], v[4:5], v[6:7]
	s_and_saveexec_b64 s[2:3], s[0:1]
	s_cbranch_execz .LBB390_9
; %bb.6:
	v_cmp_neq_f32_e32 vcc, 0, v4
	v_mov_b32_e32 v6, 0x7fc00000
	s_and_saveexec_b64 s[4:5], vcc
; %bb.7:
	v_div_scale_f32 v6, s[6:7], v4, v4, v2
	v_rcp_f32_e32 v7, v6
	v_div_scale_f32 v9, vcc, v2, v4, v2
	v_fma_f32 v10, -v6, v7, 1.0
	v_fmac_f32_e32 v7, v10, v7
	v_mul_f32_e32 v10, v9, v7
	v_fma_f32 v11, -v6, v10, v9
	v_fmac_f32_e32 v10, v11, v7
	v_fma_f32 v6, -v6, v10, v9
	v_div_fmas_f32 v6, v6, v7, v10
	v_div_fixup_f32 v6, v6, v4, v2
; %bb.8:
	s_or_b64 exec, exec, s[4:5]
	global_store_dword v[0:1], v6, off
.LBB390_9:
	s_or_b64 exec, exec, s[2:3]
	v_cmp_ne_u32_e32 vcc, 1, v8
	s_and_b64 exec, exec, vcc
	s_cbranch_execz .LBB390_12
; %bb.10:
	s_and_b64 exec, exec, s[0:1]
	s_cbranch_execz .LBB390_12
; %bb.11:
	v_div_scale_f32 v2, s[0:1], v5, v5, v3
	v_rcp_f32_e32 v4, v2
	v_div_scale_f32 v6, vcc, v3, v5, v3
	s_mov_b32 s15, 0
	v_fma_f32 v7, -v2, v4, 1.0
	v_fmac_f32_e32 v4, v7, v4
	v_mul_f32_e32 v7, v6, v4
	v_fma_f32 v8, -v2, v7, v6
	v_fmac_f32_e32 v7, v8, v4
	v_fma_f32 v2, -v2, v7, v6
	v_div_fmas_f32 v2, v2, v4, v7
	s_lshl_b64 s[0:1], s[14:15], 2
	v_div_fixup_f32 v2, v2, v5, v3
	v_mov_b32_e32 v3, s1
	v_add_co_u32_e32 v0, vcc, s0, v0
	v_addc_co_u32_e32 v1, vcc, v1, v3, vcc
	v_mov_b32_e32 v3, 0x7fc00000
	v_cmp_neq_f32_e32 vcc, 0, v5
	v_cndmask_b32_e32 v2, v3, v2, vcc
	global_store_dword v[0:1], v2, off
.LBB390_12:
	s_endpgm
	.section	.rodata,"a",@progbits
	.p2align	6, 0x0
	.amdhsa_kernel _ZN12_GLOBAL__N_120softmax_warp_forwardIfffLi5ELb0ELb0ELi64EEEvPT0_PKT_iiiPKbib
		.amdhsa_group_segment_fixed_size 0
		.amdhsa_private_segment_fixed_size 0
		.amdhsa_kernarg_size 304
		.amdhsa_user_sgpr_count 6
		.amdhsa_user_sgpr_private_segment_buffer 1
		.amdhsa_user_sgpr_dispatch_ptr 0
		.amdhsa_user_sgpr_queue_ptr 0
		.amdhsa_user_sgpr_kernarg_segment_ptr 1
		.amdhsa_user_sgpr_dispatch_id 0
		.amdhsa_user_sgpr_flat_scratch_init 0
		.amdhsa_user_sgpr_kernarg_preload_length 0
		.amdhsa_user_sgpr_kernarg_preload_offset 0
		.amdhsa_user_sgpr_private_segment_size 0
		.amdhsa_uses_dynamic_stack 0
		.amdhsa_system_sgpr_private_segment_wavefront_offset 0
		.amdhsa_system_sgpr_workgroup_id_x 1
		.amdhsa_system_sgpr_workgroup_id_y 0
		.amdhsa_system_sgpr_workgroup_id_z 0
		.amdhsa_system_sgpr_workgroup_info 0
		.amdhsa_system_vgpr_workitem_id 1
		.amdhsa_next_free_vgpr 16
		.amdhsa_next_free_sgpr 16
		.amdhsa_accum_offset 16
		.amdhsa_reserve_vcc 1
		.amdhsa_reserve_flat_scratch 0
		.amdhsa_float_round_mode_32 0
		.amdhsa_float_round_mode_16_64 0
		.amdhsa_float_denorm_mode_32 3
		.amdhsa_float_denorm_mode_16_64 3
		.amdhsa_dx10_clamp 1
		.amdhsa_ieee_mode 1
		.amdhsa_fp16_overflow 0
		.amdhsa_tg_split 0
		.amdhsa_exception_fp_ieee_invalid_op 0
		.amdhsa_exception_fp_denorm_src 0
		.amdhsa_exception_fp_ieee_div_zero 0
		.amdhsa_exception_fp_ieee_overflow 0
		.amdhsa_exception_fp_ieee_underflow 0
		.amdhsa_exception_fp_ieee_inexact 0
		.amdhsa_exception_int_div_zero 0
	.end_amdhsa_kernel
	.section	.text._ZN12_GLOBAL__N_120softmax_warp_forwardIfffLi5ELb0ELb0ELi64EEEvPT0_PKT_iiiPKbib,"axG",@progbits,_ZN12_GLOBAL__N_120softmax_warp_forwardIfffLi5ELb0ELb0ELi64EEEvPT0_PKT_iiiPKbib,comdat
.Lfunc_end390:
	.size	_ZN12_GLOBAL__N_120softmax_warp_forwardIfffLi5ELb0ELb0ELi64EEEvPT0_PKT_iiiPKbib, .Lfunc_end390-_ZN12_GLOBAL__N_120softmax_warp_forwardIfffLi5ELb0ELb0ELi64EEEvPT0_PKT_iiiPKbib
                                        ; -- End function
	.section	.AMDGPU.csdata,"",@progbits
; Kernel info:
; codeLenInByte = 1252
; NumSgprs: 20
; NumVgprs: 16
; NumAgprs: 0
; TotalNumVgprs: 16
; ScratchSize: 0
; MemoryBound: 0
; FloatMode: 240
; IeeeMode: 1
; LDSByteSize: 0 bytes/workgroup (compile time only)
; SGPRBlocks: 2
; VGPRBlocks: 1
; NumSGPRsForWavesPerEU: 20
; NumVGPRsForWavesPerEU: 16
; AccumOffset: 16
; Occupancy: 8
; WaveLimiterHint : 0
; COMPUTE_PGM_RSRC2:SCRATCH_EN: 0
; COMPUTE_PGM_RSRC2:USER_SGPR: 6
; COMPUTE_PGM_RSRC2:TRAP_HANDLER: 0
; COMPUTE_PGM_RSRC2:TGID_X_EN: 1
; COMPUTE_PGM_RSRC2:TGID_Y_EN: 0
; COMPUTE_PGM_RSRC2:TGID_Z_EN: 0
; COMPUTE_PGM_RSRC2:TIDIG_COMP_CNT: 1
; COMPUTE_PGM_RSRC3_GFX90A:ACCUM_OFFSET: 3
; COMPUTE_PGM_RSRC3_GFX90A:TG_SPLIT: 0
	.section	.text._ZN12_GLOBAL__N_120softmax_warp_forwardIfffLi5ELb0ELb0ELi32EEEvPT0_PKT_iiiPKbib,"axG",@progbits,_ZN12_GLOBAL__N_120softmax_warp_forwardIfffLi5ELb0ELb0ELi32EEEvPT0_PKT_iiiPKbib,comdat
	.globl	_ZN12_GLOBAL__N_120softmax_warp_forwardIfffLi5ELb0ELb0ELi32EEEvPT0_PKT_iiiPKbib ; -- Begin function _ZN12_GLOBAL__N_120softmax_warp_forwardIfffLi5ELb0ELb0ELi32EEEvPT0_PKT_iiiPKbib
	.p2align	8
	.type	_ZN12_GLOBAL__N_120softmax_warp_forwardIfffLi5ELb0ELb0ELi32EEEvPT0_PKT_iiiPKbib,@function
_ZN12_GLOBAL__N_120softmax_warp_forwardIfffLi5ELb0ELb0ELi32EEEvPT0_PKT_iiiPKbib: ; @_ZN12_GLOBAL__N_120softmax_warp_forwardIfffLi5ELb0ELb0ELi32EEEvPT0_PKT_iiiPKbib
; %bb.0:
	s_load_dword s0, s[4:5], 0x3c
	s_load_dwordx8 s[8:15], s[4:5], 0x0
	v_bfe_u32 v1, v0, 10, 10
	v_and_b32_e32 v2, 0x3ff, v0
	s_waitcnt lgkmcnt(0)
	s_lshr_b32 s0, s0, 16
	s_mul_i32 s6, s6, s0
	v_add_lshl_u32 v1, s6, v1, 1
	v_sub_u32_e32 v8, s12, v1
	v_mad_u64_u32 v[0:1], s[0:1], v1, s13, v[2:3]
	v_ashrrev_i32_e32 v1, 31, v0
	v_lshlrev_b64 v[0:1], 2, v[0:1]
	v_mov_b32_e32 v3, s11
	v_add_co_u32_e32 v4, vcc, s10, v0
	v_addc_co_u32_e32 v5, vcc, v3, v1, vcc
	v_cmp_gt_i32_e64 s[0:1], s14, v2
	v_cmp_lt_i32_e32 vcc, 0, v8
	s_and_b64 s[4:5], s[0:1], vcc
	v_mov_b32_e32 v3, 0xff800000
	v_mov_b32_e32 v2, 0xff800000
	s_and_saveexec_b64 s[2:3], s[4:5]
	s_cbranch_execz .LBB391_2
; %bb.1:
	global_load_dword v2, v[4:5], off
.LBB391_2:
	s_or_b64 exec, exec, s[2:3]
	v_cmp_lt_i32_e64 s[2:3], 1, v8
	s_and_b64 s[2:3], s[0:1], s[2:3]
	s_and_saveexec_b64 s[4:5], s[2:3]
	s_cbranch_execz .LBB391_4
; %bb.3:
	s_mov_b32 s15, 0
	s_lshl_b64 s[2:3], s[14:15], 2
	v_mov_b32_e32 v3, s3
	v_add_co_u32_e64 v4, s[2:3], s2, v4
	v_addc_co_u32_e64 v5, s[2:3], v5, v3, s[2:3]
	global_load_dword v3, v[4:5], off
.LBB391_4:
	s_or_b64 exec, exec, s[4:5]
	v_mbcnt_lo_u32_b32 v4, -1, 0
	v_mbcnt_hi_u32_b32 v4, -1, v4
	v_and_b32_e32 v5, 0x60, v4
	v_add_u32_e32 v5, 32, v5
	v_xor_b32_e32 v6, 16, v4
	v_cmp_lt_i32_e64 s[2:3], v6, v5
	v_cndmask_b32_e64 v6, v4, v6, s[2:3]
	v_lshlrev_b32_e32 v6, 2, v6
	s_waitcnt vmcnt(0)
	ds_bpermute_b32 v9, v6, v3
	ds_bpermute_b32 v7, v6, v2
	v_xor_b32_e32 v10, 8, v4
	v_cmp_lt_i32_e64 s[2:3], v10, v5
	v_xor_b32_e32 v11, 4, v4
	v_cndmask_b32_e64 v10, v4, v10, s[2:3]
	v_cmp_lt_i32_e64 s[2:3], v11, v5
	v_xor_b32_e32 v12, 2, v4
	v_cndmask_b32_e64 v11, v4, v11, s[2:3]
	v_cmp_lt_i32_e64 s[2:3], v12, v5
	v_cndmask_b32_e64 v12, v4, v12, s[2:3]
	s_waitcnt lgkmcnt(1)
	v_cmp_lt_f32_e64 s[2:3], v3, v9
	v_lshlrev_b32_e32 v10, 2, v10
	v_cndmask_b32_e64 v9, v3, v9, s[2:3]
	s_waitcnt lgkmcnt(0)
	v_cmp_lt_f32_e64 s[2:3], v2, v7
	ds_bpermute_b32 v13, v10, v9
	v_cndmask_b32_e64 v7, v2, v7, s[2:3]
	ds_bpermute_b32 v14, v10, v7
	v_lshlrev_b32_e32 v11, 2, v11
	v_xor_b32_e32 v15, 1, v4
	s_waitcnt lgkmcnt(1)
	v_cmp_lt_f32_e64 s[2:3], v9, v13
	v_cndmask_b32_e64 v9, v9, v13, s[2:3]
	s_waitcnt lgkmcnt(0)
	v_cmp_lt_f32_e64 s[2:3], v7, v14
	ds_bpermute_b32 v13, v11, v9
	v_cndmask_b32_e64 v7, v7, v14, s[2:3]
	ds_bpermute_b32 v14, v11, v7
	v_cmp_lt_i32_e64 s[2:3], v15, v5
	v_cndmask_b32_e64 v4, v4, v15, s[2:3]
	s_waitcnt lgkmcnt(1)
	v_cmp_lt_f32_e64 s[2:3], v9, v13
	v_lshlrev_b32_e32 v12, 2, v12
	v_cndmask_b32_e64 v5, v9, v13, s[2:3]
	s_waitcnt lgkmcnt(0)
	v_cmp_lt_f32_e64 s[2:3], v7, v14
	ds_bpermute_b32 v9, v12, v5
	v_cndmask_b32_e64 v7, v7, v14, s[2:3]
	ds_bpermute_b32 v13, v12, v7
	v_lshlrev_b32_e32 v14, 2, v4
	s_mov_b32 s4, 0x3fb8aa3b
	s_waitcnt lgkmcnt(1)
	v_cmp_lt_f32_e64 s[2:3], v5, v9
	v_cndmask_b32_e64 v4, v5, v9, s[2:3]
	s_waitcnt lgkmcnt(0)
	v_cmp_lt_f32_e64 s[2:3], v7, v13
	ds_bpermute_b32 v5, v14, v4
	v_cndmask_b32_e64 v7, v7, v13, s[2:3]
	ds_bpermute_b32 v9, v14, v7
	s_mov_b32 s5, 0xc2ce8ed0
	s_mov_b32 s6, 0x42b17218
	s_waitcnt lgkmcnt(1)
	v_cmp_lt_f32_e64 s[2:3], v4, v5
	v_cndmask_b32_e64 v5, v4, v5, s[2:3]
	s_waitcnt lgkmcnt(0)
	v_cmp_lt_f32_e64 s[2:3], v7, v9
	v_cndmask_b32_e64 v4, v7, v9, s[2:3]
	v_pk_add_f32 v[2:3], v[2:3], v[4:5] neg_lo:[0,1] neg_hi:[0,1]
	v_mul_f32_e32 v4, 0x3fb8aa3b, v3
	v_fma_f32 v5, v3, s4, -v4
	v_rndne_f32_e32 v7, v4
	v_fmac_f32_e32 v5, 0x32a5705f, v3
	v_sub_f32_e32 v4, v4, v7
	v_add_f32_e32 v4, v4, v5
	v_exp_f32_e32 v4, v4
	v_cvt_i32_f32_e32 v5, v7
	v_cmp_ngt_f32_e64 s[2:3], s5, v3
	v_ldexp_f32 v4, v4, v5
	v_mul_f32_e32 v5, 0x3fb8aa3b, v2
	v_fma_f32 v7, v2, s4, -v5
	v_rndne_f32_e32 v9, v5
	v_fmac_f32_e32 v7, 0x32a5705f, v2
	v_sub_f32_e32 v5, v5, v9
	v_add_f32_e32 v5, v5, v7
	v_exp_f32_e32 v5, v5
	v_cvt_i32_f32_e32 v7, v9
	v_cndmask_b32_e64 v4, 0, v4, s[2:3]
	v_mov_b32_e32 v9, 0x7f800000
	v_cmp_nlt_f32_e64 s[2:3], s6, v3
	v_cndmask_b32_e64 v3, v9, v4, s[2:3]
	v_ldexp_f32 v4, v5, v7
	v_cmp_ngt_f32_e64 s[2:3], s5, v2
	v_cndmask_b32_e64 v4, 0, v4, s[2:3]
	v_cmp_nlt_f32_e64 s[2:3], s6, v2
	v_cndmask_b32_e64 v2, v9, v4, s[2:3]
	ds_bpermute_b32 v4, v6, v2
	ds_bpermute_b32 v5, v6, v3
	s_waitcnt lgkmcnt(0)
	v_pk_add_f32 v[4:5], v[2:3], v[4:5]
	ds_bpermute_b32 v6, v10, v4
	ds_bpermute_b32 v7, v10, v5
	s_waitcnt lgkmcnt(0)
	v_pk_add_f32 v[4:5], v[4:5], v[6:7]
	;; [unrolled: 4-line block ×4, first 2 shown]
	ds_bpermute_b32 v6, v14, v4
	ds_bpermute_b32 v7, v14, v5
	s_and_saveexec_b64 s[2:3], vcc
	s_cbranch_execz .LBB391_12
; %bb.5:
	v_mov_b32_e32 v9, s9
	v_add_co_u32_e32 v0, vcc, s8, v0
	v_addc_co_u32_e32 v1, vcc, v9, v1, vcc
	s_waitcnt lgkmcnt(0)
	v_pk_add_f32 v[4:5], v[4:5], v[6:7]
	s_and_saveexec_b64 s[2:3], s[0:1]
	s_cbranch_execz .LBB391_9
; %bb.6:
	v_cmp_neq_f32_e32 vcc, 0, v4
	v_mov_b32_e32 v6, 0x7fc00000
	s_and_saveexec_b64 s[4:5], vcc
; %bb.7:
	v_div_scale_f32 v6, s[6:7], v4, v4, v2
	v_rcp_f32_e32 v7, v6
	v_div_scale_f32 v9, vcc, v2, v4, v2
	v_fma_f32 v10, -v6, v7, 1.0
	v_fmac_f32_e32 v7, v10, v7
	v_mul_f32_e32 v10, v9, v7
	v_fma_f32 v11, -v6, v10, v9
	v_fmac_f32_e32 v10, v11, v7
	v_fma_f32 v6, -v6, v10, v9
	v_div_fmas_f32 v6, v6, v7, v10
	v_div_fixup_f32 v6, v6, v4, v2
; %bb.8:
	s_or_b64 exec, exec, s[4:5]
	global_store_dword v[0:1], v6, off
.LBB391_9:
	s_or_b64 exec, exec, s[2:3]
	v_cmp_ne_u32_e32 vcc, 1, v8
	s_and_b64 exec, exec, vcc
	s_cbranch_execz .LBB391_12
; %bb.10:
	s_and_b64 exec, exec, s[0:1]
	s_cbranch_execz .LBB391_12
; %bb.11:
	v_div_scale_f32 v2, s[0:1], v5, v5, v3
	v_rcp_f32_e32 v4, v2
	v_div_scale_f32 v6, vcc, v3, v5, v3
	s_mov_b32 s15, 0
	v_fma_f32 v7, -v2, v4, 1.0
	v_fmac_f32_e32 v4, v7, v4
	v_mul_f32_e32 v7, v6, v4
	v_fma_f32 v8, -v2, v7, v6
	v_fmac_f32_e32 v7, v8, v4
	v_fma_f32 v2, -v2, v7, v6
	v_div_fmas_f32 v2, v2, v4, v7
	s_lshl_b64 s[0:1], s[14:15], 2
	v_div_fixup_f32 v2, v2, v5, v3
	v_mov_b32_e32 v3, s1
	v_add_co_u32_e32 v0, vcc, s0, v0
	v_addc_co_u32_e32 v1, vcc, v1, v3, vcc
	v_mov_b32_e32 v3, 0x7fc00000
	v_cmp_neq_f32_e32 vcc, 0, v5
	v_cndmask_b32_e32 v2, v3, v2, vcc
	global_store_dword v[0:1], v2, off
.LBB391_12:
	s_endpgm
	.section	.rodata,"a",@progbits
	.p2align	6, 0x0
	.amdhsa_kernel _ZN12_GLOBAL__N_120softmax_warp_forwardIfffLi5ELb0ELb0ELi32EEEvPT0_PKT_iiiPKbib
		.amdhsa_group_segment_fixed_size 0
		.amdhsa_private_segment_fixed_size 0
		.amdhsa_kernarg_size 304
		.amdhsa_user_sgpr_count 6
		.amdhsa_user_sgpr_private_segment_buffer 1
		.amdhsa_user_sgpr_dispatch_ptr 0
		.amdhsa_user_sgpr_queue_ptr 0
		.amdhsa_user_sgpr_kernarg_segment_ptr 1
		.amdhsa_user_sgpr_dispatch_id 0
		.amdhsa_user_sgpr_flat_scratch_init 0
		.amdhsa_user_sgpr_kernarg_preload_length 0
		.amdhsa_user_sgpr_kernarg_preload_offset 0
		.amdhsa_user_sgpr_private_segment_size 0
		.amdhsa_uses_dynamic_stack 0
		.amdhsa_system_sgpr_private_segment_wavefront_offset 0
		.amdhsa_system_sgpr_workgroup_id_x 1
		.amdhsa_system_sgpr_workgroup_id_y 0
		.amdhsa_system_sgpr_workgroup_id_z 0
		.amdhsa_system_sgpr_workgroup_info 0
		.amdhsa_system_vgpr_workitem_id 1
		.amdhsa_next_free_vgpr 16
		.amdhsa_next_free_sgpr 16
		.amdhsa_accum_offset 16
		.amdhsa_reserve_vcc 1
		.amdhsa_reserve_flat_scratch 0
		.amdhsa_float_round_mode_32 0
		.amdhsa_float_round_mode_16_64 0
		.amdhsa_float_denorm_mode_32 3
		.amdhsa_float_denorm_mode_16_64 3
		.amdhsa_dx10_clamp 1
		.amdhsa_ieee_mode 1
		.amdhsa_fp16_overflow 0
		.amdhsa_tg_split 0
		.amdhsa_exception_fp_ieee_invalid_op 0
		.amdhsa_exception_fp_denorm_src 0
		.amdhsa_exception_fp_ieee_div_zero 0
		.amdhsa_exception_fp_ieee_overflow 0
		.amdhsa_exception_fp_ieee_underflow 0
		.amdhsa_exception_fp_ieee_inexact 0
		.amdhsa_exception_int_div_zero 0
	.end_amdhsa_kernel
	.section	.text._ZN12_GLOBAL__N_120softmax_warp_forwardIfffLi5ELb0ELb0ELi32EEEvPT0_PKT_iiiPKbib,"axG",@progbits,_ZN12_GLOBAL__N_120softmax_warp_forwardIfffLi5ELb0ELb0ELi32EEEvPT0_PKT_iiiPKbib,comdat
.Lfunc_end391:
	.size	_ZN12_GLOBAL__N_120softmax_warp_forwardIfffLi5ELb0ELb0ELi32EEEvPT0_PKT_iiiPKbib, .Lfunc_end391-_ZN12_GLOBAL__N_120softmax_warp_forwardIfffLi5ELb0ELb0ELi32EEEvPT0_PKT_iiiPKbib
                                        ; -- End function
	.section	.AMDGPU.csdata,"",@progbits
; Kernel info:
; codeLenInByte = 1252
; NumSgprs: 20
; NumVgprs: 16
; NumAgprs: 0
; TotalNumVgprs: 16
; ScratchSize: 0
; MemoryBound: 0
; FloatMode: 240
; IeeeMode: 1
; LDSByteSize: 0 bytes/workgroup (compile time only)
; SGPRBlocks: 2
; VGPRBlocks: 1
; NumSGPRsForWavesPerEU: 20
; NumVGPRsForWavesPerEU: 16
; AccumOffset: 16
; Occupancy: 8
; WaveLimiterHint : 0
; COMPUTE_PGM_RSRC2:SCRATCH_EN: 0
; COMPUTE_PGM_RSRC2:USER_SGPR: 6
; COMPUTE_PGM_RSRC2:TRAP_HANDLER: 0
; COMPUTE_PGM_RSRC2:TGID_X_EN: 1
; COMPUTE_PGM_RSRC2:TGID_Y_EN: 0
; COMPUTE_PGM_RSRC2:TGID_Z_EN: 0
; COMPUTE_PGM_RSRC2:TIDIG_COMP_CNT: 1
; COMPUTE_PGM_RSRC3_GFX90A:ACCUM_OFFSET: 3
; COMPUTE_PGM_RSRC3_GFX90A:TG_SPLIT: 0
	.section	.text._ZN12_GLOBAL__N_120softmax_warp_forwardIfffLi6ELb0ELb0ELi64EEEvPT0_PKT_iiiPKbib,"axG",@progbits,_ZN12_GLOBAL__N_120softmax_warp_forwardIfffLi6ELb0ELb0ELi64EEEvPT0_PKT_iiiPKbib,comdat
	.globl	_ZN12_GLOBAL__N_120softmax_warp_forwardIfffLi6ELb0ELb0ELi64EEEvPT0_PKT_iiiPKbib ; -- Begin function _ZN12_GLOBAL__N_120softmax_warp_forwardIfffLi6ELb0ELb0ELi64EEEvPT0_PKT_iiiPKbib
	.p2align	8
	.type	_ZN12_GLOBAL__N_120softmax_warp_forwardIfffLi6ELb0ELb0ELi64EEEvPT0_PKT_iiiPKbib,@function
_ZN12_GLOBAL__N_120softmax_warp_forwardIfffLi6ELb0ELb0ELi64EEEvPT0_PKT_iiiPKbib: ; @_ZN12_GLOBAL__N_120softmax_warp_forwardIfffLi6ELb0ELb0ELi64EEEvPT0_PKT_iiiPKbib
; %bb.0:
	s_load_dword s0, s[4:5], 0x3c
	s_load_dwordx8 s[8:15], s[4:5], 0x0
	v_bfe_u32 v1, v0, 10, 10
	v_and_b32_e32 v2, 0x3ff, v0
	s_waitcnt lgkmcnt(0)
	s_lshr_b32 s0, s0, 16
	s_mul_i32 s6, s6, s0
	v_add_lshl_u32 v1, s6, v1, 1
	v_sub_u32_e32 v8, s12, v1
	v_mad_u64_u32 v[0:1], s[0:1], v1, s13, v[2:3]
	v_ashrrev_i32_e32 v1, 31, v0
	v_lshlrev_b64 v[0:1], 2, v[0:1]
	v_mov_b32_e32 v3, s11
	v_add_co_u32_e32 v4, vcc, s10, v0
	v_addc_co_u32_e32 v5, vcc, v3, v1, vcc
	v_cmp_gt_i32_e64 s[0:1], s14, v2
	v_cmp_lt_i32_e32 vcc, 0, v8
	s_and_b64 s[4:5], s[0:1], vcc
	v_mov_b32_e32 v3, 0xff800000
	v_mov_b32_e32 v2, 0xff800000
	s_and_saveexec_b64 s[2:3], s[4:5]
	s_cbranch_execz .LBB392_2
; %bb.1:
	global_load_dword v2, v[4:5], off
.LBB392_2:
	s_or_b64 exec, exec, s[2:3]
	v_cmp_lt_i32_e64 s[2:3], 1, v8
	s_and_b64 s[2:3], s[0:1], s[2:3]
	s_and_saveexec_b64 s[4:5], s[2:3]
	s_cbranch_execz .LBB392_4
; %bb.3:
	s_mov_b32 s15, 0
	s_lshl_b64 s[2:3], s[14:15], 2
	v_mov_b32_e32 v3, s3
	v_add_co_u32_e64 v4, s[2:3], s2, v4
	v_addc_co_u32_e64 v5, s[2:3], v5, v3, s[2:3]
	global_load_dword v3, v[4:5], off
.LBB392_4:
	s_or_b64 exec, exec, s[4:5]
	v_mbcnt_lo_u32_b32 v4, -1, 0
	v_mbcnt_hi_u32_b32 v4, -1, v4
	v_and_b32_e32 v5, 64, v4
	v_add_u32_e32 v5, 64, v5
	v_xor_b32_e32 v6, 32, v4
	v_cmp_lt_i32_e64 s[2:3], v6, v5
	v_cndmask_b32_e64 v6, v4, v6, s[2:3]
	v_lshlrev_b32_e32 v6, 2, v6
	s_waitcnt vmcnt(0)
	ds_bpermute_b32 v7, v6, v3
	ds_bpermute_b32 v9, v6, v2
	v_xor_b32_e32 v10, 16, v4
	v_xor_b32_e32 v13, 8, v4
	;; [unrolled: 1-line block ×3, first 2 shown]
	s_waitcnt lgkmcnt(1)
	v_cmp_lt_f32_e64 s[2:3], v3, v7
	v_cndmask_b32_e64 v7, v3, v7, s[2:3]
	s_waitcnt lgkmcnt(0)
	v_cmp_lt_f32_e64 s[2:3], v2, v9
	v_cndmask_b32_e64 v9, v2, v9, s[2:3]
	v_cmp_lt_i32_e64 s[2:3], v10, v5
	v_cndmask_b32_e64 v10, v4, v10, s[2:3]
	v_lshlrev_b32_e32 v10, 2, v10
	ds_bpermute_b32 v12, v10, v7
	ds_bpermute_b32 v11, v10, v9
	v_cmp_lt_i32_e64 s[2:3], v13, v5
	v_cndmask_b32_e64 v13, v4, v13, s[2:3]
	v_cmp_lt_i32_e64 s[2:3], v14, v5
	v_xor_b32_e32 v15, 2, v4
	v_cndmask_b32_e64 v14, v4, v14, s[2:3]
	v_cmp_lt_i32_e64 s[2:3], v15, v5
	v_cndmask_b32_e64 v15, v4, v15, s[2:3]
	s_waitcnt lgkmcnt(1)
	v_cmp_lt_f32_e64 s[2:3], v7, v12
	v_lshlrev_b32_e32 v13, 2, v13
	v_cndmask_b32_e64 v7, v7, v12, s[2:3]
	s_waitcnt lgkmcnt(0)
	v_cmp_lt_f32_e64 s[2:3], v9, v11
	ds_bpermute_b32 v12, v13, v7
	v_cndmask_b32_e64 v9, v9, v11, s[2:3]
	ds_bpermute_b32 v11, v13, v9
	v_lshlrev_b32_e32 v14, 2, v14
	v_xor_b32_e32 v16, 1, v4
	s_waitcnt lgkmcnt(1)
	v_cmp_lt_f32_e64 s[2:3], v7, v12
	v_cndmask_b32_e64 v7, v7, v12, s[2:3]
	s_waitcnt lgkmcnt(0)
	v_cmp_lt_f32_e64 s[2:3], v9, v11
	ds_bpermute_b32 v12, v14, v7
	v_cndmask_b32_e64 v9, v9, v11, s[2:3]
	ds_bpermute_b32 v11, v14, v9
	v_cmp_lt_i32_e64 s[2:3], v16, v5
	v_cndmask_b32_e64 v4, v4, v16, s[2:3]
	s_waitcnt lgkmcnt(1)
	v_cmp_lt_f32_e64 s[2:3], v7, v12
	v_lshlrev_b32_e32 v15, 2, v15
	v_cndmask_b32_e64 v5, v7, v12, s[2:3]
	s_waitcnt lgkmcnt(0)
	v_cmp_lt_f32_e64 s[2:3], v9, v11
	ds_bpermute_b32 v7, v15, v5
	v_cndmask_b32_e64 v9, v9, v11, s[2:3]
	ds_bpermute_b32 v11, v15, v9
	v_lshlrev_b32_e32 v12, 2, v4
	s_mov_b32 s4, 0x3fb8aa3b
	s_waitcnt lgkmcnt(1)
	v_cmp_lt_f32_e64 s[2:3], v5, v7
	v_cndmask_b32_e64 v4, v5, v7, s[2:3]
	s_waitcnt lgkmcnt(0)
	v_cmp_lt_f32_e64 s[2:3], v9, v11
	ds_bpermute_b32 v5, v12, v4
	v_cndmask_b32_e64 v7, v9, v11, s[2:3]
	ds_bpermute_b32 v9, v12, v7
	s_mov_b32 s5, 0xc2ce8ed0
	s_mov_b32 s6, 0x42b17218
	s_waitcnt lgkmcnt(1)
	v_cmp_lt_f32_e64 s[2:3], v4, v5
	v_cndmask_b32_e64 v5, v4, v5, s[2:3]
	s_waitcnt lgkmcnt(0)
	v_cmp_lt_f32_e64 s[2:3], v7, v9
	v_cndmask_b32_e64 v4, v7, v9, s[2:3]
	v_pk_add_f32 v[2:3], v[2:3], v[4:5] neg_lo:[0,1] neg_hi:[0,1]
	v_mul_f32_e32 v4, 0x3fb8aa3b, v3
	v_fma_f32 v5, v3, s4, -v4
	v_rndne_f32_e32 v7, v4
	v_fmac_f32_e32 v5, 0x32a5705f, v3
	v_sub_f32_e32 v4, v4, v7
	v_add_f32_e32 v4, v4, v5
	v_exp_f32_e32 v4, v4
	v_cvt_i32_f32_e32 v5, v7
	v_cmp_ngt_f32_e64 s[2:3], s5, v3
	v_ldexp_f32 v4, v4, v5
	v_mul_f32_e32 v5, 0x3fb8aa3b, v2
	v_fma_f32 v7, v2, s4, -v5
	v_rndne_f32_e32 v9, v5
	v_fmac_f32_e32 v7, 0x32a5705f, v2
	v_sub_f32_e32 v5, v5, v9
	v_add_f32_e32 v5, v5, v7
	v_exp_f32_e32 v5, v5
	v_cvt_i32_f32_e32 v7, v9
	v_cndmask_b32_e64 v4, 0, v4, s[2:3]
	v_mov_b32_e32 v9, 0x7f800000
	v_cmp_nlt_f32_e64 s[2:3], s6, v3
	v_cndmask_b32_e64 v3, v9, v4, s[2:3]
	v_ldexp_f32 v4, v5, v7
	v_cmp_ngt_f32_e64 s[2:3], s5, v2
	v_cndmask_b32_e64 v4, 0, v4, s[2:3]
	v_cmp_nlt_f32_e64 s[2:3], s6, v2
	v_cndmask_b32_e64 v2, v9, v4, s[2:3]
	ds_bpermute_b32 v4, v6, v2
	ds_bpermute_b32 v5, v6, v3
	s_waitcnt lgkmcnt(0)
	v_pk_add_f32 v[4:5], v[2:3], v[4:5]
	ds_bpermute_b32 v6, v10, v4
	ds_bpermute_b32 v7, v10, v5
	s_waitcnt lgkmcnt(0)
	v_pk_add_f32 v[4:5], v[4:5], v[6:7]
	;; [unrolled: 4-line block ×5, first 2 shown]
	ds_bpermute_b32 v6, v12, v4
	ds_bpermute_b32 v7, v12, v5
	s_and_saveexec_b64 s[2:3], vcc
	s_cbranch_execz .LBB392_12
; %bb.5:
	v_mov_b32_e32 v9, s9
	v_add_co_u32_e32 v0, vcc, s8, v0
	v_addc_co_u32_e32 v1, vcc, v9, v1, vcc
	s_waitcnt lgkmcnt(0)
	v_pk_add_f32 v[4:5], v[4:5], v[6:7]
	s_and_saveexec_b64 s[2:3], s[0:1]
	s_cbranch_execz .LBB392_9
; %bb.6:
	v_cmp_neq_f32_e32 vcc, 0, v4
	v_mov_b32_e32 v6, 0x7fc00000
	s_and_saveexec_b64 s[4:5], vcc
; %bb.7:
	v_div_scale_f32 v6, s[6:7], v4, v4, v2
	v_rcp_f32_e32 v7, v6
	v_div_scale_f32 v9, vcc, v2, v4, v2
	v_fma_f32 v10, -v6, v7, 1.0
	v_fmac_f32_e32 v7, v10, v7
	v_mul_f32_e32 v10, v9, v7
	v_fma_f32 v11, -v6, v10, v9
	v_fmac_f32_e32 v10, v11, v7
	v_fma_f32 v6, -v6, v10, v9
	v_div_fmas_f32 v6, v6, v7, v10
	v_div_fixup_f32 v6, v6, v4, v2
; %bb.8:
	s_or_b64 exec, exec, s[4:5]
	global_store_dword v[0:1], v6, off
.LBB392_9:
	s_or_b64 exec, exec, s[2:3]
	v_cmp_ne_u32_e32 vcc, 1, v8
	s_and_b64 exec, exec, vcc
	s_cbranch_execz .LBB392_12
; %bb.10:
	s_and_b64 exec, exec, s[0:1]
	s_cbranch_execz .LBB392_12
; %bb.11:
	v_div_scale_f32 v2, s[0:1], v5, v5, v3
	v_rcp_f32_e32 v4, v2
	v_div_scale_f32 v6, vcc, v3, v5, v3
	s_mov_b32 s15, 0
	v_fma_f32 v7, -v2, v4, 1.0
	v_fmac_f32_e32 v4, v7, v4
	v_mul_f32_e32 v7, v6, v4
	v_fma_f32 v8, -v2, v7, v6
	v_fmac_f32_e32 v7, v8, v4
	v_fma_f32 v2, -v2, v7, v6
	v_div_fmas_f32 v2, v2, v4, v7
	s_lshl_b64 s[0:1], s[14:15], 2
	v_div_fixup_f32 v2, v2, v5, v3
	v_mov_b32_e32 v3, s1
	v_add_co_u32_e32 v0, vcc, s0, v0
	v_addc_co_u32_e32 v1, vcc, v1, v3, vcc
	v_mov_b32_e32 v3, 0x7fc00000
	v_cmp_neq_f32_e32 vcc, 0, v5
	v_cndmask_b32_e32 v2, v3, v2, vcc
	global_store_dword v[0:1], v2, off
.LBB392_12:
	s_endpgm
	.section	.rodata,"a",@progbits
	.p2align	6, 0x0
	.amdhsa_kernel _ZN12_GLOBAL__N_120softmax_warp_forwardIfffLi6ELb0ELb0ELi64EEEvPT0_PKT_iiiPKbib
		.amdhsa_group_segment_fixed_size 0
		.amdhsa_private_segment_fixed_size 0
		.amdhsa_kernarg_size 304
		.amdhsa_user_sgpr_count 6
		.amdhsa_user_sgpr_private_segment_buffer 1
		.amdhsa_user_sgpr_dispatch_ptr 0
		.amdhsa_user_sgpr_queue_ptr 0
		.amdhsa_user_sgpr_kernarg_segment_ptr 1
		.amdhsa_user_sgpr_dispatch_id 0
		.amdhsa_user_sgpr_flat_scratch_init 0
		.amdhsa_user_sgpr_kernarg_preload_length 0
		.amdhsa_user_sgpr_kernarg_preload_offset 0
		.amdhsa_user_sgpr_private_segment_size 0
		.amdhsa_uses_dynamic_stack 0
		.amdhsa_system_sgpr_private_segment_wavefront_offset 0
		.amdhsa_system_sgpr_workgroup_id_x 1
		.amdhsa_system_sgpr_workgroup_id_y 0
		.amdhsa_system_sgpr_workgroup_id_z 0
		.amdhsa_system_sgpr_workgroup_info 0
		.amdhsa_system_vgpr_workitem_id 1
		.amdhsa_next_free_vgpr 17
		.amdhsa_next_free_sgpr 16
		.amdhsa_accum_offset 20
		.amdhsa_reserve_vcc 1
		.amdhsa_reserve_flat_scratch 0
		.amdhsa_float_round_mode_32 0
		.amdhsa_float_round_mode_16_64 0
		.amdhsa_float_denorm_mode_32 3
		.amdhsa_float_denorm_mode_16_64 3
		.amdhsa_dx10_clamp 1
		.amdhsa_ieee_mode 1
		.amdhsa_fp16_overflow 0
		.amdhsa_tg_split 0
		.amdhsa_exception_fp_ieee_invalid_op 0
		.amdhsa_exception_fp_denorm_src 0
		.amdhsa_exception_fp_ieee_div_zero 0
		.amdhsa_exception_fp_ieee_overflow 0
		.amdhsa_exception_fp_ieee_underflow 0
		.amdhsa_exception_fp_ieee_inexact 0
		.amdhsa_exception_int_div_zero 0
	.end_amdhsa_kernel
	.section	.text._ZN12_GLOBAL__N_120softmax_warp_forwardIfffLi6ELb0ELb0ELi64EEEvPT0_PKT_iiiPKbib,"axG",@progbits,_ZN12_GLOBAL__N_120softmax_warp_forwardIfffLi6ELb0ELb0ELi64EEEvPT0_PKT_iiiPKbib,comdat
.Lfunc_end392:
	.size	_ZN12_GLOBAL__N_120softmax_warp_forwardIfffLi6ELb0ELb0ELi64EEEvPT0_PKT_iiiPKbib, .Lfunc_end392-_ZN12_GLOBAL__N_120softmax_warp_forwardIfffLi6ELb0ELb0ELi64EEEvPT0_PKT_iiiPKbib
                                        ; -- End function
	.section	.AMDGPU.csdata,"",@progbits
; Kernel info:
; codeLenInByte = 1356
; NumSgprs: 20
; NumVgprs: 17
; NumAgprs: 0
; TotalNumVgprs: 17
; ScratchSize: 0
; MemoryBound: 0
; FloatMode: 240
; IeeeMode: 1
; LDSByteSize: 0 bytes/workgroup (compile time only)
; SGPRBlocks: 2
; VGPRBlocks: 2
; NumSGPRsForWavesPerEU: 20
; NumVGPRsForWavesPerEU: 17
; AccumOffset: 20
; Occupancy: 8
; WaveLimiterHint : 0
; COMPUTE_PGM_RSRC2:SCRATCH_EN: 0
; COMPUTE_PGM_RSRC2:USER_SGPR: 6
; COMPUTE_PGM_RSRC2:TRAP_HANDLER: 0
; COMPUTE_PGM_RSRC2:TGID_X_EN: 1
; COMPUTE_PGM_RSRC2:TGID_Y_EN: 0
; COMPUTE_PGM_RSRC2:TGID_Z_EN: 0
; COMPUTE_PGM_RSRC2:TIDIG_COMP_CNT: 1
; COMPUTE_PGM_RSRC3_GFX90A:ACCUM_OFFSET: 4
; COMPUTE_PGM_RSRC3_GFX90A:TG_SPLIT: 0
	.section	.text._ZN12_GLOBAL__N_120softmax_warp_forwardIfffLi6ELb0ELb0ELi32EEEvPT0_PKT_iiiPKbib,"axG",@progbits,_ZN12_GLOBAL__N_120softmax_warp_forwardIfffLi6ELb0ELb0ELi32EEEvPT0_PKT_iiiPKbib,comdat
	.globl	_ZN12_GLOBAL__N_120softmax_warp_forwardIfffLi6ELb0ELb0ELi32EEEvPT0_PKT_iiiPKbib ; -- Begin function _ZN12_GLOBAL__N_120softmax_warp_forwardIfffLi6ELb0ELb0ELi32EEEvPT0_PKT_iiiPKbib
	.p2align	8
	.type	_ZN12_GLOBAL__N_120softmax_warp_forwardIfffLi6ELb0ELb0ELi32EEEvPT0_PKT_iiiPKbib,@function
_ZN12_GLOBAL__N_120softmax_warp_forwardIfffLi6ELb0ELb0ELi32EEEvPT0_PKT_iiiPKbib: ; @_ZN12_GLOBAL__N_120softmax_warp_forwardIfffLi6ELb0ELb0ELi32EEEvPT0_PKT_iiiPKbib
; %bb.0:
	s_load_dword s0, s[4:5], 0x3c
	s_load_dwordx8 s[8:15], s[4:5], 0x0
	v_bfe_u32 v1, v0, 10, 10
	v_and_b32_e32 v4, 0x3ff, v0
	v_mov_b32_e32 v3, 0xff800000
	s_waitcnt lgkmcnt(0)
	s_lshr_b32 s0, s0, 16
	s_mul_i32 s6, s6, s0
	v_add_lshl_u32 v1, s6, v1, 1
	v_sub_u32_e32 v10, s12, v1
	v_mad_u64_u32 v[0:1], s[0:1], v1, s13, v[4:5]
	v_ashrrev_i32_e32 v1, 31, v0
	v_lshlrev_b64 v[0:1], 2, v[0:1]
	v_mov_b32_e32 v2, s11
	v_add_co_u32_e32 v6, vcc, s10, v0
	v_addc_co_u32_e32 v7, vcc, v2, v1, vcc
	v_cmp_lt_i32_e32 vcc, 0, v10
	v_cmp_gt_i32_e64 s[2:3], s14, v4
	s_and_b64 s[4:5], vcc, s[2:3]
	v_mov_b32_e32 v2, 0xff800000
	s_and_saveexec_b64 s[0:1], s[4:5]
	s_cbranch_execz .LBB393_2
; %bb.1:
	global_load_dword v2, v[6:7], off
.LBB393_2:
	s_or_b64 exec, exec, s[0:1]
	v_add_u32_e32 v4, 32, v4
	v_cmp_gt_i32_e64 s[0:1], s14, v4
	s_and_b64 s[6:7], vcc, s[0:1]
	s_and_saveexec_b64 s[4:5], s[6:7]
	s_cbranch_execz .LBB393_4
; %bb.3:
	global_load_dword v3, v[6:7], off offset:128
.LBB393_4:
	s_or_b64 exec, exec, s[4:5]
	v_cmp_lt_i32_e64 s[4:5], 1, v10
	s_and_b64 s[6:7], s[4:5], s[2:3]
	v_mov_b32_e32 v5, 0xff800000
	v_mov_b32_e32 v4, 0xff800000
	s_and_saveexec_b64 s[10:11], s[6:7]
	s_cbranch_execz .LBB393_6
; %bb.5:
	s_mov_b32 s15, 0
	s_lshl_b64 s[6:7], s[14:15], 2
	v_mov_b32_e32 v4, s7
	v_add_co_u32_e64 v8, s[6:7], s6, v6
	v_addc_co_u32_e64 v9, s[6:7], v7, v4, s[6:7]
	global_load_dword v4, v[8:9], off
.LBB393_6:
	s_or_b64 exec, exec, s[10:11]
	s_and_b64 s[4:5], s[4:5], s[0:1]
	s_and_saveexec_b64 s[6:7], s[4:5]
	s_cbranch_execz .LBB393_8
; %bb.7:
	s_mov_b32 s15, 0
	s_lshl_b64 s[4:5], s[14:15], 2
	v_mov_b32_e32 v5, s5
	v_add_co_u32_e64 v6, s[4:5], s4, v6
	v_addc_co_u32_e64 v7, s[4:5], v7, v5, s[4:5]
	global_load_dword v5, v[6:7], off offset:128
.LBB393_8:
	s_or_b64 exec, exec, s[6:7]
	v_mbcnt_lo_u32_b32 v7, -1, 0
	v_mbcnt_hi_u32_b32 v7, -1, v7
	v_and_b32_e32 v8, 0x60, v7
	s_waitcnt vmcnt(0)
	v_cmp_gt_f32_e64 s[4:5], v2, v3
	v_add_u32_e32 v8, 32, v8
	v_xor_b32_e32 v9, 16, v7
	v_cndmask_b32_e64 v6, v3, v2, s[4:5]
	v_cmp_lt_i32_e64 s[4:5], v9, v8
	v_cndmask_b32_e64 v9, v7, v9, s[4:5]
	v_lshlrev_b32_e32 v11, 2, v9
	ds_bpermute_b32 v9, v11, v6
	v_cmp_gt_f32_e64 s[4:5], v4, v5
	v_cndmask_b32_e64 v12, v5, v4, s[4:5]
	v_xor_b32_e32 v13, 8, v7
	s_mov_b32 s6, 0x3fb8aa3b
	s_waitcnt lgkmcnt(0)
	v_cmp_lt_f32_e64 s[4:5], v6, v9
	v_cndmask_b32_e64 v6, v6, v9, s[4:5]
	v_cmp_lt_i32_e64 s[4:5], v13, v8
	v_cndmask_b32_e64 v13, v7, v13, s[4:5]
	ds_bpermute_b32 v9, v11, v12
	v_lshlrev_b32_e32 v13, 2, v13
	ds_bpermute_b32 v14, v13, v6
	s_mov_b32 s7, 0xc2ce8ed0
	s_mov_b32 s10, 0x42b17218
	s_waitcnt lgkmcnt(1)
	v_cmp_lt_f32_e64 s[4:5], v12, v9
	v_cndmask_b32_e64 v9, v12, v9, s[4:5]
	s_waitcnt lgkmcnt(0)
	v_cmp_lt_f32_e64 s[4:5], v6, v14
	v_cndmask_b32_e64 v6, v6, v14, s[4:5]
	v_xor_b32_e32 v14, 4, v7
	v_cmp_lt_i32_e64 s[4:5], v14, v8
	v_cndmask_b32_e64 v14, v7, v14, s[4:5]
	ds_bpermute_b32 v12, v13, v9
	v_lshlrev_b32_e32 v14, 2, v14
	ds_bpermute_b32 v15, v14, v6
	s_waitcnt lgkmcnt(1)
	v_cmp_lt_f32_e64 s[4:5], v9, v12
	v_cndmask_b32_e64 v9, v9, v12, s[4:5]
	s_waitcnt lgkmcnt(0)
	v_cmp_lt_f32_e64 s[4:5], v6, v15
	v_cndmask_b32_e64 v6, v6, v15, s[4:5]
	v_xor_b32_e32 v15, 2, v7
	v_cmp_lt_i32_e64 s[4:5], v15, v8
	v_cndmask_b32_e64 v15, v7, v15, s[4:5]
	ds_bpermute_b32 v12, v14, v9
	v_lshlrev_b32_e32 v15, 2, v15
	ds_bpermute_b32 v16, v15, v6
	;; [unrolled: 12-line block ×3, first 2 shown]
	s_waitcnt lgkmcnt(1)
	v_cmp_lt_f32_e64 s[4:5], v9, v12
	v_cndmask_b32_e64 v8, v9, v12, s[4:5]
	s_waitcnt lgkmcnt(0)
	v_cmp_lt_f32_e64 s[4:5], v6, v7
	v_cndmask_b32_e64 v6, v6, v7, s[4:5]
	v_pk_add_f32 v[6:7], v[2:3], v[6:7] op_sel_hi:[1,0] neg_lo:[0,1] neg_hi:[0,1]
	v_mul_f32_e32 v2, 0x3fb8aa3b, v7
	v_fma_f32 v3, v7, s6, -v2
	v_rndne_f32_e32 v12, v2
	v_fmac_f32_e32 v3, 0x32a5705f, v7
	v_sub_f32_e32 v2, v2, v12
	ds_bpermute_b32 v9, v16, v8
	v_add_f32_e32 v2, v2, v3
	v_exp_f32_e32 v2, v2
	v_cvt_i32_f32_e32 v3, v12
	s_waitcnt lgkmcnt(0)
	v_cmp_lt_f32_e64 s[4:5], v8, v9
	v_cndmask_b32_e64 v8, v8, v9, s[4:5]
	v_ldexp_f32 v2, v2, v3
	v_mul_f32_e32 v3, 0x3fb8aa3b, v6
	v_fma_f32 v9, v6, s6, -v3
	v_rndne_f32_e32 v12, v3
	v_fmac_f32_e32 v9, 0x32a5705f, v6
	v_sub_f32_e32 v3, v3, v12
	v_add_f32_e32 v3, v3, v9
	v_exp_f32_e32 v3, v3
	v_cvt_i32_f32_e32 v9, v12
	v_cmp_ngt_f32_e64 s[4:5], s7, v7
	v_cndmask_b32_e64 v2, 0, v2, s[4:5]
	v_cmp_nlt_f32_e64 s[4:5], s10, v7
	v_ldexp_f32 v3, v3, v9
	v_pk_add_f32 v[8:9], v[4:5], v[8:9] op_sel_hi:[1,0] neg_lo:[0,1] neg_hi:[0,1]
	v_mul_f32_e32 v4, 0x3fb8aa3b, v9
	v_fma_f32 v5, v9, s6, -v4
	v_rndne_f32_e32 v7, v4
	v_fmac_f32_e32 v5, 0x32a5705f, v9
	v_sub_f32_e32 v4, v4, v7
	v_add_f32_e32 v4, v4, v5
	v_exp_f32_e32 v5, v4
	v_cvt_i32_f32_e32 v7, v7
	v_mov_b32_e32 v12, 0x7f800000
	v_cndmask_b32_e64 v2, v12, v2, s[4:5]
	v_cmp_ngt_f32_e64 s[4:5], s7, v6
	v_cndmask_b32_e64 v3, 0, v3, s[4:5]
	v_cmp_nlt_f32_e64 s[4:5], s10, v6
	v_cndmask_b32_e64 v4, v12, v3, s[4:5]
	v_ldexp_f32 v3, v5, v7
	v_mul_f32_e32 v5, 0x3fb8aa3b, v8
	v_fma_f32 v6, v8, s6, -v5
	v_rndne_f32_e32 v7, v5
	v_fmac_f32_e32 v6, 0x32a5705f, v8
	v_sub_f32_e32 v5, v5, v7
	v_add_f32_e32 v5, v5, v6
	v_exp_f32_e32 v5, v5
	v_cvt_i32_f32_e32 v6, v7
	v_cmp_ngt_f32_e64 s[4:5], s7, v9
	v_cndmask_b32_e64 v3, 0, v3, s[4:5]
	v_cmp_nlt_f32_e64 s[4:5], s10, v9
	v_cndmask_b32_e64 v3, v12, v3, s[4:5]
	v_ldexp_f32 v5, v5, v6
	v_cmp_ngt_f32_e64 s[4:5], s7, v8
	v_cndmask_b32_e64 v5, 0, v5, s[4:5]
	v_cmp_nlt_f32_e64 s[4:5], s10, v8
	v_cndmask_b32_e64 v5, v12, v5, s[4:5]
	v_pk_add_f32 v[6:7], v[4:5], v[2:3]
	ds_bpermute_b32 v8, v11, v6
	ds_bpermute_b32 v9, v11, v7
	s_waitcnt lgkmcnt(0)
	v_pk_add_f32 v[6:7], v[6:7], v[8:9]
	ds_bpermute_b32 v8, v13, v6
	ds_bpermute_b32 v9, v13, v7
	s_waitcnt lgkmcnt(0)
	;; [unrolled: 4-line block ×4, first 2 shown]
	v_pk_add_f32 v[6:7], v[6:7], v[8:9]
	ds_bpermute_b32 v8, v16, v6
	ds_bpermute_b32 v9, v16, v7
	s_and_saveexec_b64 s[4:5], vcc
	s_cbranch_execz .LBB393_20
; %bb.9:
	v_mov_b32_e32 v11, s9
	v_add_co_u32_e32 v0, vcc, s8, v0
	v_addc_co_u32_e32 v1, vcc, v11, v1, vcc
	s_waitcnt lgkmcnt(0)
	v_pk_add_f32 v[6:7], v[6:7], v[8:9]
	s_and_saveexec_b64 s[6:7], s[2:3]
	s_cbranch_execz .LBB393_16
; %bb.10:
	v_cmp_neq_f32_e64 s[4:5], 0, v6
	v_mov_b32_e32 v8, 0x7fc00000
	s_and_saveexec_b64 s[8:9], s[4:5]
; %bb.11:
	v_div_scale_f32 v8, s[10:11], v6, v6, v4
	v_rcp_f32_e32 v9, v8
	v_div_scale_f32 v11, vcc, v4, v6, v4
	v_fma_f32 v12, -v8, v9, 1.0
	v_fmac_f32_e32 v9, v12, v9
	v_mul_f32_e32 v12, v11, v9
	v_fma_f32 v13, -v8, v12, v11
	v_fmac_f32_e32 v12, v13, v9
	v_fma_f32 v8, -v8, v12, v11
	v_div_fmas_f32 v8, v8, v9, v12
	v_div_fixup_f32 v8, v8, v6, v4
; %bb.12:
	s_or_b64 exec, exec, s[8:9]
	global_store_dword v[0:1], v8, off
	s_and_b64 exec, exec, s[0:1]
	s_cbranch_execz .LBB393_16
; %bb.13:
	v_mov_b32_e32 v4, 0x7fc00000
	s_and_saveexec_b64 s[8:9], s[4:5]
; %bb.14:
	v_div_scale_f32 v4, s[4:5], v6, v6, v2
	v_rcp_f32_e32 v8, v4
	v_div_scale_f32 v9, vcc, v2, v6, v2
	v_fma_f32 v11, -v4, v8, 1.0
	v_fmac_f32_e32 v8, v11, v8
	v_mul_f32_e32 v11, v9, v8
	v_fma_f32 v12, -v4, v11, v9
	v_fmac_f32_e32 v11, v12, v8
	v_fma_f32 v4, -v4, v11, v9
	v_div_fmas_f32 v4, v4, v8, v11
	v_div_fixup_f32 v4, v4, v6, v2
; %bb.15:
	s_or_b64 exec, exec, s[8:9]
	global_store_dword v[0:1], v4, off offset:128
.LBB393_16:
	s_or_b64 exec, exec, s[6:7]
	v_cmp_ne_u32_e32 vcc, 1, v10
	s_and_b64 exec, exec, vcc
	s_cbranch_execz .LBB393_20
; %bb.17:
	s_and_b64 exec, exec, s[2:3]
	s_cbranch_execz .LBB393_20
; %bb.18:
	v_div_scale_f32 v2, s[2:3], v7, v7, v5
	v_rcp_f32_e32 v4, v2
	s_mov_b32 s15, 0
	s_lshl_b64 s[2:3], s[14:15], 2
	v_fma_f32 v6, -v2, v4, 1.0
	v_fmac_f32_e32 v4, v6, v4
	v_div_scale_f32 v6, vcc, v5, v7, v5
	v_mul_f32_e32 v8, v6, v4
	v_fma_f32 v9, -v2, v8, v6
	v_fmac_f32_e32 v8, v9, v4
	v_fma_f32 v2, -v2, v8, v6
	v_div_fmas_f32 v2, v2, v4, v8
	v_div_fixup_f32 v6, v2, v7, v5
	v_mov_b32_e32 v2, s3
	v_add_co_u32_e32 v4, vcc, s2, v0
	v_addc_co_u32_e32 v5, vcc, v1, v2, vcc
	v_mov_b32_e32 v2, 0x7fc00000
	v_cmp_eq_f32_e64 s[2:3], 0, v7
	v_cndmask_b32_e64 v6, v6, v2, s[2:3]
	global_store_dword v[4:5], v6, off
	s_and_b64 exec, exec, s[0:1]
	s_cbranch_execz .LBB393_20
; %bb.19:
	v_div_scale_f32 v4, s[0:1], v7, v7, v3
	v_rcp_f32_e32 v5, v4
	v_div_scale_f32 v6, vcc, v3, v7, v3
	s_ashr_i32 s15, s14, 31
	v_fma_f32 v8, -v4, v5, 1.0
	v_fmac_f32_e32 v5, v8, v5
	v_mul_f32_e32 v8, v6, v5
	v_fma_f32 v9, -v4, v8, v6
	v_fmac_f32_e32 v8, v9, v5
	v_fma_f32 v4, -v4, v8, v6
	v_div_fmas_f32 v4, v4, v5, v8
	s_lshl_b64 s[0:1], s[14:15], 2
	v_div_fixup_f32 v3, v4, v7, v3
	v_mov_b32_e32 v4, s1
	v_add_co_u32_e32 v0, vcc, s0, v0
	v_addc_co_u32_e32 v1, vcc, v1, v4, vcc
	v_cndmask_b32_e64 v2, v3, v2, s[2:3]
	global_store_dword v[0:1], v2, off offset:128
.LBB393_20:
	s_endpgm
	.section	.rodata,"a",@progbits
	.p2align	6, 0x0
	.amdhsa_kernel _ZN12_GLOBAL__N_120softmax_warp_forwardIfffLi6ELb0ELb0ELi32EEEvPT0_PKT_iiiPKbib
		.amdhsa_group_segment_fixed_size 0
		.amdhsa_private_segment_fixed_size 0
		.amdhsa_kernarg_size 304
		.amdhsa_user_sgpr_count 6
		.amdhsa_user_sgpr_private_segment_buffer 1
		.amdhsa_user_sgpr_dispatch_ptr 0
		.amdhsa_user_sgpr_queue_ptr 0
		.amdhsa_user_sgpr_kernarg_segment_ptr 1
		.amdhsa_user_sgpr_dispatch_id 0
		.amdhsa_user_sgpr_flat_scratch_init 0
		.amdhsa_user_sgpr_kernarg_preload_length 0
		.amdhsa_user_sgpr_kernarg_preload_offset 0
		.amdhsa_user_sgpr_private_segment_size 0
		.amdhsa_uses_dynamic_stack 0
		.amdhsa_system_sgpr_private_segment_wavefront_offset 0
		.amdhsa_system_sgpr_workgroup_id_x 1
		.amdhsa_system_sgpr_workgroup_id_y 0
		.amdhsa_system_sgpr_workgroup_id_z 0
		.amdhsa_system_sgpr_workgroup_info 0
		.amdhsa_system_vgpr_workitem_id 1
		.amdhsa_next_free_vgpr 17
		.amdhsa_next_free_sgpr 16
		.amdhsa_accum_offset 20
		.amdhsa_reserve_vcc 1
		.amdhsa_reserve_flat_scratch 0
		.amdhsa_float_round_mode_32 0
		.amdhsa_float_round_mode_16_64 0
		.amdhsa_float_denorm_mode_32 3
		.amdhsa_float_denorm_mode_16_64 3
		.amdhsa_dx10_clamp 1
		.amdhsa_ieee_mode 1
		.amdhsa_fp16_overflow 0
		.amdhsa_tg_split 0
		.amdhsa_exception_fp_ieee_invalid_op 0
		.amdhsa_exception_fp_denorm_src 0
		.amdhsa_exception_fp_ieee_div_zero 0
		.amdhsa_exception_fp_ieee_overflow 0
		.amdhsa_exception_fp_ieee_underflow 0
		.amdhsa_exception_fp_ieee_inexact 0
		.amdhsa_exception_int_div_zero 0
	.end_amdhsa_kernel
	.section	.text._ZN12_GLOBAL__N_120softmax_warp_forwardIfffLi6ELb0ELb0ELi32EEEvPT0_PKT_iiiPKbib,"axG",@progbits,_ZN12_GLOBAL__N_120softmax_warp_forwardIfffLi6ELb0ELb0ELi32EEEvPT0_PKT_iiiPKbib,comdat
.Lfunc_end393:
	.size	_ZN12_GLOBAL__N_120softmax_warp_forwardIfffLi6ELb0ELb0ELi32EEEvPT0_PKT_iiiPKbib, .Lfunc_end393-_ZN12_GLOBAL__N_120softmax_warp_forwardIfffLi6ELb0ELb0ELi32EEEvPT0_PKT_iiiPKbib
                                        ; -- End function
	.section	.AMDGPU.csdata,"",@progbits
; Kernel info:
; codeLenInByte = 1804
; NumSgprs: 20
; NumVgprs: 17
; NumAgprs: 0
; TotalNumVgprs: 17
; ScratchSize: 0
; MemoryBound: 0
; FloatMode: 240
; IeeeMode: 1
; LDSByteSize: 0 bytes/workgroup (compile time only)
; SGPRBlocks: 2
; VGPRBlocks: 2
; NumSGPRsForWavesPerEU: 20
; NumVGPRsForWavesPerEU: 17
; AccumOffset: 20
; Occupancy: 8
; WaveLimiterHint : 0
; COMPUTE_PGM_RSRC2:SCRATCH_EN: 0
; COMPUTE_PGM_RSRC2:USER_SGPR: 6
; COMPUTE_PGM_RSRC2:TRAP_HANDLER: 0
; COMPUTE_PGM_RSRC2:TGID_X_EN: 1
; COMPUTE_PGM_RSRC2:TGID_Y_EN: 0
; COMPUTE_PGM_RSRC2:TGID_Z_EN: 0
; COMPUTE_PGM_RSRC2:TIDIG_COMP_CNT: 1
; COMPUTE_PGM_RSRC3_GFX90A:ACCUM_OFFSET: 4
; COMPUTE_PGM_RSRC3_GFX90A:TG_SPLIT: 0
	.section	.text._ZN12_GLOBAL__N_120softmax_warp_forwardIfffLi7ELb0ELb0ELi64EEEvPT0_PKT_iiiPKbib,"axG",@progbits,_ZN12_GLOBAL__N_120softmax_warp_forwardIfffLi7ELb0ELb0ELi64EEEvPT0_PKT_iiiPKbib,comdat
	.globl	_ZN12_GLOBAL__N_120softmax_warp_forwardIfffLi7ELb0ELb0ELi64EEEvPT0_PKT_iiiPKbib ; -- Begin function _ZN12_GLOBAL__N_120softmax_warp_forwardIfffLi7ELb0ELb0ELi64EEEvPT0_PKT_iiiPKbib
	.p2align	8
	.type	_ZN12_GLOBAL__N_120softmax_warp_forwardIfffLi7ELb0ELb0ELi64EEEvPT0_PKT_iiiPKbib,@function
_ZN12_GLOBAL__N_120softmax_warp_forwardIfffLi7ELb0ELb0ELi64EEEvPT0_PKT_iiiPKbib: ; @_ZN12_GLOBAL__N_120softmax_warp_forwardIfffLi7ELb0ELb0ELi64EEEvPT0_PKT_iiiPKbib
; %bb.0:
	s_load_dword s0, s[4:5], 0x3c
	s_load_dwordx8 s[8:15], s[4:5], 0x0
	v_bfe_u32 v1, v0, 10, 10
	v_and_b32_e32 v4, 0x3ff, v0
	v_mov_b32_e32 v3, 0xff800000
	s_waitcnt lgkmcnt(0)
	s_lshr_b32 s0, s0, 16
	s_mul_i32 s6, s6, s0
	v_add_lshl_u32 v1, s6, v1, 1
	v_sub_u32_e32 v10, s12, v1
	v_mad_u64_u32 v[0:1], s[0:1], v1, s13, v[4:5]
	v_ashrrev_i32_e32 v1, 31, v0
	v_lshlrev_b64 v[0:1], 2, v[0:1]
	v_mov_b32_e32 v2, s11
	v_add_co_u32_e32 v6, vcc, s10, v0
	v_addc_co_u32_e32 v7, vcc, v2, v1, vcc
	v_cmp_lt_i32_e32 vcc, 0, v10
	v_cmp_gt_i32_e64 s[2:3], s14, v4
	s_and_b64 s[4:5], vcc, s[2:3]
	v_mov_b32_e32 v2, 0xff800000
	s_and_saveexec_b64 s[0:1], s[4:5]
	s_cbranch_execz .LBB394_2
; %bb.1:
	global_load_dword v2, v[6:7], off
.LBB394_2:
	s_or_b64 exec, exec, s[0:1]
	v_add_u32_e32 v4, 64, v4
	v_cmp_gt_i32_e64 s[0:1], s14, v4
	s_and_b64 s[6:7], vcc, s[0:1]
	s_and_saveexec_b64 s[4:5], s[6:7]
	s_cbranch_execz .LBB394_4
; %bb.3:
	global_load_dword v3, v[6:7], off offset:256
.LBB394_4:
	s_or_b64 exec, exec, s[4:5]
	v_cmp_lt_i32_e64 s[4:5], 1, v10
	s_and_b64 s[6:7], s[4:5], s[2:3]
	v_mov_b32_e32 v5, 0xff800000
	v_mov_b32_e32 v4, 0xff800000
	s_and_saveexec_b64 s[10:11], s[6:7]
	s_cbranch_execz .LBB394_6
; %bb.5:
	s_mov_b32 s15, 0
	s_lshl_b64 s[6:7], s[14:15], 2
	v_mov_b32_e32 v4, s7
	v_add_co_u32_e64 v8, s[6:7], s6, v6
	v_addc_co_u32_e64 v9, s[6:7], v7, v4, s[6:7]
	global_load_dword v4, v[8:9], off
.LBB394_6:
	s_or_b64 exec, exec, s[10:11]
	s_and_b64 s[4:5], s[4:5], s[0:1]
	s_and_saveexec_b64 s[6:7], s[4:5]
	s_cbranch_execz .LBB394_8
; %bb.7:
	s_mov_b32 s15, 0
	s_lshl_b64 s[4:5], s[14:15], 2
	v_mov_b32_e32 v5, s5
	v_add_co_u32_e64 v6, s[4:5], s4, v6
	v_addc_co_u32_e64 v7, s[4:5], v7, v5, s[4:5]
	global_load_dword v5, v[6:7], off offset:256
.LBB394_8:
	s_or_b64 exec, exec, s[6:7]
	v_mbcnt_lo_u32_b32 v7, -1, 0
	v_mbcnt_hi_u32_b32 v7, -1, v7
	v_and_b32_e32 v8, 64, v7
	s_waitcnt vmcnt(0)
	v_cmp_gt_f32_e64 s[4:5], v2, v3
	v_add_u32_e32 v8, 64, v8
	v_xor_b32_e32 v9, 32, v7
	v_cndmask_b32_e64 v6, v3, v2, s[4:5]
	v_cmp_lt_i32_e64 s[4:5], v9, v8
	v_cndmask_b32_e64 v9, v7, v9, s[4:5]
	v_lshlrev_b32_e32 v11, 2, v9
	ds_bpermute_b32 v9, v11, v6
	v_cmp_gt_f32_e64 s[4:5], v4, v5
	v_cndmask_b32_e64 v12, v5, v4, s[4:5]
	v_xor_b32_e32 v13, 16, v7
	s_mov_b32 s6, 0x3fb8aa3b
	s_waitcnt lgkmcnt(0)
	v_cmp_lt_f32_e64 s[4:5], v6, v9
	v_cndmask_b32_e64 v6, v6, v9, s[4:5]
	v_cmp_lt_i32_e64 s[4:5], v13, v8
	v_cndmask_b32_e64 v13, v7, v13, s[4:5]
	ds_bpermute_b32 v9, v11, v12
	v_lshlrev_b32_e32 v13, 2, v13
	ds_bpermute_b32 v14, v13, v6
	s_mov_b32 s7, 0xc2ce8ed0
	s_mov_b32 s10, 0x42b17218
	s_waitcnt lgkmcnt(1)
	v_cmp_lt_f32_e64 s[4:5], v12, v9
	v_cndmask_b32_e64 v9, v12, v9, s[4:5]
	s_waitcnt lgkmcnt(0)
	v_cmp_lt_f32_e64 s[4:5], v6, v14
	v_cndmask_b32_e64 v6, v6, v14, s[4:5]
	v_xor_b32_e32 v14, 8, v7
	v_cmp_lt_i32_e64 s[4:5], v14, v8
	v_cndmask_b32_e64 v14, v7, v14, s[4:5]
	ds_bpermute_b32 v12, v13, v9
	v_lshlrev_b32_e32 v14, 2, v14
	ds_bpermute_b32 v15, v14, v6
	s_waitcnt lgkmcnt(1)
	v_cmp_lt_f32_e64 s[4:5], v9, v12
	v_cndmask_b32_e64 v9, v9, v12, s[4:5]
	s_waitcnt lgkmcnt(0)
	v_cmp_lt_f32_e64 s[4:5], v6, v15
	v_cndmask_b32_e64 v6, v6, v15, s[4:5]
	v_xor_b32_e32 v15, 4, v7
	v_cmp_lt_i32_e64 s[4:5], v15, v8
	v_cndmask_b32_e64 v15, v7, v15, s[4:5]
	ds_bpermute_b32 v12, v14, v9
	v_lshlrev_b32_e32 v15, 2, v15
	ds_bpermute_b32 v16, v15, v6
	;; [unrolled: 12-line block ×4, first 2 shown]
	s_waitcnt lgkmcnt(1)
	v_cmp_lt_f32_e64 s[4:5], v9, v12
	v_cndmask_b32_e64 v8, v9, v12, s[4:5]
	s_waitcnt lgkmcnt(0)
	v_cmp_lt_f32_e64 s[4:5], v6, v7
	v_cndmask_b32_e64 v6, v6, v7, s[4:5]
	v_pk_add_f32 v[6:7], v[2:3], v[6:7] op_sel_hi:[1,0] neg_lo:[0,1] neg_hi:[0,1]
	v_mul_f32_e32 v2, 0x3fb8aa3b, v7
	v_fma_f32 v3, v7, s6, -v2
	v_rndne_f32_e32 v12, v2
	v_fmac_f32_e32 v3, 0x32a5705f, v7
	v_sub_f32_e32 v2, v2, v12
	ds_bpermute_b32 v9, v17, v8
	v_add_f32_e32 v2, v2, v3
	v_exp_f32_e32 v2, v2
	v_cvt_i32_f32_e32 v3, v12
	s_waitcnt lgkmcnt(0)
	v_cmp_lt_f32_e64 s[4:5], v8, v9
	v_cndmask_b32_e64 v8, v8, v9, s[4:5]
	v_ldexp_f32 v2, v2, v3
	v_mul_f32_e32 v3, 0x3fb8aa3b, v6
	v_fma_f32 v9, v6, s6, -v3
	v_rndne_f32_e32 v12, v3
	v_fmac_f32_e32 v9, 0x32a5705f, v6
	v_sub_f32_e32 v3, v3, v12
	v_add_f32_e32 v3, v3, v9
	v_exp_f32_e32 v3, v3
	v_cvt_i32_f32_e32 v9, v12
	v_cmp_ngt_f32_e64 s[4:5], s7, v7
	v_cndmask_b32_e64 v2, 0, v2, s[4:5]
	v_cmp_nlt_f32_e64 s[4:5], s10, v7
	v_ldexp_f32 v3, v3, v9
	v_pk_add_f32 v[8:9], v[4:5], v[8:9] op_sel_hi:[1,0] neg_lo:[0,1] neg_hi:[0,1]
	v_mul_f32_e32 v4, 0x3fb8aa3b, v9
	v_fma_f32 v5, v9, s6, -v4
	v_rndne_f32_e32 v7, v4
	v_fmac_f32_e32 v5, 0x32a5705f, v9
	v_sub_f32_e32 v4, v4, v7
	v_add_f32_e32 v4, v4, v5
	v_exp_f32_e32 v5, v4
	v_cvt_i32_f32_e32 v7, v7
	v_mov_b32_e32 v12, 0x7f800000
	v_cndmask_b32_e64 v2, v12, v2, s[4:5]
	v_cmp_ngt_f32_e64 s[4:5], s7, v6
	v_cndmask_b32_e64 v3, 0, v3, s[4:5]
	v_cmp_nlt_f32_e64 s[4:5], s10, v6
	v_cndmask_b32_e64 v4, v12, v3, s[4:5]
	v_ldexp_f32 v3, v5, v7
	v_mul_f32_e32 v5, 0x3fb8aa3b, v8
	v_fma_f32 v6, v8, s6, -v5
	v_rndne_f32_e32 v7, v5
	v_fmac_f32_e32 v6, 0x32a5705f, v8
	v_sub_f32_e32 v5, v5, v7
	v_add_f32_e32 v5, v5, v6
	v_exp_f32_e32 v5, v5
	v_cvt_i32_f32_e32 v6, v7
	v_cmp_ngt_f32_e64 s[4:5], s7, v9
	v_cndmask_b32_e64 v3, 0, v3, s[4:5]
	v_cmp_nlt_f32_e64 s[4:5], s10, v9
	v_cndmask_b32_e64 v3, v12, v3, s[4:5]
	v_ldexp_f32 v5, v5, v6
	v_cmp_ngt_f32_e64 s[4:5], s7, v8
	v_cndmask_b32_e64 v5, 0, v5, s[4:5]
	v_cmp_nlt_f32_e64 s[4:5], s10, v8
	v_cndmask_b32_e64 v5, v12, v5, s[4:5]
	v_pk_add_f32 v[6:7], v[4:5], v[2:3]
	ds_bpermute_b32 v8, v11, v6
	ds_bpermute_b32 v9, v11, v7
	s_waitcnt lgkmcnt(0)
	v_pk_add_f32 v[6:7], v[6:7], v[8:9]
	ds_bpermute_b32 v8, v13, v6
	ds_bpermute_b32 v9, v13, v7
	s_waitcnt lgkmcnt(0)
	;; [unrolled: 4-line block ×5, first 2 shown]
	v_pk_add_f32 v[6:7], v[6:7], v[8:9]
	ds_bpermute_b32 v8, v17, v6
	ds_bpermute_b32 v9, v17, v7
	s_and_saveexec_b64 s[4:5], vcc
	s_cbranch_execz .LBB394_20
; %bb.9:
	v_mov_b32_e32 v11, s9
	v_add_co_u32_e32 v0, vcc, s8, v0
	v_addc_co_u32_e32 v1, vcc, v11, v1, vcc
	s_waitcnt lgkmcnt(0)
	v_pk_add_f32 v[6:7], v[6:7], v[8:9]
	s_and_saveexec_b64 s[6:7], s[2:3]
	s_cbranch_execz .LBB394_16
; %bb.10:
	v_cmp_neq_f32_e64 s[4:5], 0, v6
	v_mov_b32_e32 v8, 0x7fc00000
	s_and_saveexec_b64 s[8:9], s[4:5]
; %bb.11:
	v_div_scale_f32 v8, s[10:11], v6, v6, v4
	v_rcp_f32_e32 v9, v8
	v_div_scale_f32 v11, vcc, v4, v6, v4
	v_fma_f32 v12, -v8, v9, 1.0
	v_fmac_f32_e32 v9, v12, v9
	v_mul_f32_e32 v12, v11, v9
	v_fma_f32 v13, -v8, v12, v11
	v_fmac_f32_e32 v12, v13, v9
	v_fma_f32 v8, -v8, v12, v11
	v_div_fmas_f32 v8, v8, v9, v12
	v_div_fixup_f32 v8, v8, v6, v4
; %bb.12:
	s_or_b64 exec, exec, s[8:9]
	global_store_dword v[0:1], v8, off
	s_and_b64 exec, exec, s[0:1]
	s_cbranch_execz .LBB394_16
; %bb.13:
	v_mov_b32_e32 v4, 0x7fc00000
	s_and_saveexec_b64 s[8:9], s[4:5]
; %bb.14:
	v_div_scale_f32 v4, s[4:5], v6, v6, v2
	v_rcp_f32_e32 v8, v4
	v_div_scale_f32 v9, vcc, v2, v6, v2
	v_fma_f32 v11, -v4, v8, 1.0
	v_fmac_f32_e32 v8, v11, v8
	v_mul_f32_e32 v11, v9, v8
	v_fma_f32 v12, -v4, v11, v9
	v_fmac_f32_e32 v11, v12, v8
	v_fma_f32 v4, -v4, v11, v9
	v_div_fmas_f32 v4, v4, v8, v11
	v_div_fixup_f32 v4, v4, v6, v2
; %bb.15:
	s_or_b64 exec, exec, s[8:9]
	global_store_dword v[0:1], v4, off offset:256
.LBB394_16:
	s_or_b64 exec, exec, s[6:7]
	v_cmp_ne_u32_e32 vcc, 1, v10
	s_and_b64 exec, exec, vcc
	s_cbranch_execz .LBB394_20
; %bb.17:
	s_and_b64 exec, exec, s[2:3]
	s_cbranch_execz .LBB394_20
; %bb.18:
	v_div_scale_f32 v2, s[2:3], v7, v7, v5
	v_rcp_f32_e32 v4, v2
	s_mov_b32 s15, 0
	s_lshl_b64 s[2:3], s[14:15], 2
	v_fma_f32 v6, -v2, v4, 1.0
	v_fmac_f32_e32 v4, v6, v4
	v_div_scale_f32 v6, vcc, v5, v7, v5
	v_mul_f32_e32 v8, v6, v4
	v_fma_f32 v9, -v2, v8, v6
	v_fmac_f32_e32 v8, v9, v4
	v_fma_f32 v2, -v2, v8, v6
	v_div_fmas_f32 v2, v2, v4, v8
	v_div_fixup_f32 v6, v2, v7, v5
	v_mov_b32_e32 v2, s3
	v_add_co_u32_e32 v4, vcc, s2, v0
	v_addc_co_u32_e32 v5, vcc, v1, v2, vcc
	v_mov_b32_e32 v2, 0x7fc00000
	v_cmp_eq_f32_e64 s[2:3], 0, v7
	v_cndmask_b32_e64 v6, v6, v2, s[2:3]
	global_store_dword v[4:5], v6, off
	s_and_b64 exec, exec, s[0:1]
	s_cbranch_execz .LBB394_20
; %bb.19:
	v_div_scale_f32 v4, s[0:1], v7, v7, v3
	v_rcp_f32_e32 v5, v4
	v_div_scale_f32 v6, vcc, v3, v7, v3
	s_ashr_i32 s15, s14, 31
	v_fma_f32 v8, -v4, v5, 1.0
	v_fmac_f32_e32 v5, v8, v5
	v_mul_f32_e32 v8, v6, v5
	v_fma_f32 v9, -v4, v8, v6
	v_fmac_f32_e32 v8, v9, v5
	v_fma_f32 v4, -v4, v8, v6
	v_div_fmas_f32 v4, v4, v5, v8
	s_lshl_b64 s[0:1], s[14:15], 2
	v_div_fixup_f32 v3, v4, v7, v3
	v_mov_b32_e32 v4, s1
	v_add_co_u32_e32 v0, vcc, s0, v0
	v_addc_co_u32_e32 v1, vcc, v1, v4, vcc
	v_cndmask_b32_e64 v2, v3, v2, s[2:3]
	global_store_dword v[0:1], v2, off offset:256
.LBB394_20:
	s_endpgm
	.section	.rodata,"a",@progbits
	.p2align	6, 0x0
	.amdhsa_kernel _ZN12_GLOBAL__N_120softmax_warp_forwardIfffLi7ELb0ELb0ELi64EEEvPT0_PKT_iiiPKbib
		.amdhsa_group_segment_fixed_size 0
		.amdhsa_private_segment_fixed_size 0
		.amdhsa_kernarg_size 304
		.amdhsa_user_sgpr_count 6
		.amdhsa_user_sgpr_private_segment_buffer 1
		.amdhsa_user_sgpr_dispatch_ptr 0
		.amdhsa_user_sgpr_queue_ptr 0
		.amdhsa_user_sgpr_kernarg_segment_ptr 1
		.amdhsa_user_sgpr_dispatch_id 0
		.amdhsa_user_sgpr_flat_scratch_init 0
		.amdhsa_user_sgpr_kernarg_preload_length 0
		.amdhsa_user_sgpr_kernarg_preload_offset 0
		.amdhsa_user_sgpr_private_segment_size 0
		.amdhsa_uses_dynamic_stack 0
		.amdhsa_system_sgpr_private_segment_wavefront_offset 0
		.amdhsa_system_sgpr_workgroup_id_x 1
		.amdhsa_system_sgpr_workgroup_id_y 0
		.amdhsa_system_sgpr_workgroup_id_z 0
		.amdhsa_system_sgpr_workgroup_info 0
		.amdhsa_system_vgpr_workitem_id 1
		.amdhsa_next_free_vgpr 18
		.amdhsa_next_free_sgpr 16
		.amdhsa_accum_offset 20
		.amdhsa_reserve_vcc 1
		.amdhsa_reserve_flat_scratch 0
		.amdhsa_float_round_mode_32 0
		.amdhsa_float_round_mode_16_64 0
		.amdhsa_float_denorm_mode_32 3
		.amdhsa_float_denorm_mode_16_64 3
		.amdhsa_dx10_clamp 1
		.amdhsa_ieee_mode 1
		.amdhsa_fp16_overflow 0
		.amdhsa_tg_split 0
		.amdhsa_exception_fp_ieee_invalid_op 0
		.amdhsa_exception_fp_denorm_src 0
		.amdhsa_exception_fp_ieee_div_zero 0
		.amdhsa_exception_fp_ieee_overflow 0
		.amdhsa_exception_fp_ieee_underflow 0
		.amdhsa_exception_fp_ieee_inexact 0
		.amdhsa_exception_int_div_zero 0
	.end_amdhsa_kernel
	.section	.text._ZN12_GLOBAL__N_120softmax_warp_forwardIfffLi7ELb0ELb0ELi64EEEvPT0_PKT_iiiPKbib,"axG",@progbits,_ZN12_GLOBAL__N_120softmax_warp_forwardIfffLi7ELb0ELb0ELi64EEEvPT0_PKT_iiiPKbib,comdat
.Lfunc_end394:
	.size	_ZN12_GLOBAL__N_120softmax_warp_forwardIfffLi7ELb0ELb0ELi64EEEvPT0_PKT_iiiPKbib, .Lfunc_end394-_ZN12_GLOBAL__N_120softmax_warp_forwardIfffLi7ELb0ELb0ELi64EEEvPT0_PKT_iiiPKbib
                                        ; -- End function
	.section	.AMDGPU.csdata,"",@progbits
; Kernel info:
; codeLenInByte = 1908
; NumSgprs: 20
; NumVgprs: 18
; NumAgprs: 0
; TotalNumVgprs: 18
; ScratchSize: 0
; MemoryBound: 0
; FloatMode: 240
; IeeeMode: 1
; LDSByteSize: 0 bytes/workgroup (compile time only)
; SGPRBlocks: 2
; VGPRBlocks: 2
; NumSGPRsForWavesPerEU: 20
; NumVGPRsForWavesPerEU: 18
; AccumOffset: 20
; Occupancy: 8
; WaveLimiterHint : 0
; COMPUTE_PGM_RSRC2:SCRATCH_EN: 0
; COMPUTE_PGM_RSRC2:USER_SGPR: 6
; COMPUTE_PGM_RSRC2:TRAP_HANDLER: 0
; COMPUTE_PGM_RSRC2:TGID_X_EN: 1
; COMPUTE_PGM_RSRC2:TGID_Y_EN: 0
; COMPUTE_PGM_RSRC2:TGID_Z_EN: 0
; COMPUTE_PGM_RSRC2:TIDIG_COMP_CNT: 1
; COMPUTE_PGM_RSRC3_GFX90A:ACCUM_OFFSET: 4
; COMPUTE_PGM_RSRC3_GFX90A:TG_SPLIT: 0
	.section	.text._ZN12_GLOBAL__N_120softmax_warp_forwardIfffLi7ELb0ELb0ELi32EEEvPT0_PKT_iiiPKbib,"axG",@progbits,_ZN12_GLOBAL__N_120softmax_warp_forwardIfffLi7ELb0ELb0ELi32EEEvPT0_PKT_iiiPKbib,comdat
	.globl	_ZN12_GLOBAL__N_120softmax_warp_forwardIfffLi7ELb0ELb0ELi32EEEvPT0_PKT_iiiPKbib ; -- Begin function _ZN12_GLOBAL__N_120softmax_warp_forwardIfffLi7ELb0ELb0ELi32EEEvPT0_PKT_iiiPKbib
	.p2align	8
	.type	_ZN12_GLOBAL__N_120softmax_warp_forwardIfffLi7ELb0ELb0ELi32EEEvPT0_PKT_iiiPKbib,@function
_ZN12_GLOBAL__N_120softmax_warp_forwardIfffLi7ELb0ELb0ELi32EEEvPT0_PKT_iiiPKbib: ; @_ZN12_GLOBAL__N_120softmax_warp_forwardIfffLi7ELb0ELb0ELi32EEEvPT0_PKT_iiiPKbib
; %bb.0:
	s_load_dword s0, s[4:5], 0x3c
	s_load_dwordx8 s[12:19], s[4:5], 0x0
	v_bfe_u32 v1, v0, 10, 10
	v_and_b32_e32 v6, 0x3ff, v0
	v_mov_b32_e32 v5, 0xff800000
	s_waitcnt lgkmcnt(0)
	s_lshr_b32 s0, s0, 16
	s_mul_i32 s6, s6, s0
	v_add_lshl_u32 v1, s6, v1, 1
	v_sub_u32_e32 v16, s16, v1
	v_mad_u64_u32 v[0:1], s[0:1], v1, s17, v[6:7]
	v_ashrrev_i32_e32 v1, 31, v0
	v_lshlrev_b64 v[0:1], 2, v[0:1]
	v_mov_b32_e32 v2, s15
	v_add_co_u32_e32 v8, vcc, s14, v0
	v_addc_co_u32_e32 v9, vcc, v2, v1, vcc
	v_cmp_lt_i32_e32 vcc, 0, v16
	v_cmp_gt_i32_e64 s[6:7], s18, v6
	s_and_b64 s[2:3], vcc, s[6:7]
	v_mov_b32_e32 v4, 0xff800000
	s_and_saveexec_b64 s[0:1], s[2:3]
	s_cbranch_execz .LBB395_2
; %bb.1:
	global_load_dword v4, v[8:9], off
.LBB395_2:
	s_or_b64 exec, exec, s[0:1]
	v_add_u32_e32 v2, 32, v6
	v_cmp_gt_i32_e64 s[4:5], s18, v2
	s_and_b64 s[2:3], vcc, s[4:5]
	s_and_saveexec_b64 s[0:1], s[2:3]
	s_cbranch_execz .LBB395_4
; %bb.3:
	global_load_dword v5, v[8:9], off offset:128
.LBB395_4:
	s_or_b64 exec, exec, s[0:1]
	v_add_u32_e32 v2, 64, v6
	v_cmp_gt_i32_e64 s[2:3], s18, v2
	s_and_b64 s[8:9], vcc, s[2:3]
	v_mov_b32_e32 v3, 0xff800000
	v_mov_b32_e32 v2, 0xff800000
	s_and_saveexec_b64 s[0:1], s[8:9]
	s_cbranch_execz .LBB395_6
; %bb.5:
	global_load_dword v2, v[8:9], off offset:256
.LBB395_6:
	s_or_b64 exec, exec, s[0:1]
	v_add_u32_e32 v6, 0x60, v6
	v_cmp_gt_i32_e64 s[0:1], s18, v6
	s_and_b64 s[10:11], vcc, s[0:1]
	s_and_saveexec_b64 s[8:9], s[10:11]
	s_cbranch_execz .LBB395_8
; %bb.7:
	global_load_dword v3, v[8:9], off offset:384
.LBB395_8:
	s_or_b64 exec, exec, s[8:9]
	v_cmp_lt_i32_e64 s[8:9], 1, v16
	s_and_b64 s[10:11], s[8:9], s[6:7]
	v_mov_b32_e32 v7, 0xff800000
	v_mov_b32_e32 v6, 0xff800000
	s_and_saveexec_b64 s[14:15], s[10:11]
	s_cbranch_execz .LBB395_10
; %bb.9:
	s_mov_b32 s19, 0
	s_lshl_b64 s[10:11], s[18:19], 2
	v_mov_b32_e32 v6, s11
	v_add_co_u32_e64 v10, s[10:11], s10, v8
	v_addc_co_u32_e64 v11, s[10:11], v9, v6, s[10:11]
	global_load_dword v6, v[10:11], off
.LBB395_10:
	s_or_b64 exec, exec, s[14:15]
	s_and_b64 s[10:11], s[8:9], s[4:5]
	s_and_saveexec_b64 s[14:15], s[10:11]
	s_cbranch_execz .LBB395_12
; %bb.11:
	s_mov_b32 s19, 0
	s_lshl_b64 s[10:11], s[18:19], 2
	v_mov_b32_e32 v7, s11
	v_add_co_u32_e64 v10, s[10:11], s10, v8
	v_addc_co_u32_e64 v11, s[10:11], v9, v7, s[10:11]
	global_load_dword v7, v[10:11], off offset:128
.LBB395_12:
	s_or_b64 exec, exec, s[14:15]
	s_and_b64 s[10:11], s[8:9], s[2:3]
	v_mov_b32_e32 v11, 0xff800000
	v_mov_b32_e32 v10, 0xff800000
	s_and_saveexec_b64 s[14:15], s[10:11]
	s_cbranch_execz .LBB395_14
; %bb.13:
	s_mov_b32 s19, 0
	s_lshl_b64 s[10:11], s[18:19], 2
	v_mov_b32_e32 v10, s11
	v_add_co_u32_e64 v12, s[10:11], s10, v8
	v_addc_co_u32_e64 v13, s[10:11], v9, v10, s[10:11]
	global_load_dword v10, v[12:13], off offset:256
.LBB395_14:
	s_or_b64 exec, exec, s[14:15]
	s_and_b64 s[8:9], s[8:9], s[0:1]
	s_and_saveexec_b64 s[10:11], s[8:9]
	s_cbranch_execz .LBB395_16
; %bb.15:
	s_mov_b32 s19, 0
	s_lshl_b64 s[8:9], s[18:19], 2
	v_mov_b32_e32 v11, s9
	v_add_co_u32_e64 v8, s[8:9], s8, v8
	v_addc_co_u32_e64 v9, s[8:9], v9, v11, s[8:9]
	global_load_dword v11, v[8:9], off offset:384
.LBB395_16:
	s_or_b64 exec, exec, s[10:11]
	s_waitcnt vmcnt(0)
	v_cmp_gt_f32_e64 s[8:9], v4, v5
	v_cndmask_b32_e64 v8, v5, v4, s[8:9]
	v_cmp_gt_f32_e64 s[8:9], v8, v2
	v_mbcnt_lo_u32_b32 v12, -1, 0
	v_cndmask_b32_e64 v8, v2, v8, s[8:9]
	v_mbcnt_hi_u32_b32 v12, -1, v12
	v_cmp_gt_f32_e64 s[8:9], v8, v3
	v_and_b32_e32 v13, 0x60, v12
	v_cndmask_b32_e64 v8, v3, v8, s[8:9]
	v_cmp_gt_f32_e64 s[8:9], v6, v7
	v_add_u32_e32 v13, 32, v13
	v_xor_b32_e32 v14, 16, v12
	v_cndmask_b32_e64 v9, v7, v6, s[8:9]
	v_cmp_lt_i32_e64 s[8:9], v14, v13
	v_cndmask_b32_e64 v14, v12, v14, s[8:9]
	v_lshlrev_b32_e32 v15, 2, v14
	ds_bpermute_b32 v14, v15, v8
	v_cmp_gt_f32_e64 s[8:9], v9, v10
	v_cndmask_b32_e64 v9, v10, v9, s[8:9]
	v_cmp_gt_f32_e64 s[8:9], v9, v11
	v_cndmask_b32_e64 v9, v11, v9, s[8:9]
	s_waitcnt lgkmcnt(0)
	v_cmp_lt_f32_e64 s[8:9], v8, v14
	v_xor_b32_e32 v17, 8, v12
	v_cndmask_b32_e64 v8, v8, v14, s[8:9]
	v_cmp_lt_i32_e64 s[8:9], v17, v13
	v_cndmask_b32_e64 v17, v12, v17, s[8:9]
	ds_bpermute_b32 v14, v15, v9
	v_lshlrev_b32_e32 v17, 2, v17
	ds_bpermute_b32 v18, v17, v8
	s_mov_b32 s10, 0x3fb8aa3b
	s_mov_b32 s11, 0xc2ce8ed0
	s_waitcnt lgkmcnt(1)
	v_cmp_lt_f32_e64 s[8:9], v9, v14
	v_cndmask_b32_e64 v9, v9, v14, s[8:9]
	s_waitcnt lgkmcnt(0)
	v_cmp_lt_f32_e64 s[8:9], v8, v18
	v_cndmask_b32_e64 v8, v8, v18, s[8:9]
	v_xor_b32_e32 v18, 4, v12
	v_cmp_lt_i32_e64 s[8:9], v18, v13
	v_cndmask_b32_e64 v18, v12, v18, s[8:9]
	ds_bpermute_b32 v14, v17, v9
	v_lshlrev_b32_e32 v20, 2, v18
	ds_bpermute_b32 v18, v20, v8
	s_mov_b32 s14, 0x42b17218
	v_mov_b32_e32 v23, 0x7f800000
	s_waitcnt lgkmcnt(1)
	v_cmp_lt_f32_e64 s[8:9], v9, v14
	v_cndmask_b32_e64 v9, v9, v14, s[8:9]
	s_waitcnt lgkmcnt(0)
	v_cmp_lt_f32_e64 s[8:9], v8, v18
	v_cndmask_b32_e64 v8, v8, v18, s[8:9]
	v_xor_b32_e32 v18, 2, v12
	v_cmp_lt_i32_e64 s[8:9], v18, v13
	v_cndmask_b32_e64 v18, v12, v18, s[8:9]
	ds_bpermute_b32 v14, v20, v9
	v_lshlrev_b32_e32 v21, 2, v18
	ds_bpermute_b32 v18, v21, v8
	s_waitcnt lgkmcnt(1)
	v_cmp_lt_f32_e64 s[8:9], v9, v14
	v_cndmask_b32_e64 v9, v9, v14, s[8:9]
	s_waitcnt lgkmcnt(0)
	v_cmp_lt_f32_e64 s[8:9], v8, v18
	v_cndmask_b32_e64 v8, v8, v18, s[8:9]
	v_xor_b32_e32 v18, 1, v12
	v_cmp_lt_i32_e64 s[8:9], v18, v13
	v_cndmask_b32_e64 v12, v12, v18, s[8:9]
	ds_bpermute_b32 v14, v21, v9
	v_lshlrev_b32_e32 v22, 2, v12
	ds_bpermute_b32 v12, v22, v8
	s_waitcnt lgkmcnt(1)
	v_cmp_lt_f32_e64 s[8:9], v9, v14
	v_cndmask_b32_e64 v9, v9, v14, s[8:9]
	s_waitcnt lgkmcnt(0)
	v_cmp_lt_f32_e64 s[8:9], v8, v12
	v_cndmask_b32_e64 v8, v8, v12, s[8:9]
	v_pk_add_f32 v[12:13], v[4:5], v[8:9] op_sel_hi:[1,0] neg_lo:[0,1] neg_hi:[0,1]
	v_mul_f32_e32 v4, 0x3fb8aa3b, v13
	v_fma_f32 v5, v13, s10, -v4
	v_rndne_f32_e32 v18, v4
	v_fmac_f32_e32 v5, 0x32a5705f, v13
	v_sub_f32_e32 v4, v4, v18
	ds_bpermute_b32 v14, v22, v9
	v_add_f32_e32 v4, v4, v5
	v_exp_f32_e32 v4, v4
	v_cvt_i32_f32_e32 v5, v18
	s_waitcnt lgkmcnt(0)
	v_cmp_lt_f32_e64 s[8:9], v9, v14
	v_cndmask_b32_e64 v14, v9, v14, s[8:9]
	v_ldexp_f32 v4, v4, v5
	v_mul_f32_e32 v5, 0x3fb8aa3b, v12
	v_fma_f32 v9, v12, s10, -v5
	v_rndne_f32_e32 v18, v5
	v_fmac_f32_e32 v9, 0x32a5705f, v12
	v_sub_f32_e32 v5, v5, v18
	v_add_f32_e32 v5, v5, v9
	v_cvt_i32_f32_e32 v9, v18
	v_exp_f32_e32 v5, v5
	v_cmp_ngt_f32_e64 s[8:9], s11, v13
	v_cndmask_b32_e64 v4, 0, v4, s[8:9]
	v_pk_add_f32 v[18:19], v[2:3], v[8:9] op_sel_hi:[1,0] neg_lo:[0,1] neg_hi:[0,1]
	v_mul_f32_e32 v2, 0x3fb8aa3b, v19
	v_fma_f32 v3, v19, s10, -v2
	v_rndne_f32_e32 v8, v2
	v_fmac_f32_e32 v3, 0x32a5705f, v19
	v_sub_f32_e32 v2, v2, v8
	v_add_f32_e32 v2, v2, v3
	v_exp_f32_e32 v2, v2
	v_cvt_i32_f32_e32 v3, v8
	v_cmp_nlt_f32_e64 s[8:9], s14, v13
	v_cndmask_b32_e64 v4, v23, v4, s[8:9]
	v_ldexp_f32 v5, v5, v9
	v_cmp_ngt_f32_e64 s[8:9], s11, v12
	v_cndmask_b32_e64 v5, 0, v5, s[8:9]
	v_cmp_nlt_f32_e64 s[8:9], s14, v12
	v_ldexp_f32 v2, v2, v3
	v_mul_f32_e32 v3, 0x3fb8aa3b, v18
	v_cndmask_b32_e64 v8, v23, v5, s[8:9]
	v_fma_f32 v5, v18, s10, -v3
	v_rndne_f32_e32 v9, v3
	v_fmac_f32_e32 v5, 0x32a5705f, v18
	v_sub_f32_e32 v3, v3, v9
	v_add_f32_e32 v3, v3, v5
	v_exp_f32_e32 v3, v3
	v_cvt_i32_f32_e32 v5, v9
	v_pk_add_f32 v[12:13], v[6:7], v[14:15] op_sel_hi:[1,0] neg_lo:[0,1] neg_hi:[0,1]
	v_cmp_ngt_f32_e64 s[8:9], s11, v19
	v_cndmask_b32_e64 v2, 0, v2, s[8:9]
	v_ldexp_f32 v3, v3, v5
	v_mul_f32_e32 v5, 0x3fb8aa3b, v13
	v_fma_f32 v6, v13, s10, -v5
	v_rndne_f32_e32 v7, v5
	v_fmac_f32_e32 v6, 0x32a5705f, v13
	v_sub_f32_e32 v5, v5, v7
	v_add_f32_e32 v5, v5, v6
	v_exp_f32_e32 v5, v5
	v_cvt_i32_f32_e32 v7, v7
	v_cmp_nlt_f32_e64 s[8:9], s14, v19
	v_cndmask_b32_e64 v2, v23, v2, s[8:9]
	v_cmp_ngt_f32_e64 s[8:9], s11, v18
	v_cndmask_b32_e64 v3, 0, v3, s[8:9]
	v_cmp_nlt_f32_e64 s[8:9], s14, v18
	v_cndmask_b32_e64 v6, v23, v3, s[8:9]
	v_ldexp_f32 v3, v5, v7
	v_mul_f32_e32 v5, 0x3fb8aa3b, v12
	v_fma_f32 v7, v12, s10, -v5
	v_rndne_f32_e32 v9, v5
	v_fmac_f32_e32 v7, 0x32a5705f, v12
	v_sub_f32_e32 v5, v5, v9
	v_add_f32_e32 v5, v5, v7
	v_exp_f32_e32 v7, v5
	v_cvt_i32_f32_e32 v9, v9
	v_cmp_ngt_f32_e64 s[8:9], s11, v13
	v_cndmask_b32_e64 v3, 0, v3, s[8:9]
	v_cmp_nlt_f32_e64 s[8:9], s14, v13
	v_pk_add_f32 v[10:11], v[10:11], v[14:15] op_sel_hi:[1,0] neg_lo:[0,1] neg_hi:[0,1]
	v_cndmask_b32_e64 v5, v23, v3, s[8:9]
	v_ldexp_f32 v3, v7, v9
	v_mul_f32_e32 v7, 0x3fb8aa3b, v11
	v_fma_f32 v9, v11, s10, -v7
	v_rndne_f32_e32 v13, v7
	v_fmac_f32_e32 v9, 0x32a5705f, v11
	v_sub_f32_e32 v7, v7, v13
	v_add_f32_e32 v7, v7, v9
	v_exp_f32_e32 v7, v7
	v_cvt_i32_f32_e32 v13, v13
	v_cmp_ngt_f32_e64 s[8:9], s11, v12
	v_cndmask_b32_e64 v3, 0, v3, s[8:9]
	v_cmp_nlt_f32_e64 s[8:9], s14, v12
	v_cndmask_b32_e64 v9, v23, v3, s[8:9]
	v_ldexp_f32 v3, v7, v13
	v_mul_f32_e32 v7, 0x3fb8aa3b, v10
	v_fma_f32 v12, v10, s10, -v7
	v_rndne_f32_e32 v13, v7
	v_fmac_f32_e32 v12, 0x32a5705f, v10
	v_sub_f32_e32 v7, v7, v13
	v_add_f32_e32 v7, v7, v12
	v_exp_f32_e32 v7, v7
	v_cvt_i32_f32_e32 v12, v13
	v_cmp_ngt_f32_e64 s[8:9], s11, v11
	v_cndmask_b32_e64 v3, 0, v3, s[8:9]
	v_cmp_nlt_f32_e64 s[8:9], s14, v11
	v_cndmask_b32_e64 v3, v23, v3, s[8:9]
	v_ldexp_f32 v7, v7, v12
	v_cmp_ngt_f32_e64 s[8:9], s11, v10
	v_cndmask_b32_e64 v7, 0, v7, s[8:9]
	v_cmp_nlt_f32_e64 s[8:9], s14, v10
	v_cndmask_b32_e64 v7, v23, v7, s[8:9]
	v_pk_add_f32 v[10:11], v[8:9], v[4:5]
	v_pk_add_f32 v[10:11], v[10:11], v[6:7]
	;; [unrolled: 1-line block ×3, first 2 shown]
	ds_bpermute_b32 v12, v15, v10
	ds_bpermute_b32 v13, v15, v11
	s_waitcnt lgkmcnt(0)
	v_pk_add_f32 v[10:11], v[10:11], v[12:13]
	ds_bpermute_b32 v12, v17, v10
	ds_bpermute_b32 v13, v17, v11
	s_waitcnt lgkmcnt(0)
	v_pk_add_f32 v[10:11], v[10:11], v[12:13]
	;; [unrolled: 4-line block ×4, first 2 shown]
	ds_bpermute_b32 v14, v22, v12
	ds_bpermute_b32 v15, v22, v13
	s_and_saveexec_b64 s[8:9], vcc
	s_cbranch_execz .LBB395_36
; %bb.17:
	v_mov_b32_e32 v11, s13
	v_add_co_u32_e32 v10, vcc, s12, v0
	v_addc_co_u32_e32 v11, vcc, v11, v1, vcc
	s_waitcnt lgkmcnt(0)
	v_pk_add_f32 v[0:1], v[12:13], v[14:15]
	s_and_saveexec_b64 s[10:11], s[6:7]
	s_cbranch_execz .LBB395_30
; %bb.18:
	v_cmp_neq_f32_e64 s[8:9], 0, v0
	v_mov_b32_e32 v12, 0x7fc00000
	s_and_saveexec_b64 s[12:13], s[8:9]
; %bb.19:
	v_div_scale_f32 v12, s[14:15], v0, v0, v8
	v_rcp_f32_e32 v13, v12
	v_div_scale_f32 v14, vcc, v8, v0, v8
	v_fma_f32 v15, -v12, v13, 1.0
	v_fmac_f32_e32 v13, v15, v13
	v_mul_f32_e32 v15, v14, v13
	v_fma_f32 v17, -v12, v15, v14
	v_fmac_f32_e32 v15, v17, v13
	v_fma_f32 v12, -v12, v15, v14
	v_div_fmas_f32 v12, v12, v13, v15
	v_div_fixup_f32 v12, v12, v0, v8
; %bb.20:
	s_or_b64 exec, exec, s[12:13]
	global_store_dword v[10:11], v12, off
	s_and_b64 exec, exec, s[4:5]
	s_cbranch_execz .LBB395_30
; %bb.21:
	v_mov_b32_e32 v8, 0x7fc00000
	s_and_saveexec_b64 s[12:13], s[8:9]
; %bb.22:
	v_div_scale_f32 v8, s[14:15], v0, v0, v4
	v_rcp_f32_e32 v12, v8
	v_div_scale_f32 v13, vcc, v4, v0, v4
	v_fma_f32 v14, -v8, v12, 1.0
	v_fmac_f32_e32 v12, v14, v12
	v_mul_f32_e32 v14, v13, v12
	v_fma_f32 v15, -v8, v14, v13
	v_fmac_f32_e32 v14, v15, v12
	v_fma_f32 v8, -v8, v14, v13
	v_div_fmas_f32 v8, v8, v12, v14
	v_div_fixup_f32 v8, v8, v0, v4
; %bb.23:
	s_or_b64 exec, exec, s[12:13]
	global_store_dword v[10:11], v8, off offset:128
	s_and_b64 exec, exec, s[2:3]
	s_cbranch_execz .LBB395_30
; %bb.24:
	v_mov_b32_e32 v4, 0x7fc00000
	s_and_saveexec_b64 s[12:13], s[8:9]
; %bb.25:
	v_div_scale_f32 v4, s[14:15], v0, v0, v6
	v_rcp_f32_e32 v8, v4
	v_div_scale_f32 v12, vcc, v6, v0, v6
	v_fma_f32 v13, -v4, v8, 1.0
	v_fmac_f32_e32 v8, v13, v8
	v_mul_f32_e32 v13, v12, v8
	v_fma_f32 v14, -v4, v13, v12
	v_fmac_f32_e32 v13, v14, v8
	v_fma_f32 v4, -v4, v13, v12
	v_div_fmas_f32 v4, v4, v8, v13
	v_div_fixup_f32 v4, v4, v0, v6
; %bb.26:
	s_or_b64 exec, exec, s[12:13]
	global_store_dword v[10:11], v4, off offset:256
	;; [unrolled: 20-line block ×3, first 2 shown]
.LBB395_30:
	s_or_b64 exec, exec, s[10:11]
	v_cmp_ne_u32_e32 vcc, 1, v16
	s_and_b64 exec, exec, vcc
	s_cbranch_execz .LBB395_36
; %bb.31:
	s_and_b64 exec, exec, s[6:7]
	s_cbranch_execz .LBB395_36
; %bb.32:
	v_div_scale_f32 v0, s[6:7], v1, v1, v9
	v_rcp_f32_e32 v2, v0
	v_div_scale_f32 v4, vcc, v9, v1, v9
	s_ashr_i32 s19, s18, 31
	v_fma_f32 v6, -v0, v2, 1.0
	v_fmac_f32_e32 v2, v6, v2
	v_mul_f32_e32 v6, v4, v2
	v_fma_f32 v8, -v0, v6, v4
	v_fmac_f32_e32 v6, v8, v2
	v_fma_f32 v0, -v0, v6, v4
	v_div_fmas_f32 v0, v0, v2, v6
	s_lshl_b64 s[6:7], s[18:19], 2
	v_div_fixup_f32 v2, v0, v1, v9
	v_mov_b32_e32 v0, s7
	v_add_co_u32_e32 v8, vcc, s6, v10
	v_addc_co_u32_e32 v9, vcc, v11, v0, vcc
	v_mov_b32_e32 v0, 0x7fc00000
	v_cmp_eq_f32_e64 s[6:7], 0, v1
	v_cndmask_b32_e64 v2, v2, v0, s[6:7]
	global_store_dword v[8:9], v2, off
	s_and_b64 exec, exec, s[4:5]
	s_cbranch_execz .LBB395_36
; %bb.33:
	v_div_scale_f32 v2, s[4:5], v1, v1, v5
	v_rcp_f32_e32 v4, v2
	v_div_scale_f32 v6, vcc, v5, v1, v5
	v_fma_f32 v10, -v2, v4, 1.0
	v_fmac_f32_e32 v4, v10, v4
	v_mul_f32_e32 v10, v6, v4
	v_fma_f32 v11, -v2, v10, v6
	v_fmac_f32_e32 v10, v11, v4
	v_fma_f32 v2, -v2, v10, v6
	v_div_fmas_f32 v2, v2, v4, v10
	v_div_fixup_f32 v2, v2, v1, v5
	v_cndmask_b32_e64 v0, v2, v0, s[6:7]
	global_store_dword v[8:9], v0, off offset:128
	s_and_b64 exec, exec, s[2:3]
	s_cbranch_execz .LBB395_36
; %bb.34:
	v_div_scale_f32 v0, s[2:3], v1, v1, v7
	v_rcp_f32_e32 v2, v0
	v_div_scale_f32 v4, vcc, v7, v1, v7
	v_fma_f32 v5, -v0, v2, 1.0
	v_fmac_f32_e32 v2, v5, v2
	v_mul_f32_e32 v5, v4, v2
	v_fma_f32 v6, -v0, v5, v4
	v_fmac_f32_e32 v5, v6, v2
	v_fma_f32 v0, -v0, v5, v4
	v_div_fmas_f32 v0, v0, v2, v5
	v_div_fixup_f32 v2, v0, v1, v7
	v_mov_b32_e32 v0, 0x7fc00000
	v_cndmask_b32_e64 v2, v2, v0, s[6:7]
	global_store_dword v[8:9], v2, off offset:256
	s_and_b64 exec, exec, s[0:1]
	s_cbranch_execz .LBB395_36
; %bb.35:
	v_div_scale_f32 v2, s[0:1], v1, v1, v3
	v_rcp_f32_e32 v4, v2
	v_div_scale_f32 v5, vcc, v3, v1, v3
	v_fma_f32 v6, -v2, v4, 1.0
	v_fmac_f32_e32 v4, v6, v4
	v_mul_f32_e32 v6, v5, v4
	v_fma_f32 v7, -v2, v6, v5
	v_fmac_f32_e32 v6, v7, v4
	v_fma_f32 v2, -v2, v6, v5
	v_div_fmas_f32 v2, v2, v4, v6
	v_div_fixup_f32 v1, v2, v1, v3
	v_cndmask_b32_e64 v0, v1, v0, s[6:7]
	global_store_dword v[8:9], v0, off offset:384
.LBB395_36:
	s_endpgm
	.section	.rodata,"a",@progbits
	.p2align	6, 0x0
	.amdhsa_kernel _ZN12_GLOBAL__N_120softmax_warp_forwardIfffLi7ELb0ELb0ELi32EEEvPT0_PKT_iiiPKbib
		.amdhsa_group_segment_fixed_size 0
		.amdhsa_private_segment_fixed_size 0
		.amdhsa_kernarg_size 304
		.amdhsa_user_sgpr_count 6
		.amdhsa_user_sgpr_private_segment_buffer 1
		.amdhsa_user_sgpr_dispatch_ptr 0
		.amdhsa_user_sgpr_queue_ptr 0
		.amdhsa_user_sgpr_kernarg_segment_ptr 1
		.amdhsa_user_sgpr_dispatch_id 0
		.amdhsa_user_sgpr_flat_scratch_init 0
		.amdhsa_user_sgpr_kernarg_preload_length 0
		.amdhsa_user_sgpr_kernarg_preload_offset 0
		.amdhsa_user_sgpr_private_segment_size 0
		.amdhsa_uses_dynamic_stack 0
		.amdhsa_system_sgpr_private_segment_wavefront_offset 0
		.amdhsa_system_sgpr_workgroup_id_x 1
		.amdhsa_system_sgpr_workgroup_id_y 0
		.amdhsa_system_sgpr_workgroup_id_z 0
		.amdhsa_system_sgpr_workgroup_info 0
		.amdhsa_system_vgpr_workitem_id 1
		.amdhsa_next_free_vgpr 24
		.amdhsa_next_free_sgpr 20
		.amdhsa_accum_offset 24
		.amdhsa_reserve_vcc 1
		.amdhsa_reserve_flat_scratch 0
		.amdhsa_float_round_mode_32 0
		.amdhsa_float_round_mode_16_64 0
		.amdhsa_float_denorm_mode_32 3
		.amdhsa_float_denorm_mode_16_64 3
		.amdhsa_dx10_clamp 1
		.amdhsa_ieee_mode 1
		.amdhsa_fp16_overflow 0
		.amdhsa_tg_split 0
		.amdhsa_exception_fp_ieee_invalid_op 0
		.amdhsa_exception_fp_denorm_src 0
		.amdhsa_exception_fp_ieee_div_zero 0
		.amdhsa_exception_fp_ieee_overflow 0
		.amdhsa_exception_fp_ieee_underflow 0
		.amdhsa_exception_fp_ieee_inexact 0
		.amdhsa_exception_int_div_zero 0
	.end_amdhsa_kernel
	.section	.text._ZN12_GLOBAL__N_120softmax_warp_forwardIfffLi7ELb0ELb0ELi32EEEvPT0_PKT_iiiPKbib,"axG",@progbits,_ZN12_GLOBAL__N_120softmax_warp_forwardIfffLi7ELb0ELb0ELi32EEEvPT0_PKT_iiiPKbib,comdat
.Lfunc_end395:
	.size	_ZN12_GLOBAL__N_120softmax_warp_forwardIfffLi7ELb0ELb0ELi32EEEvPT0_PKT_iiiPKbib, .Lfunc_end395-_ZN12_GLOBAL__N_120softmax_warp_forwardIfffLi7ELb0ELb0ELi32EEEvPT0_PKT_iiiPKbib
                                        ; -- End function
	.section	.AMDGPU.csdata,"",@progbits
; Kernel info:
; codeLenInByte = 2836
; NumSgprs: 24
; NumVgprs: 24
; NumAgprs: 0
; TotalNumVgprs: 24
; ScratchSize: 0
; MemoryBound: 0
; FloatMode: 240
; IeeeMode: 1
; LDSByteSize: 0 bytes/workgroup (compile time only)
; SGPRBlocks: 2
; VGPRBlocks: 2
; NumSGPRsForWavesPerEU: 24
; NumVGPRsForWavesPerEU: 24
; AccumOffset: 24
; Occupancy: 8
; WaveLimiterHint : 0
; COMPUTE_PGM_RSRC2:SCRATCH_EN: 0
; COMPUTE_PGM_RSRC2:USER_SGPR: 6
; COMPUTE_PGM_RSRC2:TRAP_HANDLER: 0
; COMPUTE_PGM_RSRC2:TGID_X_EN: 1
; COMPUTE_PGM_RSRC2:TGID_Y_EN: 0
; COMPUTE_PGM_RSRC2:TGID_Z_EN: 0
; COMPUTE_PGM_RSRC2:TIDIG_COMP_CNT: 1
; COMPUTE_PGM_RSRC3_GFX90A:ACCUM_OFFSET: 5
; COMPUTE_PGM_RSRC3_GFX90A:TG_SPLIT: 0
	.section	.text._ZN12_GLOBAL__N_120softmax_warp_forwardIfffLi8ELb0ELb0ELi64EEEvPT0_PKT_iiiPKbib,"axG",@progbits,_ZN12_GLOBAL__N_120softmax_warp_forwardIfffLi8ELb0ELb0ELi64EEEvPT0_PKT_iiiPKbib,comdat
	.globl	_ZN12_GLOBAL__N_120softmax_warp_forwardIfffLi8ELb0ELb0ELi64EEEvPT0_PKT_iiiPKbib ; -- Begin function _ZN12_GLOBAL__N_120softmax_warp_forwardIfffLi8ELb0ELb0ELi64EEEvPT0_PKT_iiiPKbib
	.p2align	8
	.type	_ZN12_GLOBAL__N_120softmax_warp_forwardIfffLi8ELb0ELb0ELi64EEEvPT0_PKT_iiiPKbib,@function
_ZN12_GLOBAL__N_120softmax_warp_forwardIfffLi8ELb0ELb0ELi64EEEvPT0_PKT_iiiPKbib: ; @_ZN12_GLOBAL__N_120softmax_warp_forwardIfffLi8ELb0ELb0ELi64EEEvPT0_PKT_iiiPKbib
; %bb.0:
	s_load_dword s0, s[4:5], 0x3c
	s_load_dwordx8 s[8:15], s[4:5], 0x0
	v_bfe_u32 v1, v0, 10, 10
	v_and_b32_e32 v4, 0x3ff, v0
	v_mov_b32_e32 v7, 0xff800000
	s_waitcnt lgkmcnt(0)
	s_lshr_b32 s0, s0, 16
	s_mul_i32 s6, s6, s0
	v_add_u32_e32 v1, s6, v1
	v_sub_u32_e32 v5, s12, v1
	v_mad_u64_u32 v[0:1], s[0:1], v1, s13, v[4:5]
	v_ashrrev_i32_e32 v1, 31, v0
	v_lshlrev_b64 v[0:1], 2, v[0:1]
	v_mov_b32_e32 v3, s11
	v_add_co_u32_e32 v2, vcc, s10, v0
	v_addc_co_u32_e32 v3, vcc, v3, v1, vcc
	v_cmp_lt_i32_e64 s[6:7], 0, v5
	v_cmp_gt_i32_e32 vcc, s14, v4
	s_and_b64 s[2:3], s[6:7], vcc
	v_mov_b32_e32 v9, 0xff800000
	s_and_saveexec_b64 s[0:1], s[2:3]
	s_cbranch_execz .LBB396_2
; %bb.1:
	global_load_dword v9, v[2:3], off
.LBB396_2:
	s_or_b64 exec, exec, s[0:1]
	v_add_u32_e32 v6, 64, v4
	v_cmp_gt_i32_e64 s[4:5], s14, v6
	s_and_b64 s[2:3], s[6:7], s[4:5]
	s_and_saveexec_b64 s[0:1], s[2:3]
	s_cbranch_execz .LBB396_4
; %bb.3:
	global_load_dword v7, v[2:3], off offset:256
.LBB396_4:
	s_or_b64 exec, exec, s[0:1]
	v_add_u32_e32 v6, 0x80, v4
	v_cmp_gt_i32_e64 s[2:3], s14, v6
	s_and_b64 s[10:11], s[6:7], s[2:3]
	v_mov_b32_e32 v6, 0xff800000
	v_mov_b32_e32 v8, 0xff800000
	s_and_saveexec_b64 s[0:1], s[10:11]
	s_cbranch_execz .LBB396_6
; %bb.5:
	global_load_dword v8, v[2:3], off offset:512
.LBB396_6:
	s_or_b64 exec, exec, s[0:1]
	v_add_u32_e32 v4, 0xc0, v4
	v_cmp_gt_i32_e64 s[0:1], s14, v4
	s_and_b64 s[10:11], s[6:7], s[0:1]
	s_and_saveexec_b64 s[6:7], s[10:11]
	s_cbranch_execz .LBB396_8
; %bb.7:
	global_load_dword v6, v[2:3], off offset:768
.LBB396_8:
	s_or_b64 exec, exec, s[6:7]
	s_waitcnt vmcnt(0)
	v_cmp_gt_f32_e64 s[6:7], v9, v7
	v_cndmask_b32_e64 v2, v7, v9, s[6:7]
	v_mbcnt_lo_u32_b32 v3, -1, 0
	v_cmp_gt_f32_e64 s[6:7], v2, v8
	v_mbcnt_hi_u32_b32 v3, -1, v3
	v_cndmask_b32_e64 v2, v8, v2, s[6:7]
	v_and_b32_e32 v4, 64, v3
	v_cmp_gt_f32_e64 s[6:7], v2, v6
	v_add_u32_e32 v4, 64, v4
	v_xor_b32_e32 v10, 32, v3
	v_cndmask_b32_e64 v2, v6, v2, s[6:7]
	v_cmp_lt_i32_e64 s[6:7], v10, v4
	v_cndmask_b32_e64 v10, v3, v10, s[6:7]
	v_lshlrev_b32_e32 v10, 2, v10
	ds_bpermute_b32 v11, v10, v2
	s_mov_b32 s10, 0x3fb8aa3b
	s_mov_b32 s11, 0xc2ce8ed0
	s_mov_b32 s12, 0x42b17218
	v_mov_b32_e32 v18, 0x7f800000
	s_waitcnt lgkmcnt(0)
	v_cmp_lt_f32_e64 s[6:7], v2, v11
	v_cndmask_b32_e64 v2, v2, v11, s[6:7]
	v_xor_b32_e32 v11, 16, v3
	v_cmp_lt_i32_e64 s[6:7], v11, v4
	v_cndmask_b32_e64 v11, v3, v11, s[6:7]
	v_lshlrev_b32_e32 v11, 2, v11
	ds_bpermute_b32 v12, v11, v2
	s_waitcnt lgkmcnt(0)
	v_cmp_lt_f32_e64 s[6:7], v2, v12
	v_cndmask_b32_e64 v2, v2, v12, s[6:7]
	v_xor_b32_e32 v12, 8, v3
	v_cmp_lt_i32_e64 s[6:7], v12, v4
	v_cndmask_b32_e64 v12, v3, v12, s[6:7]
	v_lshlrev_b32_e32 v12, 2, v12
	ds_bpermute_b32 v13, v12, v2
	;; [unrolled: 8-line block ×5, first 2 shown]
	s_waitcnt lgkmcnt(0)
	v_cmp_lt_f32_e64 s[6:7], v2, v3
	v_cndmask_b32_e64 v2, v2, v3, s[6:7]
	v_sub_f32_e32 v3, v9, v2
	v_mul_f32_e32 v4, 0x3fb8aa3b, v3
	v_fma_f32 v9, v3, s10, -v4
	v_rndne_f32_e32 v16, v4
	v_fmac_f32_e32 v9, 0x32a5705f, v3
	v_sub_f32_e32 v4, v4, v16
	v_add_f32_e32 v4, v4, v9
	v_exp_f32_e32 v4, v4
	v_cvt_i32_f32_e32 v9, v16
	v_cmp_ngt_f32_e64 s[6:7], s11, v3
	v_sub_f32_e32 v8, v8, v2
	v_ldexp_f32 v4, v4, v9
	v_sub_f32_e32 v9, v7, v2
	v_mul_f32_e32 v7, 0x3fb8aa3b, v9
	v_fma_f32 v16, v9, s10, -v7
	v_rndne_f32_e32 v17, v7
	v_fmac_f32_e32 v16, 0x32a5705f, v9
	v_sub_f32_e32 v7, v7, v17
	v_add_f32_e32 v7, v7, v16
	v_exp_f32_e32 v16, v7
	v_cvt_i32_f32_e32 v17, v17
	v_cndmask_b32_e64 v4, 0, v4, s[6:7]
	v_cmp_nlt_f32_e64 s[6:7], s12, v3
	v_cndmask_b32_e64 v7, v18, v4, s[6:7]
	v_mul_f32_e32 v4, 0x3fb8aa3b, v8
	v_ldexp_f32 v3, v16, v17
	v_fma_f32 v16, v8, s10, -v4
	v_rndne_f32_e32 v17, v4
	v_fmac_f32_e32 v16, 0x32a5705f, v8
	v_sub_f32_e32 v4, v4, v17
	v_add_f32_e32 v4, v4, v16
	v_exp_f32_e32 v16, v4
	v_cvt_i32_f32_e32 v17, v17
	v_cmp_ngt_f32_e64 s[6:7], s11, v9
	v_sub_f32_e32 v2, v6, v2
	v_cndmask_b32_e64 v3, 0, v3, s[6:7]
	v_cmp_nlt_f32_e64 s[6:7], s12, v9
	v_mul_f32_e32 v6, 0x3fb8aa3b, v2
	v_cndmask_b32_e64 v4, v18, v3, s[6:7]
	v_ldexp_f32 v3, v16, v17
	v_fma_f32 v16, v2, s10, -v6
	v_rndne_f32_e32 v17, v6
	v_fmac_f32_e32 v16, 0x32a5705f, v2
	v_sub_f32_e32 v6, v6, v17
	v_add_f32_e32 v6, v6, v16
	v_exp_f32_e32 v6, v6
	v_cvt_i32_f32_e32 v16, v17
	v_cmp_ngt_f32_e64 s[6:7], s11, v8
	v_cndmask_b32_e64 v3, 0, v3, s[6:7]
	v_cmp_nlt_f32_e64 s[6:7], s12, v8
	v_cndmask_b32_e64 v3, v18, v3, s[6:7]
	v_ldexp_f32 v6, v6, v16
	v_cmp_ngt_f32_e64 s[6:7], s11, v2
	v_add_f32_e32 v9, v7, v4
	v_cndmask_b32_e64 v6, 0, v6, s[6:7]
	v_cmp_nlt_f32_e64 s[6:7], s12, v2
	v_add_f32_e32 v8, v9, v3
	v_cndmask_b32_e64 v2, v18, v6, s[6:7]
	v_add_f32_e32 v6, v8, v2
	ds_bpermute_b32 v8, v10, v6
	v_cmp_lt_i32_e64 s[6:7], 0, v5
	s_waitcnt lgkmcnt(0)
	v_add_f32_e32 v6, v6, v8
	ds_bpermute_b32 v8, v11, v6
	s_waitcnt lgkmcnt(0)
	v_add_f32_e32 v6, v6, v8
	ds_bpermute_b32 v8, v12, v6
	s_waitcnt lgkmcnt(0)
	v_add_f32_e32 v6, v6, v8
	ds_bpermute_b32 v8, v13, v6
	s_waitcnt lgkmcnt(0)
	v_add_f32_e32 v6, v6, v8
	ds_bpermute_b32 v8, v14, v6
	s_waitcnt lgkmcnt(0)
	v_add_f32_e32 v6, v6, v8
	ds_bpermute_b32 v8, v15, v6
	s_and_saveexec_b64 s[10:11], s[6:7]
	s_cbranch_execz .LBB396_14
; %bb.9:
	s_and_b64 exec, exec, vcc
	s_cbranch_execz .LBB396_14
; %bb.10:
	s_waitcnt lgkmcnt(0)
	v_add_f32_e32 v5, v6, v8
	v_div_scale_f32 v8, s[6:7], v5, v5, v7
	v_rcp_f32_e32 v9, v8
	v_mov_b32_e32 v6, s9
	v_add_co_u32_e32 v0, vcc, s8, v0
	v_addc_co_u32_e32 v1, vcc, v6, v1, vcc
	v_fma_f32 v6, -v8, v9, 1.0
	v_fmac_f32_e32 v9, v6, v9
	v_div_scale_f32 v6, vcc, v7, v5, v7
	v_mul_f32_e32 v10, v6, v9
	v_fma_f32 v11, -v8, v10, v6
	v_fmac_f32_e32 v10, v11, v9
	v_fma_f32 v6, -v8, v10, v6
	v_div_fmas_f32 v6, v6, v9, v10
	v_div_fixup_f32 v7, v6, v5, v7
	v_mov_b32_e32 v6, 0x7fc00000
	v_cmp_eq_f32_e64 s[6:7], 0, v5
	v_cndmask_b32_e64 v7, v7, v6, s[6:7]
	global_store_dword v[0:1], v7, off
	s_and_b64 exec, exec, s[4:5]
	s_cbranch_execz .LBB396_14
; %bb.11:
	v_div_scale_f32 v7, s[4:5], v5, v5, v4
	v_rcp_f32_e32 v8, v7
	v_div_scale_f32 v9, vcc, v4, v5, v4
	v_fma_f32 v10, -v7, v8, 1.0
	v_fmac_f32_e32 v8, v10, v8
	v_mul_f32_e32 v10, v9, v8
	v_fma_f32 v11, -v7, v10, v9
	v_fmac_f32_e32 v10, v11, v8
	v_fma_f32 v7, -v7, v10, v9
	v_div_fmas_f32 v7, v7, v8, v10
	v_div_fixup_f32 v4, v7, v5, v4
	v_cndmask_b32_e64 v4, v4, v6, s[6:7]
	global_store_dword v[0:1], v4, off offset:256
	s_and_b64 exec, exec, s[2:3]
	s_cbranch_execz .LBB396_14
; %bb.12:
	v_div_scale_f32 v4, s[2:3], v5, v5, v3
	v_rcp_f32_e32 v6, v4
	v_div_scale_f32 v7, vcc, v3, v5, v3
	v_fma_f32 v8, -v4, v6, 1.0
	v_fmac_f32_e32 v6, v8, v6
	v_mul_f32_e32 v8, v7, v6
	v_fma_f32 v9, -v4, v8, v7
	v_fmac_f32_e32 v8, v9, v6
	v_fma_f32 v4, -v4, v8, v7
	v_div_fmas_f32 v4, v4, v6, v8
	v_div_fixup_f32 v4, v4, v5, v3
	v_mov_b32_e32 v3, 0x7fc00000
	v_cndmask_b32_e64 v4, v4, v3, s[6:7]
	global_store_dword v[0:1], v4, off offset:512
	s_and_b64 exec, exec, s[0:1]
	s_cbranch_execz .LBB396_14
; %bb.13:
	v_div_scale_f32 v4, s[0:1], v5, v5, v2
	v_rcp_f32_e32 v6, v4
	v_div_scale_f32 v7, vcc, v2, v5, v2
	v_fma_f32 v8, -v4, v6, 1.0
	v_fmac_f32_e32 v6, v8, v6
	v_mul_f32_e32 v8, v7, v6
	v_fma_f32 v9, -v4, v8, v7
	v_fmac_f32_e32 v8, v9, v6
	v_fma_f32 v4, -v4, v8, v7
	v_div_fmas_f32 v4, v4, v6, v8
	v_div_fixup_f32 v2, v4, v5, v2
	v_cndmask_b32_e64 v2, v2, v3, s[6:7]
	global_store_dword v[0:1], v2, off offset:768
.LBB396_14:
	s_endpgm
	.section	.rodata,"a",@progbits
	.p2align	6, 0x0
	.amdhsa_kernel _ZN12_GLOBAL__N_120softmax_warp_forwardIfffLi8ELb0ELb0ELi64EEEvPT0_PKT_iiiPKbib
		.amdhsa_group_segment_fixed_size 0
		.amdhsa_private_segment_fixed_size 0
		.amdhsa_kernarg_size 304
		.amdhsa_user_sgpr_count 6
		.amdhsa_user_sgpr_private_segment_buffer 1
		.amdhsa_user_sgpr_dispatch_ptr 0
		.amdhsa_user_sgpr_queue_ptr 0
		.amdhsa_user_sgpr_kernarg_segment_ptr 1
		.amdhsa_user_sgpr_dispatch_id 0
		.amdhsa_user_sgpr_flat_scratch_init 0
		.amdhsa_user_sgpr_kernarg_preload_length 0
		.amdhsa_user_sgpr_kernarg_preload_offset 0
		.amdhsa_user_sgpr_private_segment_size 0
		.amdhsa_uses_dynamic_stack 0
		.amdhsa_system_sgpr_private_segment_wavefront_offset 0
		.amdhsa_system_sgpr_workgroup_id_x 1
		.amdhsa_system_sgpr_workgroup_id_y 0
		.amdhsa_system_sgpr_workgroup_id_z 0
		.amdhsa_system_sgpr_workgroup_info 0
		.amdhsa_system_vgpr_workitem_id 1
		.amdhsa_next_free_vgpr 19
		.amdhsa_next_free_sgpr 16
		.amdhsa_accum_offset 20
		.amdhsa_reserve_vcc 1
		.amdhsa_reserve_flat_scratch 0
		.amdhsa_float_round_mode_32 0
		.amdhsa_float_round_mode_16_64 0
		.amdhsa_float_denorm_mode_32 3
		.amdhsa_float_denorm_mode_16_64 3
		.amdhsa_dx10_clamp 1
		.amdhsa_ieee_mode 1
		.amdhsa_fp16_overflow 0
		.amdhsa_tg_split 0
		.amdhsa_exception_fp_ieee_invalid_op 0
		.amdhsa_exception_fp_denorm_src 0
		.amdhsa_exception_fp_ieee_div_zero 0
		.amdhsa_exception_fp_ieee_overflow 0
		.amdhsa_exception_fp_ieee_underflow 0
		.amdhsa_exception_fp_ieee_inexact 0
		.amdhsa_exception_int_div_zero 0
	.end_amdhsa_kernel
	.section	.text._ZN12_GLOBAL__N_120softmax_warp_forwardIfffLi8ELb0ELb0ELi64EEEvPT0_PKT_iiiPKbib,"axG",@progbits,_ZN12_GLOBAL__N_120softmax_warp_forwardIfffLi8ELb0ELb0ELi64EEEvPT0_PKT_iiiPKbib,comdat
.Lfunc_end396:
	.size	_ZN12_GLOBAL__N_120softmax_warp_forwardIfffLi8ELb0ELb0ELi64EEEvPT0_PKT_iiiPKbib, .Lfunc_end396-_ZN12_GLOBAL__N_120softmax_warp_forwardIfffLi8ELb0ELb0ELi64EEEvPT0_PKT_iiiPKbib
                                        ; -- End function
	.section	.AMDGPU.csdata,"",@progbits
; Kernel info:
; codeLenInByte = 1588
; NumSgprs: 20
; NumVgprs: 19
; NumAgprs: 0
; TotalNumVgprs: 19
; ScratchSize: 0
; MemoryBound: 0
; FloatMode: 240
; IeeeMode: 1
; LDSByteSize: 0 bytes/workgroup (compile time only)
; SGPRBlocks: 2
; VGPRBlocks: 2
; NumSGPRsForWavesPerEU: 20
; NumVGPRsForWavesPerEU: 19
; AccumOffset: 20
; Occupancy: 8
; WaveLimiterHint : 0
; COMPUTE_PGM_RSRC2:SCRATCH_EN: 0
; COMPUTE_PGM_RSRC2:USER_SGPR: 6
; COMPUTE_PGM_RSRC2:TRAP_HANDLER: 0
; COMPUTE_PGM_RSRC2:TGID_X_EN: 1
; COMPUTE_PGM_RSRC2:TGID_Y_EN: 0
; COMPUTE_PGM_RSRC2:TGID_Z_EN: 0
; COMPUTE_PGM_RSRC2:TIDIG_COMP_CNT: 1
; COMPUTE_PGM_RSRC3_GFX90A:ACCUM_OFFSET: 4
; COMPUTE_PGM_RSRC3_GFX90A:TG_SPLIT: 0
	.section	.text._ZN12_GLOBAL__N_120softmax_warp_forwardIfffLi8ELb0ELb0ELi32EEEvPT0_PKT_iiiPKbib,"axG",@progbits,_ZN12_GLOBAL__N_120softmax_warp_forwardIfffLi8ELb0ELb0ELi32EEEvPT0_PKT_iiiPKbib,comdat
	.globl	_ZN12_GLOBAL__N_120softmax_warp_forwardIfffLi8ELb0ELb0ELi32EEEvPT0_PKT_iiiPKbib ; -- Begin function _ZN12_GLOBAL__N_120softmax_warp_forwardIfffLi8ELb0ELb0ELi32EEEvPT0_PKT_iiiPKbib
	.p2align	8
	.type	_ZN12_GLOBAL__N_120softmax_warp_forwardIfffLi8ELb0ELb0ELi32EEEvPT0_PKT_iiiPKbib,@function
_ZN12_GLOBAL__N_120softmax_warp_forwardIfffLi8ELb0ELb0ELi32EEEvPT0_PKT_iiiPKbib: ; @_ZN12_GLOBAL__N_120softmax_warp_forwardIfffLi8ELb0ELb0ELi32EEEvPT0_PKT_iiiPKbib
; %bb.0:
	s_load_dword s0, s[4:5], 0x3c
	s_load_dwordx8 s[16:23], s[4:5], 0x0
	v_bfe_u32 v1, v0, 10, 10
	v_and_b32_e32 v4, 0x3ff, v0
	v_mov_b32_e32 v10, 0xff800000
	s_waitcnt lgkmcnt(0)
	s_lshr_b32 s0, s0, 16
	s_mul_i32 s6, s6, s0
	v_add_u32_e32 v1, s6, v1
	v_sub_u32_e32 v5, s20, v1
	v_mad_u64_u32 v[0:1], s[0:1], v1, s21, v[4:5]
	v_ashrrev_i32_e32 v1, 31, v0
	v_lshlrev_b64 v[0:1], 2, v[0:1]
	v_mov_b32_e32 v3, s19
	v_add_co_u32_e32 v2, vcc, s18, v0
	v_addc_co_u32_e32 v3, vcc, v3, v1, vcc
	v_cmp_lt_i32_e64 s[14:15], 0, v5
	v_cmp_gt_i32_e32 vcc, s22, v4
	s_and_b64 s[2:3], s[14:15], vcc
	v_mov_b32_e32 v13, 0xff800000
	s_and_saveexec_b64 s[0:1], s[2:3]
	s_cbranch_execz .LBB397_2
; %bb.1:
	global_load_dword v13, v[2:3], off
.LBB397_2:
	s_or_b64 exec, exec, s[0:1]
	v_add_u32_e32 v6, 32, v4
	v_cmp_gt_i32_e64 s[12:13], s22, v6
	s_and_b64 s[2:3], s[14:15], s[12:13]
	s_and_saveexec_b64 s[0:1], s[2:3]
	s_cbranch_execz .LBB397_4
; %bb.3:
	global_load_dword v10, v[2:3], off offset:128
.LBB397_4:
	s_or_b64 exec, exec, s[0:1]
	v_add_u32_e32 v6, 64, v4
	v_cmp_gt_i32_e64 s[10:11], s22, v6
	s_and_b64 s[2:3], s[14:15], s[10:11]
	v_mov_b32_e32 v8, 0xff800000
	v_mov_b32_e32 v12, 0xff800000
	s_and_saveexec_b64 s[0:1], s[2:3]
	s_cbranch_execz .LBB397_6
; %bb.5:
	global_load_dword v12, v[2:3], off offset:256
.LBB397_6:
	s_or_b64 exec, exec, s[0:1]
	v_add_u32_e32 v6, 0x60, v4
	v_cmp_gt_i32_e64 s[8:9], s22, v6
	s_and_b64 s[2:3], s[14:15], s[8:9]
	s_and_saveexec_b64 s[0:1], s[2:3]
	s_cbranch_execz .LBB397_8
; %bb.7:
	global_load_dword v8, v[2:3], off offset:384
.LBB397_8:
	s_or_b64 exec, exec, s[0:1]
	v_add_u32_e32 v6, 0x80, v4
	v_cmp_gt_i32_e64 s[6:7], s22, v6
	s_and_b64 s[2:3], s[14:15], s[6:7]
	v_mov_b32_e32 v7, 0xff800000
	v_mov_b32_e32 v11, 0xff800000
	s_and_saveexec_b64 s[0:1], s[2:3]
	s_cbranch_execz .LBB397_10
; %bb.9:
	global_load_dword v11, v[2:3], off offset:512
.LBB397_10:
	;; [unrolled: 20-line block ×3, first 2 shown]
	s_or_b64 exec, exec, s[0:1]
	v_add_u32_e32 v4, 0xe0, v4
	v_cmp_gt_i32_e64 s[0:1], s22, v4
	s_and_b64 s[18:19], s[14:15], s[0:1]
	s_and_saveexec_b64 s[14:15], s[18:19]
	s_cbranch_execz .LBB397_16
; %bb.15:
	global_load_dword v6, v[2:3], off offset:896
.LBB397_16:
	s_or_b64 exec, exec, s[14:15]
	s_waitcnt vmcnt(0)
	v_cmp_gt_f32_e64 s[14:15], v13, v10
	v_cndmask_b32_e64 v2, v10, v13, s[14:15]
	v_cmp_gt_f32_e64 s[14:15], v2, v12
	v_cndmask_b32_e64 v2, v12, v2, s[14:15]
	;; [unrolled: 2-line block ×5, first 2 shown]
	v_mbcnt_lo_u32_b32 v3, -1, 0
	v_cmp_gt_f32_e64 s[14:15], v2, v9
	v_mbcnt_hi_u32_b32 v3, -1, v3
	v_cndmask_b32_e64 v2, v9, v2, s[14:15]
	v_and_b32_e32 v4, 0x60, v3
	v_cmp_gt_f32_e64 s[14:15], v2, v6
	v_add_u32_e32 v4, 32, v4
	v_xor_b32_e32 v14, 16, v3
	v_cndmask_b32_e64 v2, v6, v2, s[14:15]
	v_cmp_lt_i32_e64 s[14:15], v14, v4
	v_cndmask_b32_e64 v14, v3, v14, s[14:15]
	v_lshlrev_b32_e32 v14, 2, v14
	ds_bpermute_b32 v15, v14, v2
	s_mov_b32 s18, 0x3fb8aa3b
	s_mov_b32 s19, 0xc2ce8ed0
	;; [unrolled: 1-line block ×3, first 2 shown]
	v_mov_b32_e32 v21, 0x7f800000
	s_waitcnt lgkmcnt(0)
	v_cmp_lt_f32_e64 s[14:15], v2, v15
	v_cndmask_b32_e64 v2, v2, v15, s[14:15]
	v_xor_b32_e32 v15, 8, v3
	v_cmp_lt_i32_e64 s[14:15], v15, v4
	v_cndmask_b32_e64 v15, v3, v15, s[14:15]
	v_lshlrev_b32_e32 v15, 2, v15
	ds_bpermute_b32 v16, v15, v2
	s_waitcnt lgkmcnt(0)
	v_cmp_lt_f32_e64 s[14:15], v2, v16
	v_cndmask_b32_e64 v2, v2, v16, s[14:15]
	v_xor_b32_e32 v16, 4, v3
	v_cmp_lt_i32_e64 s[14:15], v16, v4
	v_cndmask_b32_e64 v16, v3, v16, s[14:15]
	v_lshlrev_b32_e32 v16, 2, v16
	ds_bpermute_b32 v17, v16, v2
	;; [unrolled: 8-line block ×4, first 2 shown]
	s_waitcnt lgkmcnt(0)
	v_cmp_lt_f32_e64 s[14:15], v2, v3
	v_cndmask_b32_e64 v2, v2, v3, s[14:15]
	v_sub_f32_e32 v3, v13, v2
	v_mul_f32_e32 v4, 0x3fb8aa3b, v3
	v_fma_f32 v13, v3, s18, -v4
	v_rndne_f32_e32 v19, v4
	v_fmac_f32_e32 v13, 0x32a5705f, v3
	v_sub_f32_e32 v4, v4, v19
	v_add_f32_e32 v4, v4, v13
	v_exp_f32_e32 v4, v4
	v_cvt_i32_f32_e32 v13, v19
	v_sub_f32_e32 v10, v10, v2
	v_cmp_ngt_f32_e64 s[14:15], s19, v3
	v_sub_f32_e32 v8, v8, v2
	v_ldexp_f32 v4, v4, v13
	v_mul_f32_e32 v13, 0x3fb8aa3b, v10
	v_fma_f32 v19, v10, s18, -v13
	v_rndne_f32_e32 v20, v13
	v_fmac_f32_e32 v19, 0x32a5705f, v10
	v_sub_f32_e32 v13, v13, v20
	v_add_f32_e32 v13, v13, v19
	v_exp_f32_e32 v19, v13
	v_cvt_i32_f32_e32 v20, v20
	v_cndmask_b32_e64 v4, 0, v4, s[14:15]
	v_cmp_nlt_f32_e64 s[14:15], s20, v3
	v_cndmask_b32_e64 v13, v21, v4, s[14:15]
	v_sub_f32_e32 v4, v12, v2
	v_mul_f32_e32 v12, 0x3fb8aa3b, v4
	v_ldexp_f32 v3, v19, v20
	v_fma_f32 v19, v4, s18, -v12
	v_rndne_f32_e32 v20, v12
	v_fmac_f32_e32 v19, 0x32a5705f, v4
	v_sub_f32_e32 v12, v12, v20
	v_add_f32_e32 v12, v12, v19
	v_exp_f32_e32 v19, v12
	v_cvt_i32_f32_e32 v20, v20
	v_cmp_ngt_f32_e64 s[14:15], s19, v10
	v_cndmask_b32_e64 v3, 0, v3, s[14:15]
	v_cmp_nlt_f32_e64 s[14:15], s20, v10
	v_ldexp_f32 v10, v19, v20
	v_mul_f32_e32 v19, 0x3fb8aa3b, v8
	v_fma_f32 v20, v8, s18, -v19
	v_rndne_f32_e32 v22, v19
	v_fmac_f32_e32 v20, 0x32a5705f, v8
	v_sub_f32_e32 v19, v19, v22
	v_add_f32_e32 v19, v19, v20
	v_exp_f32_e32 v19, v19
	v_cvt_i32_f32_e32 v20, v22
	v_cndmask_b32_e64 v12, v21, v3, s[14:15]
	v_cmp_ngt_f32_e64 s[14:15], s19, v4
	v_sub_f32_e32 v11, v11, v2
	v_cndmask_b32_e64 v10, 0, v10, s[14:15]
	v_cmp_nlt_f32_e64 s[14:15], s20, v4
	v_ldexp_f32 v4, v19, v20
	v_mul_f32_e32 v19, 0x3fb8aa3b, v11
	v_fma_f32 v20, v11, s18, -v19
	v_rndne_f32_e32 v22, v19
	v_fmac_f32_e32 v20, 0x32a5705f, v11
	v_sub_f32_e32 v19, v19, v22
	v_add_f32_e32 v19, v19, v20
	v_exp_f32_e32 v19, v19
	v_cvt_i32_f32_e32 v20, v22
	v_cndmask_b32_e64 v10, v21, v10, s[14:15]
	v_cmp_ngt_f32_e64 s[14:15], s19, v8
	v_cndmask_b32_e64 v4, 0, v4, s[14:15]
	v_cmp_nlt_f32_e64 s[14:15], s20, v8
	v_cndmask_b32_e64 v8, v21, v4, s[14:15]
	v_ldexp_f32 v4, v19, v20
	v_sub_f32_e32 v19, v7, v2
	v_mul_f32_e32 v7, 0x3fb8aa3b, v19
	v_fma_f32 v20, v19, s18, -v7
	v_rndne_f32_e32 v22, v7
	v_fmac_f32_e32 v20, 0x32a5705f, v19
	v_sub_f32_e32 v7, v7, v22
	v_add_f32_e32 v7, v7, v20
	v_exp_f32_e32 v20, v7
	v_cvt_i32_f32_e32 v22, v22
	v_cmp_ngt_f32_e64 s[14:15], s19, v11
	v_sub_f32_e32 v9, v9, v2
	v_cndmask_b32_e64 v4, 0, v4, s[14:15]
	v_cmp_nlt_f32_e64 s[14:15], s20, v11
	v_mul_f32_e32 v11, 0x3fb8aa3b, v9
	v_cndmask_b32_e64 v7, v21, v4, s[14:15]
	v_ldexp_f32 v4, v20, v22
	v_fma_f32 v20, v9, s18, -v11
	v_rndne_f32_e32 v22, v11
	v_fmac_f32_e32 v20, 0x32a5705f, v9
	v_sub_f32_e32 v11, v11, v22
	v_add_f32_e32 v11, v11, v20
	v_add_f32_e32 v3, v13, v12
	v_exp_f32_e32 v11, v11
	v_cvt_i32_f32_e32 v20, v22
	v_add_f32_e32 v3, v3, v10
	v_cmp_ngt_f32_e64 s[14:15], s19, v19
	v_add_f32_e32 v3, v3, v8
	v_cndmask_b32_e64 v4, 0, v4, s[14:15]
	v_cmp_nlt_f32_e64 s[14:15], s20, v19
	v_sub_f32_e32 v2, v6, v2
	v_add_f32_e32 v3, v3, v7
	v_cndmask_b32_e64 v4, v21, v4, s[14:15]
	v_mul_f32_e32 v6, 0x3fb8aa3b, v2
	v_add_f32_e32 v19, v3, v4
	v_ldexp_f32 v3, v11, v20
	v_fma_f32 v11, v2, s18, -v6
	v_rndne_f32_e32 v20, v6
	v_fmac_f32_e32 v11, 0x32a5705f, v2
	v_sub_f32_e32 v6, v6, v20
	v_add_f32_e32 v6, v6, v11
	v_exp_f32_e32 v6, v6
	v_cvt_i32_f32_e32 v11, v20
	v_cmp_ngt_f32_e64 s[14:15], s19, v9
	v_cndmask_b32_e64 v3, 0, v3, s[14:15]
	v_cmp_nlt_f32_e64 s[14:15], s20, v9
	v_cndmask_b32_e64 v3, v21, v3, s[14:15]
	v_ldexp_f32 v6, v6, v11
	v_cmp_ngt_f32_e64 s[14:15], s19, v2
	v_cndmask_b32_e64 v6, 0, v6, s[14:15]
	v_cmp_nlt_f32_e64 s[14:15], s20, v2
	v_add_f32_e32 v9, v19, v3
	v_cndmask_b32_e64 v2, v21, v6, s[14:15]
	v_add_f32_e32 v6, v9, v2
	ds_bpermute_b32 v9, v14, v6
	v_cmp_lt_i32_e64 s[14:15], 0, v5
	s_waitcnt lgkmcnt(0)
	v_add_f32_e32 v6, v6, v9
	ds_bpermute_b32 v9, v15, v6
	s_waitcnt lgkmcnt(0)
	v_add_f32_e32 v6, v6, v9
	ds_bpermute_b32 v9, v16, v6
	;; [unrolled: 3-line block ×4, first 2 shown]
	s_and_saveexec_b64 s[18:19], s[14:15]
	s_cbranch_execz .LBB397_26
; %bb.17:
	s_and_b64 exec, exec, vcc
	s_cbranch_execz .LBB397_26
; %bb.18:
	s_waitcnt lgkmcnt(0)
	v_add_f32_e32 v5, v6, v9
	v_div_scale_f32 v9, s[14:15], v5, v5, v13
	v_rcp_f32_e32 v11, v9
	v_mov_b32_e32 v6, s17
	v_add_co_u32_e32 v0, vcc, s16, v0
	v_addc_co_u32_e32 v1, vcc, v6, v1, vcc
	v_fma_f32 v6, -v9, v11, 1.0
	v_fmac_f32_e32 v11, v6, v11
	v_div_scale_f32 v6, vcc, v13, v5, v13
	v_mul_f32_e32 v14, v6, v11
	v_fma_f32 v15, -v9, v14, v6
	v_fmac_f32_e32 v14, v15, v11
	v_fma_f32 v6, -v9, v14, v6
	v_div_fmas_f32 v6, v6, v11, v14
	v_div_fixup_f32 v9, v6, v5, v13
	v_mov_b32_e32 v6, 0x7fc00000
	v_cmp_eq_f32_e64 s[14:15], 0, v5
	v_cndmask_b32_e64 v9, v9, v6, s[14:15]
	global_store_dword v[0:1], v9, off
	s_and_b64 exec, exec, s[12:13]
	s_cbranch_execz .LBB397_26
; %bb.19:
	v_div_scale_f32 v9, s[12:13], v5, v5, v12
	v_rcp_f32_e32 v11, v9
	v_div_scale_f32 v13, vcc, v12, v5, v12
	v_fma_f32 v14, -v9, v11, 1.0
	v_fmac_f32_e32 v11, v14, v11
	v_mul_f32_e32 v14, v13, v11
	v_fma_f32 v15, -v9, v14, v13
	v_fmac_f32_e32 v14, v15, v11
	v_fma_f32 v9, -v9, v14, v13
	v_div_fmas_f32 v9, v9, v11, v14
	v_div_fixup_f32 v9, v9, v5, v12
	v_cndmask_b32_e64 v6, v9, v6, s[14:15]
	global_store_dword v[0:1], v6, off offset:128
	s_and_b64 exec, exec, s[10:11]
	s_cbranch_execz .LBB397_26
; %bb.20:
	v_div_scale_f32 v6, s[10:11], v5, v5, v10
	v_rcp_f32_e32 v9, v6
	v_div_scale_f32 v11, vcc, v10, v5, v10
	v_fma_f32 v12, -v6, v9, 1.0
	v_fmac_f32_e32 v9, v12, v9
	v_mul_f32_e32 v12, v11, v9
	v_fma_f32 v13, -v6, v12, v11
	v_fmac_f32_e32 v12, v13, v9
	v_fma_f32 v6, -v6, v12, v11
	v_div_fmas_f32 v6, v6, v9, v12
	v_div_fixup_f32 v9, v6, v5, v10
	v_mov_b32_e32 v6, 0x7fc00000
	v_cndmask_b32_e64 v9, v9, v6, s[14:15]
	global_store_dword v[0:1], v9, off offset:256
	s_and_b64 exec, exec, s[8:9]
	s_cbranch_execz .LBB397_26
; %bb.21:
	v_div_scale_f32 v9, s[8:9], v5, v5, v8
	v_rcp_f32_e32 v10, v9
	v_div_scale_f32 v11, vcc, v8, v5, v8
	v_fma_f32 v12, -v9, v10, 1.0
	v_fmac_f32_e32 v10, v12, v10
	v_mul_f32_e32 v12, v11, v10
	v_fma_f32 v13, -v9, v12, v11
	v_fmac_f32_e32 v12, v13, v10
	v_fma_f32 v9, -v9, v12, v11
	v_div_fmas_f32 v9, v9, v10, v12
	v_div_fixup_f32 v8, v9, v5, v8
	v_cndmask_b32_e64 v6, v8, v6, s[14:15]
	global_store_dword v[0:1], v6, off offset:384
	s_and_b64 exec, exec, s[6:7]
	s_cbranch_execz .LBB397_26
; %bb.22:
	v_div_scale_f32 v6, s[6:7], v5, v5, v7
	v_rcp_f32_e32 v8, v6
	v_div_scale_f32 v9, vcc, v7, v5, v7
	v_fma_f32 v10, -v6, v8, 1.0
	v_fmac_f32_e32 v8, v10, v8
	v_mul_f32_e32 v10, v9, v8
	v_fma_f32 v11, -v6, v10, v9
	v_fmac_f32_e32 v10, v11, v8
	v_fma_f32 v6, -v6, v10, v9
	v_div_fmas_f32 v6, v6, v8, v10
	v_div_fixup_f32 v7, v6, v5, v7
	v_mov_b32_e32 v6, 0x7fc00000
	v_cndmask_b32_e64 v7, v7, v6, s[14:15]
	global_store_dword v[0:1], v7, off offset:512
	;; [unrolled: 33-line block ×3, first 2 shown]
	s_and_b64 exec, exec, s[0:1]
	s_cbranch_execz .LBB397_26
; %bb.25:
	v_div_scale_f32 v4, s[0:1], v5, v5, v2
	v_rcp_f32_e32 v6, v4
	v_div_scale_f32 v7, vcc, v2, v5, v2
	v_fma_f32 v8, -v4, v6, 1.0
	v_fmac_f32_e32 v6, v8, v6
	v_mul_f32_e32 v8, v7, v6
	v_fma_f32 v9, -v4, v8, v7
	v_fmac_f32_e32 v8, v9, v6
	v_fma_f32 v4, -v4, v8, v7
	v_div_fmas_f32 v4, v4, v6, v8
	v_div_fixup_f32 v2, v4, v5, v2
	v_cndmask_b32_e64 v2, v2, v3, s[14:15]
	global_store_dword v[0:1], v2, off offset:896
.LBB397_26:
	s_endpgm
	.section	.rodata,"a",@progbits
	.p2align	6, 0x0
	.amdhsa_kernel _ZN12_GLOBAL__N_120softmax_warp_forwardIfffLi8ELb0ELb0ELi32EEEvPT0_PKT_iiiPKbib
		.amdhsa_group_segment_fixed_size 0
		.amdhsa_private_segment_fixed_size 0
		.amdhsa_kernarg_size 304
		.amdhsa_user_sgpr_count 6
		.amdhsa_user_sgpr_private_segment_buffer 1
		.amdhsa_user_sgpr_dispatch_ptr 0
		.amdhsa_user_sgpr_queue_ptr 0
		.amdhsa_user_sgpr_kernarg_segment_ptr 1
		.amdhsa_user_sgpr_dispatch_id 0
		.amdhsa_user_sgpr_flat_scratch_init 0
		.amdhsa_user_sgpr_kernarg_preload_length 0
		.amdhsa_user_sgpr_kernarg_preload_offset 0
		.amdhsa_user_sgpr_private_segment_size 0
		.amdhsa_uses_dynamic_stack 0
		.amdhsa_system_sgpr_private_segment_wavefront_offset 0
		.amdhsa_system_sgpr_workgroup_id_x 1
		.amdhsa_system_sgpr_workgroup_id_y 0
		.amdhsa_system_sgpr_workgroup_id_z 0
		.amdhsa_system_sgpr_workgroup_info 0
		.amdhsa_system_vgpr_workitem_id 1
		.amdhsa_next_free_vgpr 23
		.amdhsa_next_free_sgpr 24
		.amdhsa_accum_offset 24
		.amdhsa_reserve_vcc 1
		.amdhsa_reserve_flat_scratch 0
		.amdhsa_float_round_mode_32 0
		.amdhsa_float_round_mode_16_64 0
		.amdhsa_float_denorm_mode_32 3
		.amdhsa_float_denorm_mode_16_64 3
		.amdhsa_dx10_clamp 1
		.amdhsa_ieee_mode 1
		.amdhsa_fp16_overflow 0
		.amdhsa_tg_split 0
		.amdhsa_exception_fp_ieee_invalid_op 0
		.amdhsa_exception_fp_denorm_src 0
		.amdhsa_exception_fp_ieee_div_zero 0
		.amdhsa_exception_fp_ieee_overflow 0
		.amdhsa_exception_fp_ieee_underflow 0
		.amdhsa_exception_fp_ieee_inexact 0
		.amdhsa_exception_int_div_zero 0
	.end_amdhsa_kernel
	.section	.text._ZN12_GLOBAL__N_120softmax_warp_forwardIfffLi8ELb0ELb0ELi32EEEvPT0_PKT_iiiPKbib,"axG",@progbits,_ZN12_GLOBAL__N_120softmax_warp_forwardIfffLi8ELb0ELb0ELi32EEEvPT0_PKT_iiiPKbib,comdat
.Lfunc_end397:
	.size	_ZN12_GLOBAL__N_120softmax_warp_forwardIfffLi8ELb0ELb0ELi32EEEvPT0_PKT_iiiPKbib, .Lfunc_end397-_ZN12_GLOBAL__N_120softmax_warp_forwardIfffLi8ELb0ELb0ELi32EEEvPT0_PKT_iiiPKbib
                                        ; -- End function
	.section	.AMDGPU.csdata,"",@progbits
; Kernel info:
; codeLenInByte = 2544
; NumSgprs: 28
; NumVgprs: 23
; NumAgprs: 0
; TotalNumVgprs: 23
; ScratchSize: 0
; MemoryBound: 0
; FloatMode: 240
; IeeeMode: 1
; LDSByteSize: 0 bytes/workgroup (compile time only)
; SGPRBlocks: 3
; VGPRBlocks: 2
; NumSGPRsForWavesPerEU: 28
; NumVGPRsForWavesPerEU: 23
; AccumOffset: 24
; Occupancy: 8
; WaveLimiterHint : 0
; COMPUTE_PGM_RSRC2:SCRATCH_EN: 0
; COMPUTE_PGM_RSRC2:USER_SGPR: 6
; COMPUTE_PGM_RSRC2:TRAP_HANDLER: 0
; COMPUTE_PGM_RSRC2:TGID_X_EN: 1
; COMPUTE_PGM_RSRC2:TGID_Y_EN: 0
; COMPUTE_PGM_RSRC2:TGID_Z_EN: 0
; COMPUTE_PGM_RSRC2:TIDIG_COMP_CNT: 1
; COMPUTE_PGM_RSRC3_GFX90A:ACCUM_OFFSET: 5
; COMPUTE_PGM_RSRC3_GFX90A:TG_SPLIT: 0
	.section	.text._ZN12_GLOBAL__N_120softmax_warp_forwardIfffLi9ELb0ELb0ELi64EEEvPT0_PKT_iiiPKbib,"axG",@progbits,_ZN12_GLOBAL__N_120softmax_warp_forwardIfffLi9ELb0ELb0ELi64EEEvPT0_PKT_iiiPKbib,comdat
	.globl	_ZN12_GLOBAL__N_120softmax_warp_forwardIfffLi9ELb0ELb0ELi64EEEvPT0_PKT_iiiPKbib ; -- Begin function _ZN12_GLOBAL__N_120softmax_warp_forwardIfffLi9ELb0ELb0ELi64EEEvPT0_PKT_iiiPKbib
	.p2align	8
	.type	_ZN12_GLOBAL__N_120softmax_warp_forwardIfffLi9ELb0ELb0ELi64EEEvPT0_PKT_iiiPKbib,@function
_ZN12_GLOBAL__N_120softmax_warp_forwardIfffLi9ELb0ELb0ELi64EEEvPT0_PKT_iiiPKbib: ; @_ZN12_GLOBAL__N_120softmax_warp_forwardIfffLi9ELb0ELb0ELi64EEEvPT0_PKT_iiiPKbib
; %bb.0:
	s_load_dword s0, s[4:5], 0x3c
	s_load_dwordx8 s[16:23], s[4:5], 0x0
	v_bfe_u32 v1, v0, 10, 10
	v_and_b32_e32 v4, 0x3ff, v0
	v_mov_b32_e32 v10, 0xff800000
	s_waitcnt lgkmcnt(0)
	s_lshr_b32 s0, s0, 16
	s_mul_i32 s6, s6, s0
	v_add_u32_e32 v1, s6, v1
	v_sub_u32_e32 v5, s20, v1
	v_mad_u64_u32 v[0:1], s[0:1], v1, s21, v[4:5]
	v_ashrrev_i32_e32 v1, 31, v0
	v_lshlrev_b64 v[0:1], 2, v[0:1]
	v_mov_b32_e32 v3, s19
	v_add_co_u32_e32 v2, vcc, s18, v0
	v_addc_co_u32_e32 v3, vcc, v3, v1, vcc
	v_cmp_lt_i32_e64 s[14:15], 0, v5
	v_cmp_gt_i32_e32 vcc, s22, v4
	s_and_b64 s[2:3], s[14:15], vcc
	v_mov_b32_e32 v13, 0xff800000
	s_and_saveexec_b64 s[0:1], s[2:3]
	s_cbranch_execz .LBB398_2
; %bb.1:
	global_load_dword v13, v[2:3], off
.LBB398_2:
	s_or_b64 exec, exec, s[0:1]
	v_add_u32_e32 v6, 64, v4
	v_cmp_gt_i32_e64 s[12:13], s22, v6
	s_and_b64 s[2:3], s[14:15], s[12:13]
	s_and_saveexec_b64 s[0:1], s[2:3]
	s_cbranch_execz .LBB398_4
; %bb.3:
	global_load_dword v10, v[2:3], off offset:256
.LBB398_4:
	s_or_b64 exec, exec, s[0:1]
	v_add_u32_e32 v6, 0x80, v4
	v_cmp_gt_i32_e64 s[10:11], s22, v6
	s_and_b64 s[2:3], s[14:15], s[10:11]
	v_mov_b32_e32 v8, 0xff800000
	v_mov_b32_e32 v12, 0xff800000
	s_and_saveexec_b64 s[0:1], s[2:3]
	s_cbranch_execz .LBB398_6
; %bb.5:
	global_load_dword v12, v[2:3], off offset:512
.LBB398_6:
	s_or_b64 exec, exec, s[0:1]
	v_add_u32_e32 v6, 0xc0, v4
	v_cmp_gt_i32_e64 s[8:9], s22, v6
	s_and_b64 s[2:3], s[14:15], s[8:9]
	s_and_saveexec_b64 s[0:1], s[2:3]
	s_cbranch_execz .LBB398_8
; %bb.7:
	global_load_dword v8, v[2:3], off offset:768
.LBB398_8:
	s_or_b64 exec, exec, s[0:1]
	v_add_u32_e32 v6, 0x100, v4
	v_cmp_gt_i32_e64 s[6:7], s22, v6
	s_and_b64 s[2:3], s[14:15], s[6:7]
	v_mov_b32_e32 v7, 0xff800000
	v_mov_b32_e32 v11, 0xff800000
	s_and_saveexec_b64 s[0:1], s[2:3]
	s_cbranch_execz .LBB398_10
; %bb.9:
	global_load_dword v11, v[2:3], off offset:1024
.LBB398_10:
	;; [unrolled: 20-line block ×3, first 2 shown]
	s_or_b64 exec, exec, s[0:1]
	v_add_u32_e32 v4, 0x1c0, v4
	v_cmp_gt_i32_e64 s[0:1], s22, v4
	s_and_b64 s[18:19], s[14:15], s[0:1]
	s_and_saveexec_b64 s[14:15], s[18:19]
	s_cbranch_execz .LBB398_16
; %bb.15:
	global_load_dword v6, v[2:3], off offset:1792
.LBB398_16:
	s_or_b64 exec, exec, s[14:15]
	s_waitcnt vmcnt(0)
	v_cmp_gt_f32_e64 s[14:15], v13, v10
	v_cndmask_b32_e64 v2, v10, v13, s[14:15]
	v_cmp_gt_f32_e64 s[14:15], v2, v12
	v_cndmask_b32_e64 v2, v12, v2, s[14:15]
	;; [unrolled: 2-line block ×5, first 2 shown]
	v_mbcnt_lo_u32_b32 v3, -1, 0
	v_cmp_gt_f32_e64 s[14:15], v2, v9
	v_mbcnt_hi_u32_b32 v3, -1, v3
	v_cndmask_b32_e64 v2, v9, v2, s[14:15]
	v_and_b32_e32 v4, 64, v3
	v_cmp_gt_f32_e64 s[14:15], v2, v6
	v_add_u32_e32 v4, 64, v4
	v_xor_b32_e32 v14, 32, v3
	v_cndmask_b32_e64 v2, v6, v2, s[14:15]
	v_cmp_lt_i32_e64 s[14:15], v14, v4
	v_cndmask_b32_e64 v14, v3, v14, s[14:15]
	v_lshlrev_b32_e32 v14, 2, v14
	ds_bpermute_b32 v15, v14, v2
	s_mov_b32 s18, 0x3fb8aa3b
	s_mov_b32 s19, 0xc2ce8ed0
	;; [unrolled: 1-line block ×3, first 2 shown]
	v_mov_b32_e32 v22, 0x7f800000
	s_waitcnt lgkmcnt(0)
	v_cmp_lt_f32_e64 s[14:15], v2, v15
	v_cndmask_b32_e64 v2, v2, v15, s[14:15]
	v_xor_b32_e32 v15, 16, v3
	v_cmp_lt_i32_e64 s[14:15], v15, v4
	v_cndmask_b32_e64 v15, v3, v15, s[14:15]
	v_lshlrev_b32_e32 v15, 2, v15
	ds_bpermute_b32 v16, v15, v2
	s_waitcnt lgkmcnt(0)
	v_cmp_lt_f32_e64 s[14:15], v2, v16
	v_cndmask_b32_e64 v2, v2, v16, s[14:15]
	v_xor_b32_e32 v16, 8, v3
	v_cmp_lt_i32_e64 s[14:15], v16, v4
	v_cndmask_b32_e64 v16, v3, v16, s[14:15]
	v_lshlrev_b32_e32 v16, 2, v16
	ds_bpermute_b32 v17, v16, v2
	s_waitcnt lgkmcnt(0)
	v_cmp_lt_f32_e64 s[14:15], v2, v17
	v_cndmask_b32_e64 v2, v2, v17, s[14:15]
	v_xor_b32_e32 v17, 4, v3
	v_cmp_lt_i32_e64 s[14:15], v17, v4
	v_cndmask_b32_e64 v17, v3, v17, s[14:15]
	v_lshlrev_b32_e32 v17, 2, v17
	ds_bpermute_b32 v18, v17, v2
	s_waitcnt lgkmcnt(0)
	v_cmp_lt_f32_e64 s[14:15], v2, v18
	v_cndmask_b32_e64 v2, v2, v18, s[14:15]
	v_xor_b32_e32 v18, 2, v3
	v_cmp_lt_i32_e64 s[14:15], v18, v4
	v_cndmask_b32_e64 v18, v3, v18, s[14:15]
	v_lshlrev_b32_e32 v18, 2, v18
	ds_bpermute_b32 v19, v18, v2
	s_waitcnt lgkmcnt(0)
	v_cmp_lt_f32_e64 s[14:15], v2, v19
	v_cndmask_b32_e64 v2, v2, v19, s[14:15]
	v_xor_b32_e32 v19, 1, v3
	v_cmp_lt_i32_e64 s[14:15], v19, v4
	v_cndmask_b32_e64 v3, v3, v19, s[14:15]
	v_lshlrev_b32_e32 v19, 2, v3
	ds_bpermute_b32 v3, v19, v2
	s_waitcnt lgkmcnt(0)
	v_cmp_lt_f32_e64 s[14:15], v2, v3
	v_cndmask_b32_e64 v2, v2, v3, s[14:15]
	v_sub_f32_e32 v3, v13, v2
	v_mul_f32_e32 v4, 0x3fb8aa3b, v3
	v_fma_f32 v13, v3, s18, -v4
	v_rndne_f32_e32 v20, v4
	v_fmac_f32_e32 v13, 0x32a5705f, v3
	v_sub_f32_e32 v4, v4, v20
	v_add_f32_e32 v4, v4, v13
	v_exp_f32_e32 v4, v4
	v_cvt_i32_f32_e32 v13, v20
	v_sub_f32_e32 v10, v10, v2
	v_cmp_ngt_f32_e64 s[14:15], s19, v3
	v_sub_f32_e32 v8, v8, v2
	v_ldexp_f32 v4, v4, v13
	v_mul_f32_e32 v13, 0x3fb8aa3b, v10
	v_fma_f32 v20, v10, s18, -v13
	v_rndne_f32_e32 v21, v13
	v_fmac_f32_e32 v20, 0x32a5705f, v10
	v_sub_f32_e32 v13, v13, v21
	v_add_f32_e32 v13, v13, v20
	v_exp_f32_e32 v20, v13
	v_cvt_i32_f32_e32 v21, v21
	v_cndmask_b32_e64 v4, 0, v4, s[14:15]
	v_cmp_nlt_f32_e64 s[14:15], s20, v3
	v_cndmask_b32_e64 v13, v22, v4, s[14:15]
	v_sub_f32_e32 v4, v12, v2
	v_mul_f32_e32 v12, 0x3fb8aa3b, v4
	v_ldexp_f32 v3, v20, v21
	v_fma_f32 v20, v4, s18, -v12
	v_rndne_f32_e32 v21, v12
	v_fmac_f32_e32 v20, 0x32a5705f, v4
	v_sub_f32_e32 v12, v12, v21
	v_add_f32_e32 v12, v12, v20
	v_exp_f32_e32 v20, v12
	v_cvt_i32_f32_e32 v21, v21
	v_cmp_ngt_f32_e64 s[14:15], s19, v10
	v_cndmask_b32_e64 v3, 0, v3, s[14:15]
	v_cmp_nlt_f32_e64 s[14:15], s20, v10
	v_ldexp_f32 v10, v20, v21
	v_mul_f32_e32 v20, 0x3fb8aa3b, v8
	v_fma_f32 v21, v8, s18, -v20
	v_rndne_f32_e32 v23, v20
	v_fmac_f32_e32 v21, 0x32a5705f, v8
	v_sub_f32_e32 v20, v20, v23
	v_add_f32_e32 v20, v20, v21
	v_exp_f32_e32 v20, v20
	v_cvt_i32_f32_e32 v21, v23
	v_cndmask_b32_e64 v12, v22, v3, s[14:15]
	v_cmp_ngt_f32_e64 s[14:15], s19, v4
	v_sub_f32_e32 v11, v11, v2
	v_cndmask_b32_e64 v10, 0, v10, s[14:15]
	v_cmp_nlt_f32_e64 s[14:15], s20, v4
	v_ldexp_f32 v4, v20, v21
	v_mul_f32_e32 v20, 0x3fb8aa3b, v11
	v_fma_f32 v21, v11, s18, -v20
	v_rndne_f32_e32 v23, v20
	v_fmac_f32_e32 v21, 0x32a5705f, v11
	v_sub_f32_e32 v20, v20, v23
	v_add_f32_e32 v20, v20, v21
	v_exp_f32_e32 v20, v20
	v_cvt_i32_f32_e32 v21, v23
	v_cndmask_b32_e64 v10, v22, v10, s[14:15]
	v_cmp_ngt_f32_e64 s[14:15], s19, v8
	v_cndmask_b32_e64 v4, 0, v4, s[14:15]
	v_cmp_nlt_f32_e64 s[14:15], s20, v8
	v_cndmask_b32_e64 v8, v22, v4, s[14:15]
	v_ldexp_f32 v4, v20, v21
	v_sub_f32_e32 v20, v7, v2
	v_mul_f32_e32 v7, 0x3fb8aa3b, v20
	v_fma_f32 v21, v20, s18, -v7
	v_rndne_f32_e32 v23, v7
	v_fmac_f32_e32 v21, 0x32a5705f, v20
	v_sub_f32_e32 v7, v7, v23
	v_add_f32_e32 v7, v7, v21
	v_exp_f32_e32 v21, v7
	v_cvt_i32_f32_e32 v23, v23
	v_cmp_ngt_f32_e64 s[14:15], s19, v11
	v_sub_f32_e32 v9, v9, v2
	v_cndmask_b32_e64 v4, 0, v4, s[14:15]
	v_cmp_nlt_f32_e64 s[14:15], s20, v11
	v_mul_f32_e32 v11, 0x3fb8aa3b, v9
	v_cndmask_b32_e64 v7, v22, v4, s[14:15]
	v_ldexp_f32 v4, v21, v23
	v_fma_f32 v21, v9, s18, -v11
	v_rndne_f32_e32 v23, v11
	v_fmac_f32_e32 v21, 0x32a5705f, v9
	v_sub_f32_e32 v11, v11, v23
	v_add_f32_e32 v11, v11, v21
	v_add_f32_e32 v3, v13, v12
	v_exp_f32_e32 v11, v11
	v_cvt_i32_f32_e32 v21, v23
	v_add_f32_e32 v3, v3, v10
	v_cmp_ngt_f32_e64 s[14:15], s19, v20
	v_add_f32_e32 v3, v3, v8
	v_cndmask_b32_e64 v4, 0, v4, s[14:15]
	v_cmp_nlt_f32_e64 s[14:15], s20, v20
	v_sub_f32_e32 v2, v6, v2
	v_add_f32_e32 v3, v3, v7
	v_cndmask_b32_e64 v4, v22, v4, s[14:15]
	v_mul_f32_e32 v6, 0x3fb8aa3b, v2
	v_add_f32_e32 v20, v3, v4
	v_ldexp_f32 v3, v11, v21
	v_fma_f32 v11, v2, s18, -v6
	v_rndne_f32_e32 v21, v6
	v_fmac_f32_e32 v11, 0x32a5705f, v2
	v_sub_f32_e32 v6, v6, v21
	v_add_f32_e32 v6, v6, v11
	v_exp_f32_e32 v6, v6
	v_cvt_i32_f32_e32 v11, v21
	v_cmp_ngt_f32_e64 s[14:15], s19, v9
	v_cndmask_b32_e64 v3, 0, v3, s[14:15]
	v_cmp_nlt_f32_e64 s[14:15], s20, v9
	v_cndmask_b32_e64 v3, v22, v3, s[14:15]
	v_ldexp_f32 v6, v6, v11
	v_cmp_ngt_f32_e64 s[14:15], s19, v2
	v_cndmask_b32_e64 v6, 0, v6, s[14:15]
	v_cmp_nlt_f32_e64 s[14:15], s20, v2
	v_add_f32_e32 v9, v20, v3
	v_cndmask_b32_e64 v2, v22, v6, s[14:15]
	v_add_f32_e32 v6, v9, v2
	ds_bpermute_b32 v9, v14, v6
	v_cmp_lt_i32_e64 s[14:15], 0, v5
	s_waitcnt lgkmcnt(0)
	v_add_f32_e32 v6, v6, v9
	ds_bpermute_b32 v9, v15, v6
	s_waitcnt lgkmcnt(0)
	v_add_f32_e32 v6, v6, v9
	ds_bpermute_b32 v9, v16, v6
	;; [unrolled: 3-line block ×5, first 2 shown]
	s_and_saveexec_b64 s[18:19], s[14:15]
	s_cbranch_execz .LBB398_26
; %bb.17:
	s_and_b64 exec, exec, vcc
	s_cbranch_execz .LBB398_26
; %bb.18:
	s_waitcnt lgkmcnt(0)
	v_add_f32_e32 v5, v6, v9
	v_div_scale_f32 v9, s[14:15], v5, v5, v13
	v_rcp_f32_e32 v11, v9
	v_mov_b32_e32 v6, s17
	v_add_co_u32_e32 v0, vcc, s16, v0
	v_addc_co_u32_e32 v1, vcc, v6, v1, vcc
	v_fma_f32 v6, -v9, v11, 1.0
	v_fmac_f32_e32 v11, v6, v11
	v_div_scale_f32 v6, vcc, v13, v5, v13
	v_mul_f32_e32 v14, v6, v11
	v_fma_f32 v15, -v9, v14, v6
	v_fmac_f32_e32 v14, v15, v11
	v_fma_f32 v6, -v9, v14, v6
	v_div_fmas_f32 v6, v6, v11, v14
	v_div_fixup_f32 v9, v6, v5, v13
	v_mov_b32_e32 v6, 0x7fc00000
	v_cmp_eq_f32_e64 s[14:15], 0, v5
	v_cndmask_b32_e64 v9, v9, v6, s[14:15]
	global_store_dword v[0:1], v9, off
	s_and_b64 exec, exec, s[12:13]
	s_cbranch_execz .LBB398_26
; %bb.19:
	v_div_scale_f32 v9, s[12:13], v5, v5, v12
	v_rcp_f32_e32 v11, v9
	v_div_scale_f32 v13, vcc, v12, v5, v12
	v_fma_f32 v14, -v9, v11, 1.0
	v_fmac_f32_e32 v11, v14, v11
	v_mul_f32_e32 v14, v13, v11
	v_fma_f32 v15, -v9, v14, v13
	v_fmac_f32_e32 v14, v15, v11
	v_fma_f32 v9, -v9, v14, v13
	v_div_fmas_f32 v9, v9, v11, v14
	v_div_fixup_f32 v9, v9, v5, v12
	v_cndmask_b32_e64 v6, v9, v6, s[14:15]
	global_store_dword v[0:1], v6, off offset:256
	s_and_b64 exec, exec, s[10:11]
	s_cbranch_execz .LBB398_26
; %bb.20:
	v_div_scale_f32 v6, s[10:11], v5, v5, v10
	v_rcp_f32_e32 v9, v6
	v_div_scale_f32 v11, vcc, v10, v5, v10
	v_fma_f32 v12, -v6, v9, 1.0
	v_fmac_f32_e32 v9, v12, v9
	v_mul_f32_e32 v12, v11, v9
	v_fma_f32 v13, -v6, v12, v11
	v_fmac_f32_e32 v12, v13, v9
	v_fma_f32 v6, -v6, v12, v11
	v_div_fmas_f32 v6, v6, v9, v12
	v_div_fixup_f32 v9, v6, v5, v10
	v_mov_b32_e32 v6, 0x7fc00000
	v_cndmask_b32_e64 v9, v9, v6, s[14:15]
	global_store_dword v[0:1], v9, off offset:512
	s_and_b64 exec, exec, s[8:9]
	s_cbranch_execz .LBB398_26
; %bb.21:
	v_div_scale_f32 v9, s[8:9], v5, v5, v8
	v_rcp_f32_e32 v10, v9
	v_div_scale_f32 v11, vcc, v8, v5, v8
	v_fma_f32 v12, -v9, v10, 1.0
	v_fmac_f32_e32 v10, v12, v10
	v_mul_f32_e32 v12, v11, v10
	v_fma_f32 v13, -v9, v12, v11
	v_fmac_f32_e32 v12, v13, v10
	v_fma_f32 v9, -v9, v12, v11
	v_div_fmas_f32 v9, v9, v10, v12
	v_div_fixup_f32 v8, v9, v5, v8
	v_cndmask_b32_e64 v6, v8, v6, s[14:15]
	global_store_dword v[0:1], v6, off offset:768
	s_and_b64 exec, exec, s[6:7]
	s_cbranch_execz .LBB398_26
; %bb.22:
	v_div_scale_f32 v6, s[6:7], v5, v5, v7
	v_rcp_f32_e32 v8, v6
	v_div_scale_f32 v9, vcc, v7, v5, v7
	v_fma_f32 v10, -v6, v8, 1.0
	v_fmac_f32_e32 v8, v10, v8
	v_mul_f32_e32 v10, v9, v8
	v_fma_f32 v11, -v6, v10, v9
	v_fmac_f32_e32 v10, v11, v8
	v_fma_f32 v6, -v6, v10, v9
	v_div_fmas_f32 v6, v6, v8, v10
	v_div_fixup_f32 v7, v6, v5, v7
	v_mov_b32_e32 v6, 0x7fc00000
	v_cndmask_b32_e64 v7, v7, v6, s[14:15]
	global_store_dword v[0:1], v7, off offset:1024
	;; [unrolled: 33-line block ×3, first 2 shown]
	s_and_b64 exec, exec, s[0:1]
	s_cbranch_execz .LBB398_26
; %bb.25:
	v_div_scale_f32 v4, s[0:1], v5, v5, v2
	v_rcp_f32_e32 v6, v4
	v_div_scale_f32 v7, vcc, v2, v5, v2
	v_fma_f32 v8, -v4, v6, 1.0
	v_fmac_f32_e32 v6, v8, v6
	v_mul_f32_e32 v8, v7, v6
	v_fma_f32 v9, -v4, v8, v7
	v_fmac_f32_e32 v8, v9, v6
	v_fma_f32 v4, -v4, v8, v7
	v_div_fmas_f32 v4, v4, v6, v8
	v_div_fixup_f32 v2, v4, v5, v2
	v_cndmask_b32_e64 v2, v2, v3, s[14:15]
	global_store_dword v[0:1], v2, off offset:1792
.LBB398_26:
	s_endpgm
	.section	.rodata,"a",@progbits
	.p2align	6, 0x0
	.amdhsa_kernel _ZN12_GLOBAL__N_120softmax_warp_forwardIfffLi9ELb0ELb0ELi64EEEvPT0_PKT_iiiPKbib
		.amdhsa_group_segment_fixed_size 0
		.amdhsa_private_segment_fixed_size 0
		.amdhsa_kernarg_size 304
		.amdhsa_user_sgpr_count 6
		.amdhsa_user_sgpr_private_segment_buffer 1
		.amdhsa_user_sgpr_dispatch_ptr 0
		.amdhsa_user_sgpr_queue_ptr 0
		.amdhsa_user_sgpr_kernarg_segment_ptr 1
		.amdhsa_user_sgpr_dispatch_id 0
		.amdhsa_user_sgpr_flat_scratch_init 0
		.amdhsa_user_sgpr_kernarg_preload_length 0
		.amdhsa_user_sgpr_kernarg_preload_offset 0
		.amdhsa_user_sgpr_private_segment_size 0
		.amdhsa_uses_dynamic_stack 0
		.amdhsa_system_sgpr_private_segment_wavefront_offset 0
		.amdhsa_system_sgpr_workgroup_id_x 1
		.amdhsa_system_sgpr_workgroup_id_y 0
		.amdhsa_system_sgpr_workgroup_id_z 0
		.amdhsa_system_sgpr_workgroup_info 0
		.amdhsa_system_vgpr_workitem_id 1
		.amdhsa_next_free_vgpr 24
		.amdhsa_next_free_sgpr 24
		.amdhsa_accum_offset 24
		.amdhsa_reserve_vcc 1
		.amdhsa_reserve_flat_scratch 0
		.amdhsa_float_round_mode_32 0
		.amdhsa_float_round_mode_16_64 0
		.amdhsa_float_denorm_mode_32 3
		.amdhsa_float_denorm_mode_16_64 3
		.amdhsa_dx10_clamp 1
		.amdhsa_ieee_mode 1
		.amdhsa_fp16_overflow 0
		.amdhsa_tg_split 0
		.amdhsa_exception_fp_ieee_invalid_op 0
		.amdhsa_exception_fp_denorm_src 0
		.amdhsa_exception_fp_ieee_div_zero 0
		.amdhsa_exception_fp_ieee_overflow 0
		.amdhsa_exception_fp_ieee_underflow 0
		.amdhsa_exception_fp_ieee_inexact 0
		.amdhsa_exception_int_div_zero 0
	.end_amdhsa_kernel
	.section	.text._ZN12_GLOBAL__N_120softmax_warp_forwardIfffLi9ELb0ELb0ELi64EEEvPT0_PKT_iiiPKbib,"axG",@progbits,_ZN12_GLOBAL__N_120softmax_warp_forwardIfffLi9ELb0ELb0ELi64EEEvPT0_PKT_iiiPKbib,comdat
.Lfunc_end398:
	.size	_ZN12_GLOBAL__N_120softmax_warp_forwardIfffLi9ELb0ELb0ELi64EEEvPT0_PKT_iiiPKbib, .Lfunc_end398-_ZN12_GLOBAL__N_120softmax_warp_forwardIfffLi9ELb0ELb0ELi64EEEvPT0_PKT_iiiPKbib
                                        ; -- End function
	.section	.AMDGPU.csdata,"",@progbits
; Kernel info:
; codeLenInByte = 2612
; NumSgprs: 28
; NumVgprs: 24
; NumAgprs: 0
; TotalNumVgprs: 24
; ScratchSize: 0
; MemoryBound: 0
; FloatMode: 240
; IeeeMode: 1
; LDSByteSize: 0 bytes/workgroup (compile time only)
; SGPRBlocks: 3
; VGPRBlocks: 2
; NumSGPRsForWavesPerEU: 28
; NumVGPRsForWavesPerEU: 24
; AccumOffset: 24
; Occupancy: 8
; WaveLimiterHint : 0
; COMPUTE_PGM_RSRC2:SCRATCH_EN: 0
; COMPUTE_PGM_RSRC2:USER_SGPR: 6
; COMPUTE_PGM_RSRC2:TRAP_HANDLER: 0
; COMPUTE_PGM_RSRC2:TGID_X_EN: 1
; COMPUTE_PGM_RSRC2:TGID_Y_EN: 0
; COMPUTE_PGM_RSRC2:TGID_Z_EN: 0
; COMPUTE_PGM_RSRC2:TIDIG_COMP_CNT: 1
; COMPUTE_PGM_RSRC3_GFX90A:ACCUM_OFFSET: 5
; COMPUTE_PGM_RSRC3_GFX90A:TG_SPLIT: 0
	.section	.text._ZN12_GLOBAL__N_120softmax_warp_forwardIfffLi9ELb0ELb0ELi32EEEvPT0_PKT_iiiPKbib,"axG",@progbits,_ZN12_GLOBAL__N_120softmax_warp_forwardIfffLi9ELb0ELb0ELi32EEEvPT0_PKT_iiiPKbib,comdat
	.globl	_ZN12_GLOBAL__N_120softmax_warp_forwardIfffLi9ELb0ELb0ELi32EEEvPT0_PKT_iiiPKbib ; -- Begin function _ZN12_GLOBAL__N_120softmax_warp_forwardIfffLi9ELb0ELb0ELi32EEEvPT0_PKT_iiiPKbib
	.p2align	8
	.type	_ZN12_GLOBAL__N_120softmax_warp_forwardIfffLi9ELb0ELb0ELi32EEEvPT0_PKT_iiiPKbib,@function
_ZN12_GLOBAL__N_120softmax_warp_forwardIfffLi9ELb0ELb0ELi32EEEvPT0_PKT_iiiPKbib: ; @_ZN12_GLOBAL__N_120softmax_warp_forwardIfffLi9ELb0ELb0ELi32EEEvPT0_PKT_iiiPKbib
; %bb.0:
	s_load_dword s0, s[4:5], 0x3c
	s_load_dwordx8 s[36:43], s[4:5], 0x0
	v_bfe_u32 v1, v0, 10, 10
	v_and_b32_e32 v4, 0x3ff, v0
	v_mov_b32_e32 v18, 0xff800000
	s_waitcnt lgkmcnt(0)
	s_lshr_b32 s0, s0, 16
	s_mul_i32 s6, s6, s0
	v_add_u32_e32 v1, s6, v1
	v_sub_u32_e32 v5, s40, v1
	v_mad_u64_u32 v[0:1], s[0:1], v1, s41, v[4:5]
	v_ashrrev_i32_e32 v1, 31, v0
	v_lshlrev_b64 v[0:1], 2, v[0:1]
	v_mov_b32_e32 v3, s39
	v_add_co_u32_e32 v2, vcc, s38, v0
	v_addc_co_u32_e32 v3, vcc, v3, v1, vcc
	v_cmp_lt_i32_e64 s[30:31], 0, v5
	v_cmp_gt_i32_e32 vcc, s42, v4
	s_and_b64 s[2:3], s[30:31], vcc
	v_mov_b32_e32 v24, 0xff800000
	s_and_saveexec_b64 s[0:1], s[2:3]
	s_cbranch_execz .LBB399_2
; %bb.1:
	global_load_dword v24, v[2:3], off
.LBB399_2:
	s_or_b64 exec, exec, s[0:1]
	v_add_u32_e32 v6, 32, v4
	v_cmp_gt_i32_e64 s[28:29], s42, v6
	s_and_b64 s[2:3], s[30:31], s[28:29]
	s_and_saveexec_b64 s[0:1], s[2:3]
	s_cbranch_execz .LBB399_4
; %bb.3:
	global_load_dword v18, v[2:3], off offset:128
.LBB399_4:
	s_or_b64 exec, exec, s[0:1]
	v_add_u32_e32 v6, 64, v4
	v_cmp_gt_i32_e64 s[26:27], s42, v6
	s_and_b64 s[2:3], s[30:31], s[26:27]
	v_mov_b32_e32 v15, 0xff800000
	v_mov_b32_e32 v22, 0xff800000
	s_and_saveexec_b64 s[0:1], s[2:3]
	s_cbranch_execz .LBB399_6
; %bb.5:
	global_load_dword v22, v[2:3], off offset:256
.LBB399_6:
	s_or_b64 exec, exec, s[0:1]
	v_add_u32_e32 v6, 0x60, v4
	v_cmp_gt_i32_e64 s[24:25], s42, v6
	s_and_b64 s[2:3], s[30:31], s[24:25]
	s_and_saveexec_b64 s[0:1], s[2:3]
	s_cbranch_execz .LBB399_8
; %bb.7:
	global_load_dword v15, v[2:3], off offset:384
.LBB399_8:
	s_or_b64 exec, exec, s[0:1]
	v_add_u32_e32 v6, 0x80, v4
	v_cmp_gt_i32_e64 s[22:23], s42, v6
	s_and_b64 s[2:3], s[30:31], s[22:23]
	v_mov_b32_e32 v11, 0xff800000
	v_mov_b32_e32 v19, 0xff800000
	s_and_saveexec_b64 s[0:1], s[2:3]
	s_cbranch_execz .LBB399_10
; %bb.9:
	global_load_dword v19, v[2:3], off offset:512
.LBB399_10:
	;; [unrolled: 20-line block ×7, first 2 shown]
	s_or_b64 exec, exec, s[0:1]
	v_add_u32_e32 v4, 0x1e0, v4
	v_cmp_gt_i32_e64 s[0:1], s42, v4
	s_and_b64 s[34:35], s[30:31], s[0:1]
	s_and_saveexec_b64 s[30:31], s[34:35]
	s_cbranch_execz .LBB399_32
; %bb.31:
	global_load_dword v7, v[2:3], off offset:1920
.LBB399_32:
	s_or_b64 exec, exec, s[30:31]
	s_waitcnt vmcnt(0)
	v_cmp_gt_f32_e64 s[30:31], v24, v18
	v_cndmask_b32_e64 v2, v18, v24, s[30:31]
	v_cmp_gt_f32_e64 s[30:31], v2, v22
	v_cndmask_b32_e64 v2, v22, v2, s[30:31]
	;; [unrolled: 2-line block ×13, first 2 shown]
	v_mbcnt_lo_u32_b32 v3, -1, 0
	v_cmp_gt_f32_e64 s[30:31], v2, v12
	v_mbcnt_hi_u32_b32 v3, -1, v3
	v_cndmask_b32_e64 v2, v12, v2, s[30:31]
	v_and_b32_e32 v4, 0x60, v3
	v_cmp_gt_f32_e64 s[30:31], v2, v7
	v_add_u32_e32 v4, 32, v4
	v_xor_b32_e32 v20, 16, v3
	v_cndmask_b32_e64 v2, v7, v2, s[30:31]
	v_cmp_lt_i32_e64 s[30:31], v20, v4
	v_cndmask_b32_e64 v20, v3, v20, s[30:31]
	v_lshlrev_b32_e32 v20, 2, v20
	ds_bpermute_b32 v21, v20, v2
	s_mov_b32 s34, 0x3fb8aa3b
	s_mov_b32 s33, 0xc2ce8ed0
	s_mov_b32 s35, 0x42b17218
	s_waitcnt lgkmcnt(0)
	v_cmp_lt_f32_e64 s[30:31], v2, v21
	v_cndmask_b32_e64 v2, v2, v21, s[30:31]
	v_xor_b32_e32 v21, 8, v3
	v_cmp_lt_i32_e64 s[30:31], v21, v4
	v_cndmask_b32_e64 v21, v3, v21, s[30:31]
	v_lshlrev_b32_e32 v21, 2, v21
	ds_bpermute_b32 v23, v21, v2
	s_waitcnt lgkmcnt(0)
	v_cmp_lt_f32_e64 s[30:31], v2, v23
	v_cndmask_b32_e64 v2, v2, v23, s[30:31]
	v_xor_b32_e32 v23, 4, v3
	v_cmp_lt_i32_e64 s[30:31], v23, v4
	v_cndmask_b32_e64 v23, v3, v23, s[30:31]
	v_lshlrev_b32_e32 v23, 2, v23
	ds_bpermute_b32 v25, v23, v2
	;; [unrolled: 8-line block ×4, first 2 shown]
	s_waitcnt lgkmcnt(0)
	v_cmp_lt_f32_e64 s[30:31], v2, v3
	v_cndmask_b32_e64 v2, v2, v3, s[30:31]
	v_sub_f32_e32 v3, v24, v2
	v_mul_f32_e32 v4, 0x3fb8aa3b, v3
	v_fma_f32 v24, v3, s34, -v4
	v_rndne_f32_e32 v26, v4
	v_fmac_f32_e32 v24, 0x32a5705f, v3
	v_sub_f32_e32 v4, v4, v26
	v_add_f32_e32 v4, v4, v24
	v_exp_f32_e32 v4, v4
	v_cvt_i32_f32_e32 v24, v26
	v_sub_f32_e32 v18, v18, v2
	v_cmp_ngt_f32_e64 s[30:31], s33, v3
	v_sub_f32_e32 v15, v15, v2
	v_ldexp_f32 v4, v4, v24
	v_mul_f32_e32 v24, 0x3fb8aa3b, v18
	v_fma_f32 v26, v18, s34, -v24
	v_rndne_f32_e32 v28, v24
	v_fmac_f32_e32 v26, 0x32a5705f, v18
	v_sub_f32_e32 v24, v24, v28
	v_add_f32_e32 v24, v24, v26
	v_exp_f32_e32 v24, v24
	v_cvt_i32_f32_e32 v29, v28
	v_cndmask_b32_e64 v4, 0, v4, s[30:31]
	v_mov_b32_e32 v28, 0x7f800000
	v_cmp_nlt_f32_e64 s[30:31], s35, v3
	v_cndmask_b32_e64 v26, v28, v4, s[30:31]
	v_sub_f32_e32 v4, v22, v2
	v_mul_f32_e32 v22, 0x3fb8aa3b, v4
	v_ldexp_f32 v3, v24, v29
	v_fma_f32 v24, v4, s34, -v22
	v_rndne_f32_e32 v29, v22
	v_fmac_f32_e32 v24, 0x32a5705f, v4
	v_sub_f32_e32 v22, v22, v29
	v_add_f32_e32 v22, v22, v24
	v_exp_f32_e32 v22, v22
	v_cvt_i32_f32_e32 v29, v29
	v_cmp_ngt_f32_e64 s[30:31], s33, v18
	v_cndmask_b32_e64 v3, 0, v3, s[30:31]
	v_cmp_nlt_f32_e64 s[30:31], s35, v18
	v_ldexp_f32 v18, v22, v29
	v_mul_f32_e32 v22, 0x3fb8aa3b, v15
	v_fma_f32 v29, v15, s34, -v22
	v_rndne_f32_e32 v30, v22
	v_fmac_f32_e32 v29, 0x32a5705f, v15
	v_sub_f32_e32 v22, v22, v30
	v_add_f32_e32 v22, v22, v29
	v_cndmask_b32_e64 v24, v28, v3, s[30:31]
	v_cmp_ngt_f32_e64 s[30:31], s33, v4
	v_exp_f32_e32 v29, v22
	v_cvt_i32_f32_e32 v30, v30
	v_cndmask_b32_e64 v18, 0, v18, s[30:31]
	v_cmp_nlt_f32_e64 s[30:31], s35, v4
	v_cndmask_b32_e64 v22, v28, v18, s[30:31]
	v_sub_f32_e32 v18, v19, v2
	v_mul_f32_e32 v19, 0x3fb8aa3b, v18
	v_ldexp_f32 v4, v29, v30
	v_fma_f32 v29, v18, s34, -v19
	v_rndne_f32_e32 v30, v19
	v_fmac_f32_e32 v29, 0x32a5705f, v18
	v_sub_f32_e32 v19, v19, v30
	v_add_f32_e32 v19, v19, v29
	v_exp_f32_e32 v29, v19
	v_cvt_i32_f32_e32 v30, v30
	v_cmp_ngt_f32_e64 s[30:31], s33, v15
	v_sub_f32_e32 v11, v11, v2
	v_cndmask_b32_e64 v4, 0, v4, s[30:31]
	v_cmp_nlt_f32_e64 s[30:31], s35, v15
	v_mul_f32_e32 v15, 0x3fb8aa3b, v11
	v_cndmask_b32_e64 v19, v28, v4, s[30:31]
	v_ldexp_f32 v4, v29, v30
	v_fma_f32 v29, v11, s34, -v15
	v_rndne_f32_e32 v30, v15
	v_fmac_f32_e32 v29, 0x32a5705f, v11
	v_sub_f32_e32 v15, v15, v30
	v_add_f32_e32 v15, v15, v29
	v_exp_f32_e32 v15, v15
	v_cvt_i32_f32_e32 v29, v30
	v_cmp_ngt_f32_e64 s[30:31], s33, v18
	v_cndmask_b32_e64 v4, 0, v4, s[30:31]
	v_cmp_nlt_f32_e64 s[30:31], s35, v18
	v_cndmask_b32_e64 v18, v28, v4, s[30:31]
	v_ldexp_f32 v4, v15, v29
	v_sub_f32_e32 v15, v16, v2
	v_mul_f32_e32 v16, 0x3fb8aa3b, v15
	v_fma_f32 v29, v15, s34, -v16
	v_rndne_f32_e32 v30, v16
	v_fmac_f32_e32 v29, 0x32a5705f, v15
	v_sub_f32_e32 v16, v16, v30
	v_add_f32_e32 v16, v16, v29
	v_exp_f32_e32 v29, v16
	v_cvt_i32_f32_e32 v30, v30
	v_cmp_ngt_f32_e64 s[30:31], s33, v11
	v_sub_f32_e32 v10, v10, v2
	v_cndmask_b32_e64 v4, 0, v4, s[30:31]
	v_cmp_nlt_f32_e64 s[30:31], s35, v11
	v_mul_f32_e32 v11, 0x3fb8aa3b, v10
	v_cndmask_b32_e64 v16, v28, v4, s[30:31]
	v_ldexp_f32 v4, v29, v30
	v_fma_f32 v29, v10, s34, -v11
	v_rndne_f32_e32 v30, v11
	v_fmac_f32_e32 v29, 0x32a5705f, v10
	v_sub_f32_e32 v11, v11, v30
	v_add_f32_e32 v11, v11, v29
	v_exp_f32_e32 v11, v11
	v_cvt_i32_f32_e32 v29, v30
	v_cmp_ngt_f32_e64 s[30:31], s33, v15
	v_cndmask_b32_e64 v4, 0, v4, s[30:31]
	v_cmp_nlt_f32_e64 s[30:31], s35, v15
	v_cndmask_b32_e64 v15, v28, v4, s[30:31]
	v_ldexp_f32 v4, v11, v29
	v_sub_f32_e32 v11, v13, v2
	v_mul_f32_e32 v13, 0x3fb8aa3b, v11
	v_fma_f32 v29, v11, s34, -v13
	v_rndne_f32_e32 v30, v13
	v_fmac_f32_e32 v29, 0x32a5705f, v11
	v_sub_f32_e32 v13, v13, v30
	v_add_f32_e32 v13, v13, v29
	v_exp_f32_e32 v29, v13
	v_cvt_i32_f32_e32 v30, v30
	v_cmp_ngt_f32_e64 s[30:31], s33, v10
	v_sub_f32_e32 v9, v9, v2
	v_cndmask_b32_e64 v4, 0, v4, s[30:31]
	v_cmp_nlt_f32_e64 s[30:31], s35, v10
	v_mul_f32_e32 v10, 0x3fb8aa3b, v9
	v_cndmask_b32_e64 v13, v28, v4, s[30:31]
	v_ldexp_f32 v4, v29, v30
	v_fma_f32 v29, v9, s34, -v10
	v_rndne_f32_e32 v30, v10
	v_fmac_f32_e32 v29, 0x32a5705f, v9
	v_sub_f32_e32 v10, v10, v30
	v_add_f32_e32 v10, v10, v29
	v_exp_f32_e32 v10, v10
	v_cvt_i32_f32_e32 v29, v30
	v_cmp_ngt_f32_e64 s[30:31], s33, v11
	v_cndmask_b32_e64 v4, 0, v4, s[30:31]
	v_cmp_nlt_f32_e64 s[30:31], s35, v11
	v_sub_f32_e32 v17, v17, v2
	v_cndmask_b32_e64 v11, v28, v4, s[30:31]
	v_ldexp_f32 v4, v10, v29
	v_mul_f32_e32 v10, 0x3fb8aa3b, v17
	v_fma_f32 v29, v17, s34, -v10
	v_rndne_f32_e32 v30, v10
	v_fmac_f32_e32 v29, 0x32a5705f, v17
	v_sub_f32_e32 v10, v10, v30
	v_add_f32_e32 v10, v10, v29
	v_exp_f32_e32 v29, v10
	v_cvt_i32_f32_e32 v30, v30
	v_cmp_ngt_f32_e64 s[30:31], s33, v9
	v_sub_f32_e32 v8, v8, v2
	v_cndmask_b32_e64 v4, 0, v4, s[30:31]
	v_cmp_nlt_f32_e64 s[30:31], s35, v9
	v_mul_f32_e32 v9, 0x3fb8aa3b, v8
	v_cndmask_b32_e64 v10, v28, v4, s[30:31]
	v_ldexp_f32 v4, v29, v30
	v_fma_f32 v29, v8, s34, -v9
	v_rndne_f32_e32 v30, v9
	v_fmac_f32_e32 v29, 0x32a5705f, v8
	v_sub_f32_e32 v9, v9, v30
	v_add_f32_e32 v9, v9, v29
	v_exp_f32_e32 v29, v9
	v_cvt_i32_f32_e32 v30, v30
	v_cmp_ngt_f32_e64 s[30:31], s33, v17
	v_sub_f32_e32 v14, v14, v2
	v_cndmask_b32_e64 v4, 0, v4, s[30:31]
	v_cmp_nlt_f32_e64 s[30:31], s35, v17
	v_mul_f32_e32 v17, 0x3fb8aa3b, v14
	v_cndmask_b32_e64 v9, v28, v4, s[30:31]
	v_ldexp_f32 v4, v29, v30
	v_fma_f32 v29, v14, s34, -v17
	v_rndne_f32_e32 v30, v17
	v_fmac_f32_e32 v29, 0x32a5705f, v14
	v_sub_f32_e32 v17, v17, v30
	v_add_f32_e32 v17, v17, v29
	v_exp_f32_e32 v17, v17
	v_cvt_i32_f32_e32 v29, v30
	v_cmp_ngt_f32_e64 s[30:31], s33, v8
	v_cndmask_b32_e64 v4, 0, v4, s[30:31]
	v_cmp_nlt_f32_e64 s[30:31], s35, v8
	v_cndmask_b32_e64 v8, v28, v4, s[30:31]
	v_ldexp_f32 v4, v17, v29
	v_sub_f32_e32 v17, v6, v2
	v_mul_f32_e32 v6, 0x3fb8aa3b, v17
	v_fma_f32 v29, v17, s34, -v6
	v_rndne_f32_e32 v30, v6
	v_fmac_f32_e32 v29, 0x32a5705f, v17
	v_sub_f32_e32 v6, v6, v30
	v_add_f32_e32 v3, v26, v24
	v_add_f32_e32 v6, v6, v29
	;; [unrolled: 1-line block ×3, first 2 shown]
	v_exp_f32_e32 v29, v6
	v_cvt_i32_f32_e32 v30, v30
	v_add_f32_e32 v3, v3, v19
	v_add_f32_e32 v3, v3, v18
	v_cmp_ngt_f32_e64 s[30:31], s33, v14
	v_sub_f32_e32 v12, v12, v2
	v_add_f32_e32 v3, v3, v16
	v_cndmask_b32_e64 v4, 0, v4, s[30:31]
	v_cmp_nlt_f32_e64 s[30:31], s35, v14
	v_mul_f32_e32 v14, 0x3fb8aa3b, v12
	v_add_f32_e32 v3, v3, v15
	v_cndmask_b32_e64 v6, v28, v4, s[30:31]
	v_ldexp_f32 v4, v29, v30
	v_fma_f32 v29, v12, s34, -v14
	v_rndne_f32_e32 v30, v14
	v_add_f32_e32 v3, v3, v13
	v_fmac_f32_e32 v29, 0x32a5705f, v12
	v_sub_f32_e32 v14, v14, v30
	v_add_f32_e32 v3, v3, v11
	v_add_f32_e32 v14, v14, v29
	;; [unrolled: 1-line block ×3, first 2 shown]
	v_exp_f32_e32 v14, v14
	v_cvt_i32_f32_e32 v29, v30
	v_add_f32_e32 v3, v3, v9
	v_cmp_ngt_f32_e64 s[30:31], s33, v17
	v_add_f32_e32 v3, v3, v8
	v_cndmask_b32_e64 v4, 0, v4, s[30:31]
	v_cmp_nlt_f32_e64 s[30:31], s35, v17
	v_sub_f32_e32 v2, v7, v2
	v_add_f32_e32 v3, v3, v6
	v_cndmask_b32_e64 v4, v28, v4, s[30:31]
	v_mul_f32_e32 v7, 0x3fb8aa3b, v2
	v_add_f32_e32 v17, v3, v4
	v_ldexp_f32 v3, v14, v29
	v_fma_f32 v14, v2, s34, -v7
	v_rndne_f32_e32 v29, v7
	v_fmac_f32_e32 v14, 0x32a5705f, v2
	v_sub_f32_e32 v7, v7, v29
	v_add_f32_e32 v7, v7, v14
	v_exp_f32_e32 v7, v7
	v_cvt_i32_f32_e32 v14, v29
	v_cmp_ngt_f32_e64 s[30:31], s33, v12
	v_cndmask_b32_e64 v3, 0, v3, s[30:31]
	v_cmp_nlt_f32_e64 s[30:31], s35, v12
	v_cndmask_b32_e64 v3, v28, v3, s[30:31]
	v_ldexp_f32 v7, v7, v14
	v_cmp_ngt_f32_e64 s[30:31], s33, v2
	v_cndmask_b32_e64 v7, 0, v7, s[30:31]
	v_cmp_nlt_f32_e64 s[30:31], s35, v2
	v_add_f32_e32 v12, v17, v3
	v_cndmask_b32_e64 v2, v28, v7, s[30:31]
	v_add_f32_e32 v7, v12, v2
	ds_bpermute_b32 v12, v20, v7
	v_cmp_lt_i32_e64 s[30:31], 0, v5
	s_waitcnt lgkmcnt(0)
	v_add_f32_e32 v7, v7, v12
	ds_bpermute_b32 v12, v21, v7
	s_waitcnt lgkmcnt(0)
	v_add_f32_e32 v7, v7, v12
	ds_bpermute_b32 v12, v23, v7
	;; [unrolled: 3-line block ×4, first 2 shown]
	s_and_saveexec_b64 s[34:35], s[30:31]
	s_cbranch_execz .LBB399_50
; %bb.33:
	s_and_b64 exec, exec, vcc
	s_cbranch_execz .LBB399_50
; %bb.34:
	s_waitcnt lgkmcnt(0)
	v_add_f32_e32 v5, v7, v12
	v_div_scale_f32 v12, s[30:31], v5, v5, v26
	v_rcp_f32_e32 v14, v12
	v_mov_b32_e32 v7, s37
	v_add_co_u32_e32 v0, vcc, s36, v0
	v_addc_co_u32_e32 v1, vcc, v7, v1, vcc
	v_fma_f32 v7, -v12, v14, 1.0
	v_fmac_f32_e32 v14, v7, v14
	v_div_scale_f32 v7, vcc, v26, v5, v26
	v_mul_f32_e32 v17, v7, v14
	v_fma_f32 v20, -v12, v17, v7
	v_fmac_f32_e32 v17, v20, v14
	v_fma_f32 v7, -v12, v17, v7
	v_div_fmas_f32 v7, v7, v14, v17
	v_div_fixup_f32 v12, v7, v5, v26
	v_mov_b32_e32 v7, 0x7fc00000
	v_cmp_eq_f32_e64 s[30:31], 0, v5
	v_cndmask_b32_e64 v12, v12, v7, s[30:31]
	global_store_dword v[0:1], v12, off
	s_and_b64 exec, exec, s[28:29]
	s_cbranch_execz .LBB399_50
; %bb.35:
	v_div_scale_f32 v12, s[28:29], v5, v5, v24
	v_rcp_f32_e32 v14, v12
	v_div_scale_f32 v17, vcc, v24, v5, v24
	v_fma_f32 v20, -v12, v14, 1.0
	v_fmac_f32_e32 v14, v20, v14
	v_mul_f32_e32 v20, v17, v14
	v_fma_f32 v21, -v12, v20, v17
	v_fmac_f32_e32 v20, v21, v14
	v_fma_f32 v12, -v12, v20, v17
	v_div_fmas_f32 v12, v12, v14, v20
	v_div_fixup_f32 v12, v12, v5, v24
	v_cndmask_b32_e64 v7, v12, v7, s[30:31]
	global_store_dword v[0:1], v7, off offset:128
	s_and_b64 exec, exec, s[26:27]
	s_cbranch_execz .LBB399_50
; %bb.36:
	v_div_scale_f32 v7, s[26:27], v5, v5, v22
	v_rcp_f32_e32 v12, v7
	v_div_scale_f32 v14, vcc, v22, v5, v22
	v_fma_f32 v17, -v7, v12, 1.0
	v_fmac_f32_e32 v12, v17, v12
	v_mul_f32_e32 v17, v14, v12
	v_fma_f32 v20, -v7, v17, v14
	v_fmac_f32_e32 v17, v20, v12
	v_fma_f32 v7, -v7, v17, v14
	v_div_fmas_f32 v7, v7, v12, v17
	v_div_fixup_f32 v12, v7, v5, v22
	v_mov_b32_e32 v7, 0x7fc00000
	v_cndmask_b32_e64 v12, v12, v7, s[30:31]
	global_store_dword v[0:1], v12, off offset:256
	s_and_b64 exec, exec, s[24:25]
	s_cbranch_execz .LBB399_50
; %bb.37:
	v_div_scale_f32 v12, s[24:25], v5, v5, v19
	v_rcp_f32_e32 v14, v12
	v_div_scale_f32 v17, vcc, v19, v5, v19
	v_fma_f32 v20, -v12, v14, 1.0
	v_fmac_f32_e32 v14, v20, v14
	v_mul_f32_e32 v20, v17, v14
	v_fma_f32 v21, -v12, v20, v17
	v_fmac_f32_e32 v20, v21, v14
	v_fma_f32 v12, -v12, v20, v17
	v_div_fmas_f32 v12, v12, v14, v20
	v_div_fixup_f32 v12, v12, v5, v19
	v_cndmask_b32_e64 v7, v12, v7, s[30:31]
	global_store_dword v[0:1], v7, off offset:384
	s_and_b64 exec, exec, s[22:23]
	s_cbranch_execz .LBB399_50
; %bb.38:
	v_div_scale_f32 v7, s[22:23], v5, v5, v18
	v_rcp_f32_e32 v12, v7
	v_div_scale_f32 v14, vcc, v18, v5, v18
	v_fma_f32 v17, -v7, v12, 1.0
	v_fmac_f32_e32 v12, v17, v12
	v_mul_f32_e32 v17, v14, v12
	v_fma_f32 v19, -v7, v17, v14
	v_fmac_f32_e32 v17, v19, v12
	v_fma_f32 v7, -v7, v17, v14
	v_div_fmas_f32 v7, v7, v12, v17
	v_div_fixup_f32 v12, v7, v5, v18
	v_mov_b32_e32 v7, 0x7fc00000
	v_cndmask_b32_e64 v12, v12, v7, s[30:31]
	global_store_dword v[0:1], v12, off offset:512
	s_and_b64 exec, exec, s[20:21]
	s_cbranch_execz .LBB399_50
; %bb.39:
	v_div_scale_f32 v12, s[20:21], v5, v5, v16
	v_rcp_f32_e32 v14, v12
	v_div_scale_f32 v17, vcc, v16, v5, v16
	v_fma_f32 v18, -v12, v14, 1.0
	v_fmac_f32_e32 v14, v18, v14
	v_mul_f32_e32 v18, v17, v14
	v_fma_f32 v19, -v12, v18, v17
	v_fmac_f32_e32 v18, v19, v14
	v_fma_f32 v12, -v12, v18, v17
	v_div_fmas_f32 v12, v12, v14, v18
	v_div_fixup_f32 v12, v12, v5, v16
	v_cndmask_b32_e64 v7, v12, v7, s[30:31]
	global_store_dword v[0:1], v7, off offset:640
	s_and_b64 exec, exec, s[18:19]
	s_cbranch_execz .LBB399_50
; %bb.40:
	v_div_scale_f32 v7, s[18:19], v5, v5, v15
	v_rcp_f32_e32 v12, v7
	v_div_scale_f32 v14, vcc, v15, v5, v15
	v_fma_f32 v16, -v7, v12, 1.0
	v_fmac_f32_e32 v12, v16, v12
	v_mul_f32_e32 v16, v14, v12
	v_fma_f32 v17, -v7, v16, v14
	v_fmac_f32_e32 v16, v17, v12
	v_fma_f32 v7, -v7, v16, v14
	v_div_fmas_f32 v7, v7, v12, v16
	v_div_fixup_f32 v12, v7, v5, v15
	v_mov_b32_e32 v7, 0x7fc00000
	v_cndmask_b32_e64 v12, v12, v7, s[30:31]
	global_store_dword v[0:1], v12, off offset:768
	s_and_b64 exec, exec, s[16:17]
	s_cbranch_execz .LBB399_50
; %bb.41:
	v_div_scale_f32 v12, s[16:17], v5, v5, v13
	v_rcp_f32_e32 v14, v12
	v_div_scale_f32 v15, vcc, v13, v5, v13
	v_fma_f32 v16, -v12, v14, 1.0
	v_fmac_f32_e32 v14, v16, v14
	v_mul_f32_e32 v16, v15, v14
	v_fma_f32 v17, -v12, v16, v15
	v_fmac_f32_e32 v16, v17, v14
	v_fma_f32 v12, -v12, v16, v15
	v_div_fmas_f32 v12, v12, v14, v16
	v_div_fixup_f32 v12, v12, v5, v13
	v_cndmask_b32_e64 v7, v12, v7, s[30:31]
	global_store_dword v[0:1], v7, off offset:896
	s_and_b64 exec, exec, s[14:15]
	s_cbranch_execz .LBB399_50
; %bb.42:
	v_div_scale_f32 v7, s[14:15], v5, v5, v11
	v_rcp_f32_e32 v12, v7
	v_div_scale_f32 v13, vcc, v11, v5, v11
	v_fma_f32 v14, -v7, v12, 1.0
	v_fmac_f32_e32 v12, v14, v12
	v_mul_f32_e32 v14, v13, v12
	v_fma_f32 v15, -v7, v14, v13
	v_fmac_f32_e32 v14, v15, v12
	v_fma_f32 v7, -v7, v14, v13
	v_div_fmas_f32 v7, v7, v12, v14
	v_div_fixup_f32 v11, v7, v5, v11
	v_mov_b32_e32 v7, 0x7fc00000
	v_cndmask_b32_e64 v11, v11, v7, s[30:31]
	global_store_dword v[0:1], v11, off offset:1024
	s_and_b64 exec, exec, s[12:13]
	s_cbranch_execz .LBB399_50
; %bb.43:
	v_div_scale_f32 v11, s[12:13], v5, v5, v10
	v_rcp_f32_e32 v12, v11
	v_div_scale_f32 v13, vcc, v10, v5, v10
	v_fma_f32 v14, -v11, v12, 1.0
	v_fmac_f32_e32 v12, v14, v12
	v_mul_f32_e32 v14, v13, v12
	v_fma_f32 v15, -v11, v14, v13
	v_fmac_f32_e32 v14, v15, v12
	v_fma_f32 v11, -v11, v14, v13
	v_div_fmas_f32 v11, v11, v12, v14
	v_div_fixup_f32 v10, v11, v5, v10
	v_cndmask_b32_e64 v7, v10, v7, s[30:31]
	global_store_dword v[0:1], v7, off offset:1152
	s_and_b64 exec, exec, s[10:11]
	s_cbranch_execz .LBB399_50
; %bb.44:
	v_div_scale_f32 v7, s[10:11], v5, v5, v9
	v_rcp_f32_e32 v10, v7
	v_div_scale_f32 v11, vcc, v9, v5, v9
	v_fma_f32 v12, -v7, v10, 1.0
	v_fmac_f32_e32 v10, v12, v10
	v_mul_f32_e32 v12, v11, v10
	v_fma_f32 v13, -v7, v12, v11
	v_fmac_f32_e32 v12, v13, v10
	v_fma_f32 v7, -v7, v12, v11
	v_div_fmas_f32 v7, v7, v10, v12
	v_div_fixup_f32 v9, v7, v5, v9
	v_mov_b32_e32 v7, 0x7fc00000
	v_cndmask_b32_e64 v9, v9, v7, s[30:31]
	global_store_dword v[0:1], v9, off offset:1280
	s_and_b64 exec, exec, s[8:9]
	s_cbranch_execz .LBB399_50
; %bb.45:
	v_div_scale_f32 v9, s[8:9], v5, v5, v8
	v_rcp_f32_e32 v10, v9
	v_div_scale_f32 v11, vcc, v8, v5, v8
	v_fma_f32 v12, -v9, v10, 1.0
	v_fmac_f32_e32 v10, v12, v10
	v_mul_f32_e32 v12, v11, v10
	v_fma_f32 v13, -v9, v12, v11
	v_fmac_f32_e32 v12, v13, v10
	v_fma_f32 v9, -v9, v12, v11
	v_div_fmas_f32 v9, v9, v10, v12
	v_div_fixup_f32 v8, v9, v5, v8
	v_cndmask_b32_e64 v7, v8, v7, s[30:31]
	global_store_dword v[0:1], v7, off offset:1408
	s_and_b64 exec, exec, s[6:7]
	s_cbranch_execz .LBB399_50
; %bb.46:
	v_div_scale_f32 v7, s[6:7], v5, v5, v6
	v_rcp_f32_e32 v8, v7
	v_div_scale_f32 v9, vcc, v6, v5, v6
	v_fma_f32 v10, -v7, v8, 1.0
	v_fmac_f32_e32 v8, v10, v8
	v_mul_f32_e32 v10, v9, v8
	v_fma_f32 v11, -v7, v10, v9
	v_fmac_f32_e32 v10, v11, v8
	v_fma_f32 v7, -v7, v10, v9
	v_div_fmas_f32 v7, v7, v8, v10
	v_div_fixup_f32 v7, v7, v5, v6
	v_mov_b32_e32 v6, 0x7fc00000
	v_cndmask_b32_e64 v7, v7, v6, s[30:31]
	global_store_dword v[0:1], v7, off offset:1536
	s_and_b64 exec, exec, s[4:5]
	s_cbranch_execz .LBB399_50
; %bb.47:
	v_div_scale_f32 v7, s[4:5], v5, v5, v4
	v_rcp_f32_e32 v8, v7
	v_div_scale_f32 v9, vcc, v4, v5, v4
	v_fma_f32 v10, -v7, v8, 1.0
	v_fmac_f32_e32 v8, v10, v8
	v_mul_f32_e32 v10, v9, v8
	v_fma_f32 v11, -v7, v10, v9
	v_fmac_f32_e32 v10, v11, v8
	v_fma_f32 v7, -v7, v10, v9
	v_div_fmas_f32 v7, v7, v8, v10
	v_div_fixup_f32 v4, v7, v5, v4
	v_cndmask_b32_e64 v4, v4, v6, s[30:31]
	global_store_dword v[0:1], v4, off offset:1664
	s_and_b64 exec, exec, s[2:3]
	s_cbranch_execz .LBB399_50
; %bb.48:
	v_div_scale_f32 v4, s[2:3], v5, v5, v3
	v_rcp_f32_e32 v6, v4
	v_div_scale_f32 v7, vcc, v3, v5, v3
	v_fma_f32 v8, -v4, v6, 1.0
	v_fmac_f32_e32 v6, v8, v6
	v_mul_f32_e32 v8, v7, v6
	v_fma_f32 v9, -v4, v8, v7
	v_fmac_f32_e32 v8, v9, v6
	v_fma_f32 v4, -v4, v8, v7
	v_div_fmas_f32 v4, v4, v6, v8
	v_div_fixup_f32 v4, v4, v5, v3
	v_mov_b32_e32 v3, 0x7fc00000
	v_cndmask_b32_e64 v4, v4, v3, s[30:31]
	global_store_dword v[0:1], v4, off offset:1792
	s_and_b64 exec, exec, s[0:1]
	s_cbranch_execz .LBB399_50
; %bb.49:
	v_div_scale_f32 v4, s[0:1], v5, v5, v2
	v_rcp_f32_e32 v6, v4
	v_div_scale_f32 v7, vcc, v2, v5, v2
	v_fma_f32 v8, -v4, v6, 1.0
	v_fmac_f32_e32 v6, v8, v6
	v_mul_f32_e32 v8, v7, v6
	v_fma_f32 v9, -v4, v8, v7
	v_fmac_f32_e32 v8, v9, v6
	v_fma_f32 v4, -v4, v8, v7
	v_div_fmas_f32 v4, v4, v6, v8
	v_div_fixup_f32 v2, v4, v5, v2
	v_cndmask_b32_e64 v2, v2, v3, s[30:31]
	global_store_dword v[0:1], v2, off offset:1920
.LBB399_50:
	s_endpgm
	.section	.rodata,"a",@progbits
	.p2align	6, 0x0
	.amdhsa_kernel _ZN12_GLOBAL__N_120softmax_warp_forwardIfffLi9ELb0ELb0ELi32EEEvPT0_PKT_iiiPKbib
		.amdhsa_group_segment_fixed_size 0
		.amdhsa_private_segment_fixed_size 0
		.amdhsa_kernarg_size 304
		.amdhsa_user_sgpr_count 6
		.amdhsa_user_sgpr_private_segment_buffer 1
		.amdhsa_user_sgpr_dispatch_ptr 0
		.amdhsa_user_sgpr_queue_ptr 0
		.amdhsa_user_sgpr_kernarg_segment_ptr 1
		.amdhsa_user_sgpr_dispatch_id 0
		.amdhsa_user_sgpr_flat_scratch_init 0
		.amdhsa_user_sgpr_kernarg_preload_length 0
		.amdhsa_user_sgpr_kernarg_preload_offset 0
		.amdhsa_user_sgpr_private_segment_size 0
		.amdhsa_uses_dynamic_stack 0
		.amdhsa_system_sgpr_private_segment_wavefront_offset 0
		.amdhsa_system_sgpr_workgroup_id_x 1
		.amdhsa_system_sgpr_workgroup_id_y 0
		.amdhsa_system_sgpr_workgroup_id_z 0
		.amdhsa_system_sgpr_workgroup_info 0
		.amdhsa_system_vgpr_workitem_id 1
		.amdhsa_next_free_vgpr 31
		.amdhsa_next_free_sgpr 44
		.amdhsa_accum_offset 32
		.amdhsa_reserve_vcc 1
		.amdhsa_reserve_flat_scratch 0
		.amdhsa_float_round_mode_32 0
		.amdhsa_float_round_mode_16_64 0
		.amdhsa_float_denorm_mode_32 3
		.amdhsa_float_denorm_mode_16_64 3
		.amdhsa_dx10_clamp 1
		.amdhsa_ieee_mode 1
		.amdhsa_fp16_overflow 0
		.amdhsa_tg_split 0
		.amdhsa_exception_fp_ieee_invalid_op 0
		.amdhsa_exception_fp_denorm_src 0
		.amdhsa_exception_fp_ieee_div_zero 0
		.amdhsa_exception_fp_ieee_overflow 0
		.amdhsa_exception_fp_ieee_underflow 0
		.amdhsa_exception_fp_ieee_inexact 0
		.amdhsa_exception_int_div_zero 0
	.end_amdhsa_kernel
	.section	.text._ZN12_GLOBAL__N_120softmax_warp_forwardIfffLi9ELb0ELb0ELi32EEEvPT0_PKT_iiiPKbib,"axG",@progbits,_ZN12_GLOBAL__N_120softmax_warp_forwardIfffLi9ELb0ELb0ELi32EEEvPT0_PKT_iiiPKbib,comdat
.Lfunc_end399:
	.size	_ZN12_GLOBAL__N_120softmax_warp_forwardIfffLi9ELb0ELb0ELi32EEEvPT0_PKT_iiiPKbib, .Lfunc_end399-_ZN12_GLOBAL__N_120softmax_warp_forwardIfffLi9ELb0ELb0ELi32EEEvPT0_PKT_iiiPKbib
                                        ; -- End function
	.section	.AMDGPU.csdata,"",@progbits
; Kernel info:
; codeLenInByte = 4592
; NumSgprs: 48
; NumVgprs: 31
; NumAgprs: 0
; TotalNumVgprs: 31
; ScratchSize: 0
; MemoryBound: 0
; FloatMode: 240
; IeeeMode: 1
; LDSByteSize: 0 bytes/workgroup (compile time only)
; SGPRBlocks: 5
; VGPRBlocks: 3
; NumSGPRsForWavesPerEU: 48
; NumVGPRsForWavesPerEU: 31
; AccumOffset: 32
; Occupancy: 8
; WaveLimiterHint : 0
; COMPUTE_PGM_RSRC2:SCRATCH_EN: 0
; COMPUTE_PGM_RSRC2:USER_SGPR: 6
; COMPUTE_PGM_RSRC2:TRAP_HANDLER: 0
; COMPUTE_PGM_RSRC2:TGID_X_EN: 1
; COMPUTE_PGM_RSRC2:TGID_Y_EN: 0
; COMPUTE_PGM_RSRC2:TGID_Z_EN: 0
; COMPUTE_PGM_RSRC2:TIDIG_COMP_CNT: 1
; COMPUTE_PGM_RSRC3_GFX90A:ACCUM_OFFSET: 7
; COMPUTE_PGM_RSRC3_GFX90A:TG_SPLIT: 0
	.section	.text._ZN12_GLOBAL__N_120softmax_warp_forwardIfffLi10ELb0ELb0ELi64EEEvPT0_PKT_iiiPKbib,"axG",@progbits,_ZN12_GLOBAL__N_120softmax_warp_forwardIfffLi10ELb0ELb0ELi64EEEvPT0_PKT_iiiPKbib,comdat
	.globl	_ZN12_GLOBAL__N_120softmax_warp_forwardIfffLi10ELb0ELb0ELi64EEEvPT0_PKT_iiiPKbib ; -- Begin function _ZN12_GLOBAL__N_120softmax_warp_forwardIfffLi10ELb0ELb0ELi64EEEvPT0_PKT_iiiPKbib
	.p2align	8
	.type	_ZN12_GLOBAL__N_120softmax_warp_forwardIfffLi10ELb0ELb0ELi64EEEvPT0_PKT_iiiPKbib,@function
_ZN12_GLOBAL__N_120softmax_warp_forwardIfffLi10ELb0ELb0ELi64EEEvPT0_PKT_iiiPKbib: ; @_ZN12_GLOBAL__N_120softmax_warp_forwardIfffLi10ELb0ELb0ELi64EEEvPT0_PKT_iiiPKbib
; %bb.0:
	s_load_dword s0, s[4:5], 0x3c
	s_load_dwordx8 s[36:43], s[4:5], 0x0
	v_bfe_u32 v1, v0, 10, 10
	v_and_b32_e32 v4, 0x3ff, v0
	v_mov_b32_e32 v18, 0xff800000
	s_waitcnt lgkmcnt(0)
	s_lshr_b32 s0, s0, 16
	s_mul_i32 s6, s6, s0
	v_add_u32_e32 v1, s6, v1
	v_sub_u32_e32 v5, s40, v1
	v_mad_u64_u32 v[0:1], s[0:1], v1, s41, v[4:5]
	v_ashrrev_i32_e32 v1, 31, v0
	v_lshlrev_b64 v[0:1], 2, v[0:1]
	v_mov_b32_e32 v3, s39
	v_add_co_u32_e32 v2, vcc, s38, v0
	v_addc_co_u32_e32 v3, vcc, v3, v1, vcc
	v_cmp_lt_i32_e64 s[30:31], 0, v5
	v_cmp_gt_i32_e32 vcc, s42, v4
	s_and_b64 s[2:3], s[30:31], vcc
	v_mov_b32_e32 v25, 0xff800000
	s_and_saveexec_b64 s[0:1], s[2:3]
	s_cbranch_execz .LBB400_2
; %bb.1:
	global_load_dword v25, v[2:3], off
.LBB400_2:
	s_or_b64 exec, exec, s[0:1]
	v_add_u32_e32 v6, 64, v4
	v_cmp_gt_i32_e64 s[28:29], s42, v6
	s_and_b64 s[2:3], s[30:31], s[28:29]
	s_and_saveexec_b64 s[0:1], s[2:3]
	s_cbranch_execz .LBB400_4
; %bb.3:
	global_load_dword v18, v[2:3], off offset:256
.LBB400_4:
	s_or_b64 exec, exec, s[0:1]
	v_add_u32_e32 v6, 0x80, v4
	v_cmp_gt_i32_e64 s[26:27], s42, v6
	s_and_b64 s[2:3], s[30:31], s[26:27]
	v_mov_b32_e32 v15, 0xff800000
	v_mov_b32_e32 v23, 0xff800000
	s_and_saveexec_b64 s[0:1], s[2:3]
	s_cbranch_execz .LBB400_6
; %bb.5:
	global_load_dword v23, v[2:3], off offset:512
.LBB400_6:
	s_or_b64 exec, exec, s[0:1]
	v_add_u32_e32 v6, 0xc0, v4
	v_cmp_gt_i32_e64 s[24:25], s42, v6
	s_and_b64 s[2:3], s[30:31], s[24:25]
	s_and_saveexec_b64 s[0:1], s[2:3]
	s_cbranch_execz .LBB400_8
; %bb.7:
	global_load_dword v15, v[2:3], off offset:768
.LBB400_8:
	s_or_b64 exec, exec, s[0:1]
	v_add_u32_e32 v6, 0x100, v4
	v_cmp_gt_i32_e64 s[22:23], s42, v6
	s_and_b64 s[2:3], s[30:31], s[22:23]
	v_mov_b32_e32 v12, 0xff800000
	v_mov_b32_e32 v20, 0xff800000
	s_and_saveexec_b64 s[0:1], s[2:3]
	s_cbranch_execz .LBB400_10
; %bb.9:
	global_load_dword v20, v[2:3], off offset:1024
.LBB400_10:
	;; [unrolled: 20-line block ×7, first 2 shown]
	s_or_b64 exec, exec, s[0:1]
	v_add_u32_e32 v4, 0x3c0, v4
	v_cmp_gt_i32_e64 s[0:1], s42, v4
	s_and_b64 s[34:35], s[30:31], s[0:1]
	s_and_saveexec_b64 s[30:31], s[34:35]
	s_cbranch_execz .LBB400_32
; %bb.31:
	global_load_dword v6, v[2:3], off offset:3840
.LBB400_32:
	s_or_b64 exec, exec, s[30:31]
	s_waitcnt vmcnt(0)
	v_cmp_gt_f32_e64 s[30:31], v25, v18
	v_cndmask_b32_e64 v2, v18, v25, s[30:31]
	v_cmp_gt_f32_e64 s[30:31], v2, v23
	v_cndmask_b32_e64 v2, v23, v2, s[30:31]
	;; [unrolled: 2-line block ×13, first 2 shown]
	v_mbcnt_lo_u32_b32 v3, -1, 0
	v_cmp_gt_f32_e64 s[30:31], v2, v11
	v_mbcnt_hi_u32_b32 v3, -1, v3
	v_cndmask_b32_e64 v2, v11, v2, s[30:31]
	v_and_b32_e32 v4, 64, v3
	v_cmp_gt_f32_e64 s[30:31], v2, v6
	v_add_u32_e32 v4, 64, v4
	v_xor_b32_e32 v19, 32, v3
	v_cndmask_b32_e64 v2, v6, v2, s[30:31]
	v_cmp_lt_i32_e64 s[30:31], v19, v4
	v_cndmask_b32_e64 v19, v3, v19, s[30:31]
	v_lshlrev_b32_e32 v19, 2, v19
	ds_bpermute_b32 v21, v19, v2
	s_mov_b32 s34, 0x3fb8aa3b
	s_mov_b32 s33, 0xc2ce8ed0
	;; [unrolled: 1-line block ×3, first 2 shown]
	s_waitcnt lgkmcnt(0)
	v_cmp_lt_f32_e64 s[30:31], v2, v21
	v_cndmask_b32_e64 v2, v2, v21, s[30:31]
	v_xor_b32_e32 v21, 16, v3
	v_cmp_lt_i32_e64 s[30:31], v21, v4
	v_cndmask_b32_e64 v21, v3, v21, s[30:31]
	v_lshlrev_b32_e32 v21, 2, v21
	ds_bpermute_b32 v22, v21, v2
	s_waitcnt lgkmcnt(0)
	v_cmp_lt_f32_e64 s[30:31], v2, v22
	v_cndmask_b32_e64 v2, v2, v22, s[30:31]
	v_xor_b32_e32 v22, 8, v3
	v_cmp_lt_i32_e64 s[30:31], v22, v4
	v_cndmask_b32_e64 v22, v3, v22, s[30:31]
	v_lshlrev_b32_e32 v22, 2, v22
	ds_bpermute_b32 v24, v22, v2
	;; [unrolled: 8-line block ×5, first 2 shown]
	s_waitcnt lgkmcnt(0)
	v_cmp_lt_f32_e64 s[30:31], v2, v3
	v_cndmask_b32_e64 v2, v2, v3, s[30:31]
	v_sub_f32_e32 v3, v25, v2
	v_mul_f32_e32 v4, 0x3fb8aa3b, v3
	v_fma_f32 v25, v3, s34, -v4
	v_rndne_f32_e32 v27, v4
	v_fmac_f32_e32 v25, 0x32a5705f, v3
	v_sub_f32_e32 v4, v4, v27
	v_add_f32_e32 v4, v4, v25
	v_exp_f32_e32 v4, v4
	v_cvt_i32_f32_e32 v25, v27
	v_sub_f32_e32 v18, v18, v2
	v_cmp_ngt_f32_e64 s[30:31], s33, v3
	v_sub_f32_e32 v15, v15, v2
	v_ldexp_f32 v4, v4, v25
	v_mul_f32_e32 v25, 0x3fb8aa3b, v18
	v_fma_f32 v27, v18, s34, -v25
	v_rndne_f32_e32 v29, v25
	v_fmac_f32_e32 v27, 0x32a5705f, v18
	v_sub_f32_e32 v25, v25, v29
	v_add_f32_e32 v25, v25, v27
	v_exp_f32_e32 v25, v25
	v_cvt_i32_f32_e32 v30, v29
	v_cndmask_b32_e64 v4, 0, v4, s[30:31]
	v_mov_b32_e32 v29, 0x7f800000
	v_cmp_nlt_f32_e64 s[30:31], s35, v3
	v_cndmask_b32_e64 v27, v29, v4, s[30:31]
	v_sub_f32_e32 v4, v23, v2
	v_mul_f32_e32 v23, 0x3fb8aa3b, v4
	v_ldexp_f32 v3, v25, v30
	v_fma_f32 v25, v4, s34, -v23
	v_rndne_f32_e32 v30, v23
	v_fmac_f32_e32 v25, 0x32a5705f, v4
	v_sub_f32_e32 v23, v23, v30
	v_add_f32_e32 v23, v23, v25
	v_exp_f32_e32 v23, v23
	v_cvt_i32_f32_e32 v30, v30
	v_cmp_ngt_f32_e64 s[30:31], s33, v18
	v_cndmask_b32_e64 v3, 0, v3, s[30:31]
	v_cmp_nlt_f32_e64 s[30:31], s35, v18
	v_ldexp_f32 v18, v23, v30
	v_mul_f32_e32 v23, 0x3fb8aa3b, v15
	v_fma_f32 v30, v15, s34, -v23
	v_rndne_f32_e32 v31, v23
	v_fmac_f32_e32 v30, 0x32a5705f, v15
	v_sub_f32_e32 v23, v23, v31
	v_add_f32_e32 v23, v23, v30
	v_cndmask_b32_e64 v25, v29, v3, s[30:31]
	v_cmp_ngt_f32_e64 s[30:31], s33, v4
	v_exp_f32_e32 v30, v23
	v_cvt_i32_f32_e32 v31, v31
	v_cndmask_b32_e64 v18, 0, v18, s[30:31]
	v_cmp_nlt_f32_e64 s[30:31], s35, v4
	v_cndmask_b32_e64 v23, v29, v18, s[30:31]
	v_sub_f32_e32 v18, v20, v2
	v_mul_f32_e32 v20, 0x3fb8aa3b, v18
	v_ldexp_f32 v4, v30, v31
	v_fma_f32 v30, v18, s34, -v20
	v_rndne_f32_e32 v31, v20
	v_fmac_f32_e32 v30, 0x32a5705f, v18
	v_sub_f32_e32 v20, v20, v31
	v_add_f32_e32 v20, v20, v30
	v_exp_f32_e32 v30, v20
	v_cvt_i32_f32_e32 v31, v31
	v_cmp_ngt_f32_e64 s[30:31], s33, v15
	v_sub_f32_e32 v12, v12, v2
	v_cndmask_b32_e64 v4, 0, v4, s[30:31]
	v_cmp_nlt_f32_e64 s[30:31], s35, v15
	v_mul_f32_e32 v15, 0x3fb8aa3b, v12
	v_cndmask_b32_e64 v20, v29, v4, s[30:31]
	v_ldexp_f32 v4, v30, v31
	v_fma_f32 v30, v12, s34, -v15
	v_rndne_f32_e32 v31, v15
	v_fmac_f32_e32 v30, 0x32a5705f, v12
	v_sub_f32_e32 v15, v15, v31
	v_add_f32_e32 v15, v15, v30
	v_exp_f32_e32 v15, v15
	v_cvt_i32_f32_e32 v30, v31
	v_cmp_ngt_f32_e64 s[30:31], s33, v18
	v_cndmask_b32_e64 v4, 0, v4, s[30:31]
	v_cmp_nlt_f32_e64 s[30:31], s35, v18
	v_cndmask_b32_e64 v18, v29, v4, s[30:31]
	v_ldexp_f32 v4, v15, v30
	v_sub_f32_e32 v15, v17, v2
	v_mul_f32_e32 v17, 0x3fb8aa3b, v15
	v_fma_f32 v30, v15, s34, -v17
	v_rndne_f32_e32 v31, v17
	v_fmac_f32_e32 v30, 0x32a5705f, v15
	v_sub_f32_e32 v17, v17, v31
	v_add_f32_e32 v17, v17, v30
	v_exp_f32_e32 v30, v17
	v_cvt_i32_f32_e32 v31, v31
	v_cmp_ngt_f32_e64 s[30:31], s33, v12
	v_sub_f32_e32 v10, v10, v2
	v_cndmask_b32_e64 v4, 0, v4, s[30:31]
	v_cmp_nlt_f32_e64 s[30:31], s35, v12
	v_mul_f32_e32 v12, 0x3fb8aa3b, v10
	v_cndmask_b32_e64 v17, v29, v4, s[30:31]
	v_ldexp_f32 v4, v30, v31
	v_fma_f32 v30, v10, s34, -v12
	v_rndne_f32_e32 v31, v12
	v_fmac_f32_e32 v30, 0x32a5705f, v10
	v_sub_f32_e32 v12, v12, v31
	v_add_f32_e32 v12, v12, v30
	v_exp_f32_e32 v12, v12
	v_cvt_i32_f32_e32 v30, v31
	v_cmp_ngt_f32_e64 s[30:31], s33, v15
	v_cndmask_b32_e64 v4, 0, v4, s[30:31]
	v_cmp_nlt_f32_e64 s[30:31], s35, v15
	v_cndmask_b32_e64 v15, v29, v4, s[30:31]
	v_ldexp_f32 v4, v12, v30
	v_sub_f32_e32 v12, v14, v2
	v_mul_f32_e32 v14, 0x3fb8aa3b, v12
	v_fma_f32 v30, v12, s34, -v14
	v_rndne_f32_e32 v31, v14
	v_fmac_f32_e32 v30, 0x32a5705f, v12
	v_sub_f32_e32 v14, v14, v31
	v_add_f32_e32 v14, v14, v30
	v_exp_f32_e32 v30, v14
	v_cvt_i32_f32_e32 v31, v31
	v_cmp_ngt_f32_e64 s[30:31], s33, v10
	v_sub_f32_e32 v9, v9, v2
	v_cndmask_b32_e64 v4, 0, v4, s[30:31]
	v_cmp_nlt_f32_e64 s[30:31], s35, v10
	v_mul_f32_e32 v10, 0x3fb8aa3b, v9
	v_cndmask_b32_e64 v14, v29, v4, s[30:31]
	v_ldexp_f32 v4, v30, v31
	v_fma_f32 v30, v9, s34, -v10
	v_rndne_f32_e32 v31, v10
	v_fmac_f32_e32 v30, 0x32a5705f, v9
	v_sub_f32_e32 v10, v10, v31
	v_add_f32_e32 v10, v10, v30
	v_exp_f32_e32 v10, v10
	v_cvt_i32_f32_e32 v30, v31
	v_cmp_ngt_f32_e64 s[30:31], s33, v12
	v_cndmask_b32_e64 v4, 0, v4, s[30:31]
	v_cmp_nlt_f32_e64 s[30:31], s35, v12
	v_sub_f32_e32 v16, v16, v2
	v_cndmask_b32_e64 v12, v29, v4, s[30:31]
	v_ldexp_f32 v4, v10, v30
	v_mul_f32_e32 v10, 0x3fb8aa3b, v16
	v_fma_f32 v30, v16, s34, -v10
	v_rndne_f32_e32 v31, v10
	v_fmac_f32_e32 v30, 0x32a5705f, v16
	v_sub_f32_e32 v10, v10, v31
	v_add_f32_e32 v10, v10, v30
	v_exp_f32_e32 v30, v10
	v_cvt_i32_f32_e32 v31, v31
	v_cmp_ngt_f32_e64 s[30:31], s33, v9
	v_sub_f32_e32 v8, v8, v2
	v_cndmask_b32_e64 v4, 0, v4, s[30:31]
	v_cmp_nlt_f32_e64 s[30:31], s35, v9
	v_mul_f32_e32 v9, 0x3fb8aa3b, v8
	v_cndmask_b32_e64 v10, v29, v4, s[30:31]
	v_ldexp_f32 v4, v30, v31
	v_fma_f32 v30, v8, s34, -v9
	v_rndne_f32_e32 v31, v9
	v_fmac_f32_e32 v30, 0x32a5705f, v8
	v_sub_f32_e32 v9, v9, v31
	v_add_f32_e32 v9, v9, v30
	v_exp_f32_e32 v30, v9
	v_cvt_i32_f32_e32 v31, v31
	v_cmp_ngt_f32_e64 s[30:31], s33, v16
	v_sub_f32_e32 v13, v13, v2
	v_cndmask_b32_e64 v4, 0, v4, s[30:31]
	v_cmp_nlt_f32_e64 s[30:31], s35, v16
	v_mul_f32_e32 v16, 0x3fb8aa3b, v13
	v_cndmask_b32_e64 v9, v29, v4, s[30:31]
	v_ldexp_f32 v4, v30, v31
	v_fma_f32 v30, v13, s34, -v16
	v_rndne_f32_e32 v31, v16
	v_fmac_f32_e32 v30, 0x32a5705f, v13
	v_sub_f32_e32 v16, v16, v31
	v_add_f32_e32 v16, v16, v30
	v_exp_f32_e32 v16, v16
	v_cvt_i32_f32_e32 v30, v31
	v_cmp_ngt_f32_e64 s[30:31], s33, v8
	v_cndmask_b32_e64 v4, 0, v4, s[30:31]
	v_cmp_nlt_f32_e64 s[30:31], s35, v8
	v_cndmask_b32_e64 v8, v29, v4, s[30:31]
	v_ldexp_f32 v4, v16, v30
	v_sub_f32_e32 v16, v7, v2
	v_mul_f32_e32 v7, 0x3fb8aa3b, v16
	v_fma_f32 v30, v16, s34, -v7
	v_rndne_f32_e32 v31, v7
	v_fmac_f32_e32 v30, 0x32a5705f, v16
	v_sub_f32_e32 v7, v7, v31
	v_add_f32_e32 v3, v27, v25
	v_add_f32_e32 v7, v7, v30
	v_add_f32_e32 v3, v3, v23
	v_exp_f32_e32 v30, v7
	v_cvt_i32_f32_e32 v31, v31
	v_add_f32_e32 v3, v3, v20
	v_add_f32_e32 v3, v3, v18
	v_cmp_ngt_f32_e64 s[30:31], s33, v13
	v_sub_f32_e32 v11, v11, v2
	v_add_f32_e32 v3, v3, v17
	v_cndmask_b32_e64 v4, 0, v4, s[30:31]
	v_cmp_nlt_f32_e64 s[30:31], s35, v13
	v_mul_f32_e32 v13, 0x3fb8aa3b, v11
	v_add_f32_e32 v3, v3, v15
	v_cndmask_b32_e64 v7, v29, v4, s[30:31]
	v_ldexp_f32 v4, v30, v31
	v_fma_f32 v30, v11, s34, -v13
	v_rndne_f32_e32 v31, v13
	v_add_f32_e32 v3, v3, v14
	v_fmac_f32_e32 v30, 0x32a5705f, v11
	v_sub_f32_e32 v13, v13, v31
	v_add_f32_e32 v3, v3, v12
	v_add_f32_e32 v13, v13, v30
	;; [unrolled: 1-line block ×3, first 2 shown]
	v_exp_f32_e32 v13, v13
	v_cvt_i32_f32_e32 v30, v31
	v_add_f32_e32 v3, v3, v9
	v_cmp_ngt_f32_e64 s[30:31], s33, v16
	v_add_f32_e32 v3, v3, v8
	v_cndmask_b32_e64 v4, 0, v4, s[30:31]
	v_cmp_nlt_f32_e64 s[30:31], s35, v16
	v_sub_f32_e32 v2, v6, v2
	v_add_f32_e32 v3, v3, v7
	v_cndmask_b32_e64 v4, v29, v4, s[30:31]
	v_mul_f32_e32 v6, 0x3fb8aa3b, v2
	v_add_f32_e32 v16, v3, v4
	v_ldexp_f32 v3, v13, v30
	v_fma_f32 v13, v2, s34, -v6
	v_rndne_f32_e32 v30, v6
	v_fmac_f32_e32 v13, 0x32a5705f, v2
	v_sub_f32_e32 v6, v6, v30
	v_add_f32_e32 v6, v6, v13
	v_exp_f32_e32 v6, v6
	v_cvt_i32_f32_e32 v13, v30
	v_cmp_ngt_f32_e64 s[30:31], s33, v11
	v_cndmask_b32_e64 v3, 0, v3, s[30:31]
	v_cmp_nlt_f32_e64 s[30:31], s35, v11
	v_cndmask_b32_e64 v3, v29, v3, s[30:31]
	v_ldexp_f32 v6, v6, v13
	v_cmp_ngt_f32_e64 s[30:31], s33, v2
	v_cndmask_b32_e64 v6, 0, v6, s[30:31]
	v_cmp_nlt_f32_e64 s[30:31], s35, v2
	v_add_f32_e32 v11, v16, v3
	v_cndmask_b32_e64 v2, v29, v6, s[30:31]
	v_add_f32_e32 v6, v11, v2
	ds_bpermute_b32 v11, v19, v6
	v_cmp_lt_i32_e64 s[30:31], 0, v5
	s_waitcnt lgkmcnt(0)
	v_add_f32_e32 v6, v6, v11
	ds_bpermute_b32 v11, v21, v6
	s_waitcnt lgkmcnt(0)
	v_add_f32_e32 v6, v6, v11
	ds_bpermute_b32 v11, v22, v6
	;; [unrolled: 3-line block ×5, first 2 shown]
	s_and_saveexec_b64 s[34:35], s[30:31]
	s_cbranch_execz .LBB400_50
; %bb.33:
	s_and_b64 exec, exec, vcc
	s_cbranch_execz .LBB400_50
; %bb.34:
	s_waitcnt lgkmcnt(0)
	v_add_f32_e32 v5, v6, v11
	v_div_scale_f32 v11, s[30:31], v5, v5, v27
	v_rcp_f32_e32 v13, v11
	v_mov_b32_e32 v6, s37
	v_add_co_u32_e32 v0, vcc, s36, v0
	v_addc_co_u32_e32 v1, vcc, v6, v1, vcc
	v_fma_f32 v6, -v11, v13, 1.0
	v_fmac_f32_e32 v13, v6, v13
	v_div_scale_f32 v6, vcc, v27, v5, v27
	v_mul_f32_e32 v16, v6, v13
	v_fma_f32 v19, -v11, v16, v6
	v_fmac_f32_e32 v16, v19, v13
	v_fma_f32 v6, -v11, v16, v6
	v_div_fmas_f32 v6, v6, v13, v16
	v_div_fixup_f32 v11, v6, v5, v27
	v_mov_b32_e32 v6, 0x7fc00000
	v_cmp_eq_f32_e64 s[30:31], 0, v5
	v_cndmask_b32_e64 v11, v11, v6, s[30:31]
	global_store_dword v[0:1], v11, off
	s_and_b64 exec, exec, s[28:29]
	s_cbranch_execz .LBB400_50
; %bb.35:
	v_div_scale_f32 v11, s[28:29], v5, v5, v25
	v_rcp_f32_e32 v13, v11
	v_div_scale_f32 v16, vcc, v25, v5, v25
	v_fma_f32 v19, -v11, v13, 1.0
	v_fmac_f32_e32 v13, v19, v13
	v_mul_f32_e32 v19, v16, v13
	v_fma_f32 v21, -v11, v19, v16
	v_fmac_f32_e32 v19, v21, v13
	v_fma_f32 v11, -v11, v19, v16
	v_div_fmas_f32 v11, v11, v13, v19
	v_div_fixup_f32 v11, v11, v5, v25
	v_cndmask_b32_e64 v6, v11, v6, s[30:31]
	global_store_dword v[0:1], v6, off offset:256
	s_and_b64 exec, exec, s[26:27]
	s_cbranch_execz .LBB400_50
; %bb.36:
	v_div_scale_f32 v6, s[26:27], v5, v5, v23
	v_rcp_f32_e32 v11, v6
	v_div_scale_f32 v13, vcc, v23, v5, v23
	v_fma_f32 v16, -v6, v11, 1.0
	v_fmac_f32_e32 v11, v16, v11
	v_mul_f32_e32 v16, v13, v11
	v_fma_f32 v19, -v6, v16, v13
	v_fmac_f32_e32 v16, v19, v11
	v_fma_f32 v6, -v6, v16, v13
	v_div_fmas_f32 v6, v6, v11, v16
	v_div_fixup_f32 v11, v6, v5, v23
	v_mov_b32_e32 v6, 0x7fc00000
	v_cndmask_b32_e64 v11, v11, v6, s[30:31]
	global_store_dword v[0:1], v11, off offset:512
	s_and_b64 exec, exec, s[24:25]
	s_cbranch_execz .LBB400_50
; %bb.37:
	v_div_scale_f32 v11, s[24:25], v5, v5, v20
	v_rcp_f32_e32 v13, v11
	v_div_scale_f32 v16, vcc, v20, v5, v20
	v_fma_f32 v19, -v11, v13, 1.0
	v_fmac_f32_e32 v13, v19, v13
	v_mul_f32_e32 v19, v16, v13
	v_fma_f32 v21, -v11, v19, v16
	v_fmac_f32_e32 v19, v21, v13
	v_fma_f32 v11, -v11, v19, v16
	v_div_fmas_f32 v11, v11, v13, v19
	v_div_fixup_f32 v11, v11, v5, v20
	v_cndmask_b32_e64 v6, v11, v6, s[30:31]
	global_store_dword v[0:1], v6, off offset:768
	s_and_b64 exec, exec, s[22:23]
	s_cbranch_execz .LBB400_50
; %bb.38:
	v_div_scale_f32 v6, s[22:23], v5, v5, v18
	v_rcp_f32_e32 v11, v6
	v_div_scale_f32 v13, vcc, v18, v5, v18
	v_fma_f32 v16, -v6, v11, 1.0
	v_fmac_f32_e32 v11, v16, v11
	v_mul_f32_e32 v16, v13, v11
	v_fma_f32 v19, -v6, v16, v13
	v_fmac_f32_e32 v16, v19, v11
	v_fma_f32 v6, -v6, v16, v13
	v_div_fmas_f32 v6, v6, v11, v16
	v_div_fixup_f32 v11, v6, v5, v18
	v_mov_b32_e32 v6, 0x7fc00000
	v_cndmask_b32_e64 v11, v11, v6, s[30:31]
	global_store_dword v[0:1], v11, off offset:1024
	;; [unrolled: 33-line block ×7, first 2 shown]
	s_and_b64 exec, exec, s[0:1]
	s_cbranch_execz .LBB400_50
; %bb.49:
	v_div_scale_f32 v4, s[0:1], v5, v5, v2
	v_rcp_f32_e32 v6, v4
	v_div_scale_f32 v7, vcc, v2, v5, v2
	v_fma_f32 v8, -v4, v6, 1.0
	v_fmac_f32_e32 v6, v8, v6
	v_mul_f32_e32 v8, v7, v6
	v_fma_f32 v9, -v4, v8, v7
	v_fmac_f32_e32 v8, v9, v6
	v_fma_f32 v4, -v4, v8, v7
	v_div_fmas_f32 v4, v4, v6, v8
	v_div_fixup_f32 v2, v4, v5, v2
	v_cndmask_b32_e64 v2, v2, v3, s[30:31]
	global_store_dword v[0:1], v2, off offset:3840
.LBB400_50:
	s_endpgm
	.section	.rodata,"a",@progbits
	.p2align	6, 0x0
	.amdhsa_kernel _ZN12_GLOBAL__N_120softmax_warp_forwardIfffLi10ELb0ELb0ELi64EEEvPT0_PKT_iiiPKbib
		.amdhsa_group_segment_fixed_size 0
		.amdhsa_private_segment_fixed_size 0
		.amdhsa_kernarg_size 304
		.amdhsa_user_sgpr_count 6
		.amdhsa_user_sgpr_private_segment_buffer 1
		.amdhsa_user_sgpr_dispatch_ptr 0
		.amdhsa_user_sgpr_queue_ptr 0
		.amdhsa_user_sgpr_kernarg_segment_ptr 1
		.amdhsa_user_sgpr_dispatch_id 0
		.amdhsa_user_sgpr_flat_scratch_init 0
		.amdhsa_user_sgpr_kernarg_preload_length 0
		.amdhsa_user_sgpr_kernarg_preload_offset 0
		.amdhsa_user_sgpr_private_segment_size 0
		.amdhsa_uses_dynamic_stack 0
		.amdhsa_system_sgpr_private_segment_wavefront_offset 0
		.amdhsa_system_sgpr_workgroup_id_x 1
		.amdhsa_system_sgpr_workgroup_id_y 0
		.amdhsa_system_sgpr_workgroup_id_z 0
		.amdhsa_system_sgpr_workgroup_info 0
		.amdhsa_system_vgpr_workitem_id 1
		.amdhsa_next_free_vgpr 32
		.amdhsa_next_free_sgpr 44
		.amdhsa_accum_offset 32
		.amdhsa_reserve_vcc 1
		.amdhsa_reserve_flat_scratch 0
		.amdhsa_float_round_mode_32 0
		.amdhsa_float_round_mode_16_64 0
		.amdhsa_float_denorm_mode_32 3
		.amdhsa_float_denorm_mode_16_64 3
		.amdhsa_dx10_clamp 1
		.amdhsa_ieee_mode 1
		.amdhsa_fp16_overflow 0
		.amdhsa_tg_split 0
		.amdhsa_exception_fp_ieee_invalid_op 0
		.amdhsa_exception_fp_denorm_src 0
		.amdhsa_exception_fp_ieee_div_zero 0
		.amdhsa_exception_fp_ieee_overflow 0
		.amdhsa_exception_fp_ieee_underflow 0
		.amdhsa_exception_fp_ieee_inexact 0
		.amdhsa_exception_int_div_zero 0
	.end_amdhsa_kernel
	.section	.text._ZN12_GLOBAL__N_120softmax_warp_forwardIfffLi10ELb0ELb0ELi64EEEvPT0_PKT_iiiPKbib,"axG",@progbits,_ZN12_GLOBAL__N_120softmax_warp_forwardIfffLi10ELb0ELb0ELi64EEEvPT0_PKT_iiiPKbib,comdat
.Lfunc_end400:
	.size	_ZN12_GLOBAL__N_120softmax_warp_forwardIfffLi10ELb0ELb0ELi64EEEvPT0_PKT_iiiPKbib, .Lfunc_end400-_ZN12_GLOBAL__N_120softmax_warp_forwardIfffLi10ELb0ELb0ELi64EEEvPT0_PKT_iiiPKbib
                                        ; -- End function
	.section	.AMDGPU.csdata,"",@progbits
; Kernel info:
; codeLenInByte = 4660
; NumSgprs: 48
; NumVgprs: 32
; NumAgprs: 0
; TotalNumVgprs: 32
; ScratchSize: 0
; MemoryBound: 0
; FloatMode: 240
; IeeeMode: 1
; LDSByteSize: 0 bytes/workgroup (compile time only)
; SGPRBlocks: 5
; VGPRBlocks: 3
; NumSGPRsForWavesPerEU: 48
; NumVGPRsForWavesPerEU: 32
; AccumOffset: 32
; Occupancy: 8
; WaveLimiterHint : 0
; COMPUTE_PGM_RSRC2:SCRATCH_EN: 0
; COMPUTE_PGM_RSRC2:USER_SGPR: 6
; COMPUTE_PGM_RSRC2:TRAP_HANDLER: 0
; COMPUTE_PGM_RSRC2:TGID_X_EN: 1
; COMPUTE_PGM_RSRC2:TGID_Y_EN: 0
; COMPUTE_PGM_RSRC2:TGID_Z_EN: 0
; COMPUTE_PGM_RSRC2:TIDIG_COMP_CNT: 1
; COMPUTE_PGM_RSRC3_GFX90A:ACCUM_OFFSET: 7
; COMPUTE_PGM_RSRC3_GFX90A:TG_SPLIT: 0
	.section	.text._ZN12_GLOBAL__N_120softmax_warp_forwardIfffLi10ELb0ELb0ELi32EEEvPT0_PKT_iiiPKbib,"axG",@progbits,_ZN12_GLOBAL__N_120softmax_warp_forwardIfffLi10ELb0ELb0ELi32EEEvPT0_PKT_iiiPKbib,comdat
	.globl	_ZN12_GLOBAL__N_120softmax_warp_forwardIfffLi10ELb0ELb0ELi32EEEvPT0_PKT_iiiPKbib ; -- Begin function _ZN12_GLOBAL__N_120softmax_warp_forwardIfffLi10ELb0ELb0ELi32EEEvPT0_PKT_iiiPKbib
	.p2align	8
	.type	_ZN12_GLOBAL__N_120softmax_warp_forwardIfffLi10ELb0ELb0ELi32EEEvPT0_PKT_iiiPKbib,@function
_ZN12_GLOBAL__N_120softmax_warp_forwardIfffLi10ELb0ELb0ELi32EEEvPT0_PKT_iiiPKbib: ; @_ZN12_GLOBAL__N_120softmax_warp_forwardIfffLi10ELb0ELb0ELi32EEEvPT0_PKT_iiiPKbib
; %bb.0:
	s_load_dword s0, s[4:5], 0x3c
	s_load_dwordx8 s[68:75], s[4:5], 0x0
	v_bfe_u32 v1, v0, 10, 10
	v_and_b32_e32 v4, 0x3ff, v0
	v_mov_b32_e32 v34, 0xff800000
	s_waitcnt lgkmcnt(0)
	s_lshr_b32 s0, s0, 16
	s_mul_i32 s6, s6, s0
	v_add_u32_e32 v1, s6, v1
	v_sub_u32_e32 v5, s72, v1
	v_mad_u64_u32 v[0:1], s[0:1], v1, s73, v[4:5]
	v_ashrrev_i32_e32 v1, 31, v0
	v_lshlrev_b64 v[0:1], 2, v[0:1]
	v_mov_b32_e32 v3, s71
	v_add_co_u32_e32 v2, vcc, s70, v0
	v_addc_co_u32_e32 v3, vcc, v3, v1, vcc
	v_cmp_lt_i32_e64 s[64:65], 0, v5
	v_cmp_gt_i32_e32 vcc, s74, v4
	s_and_b64 s[2:3], s[64:65], vcc
	v_mov_b32_e32 v40, 0xff800000
	s_and_saveexec_b64 s[0:1], s[2:3]
	s_cbranch_execz .LBB401_2
; %bb.1:
	global_load_dword v40, v[2:3], off
.LBB401_2:
	s_or_b64 exec, exec, s[0:1]
	v_add_u32_e32 v6, 32, v4
	v_cmp_gt_i32_e64 s[62:63], s74, v6
	s_and_b64 s[2:3], s[64:65], s[62:63]
	s_and_saveexec_b64 s[0:1], s[2:3]
	s_cbranch_execz .LBB401_4
; %bb.3:
	global_load_dword v34, v[2:3], off offset:128
.LBB401_4:
	s_or_b64 exec, exec, s[0:1]
	v_add_u32_e32 v6, 64, v4
	v_cmp_gt_i32_e64 s[60:61], s74, v6
	s_and_b64 s[2:3], s[64:65], s[60:61]
	v_mov_b32_e32 v32, 0xff800000
	v_mov_b32_e32 v38, 0xff800000
	s_and_saveexec_b64 s[0:1], s[2:3]
	s_cbranch_execz .LBB401_6
; %bb.5:
	global_load_dword v38, v[2:3], off offset:256
.LBB401_6:
	s_or_b64 exec, exec, s[0:1]
	v_add_u32_e32 v6, 0x60, v4
	v_cmp_gt_i32_e64 s[58:59], s74, v6
	s_and_b64 s[2:3], s[64:65], s[58:59]
	s_and_saveexec_b64 s[0:1], s[2:3]
	s_cbranch_execz .LBB401_8
; %bb.7:
	global_load_dword v32, v[2:3], off offset:384
.LBB401_8:
	s_or_b64 exec, exec, s[0:1]
	v_add_u32_e32 v6, 0x80, v4
	v_cmp_gt_i32_e64 s[56:57], s74, v6
	s_and_b64 s[2:3], s[64:65], s[56:57]
	v_mov_b32_e32 v30, 0xff800000
	v_mov_b32_e32 v35, 0xff800000
	s_and_saveexec_b64 s[0:1], s[2:3]
	s_cbranch_execz .LBB401_10
; %bb.9:
	global_load_dword v35, v[2:3], off offset:512
.LBB401_10:
	;; [unrolled: 20-line block ×15, first 2 shown]
	s_or_b64 exec, exec, s[0:1]
	v_add_u32_e32 v4, 0x3e0, v4
	v_cmp_gt_i32_e64 s[0:1], s74, v4
	s_and_b64 s[66:67], s[64:65], s[0:1]
	s_and_saveexec_b64 s[64:65], s[66:67]
	s_cbranch_execz .LBB401_64
; %bb.63:
	global_load_dword v18, v[2:3], off offset:3968
.LBB401_64:
	s_or_b64 exec, exec, s[64:65]
	s_waitcnt vmcnt(0)
	v_cmp_gt_f32_e64 s[64:65], v40, v34
	v_cndmask_b32_e64 v2, v34, v40, s[64:65]
	v_cmp_gt_f32_e64 s[64:65], v2, v38
	v_cndmask_b32_e64 v2, v38, v2, s[64:65]
	;; [unrolled: 2-line block ×29, first 2 shown]
	v_mbcnt_lo_u32_b32 v3, -1, 0
	v_cmp_gt_f32_e64 s[64:65], v2, v22
	v_mbcnt_hi_u32_b32 v3, -1, v3
	v_cndmask_b32_e64 v2, v22, v2, s[64:65]
	v_and_b32_e32 v4, 0x60, v3
	v_cmp_gt_f32_e64 s[64:65], v2, v18
	v_add_u32_e32 v4, 32, v4
	v_xor_b32_e32 v36, 16, v3
	v_cndmask_b32_e64 v2, v18, v2, s[64:65]
	v_cmp_lt_i32_e64 s[64:65], v36, v4
	v_cndmask_b32_e64 v36, v3, v36, s[64:65]
	v_lshlrev_b32_e32 v36, 2, v36
	ds_bpermute_b32 v37, v36, v2
	s_mov_b32 s66, 0x3fb8aa3b
	s_mov_b32 s33, 0xc2ce8ed0
	;; [unrolled: 1-line block ×3, first 2 shown]
	s_waitcnt lgkmcnt(0)
	v_cmp_lt_f32_e64 s[64:65], v2, v37
	v_cndmask_b32_e64 v2, v2, v37, s[64:65]
	v_xor_b32_e32 v37, 8, v3
	v_cmp_lt_i32_e64 s[64:65], v37, v4
	v_cndmask_b32_e64 v37, v3, v37, s[64:65]
	v_lshlrev_b32_e32 v37, 2, v37
	ds_bpermute_b32 v39, v37, v2
	s_waitcnt lgkmcnt(0)
	v_cmp_lt_f32_e64 s[64:65], v2, v39
	v_cndmask_b32_e64 v2, v2, v39, s[64:65]
	v_xor_b32_e32 v39, 4, v3
	v_cmp_lt_i32_e64 s[64:65], v39, v4
	v_cndmask_b32_e64 v39, v3, v39, s[64:65]
	v_lshlrev_b32_e32 v39, 2, v39
	ds_bpermute_b32 v41, v39, v2
	;; [unrolled: 8-line block ×4, first 2 shown]
	s_waitcnt lgkmcnt(0)
	v_cmp_lt_f32_e64 s[64:65], v2, v3
	v_cndmask_b32_e64 v2, v2, v3, s[64:65]
	v_sub_f32_e32 v3, v40, v2
	v_mul_f32_e32 v4, 0x3fb8aa3b, v3
	v_fma_f32 v40, v3, s66, -v4
	v_rndne_f32_e32 v42, v4
	v_fmac_f32_e32 v40, 0x32a5705f, v3
	v_sub_f32_e32 v4, v4, v42
	v_add_f32_e32 v4, v4, v40
	v_exp_f32_e32 v4, v4
	v_cvt_i32_f32_e32 v40, v42
	v_sub_f32_e32 v34, v34, v2
	v_cmp_ngt_f32_e64 s[64:65], s33, v3
	v_sub_f32_e32 v32, v32, v2
	v_ldexp_f32 v4, v4, v40
	v_mul_f32_e32 v40, 0x3fb8aa3b, v34
	v_fma_f32 v42, v34, s66, -v40
	v_rndne_f32_e32 v44, v40
	v_fmac_f32_e32 v42, 0x32a5705f, v34
	v_sub_f32_e32 v40, v40, v44
	v_add_f32_e32 v40, v40, v42
	v_exp_f32_e32 v40, v40
	v_cvt_i32_f32_e32 v45, v44
	v_cndmask_b32_e64 v4, 0, v4, s[64:65]
	v_mov_b32_e32 v44, 0x7f800000
	v_cmp_nlt_f32_e64 s[64:65], s67, v3
	v_cndmask_b32_e64 v42, v44, v4, s[64:65]
	v_sub_f32_e32 v4, v38, v2
	v_mul_f32_e32 v38, 0x3fb8aa3b, v4
	v_ldexp_f32 v3, v40, v45
	v_fma_f32 v40, v4, s66, -v38
	v_rndne_f32_e32 v45, v38
	v_fmac_f32_e32 v40, 0x32a5705f, v4
	v_sub_f32_e32 v38, v38, v45
	v_add_f32_e32 v38, v38, v40
	v_exp_f32_e32 v38, v38
	v_cvt_i32_f32_e32 v45, v45
	v_cmp_ngt_f32_e64 s[64:65], s33, v34
	v_cndmask_b32_e64 v3, 0, v3, s[64:65]
	v_cmp_nlt_f32_e64 s[64:65], s67, v34
	v_ldexp_f32 v34, v38, v45
	v_mul_f32_e32 v38, 0x3fb8aa3b, v32
	v_fma_f32 v45, v32, s66, -v38
	v_rndne_f32_e32 v46, v38
	v_fmac_f32_e32 v45, 0x32a5705f, v32
	v_sub_f32_e32 v38, v38, v46
	v_add_f32_e32 v38, v38, v45
	v_cndmask_b32_e64 v40, v44, v3, s[64:65]
	v_cmp_ngt_f32_e64 s[64:65], s33, v4
	v_exp_f32_e32 v45, v38
	v_cvt_i32_f32_e32 v46, v46
	v_cndmask_b32_e64 v34, 0, v34, s[64:65]
	v_cmp_nlt_f32_e64 s[64:65], s67, v4
	v_cndmask_b32_e64 v38, v44, v34, s[64:65]
	v_sub_f32_e32 v34, v35, v2
	v_mul_f32_e32 v35, 0x3fb8aa3b, v34
	v_ldexp_f32 v4, v45, v46
	v_fma_f32 v45, v34, s66, -v35
	v_rndne_f32_e32 v46, v35
	v_fmac_f32_e32 v45, 0x32a5705f, v34
	v_sub_f32_e32 v35, v35, v46
	v_add_f32_e32 v35, v35, v45
	v_exp_f32_e32 v45, v35
	v_cvt_i32_f32_e32 v46, v46
	v_cmp_ngt_f32_e64 s[64:65], s33, v32
	v_sub_f32_e32 v30, v30, v2
	v_cndmask_b32_e64 v4, 0, v4, s[64:65]
	v_cmp_nlt_f32_e64 s[64:65], s67, v32
	v_mul_f32_e32 v32, 0x3fb8aa3b, v30
	v_cndmask_b32_e64 v35, v44, v4, s[64:65]
	v_ldexp_f32 v4, v45, v46
	v_fma_f32 v45, v30, s66, -v32
	v_rndne_f32_e32 v46, v32
	v_fmac_f32_e32 v45, 0x32a5705f, v30
	v_sub_f32_e32 v32, v32, v46
	v_add_f32_e32 v32, v32, v45
	v_exp_f32_e32 v32, v32
	v_cvt_i32_f32_e32 v45, v46
	v_cmp_ngt_f32_e64 s[64:65], s33, v34
	v_cndmask_b32_e64 v4, 0, v4, s[64:65]
	v_cmp_nlt_f32_e64 s[64:65], s67, v34
	v_cndmask_b32_e64 v34, v44, v4, s[64:65]
	v_ldexp_f32 v4, v32, v45
	v_sub_f32_e32 v32, v33, v2
	v_mul_f32_e32 v33, 0x3fb8aa3b, v32
	v_fma_f32 v45, v32, s66, -v33
	v_rndne_f32_e32 v46, v33
	v_fmac_f32_e32 v45, 0x32a5705f, v32
	v_sub_f32_e32 v33, v33, v46
	v_add_f32_e32 v33, v33, v45
	v_exp_f32_e32 v45, v33
	v_cvt_i32_f32_e32 v46, v46
	v_cmp_ngt_f32_e64 s[64:65], s33, v30
	v_sub_f32_e32 v28, v28, v2
	v_cndmask_b32_e64 v4, 0, v4, s[64:65]
	v_cmp_nlt_f32_e64 s[64:65], s67, v30
	v_mul_f32_e32 v30, 0x3fb8aa3b, v28
	v_cndmask_b32_e64 v33, v44, v4, s[64:65]
	v_ldexp_f32 v4, v45, v46
	v_fma_f32 v45, v28, s66, -v30
	v_rndne_f32_e32 v46, v30
	v_fmac_f32_e32 v45, 0x32a5705f, v28
	v_sub_f32_e32 v30, v30, v46
	v_add_f32_e32 v30, v30, v45
	v_exp_f32_e32 v30, v30
	v_cvt_i32_f32_e32 v45, v46
	v_cmp_ngt_f32_e64 s[64:65], s33, v32
	v_cndmask_b32_e64 v4, 0, v4, s[64:65]
	v_cmp_nlt_f32_e64 s[64:65], s67, v32
	v_cndmask_b32_e64 v32, v44, v4, s[64:65]
	v_ldexp_f32 v4, v30, v45
	v_sub_f32_e32 v30, v31, v2
	v_mul_f32_e32 v31, 0x3fb8aa3b, v30
	v_fma_f32 v45, v30, s66, -v31
	v_rndne_f32_e32 v46, v31
	v_fmac_f32_e32 v45, 0x32a5705f, v30
	v_sub_f32_e32 v31, v31, v46
	v_add_f32_e32 v31, v31, v45
	v_exp_f32_e32 v45, v31
	v_cvt_i32_f32_e32 v46, v46
	v_cmp_ngt_f32_e64 s[64:65], s33, v28
	v_sub_f32_e32 v25, v25, v2
	v_cndmask_b32_e64 v4, 0, v4, s[64:65]
	v_cmp_nlt_f32_e64 s[64:65], s67, v28
	v_mul_f32_e32 v28, 0x3fb8aa3b, v25
	v_cndmask_b32_e64 v31, v44, v4, s[64:65]
	v_ldexp_f32 v4, v45, v46
	v_fma_f32 v45, v25, s66, -v28
	v_rndne_f32_e32 v46, v28
	v_fmac_f32_e32 v45, 0x32a5705f, v25
	v_sub_f32_e32 v28, v28, v46
	v_add_f32_e32 v28, v28, v45
	v_exp_f32_e32 v28, v28
	v_cvt_i32_f32_e32 v45, v46
	v_cmp_ngt_f32_e64 s[64:65], s33, v30
	v_cndmask_b32_e64 v4, 0, v4, s[64:65]
	v_cmp_nlt_f32_e64 s[64:65], s67, v30
	v_cndmask_b32_e64 v30, v44, v4, s[64:65]
	v_ldexp_f32 v4, v28, v45
	v_sub_f32_e32 v28, v29, v2
	v_mul_f32_e32 v29, 0x3fb8aa3b, v28
	v_fma_f32 v45, v28, s66, -v29
	v_rndne_f32_e32 v46, v29
	v_fmac_f32_e32 v45, 0x32a5705f, v28
	v_sub_f32_e32 v29, v29, v46
	v_add_f32_e32 v29, v29, v45
	v_exp_f32_e32 v45, v29
	v_cvt_i32_f32_e32 v46, v46
	v_cmp_ngt_f32_e64 s[64:65], s33, v25
	v_sub_f32_e32 v21, v21, v2
	v_cndmask_b32_e64 v4, 0, v4, s[64:65]
	v_cmp_nlt_f32_e64 s[64:65], s67, v25
	v_mul_f32_e32 v25, 0x3fb8aa3b, v21
	v_cndmask_b32_e64 v29, v44, v4, s[64:65]
	v_ldexp_f32 v4, v45, v46
	v_fma_f32 v45, v21, s66, -v25
	v_rndne_f32_e32 v46, v25
	v_fmac_f32_e32 v45, 0x32a5705f, v21
	v_sub_f32_e32 v25, v25, v46
	v_add_f32_e32 v25, v25, v45
	v_exp_f32_e32 v25, v25
	v_cvt_i32_f32_e32 v45, v46
	v_cmp_ngt_f32_e64 s[64:65], s33, v28
	v_cndmask_b32_e64 v4, 0, v4, s[64:65]
	v_cmp_nlt_f32_e64 s[64:65], s67, v28
	v_cndmask_b32_e64 v28, v44, v4, s[64:65]
	v_ldexp_f32 v4, v25, v45
	v_sub_f32_e32 v25, v26, v2
	v_mul_f32_e32 v26, 0x3fb8aa3b, v25
	v_fma_f32 v45, v25, s66, -v26
	v_rndne_f32_e32 v46, v26
	v_fmac_f32_e32 v45, 0x32a5705f, v25
	v_sub_f32_e32 v26, v26, v46
	v_add_f32_e32 v26, v26, v45
	v_exp_f32_e32 v45, v26
	v_cvt_i32_f32_e32 v46, v46
	v_cmp_ngt_f32_e64 s[64:65], s33, v21
	v_sub_f32_e32 v19, v19, v2
	v_cndmask_b32_e64 v4, 0, v4, s[64:65]
	v_cmp_nlt_f32_e64 s[64:65], s67, v21
	v_mul_f32_e32 v21, 0x3fb8aa3b, v19
	v_cndmask_b32_e64 v26, v44, v4, s[64:65]
	v_ldexp_f32 v4, v45, v46
	v_fma_f32 v45, v19, s66, -v21
	v_rndne_f32_e32 v46, v21
	v_fmac_f32_e32 v45, 0x32a5705f, v19
	v_sub_f32_e32 v21, v21, v46
	v_add_f32_e32 v21, v21, v45
	v_exp_f32_e32 v21, v21
	v_cvt_i32_f32_e32 v45, v46
	v_cmp_ngt_f32_e64 s[64:65], s33, v25
	v_cndmask_b32_e64 v4, 0, v4, s[64:65]
	v_cmp_nlt_f32_e64 s[64:65], s67, v25
	v_cndmask_b32_e64 v25, v44, v4, s[64:65]
	v_ldexp_f32 v4, v21, v45
	v_sub_f32_e32 v21, v23, v2
	v_mul_f32_e32 v23, 0x3fb8aa3b, v21
	v_fma_f32 v45, v21, s66, -v23
	v_rndne_f32_e32 v46, v23
	v_fmac_f32_e32 v45, 0x32a5705f, v21
	v_sub_f32_e32 v23, v23, v46
	v_add_f32_e32 v23, v23, v45
	v_exp_f32_e32 v45, v23
	v_cvt_i32_f32_e32 v46, v46
	v_cmp_ngt_f32_e64 s[64:65], s33, v19
	v_sub_f32_e32 v16, v16, v2
	v_cndmask_b32_e64 v4, 0, v4, s[64:65]
	v_cmp_nlt_f32_e64 s[64:65], s67, v19
	v_mul_f32_e32 v19, 0x3fb8aa3b, v16
	v_cndmask_b32_e64 v23, v44, v4, s[64:65]
	v_ldexp_f32 v4, v45, v46
	v_fma_f32 v45, v16, s66, -v19
	v_rndne_f32_e32 v46, v19
	v_fmac_f32_e32 v45, 0x32a5705f, v16
	v_sub_f32_e32 v19, v19, v46
	v_add_f32_e32 v19, v19, v45
	v_exp_f32_e32 v19, v19
	v_cvt_i32_f32_e32 v45, v46
	v_cmp_ngt_f32_e64 s[64:65], s33, v21
	v_cndmask_b32_e64 v4, 0, v4, s[64:65]
	v_cmp_nlt_f32_e64 s[64:65], s67, v21
	v_cndmask_b32_e64 v21, v44, v4, s[64:65]
	v_ldexp_f32 v4, v19, v45
	v_sub_f32_e32 v19, v20, v2
	v_mul_f32_e32 v20, 0x3fb8aa3b, v19
	v_fma_f32 v45, v19, s66, -v20
	v_rndne_f32_e32 v46, v20
	v_fmac_f32_e32 v45, 0x32a5705f, v19
	v_sub_f32_e32 v20, v20, v46
	v_add_f32_e32 v20, v20, v45
	v_exp_f32_e32 v45, v20
	v_cvt_i32_f32_e32 v46, v46
	v_cmp_ngt_f32_e64 s[64:65], s33, v16
	v_sub_f32_e32 v14, v14, v2
	v_cndmask_b32_e64 v4, 0, v4, s[64:65]
	v_cmp_nlt_f32_e64 s[64:65], s67, v16
	v_mul_f32_e32 v16, 0x3fb8aa3b, v14
	v_cndmask_b32_e64 v20, v44, v4, s[64:65]
	v_ldexp_f32 v4, v45, v46
	v_fma_f32 v45, v14, s66, -v16
	v_rndne_f32_e32 v46, v16
	v_fmac_f32_e32 v45, 0x32a5705f, v14
	v_sub_f32_e32 v16, v16, v46
	v_add_f32_e32 v16, v16, v45
	v_exp_f32_e32 v16, v16
	v_cvt_i32_f32_e32 v45, v46
	v_cmp_ngt_f32_e64 s[64:65], s33, v19
	v_cndmask_b32_e64 v4, 0, v4, s[64:65]
	v_cmp_nlt_f32_e64 s[64:65], s67, v19
	v_cndmask_b32_e64 v19, v44, v4, s[64:65]
	v_ldexp_f32 v4, v16, v45
	v_sub_f32_e32 v16, v17, v2
	v_mul_f32_e32 v17, 0x3fb8aa3b, v16
	v_fma_f32 v45, v16, s66, -v17
	v_rndne_f32_e32 v46, v17
	v_fmac_f32_e32 v45, 0x32a5705f, v16
	v_sub_f32_e32 v17, v17, v46
	v_add_f32_e32 v17, v17, v45
	v_exp_f32_e32 v45, v17
	v_cvt_i32_f32_e32 v46, v46
	v_cmp_ngt_f32_e64 s[64:65], s33, v14
	v_sub_f32_e32 v12, v12, v2
	v_cndmask_b32_e64 v4, 0, v4, s[64:65]
	v_cmp_nlt_f32_e64 s[64:65], s67, v14
	v_mul_f32_e32 v14, 0x3fb8aa3b, v12
	v_cndmask_b32_e64 v17, v44, v4, s[64:65]
	v_ldexp_f32 v4, v45, v46
	v_fma_f32 v45, v12, s66, -v14
	v_rndne_f32_e32 v46, v14
	v_fmac_f32_e32 v45, 0x32a5705f, v12
	v_sub_f32_e32 v14, v14, v46
	v_add_f32_e32 v14, v14, v45
	v_exp_f32_e32 v14, v14
	v_cvt_i32_f32_e32 v45, v46
	v_cmp_ngt_f32_e64 s[64:65], s33, v16
	v_cndmask_b32_e64 v4, 0, v4, s[64:65]
	v_cmp_nlt_f32_e64 s[64:65], s67, v16
	v_cndmask_b32_e64 v16, v44, v4, s[64:65]
	v_ldexp_f32 v4, v14, v45
	v_sub_f32_e32 v14, v15, v2
	v_mul_f32_e32 v15, 0x3fb8aa3b, v14
	v_fma_f32 v45, v14, s66, -v15
	v_rndne_f32_e32 v46, v15
	v_fmac_f32_e32 v45, 0x32a5705f, v14
	v_sub_f32_e32 v15, v15, v46
	v_add_f32_e32 v15, v15, v45
	v_exp_f32_e32 v45, v15
	v_cvt_i32_f32_e32 v46, v46
	v_cmp_ngt_f32_e64 s[64:65], s33, v12
	v_sub_f32_e32 v10, v10, v2
	v_cndmask_b32_e64 v4, 0, v4, s[64:65]
	v_cmp_nlt_f32_e64 s[64:65], s67, v12
	v_mul_f32_e32 v12, 0x3fb8aa3b, v10
	v_cndmask_b32_e64 v15, v44, v4, s[64:65]
	v_ldexp_f32 v4, v45, v46
	v_fma_f32 v45, v10, s66, -v12
	v_rndne_f32_e32 v46, v12
	v_fmac_f32_e32 v45, 0x32a5705f, v10
	v_sub_f32_e32 v12, v12, v46
	v_add_f32_e32 v12, v12, v45
	v_exp_f32_e32 v12, v12
	v_cvt_i32_f32_e32 v45, v46
	v_cmp_ngt_f32_e64 s[64:65], s33, v14
	v_cndmask_b32_e64 v4, 0, v4, s[64:65]
	v_cmp_nlt_f32_e64 s[64:65], s67, v14
	v_cndmask_b32_e64 v14, v44, v4, s[64:65]
	v_ldexp_f32 v4, v12, v45
	v_sub_f32_e32 v12, v13, v2
	v_mul_f32_e32 v13, 0x3fb8aa3b, v12
	v_fma_f32 v45, v12, s66, -v13
	v_rndne_f32_e32 v46, v13
	v_fmac_f32_e32 v45, 0x32a5705f, v12
	v_sub_f32_e32 v13, v13, v46
	v_add_f32_e32 v13, v13, v45
	v_exp_f32_e32 v45, v13
	v_cvt_i32_f32_e32 v46, v46
	v_cmp_ngt_f32_e64 s[64:65], s33, v10
	v_sub_f32_e32 v9, v9, v2
	v_cndmask_b32_e64 v4, 0, v4, s[64:65]
	v_cmp_nlt_f32_e64 s[64:65], s67, v10
	v_mul_f32_e32 v10, 0x3fb8aa3b, v9
	v_cndmask_b32_e64 v13, v44, v4, s[64:65]
	v_ldexp_f32 v4, v45, v46
	v_fma_f32 v45, v9, s66, -v10
	v_rndne_f32_e32 v46, v10
	v_fmac_f32_e32 v45, 0x32a5705f, v9
	v_sub_f32_e32 v10, v10, v46
	v_add_f32_e32 v10, v10, v45
	v_exp_f32_e32 v10, v10
	v_cvt_i32_f32_e32 v45, v46
	v_cmp_ngt_f32_e64 s[64:65], s33, v12
	v_cndmask_b32_e64 v4, 0, v4, s[64:65]
	v_cmp_nlt_f32_e64 s[64:65], s67, v12
	v_cndmask_b32_e64 v12, v44, v4, s[64:65]
	v_ldexp_f32 v4, v10, v45
	v_sub_f32_e32 v10, v11, v2
	v_mul_f32_e32 v11, 0x3fb8aa3b, v10
	v_fma_f32 v45, v10, s66, -v11
	v_rndne_f32_e32 v46, v11
	v_fmac_f32_e32 v45, 0x32a5705f, v10
	v_sub_f32_e32 v11, v11, v46
	v_add_f32_e32 v11, v11, v45
	v_exp_f32_e32 v45, v11
	v_cvt_i32_f32_e32 v46, v46
	v_cmp_ngt_f32_e64 s[64:65], s33, v9
	v_sub_f32_e32 v8, v8, v2
	v_cndmask_b32_e64 v4, 0, v4, s[64:65]
	v_cmp_nlt_f32_e64 s[64:65], s67, v9
	v_mul_f32_e32 v9, 0x3fb8aa3b, v8
	v_cndmask_b32_e64 v11, v44, v4, s[64:65]
	v_ldexp_f32 v4, v45, v46
	v_fma_f32 v45, v8, s66, -v9
	v_rndne_f32_e32 v46, v9
	v_fmac_f32_e32 v45, 0x32a5705f, v8
	v_sub_f32_e32 v9, v9, v46
	v_add_f32_e32 v9, v9, v45
	v_exp_f32_e32 v9, v9
	v_cvt_i32_f32_e32 v45, v46
	v_cmp_ngt_f32_e64 s[64:65], s33, v10
	v_cndmask_b32_e64 v4, 0, v4, s[64:65]
	v_cmp_nlt_f32_e64 s[64:65], s67, v10
	v_sub_f32_e32 v27, v27, v2
	v_cndmask_b32_e64 v10, v44, v4, s[64:65]
	v_ldexp_f32 v4, v9, v45
	v_mul_f32_e32 v9, 0x3fb8aa3b, v27
	v_fma_f32 v45, v27, s66, -v9
	v_rndne_f32_e32 v46, v9
	v_fmac_f32_e32 v45, 0x32a5705f, v27
	v_sub_f32_e32 v9, v9, v46
	v_add_f32_e32 v9, v9, v45
	v_exp_f32_e32 v45, v9
	v_cvt_i32_f32_e32 v46, v46
	v_cmp_ngt_f32_e64 s[64:65], s33, v8
	v_sub_f32_e32 v7, v7, v2
	v_cndmask_b32_e64 v4, 0, v4, s[64:65]
	v_cmp_nlt_f32_e64 s[64:65], s67, v8
	v_mul_f32_e32 v8, 0x3fb8aa3b, v7
	v_cndmask_b32_e64 v9, v44, v4, s[64:65]
	v_ldexp_f32 v4, v45, v46
	v_fma_f32 v45, v7, s66, -v8
	v_rndne_f32_e32 v46, v8
	v_fmac_f32_e32 v45, 0x32a5705f, v7
	v_sub_f32_e32 v8, v8, v46
	v_add_f32_e32 v3, v42, v40
	v_add_f32_e32 v8, v8, v45
	;; [unrolled: 1-line block ×3, first 2 shown]
	v_exp_f32_e32 v45, v8
	v_cvt_i32_f32_e32 v46, v46
	v_add_f32_e32 v3, v3, v35
	v_add_f32_e32 v3, v3, v34
	v_cmp_ngt_f32_e64 s[64:65], s33, v27
	v_sub_f32_e32 v24, v24, v2
	v_add_f32_e32 v3, v3, v33
	v_cndmask_b32_e64 v4, 0, v4, s[64:65]
	v_cmp_nlt_f32_e64 s[64:65], s67, v27
	v_mul_f32_e32 v27, 0x3fb8aa3b, v24
	v_add_f32_e32 v3, v3, v32
	v_cndmask_b32_e64 v8, v44, v4, s[64:65]
	v_ldexp_f32 v4, v45, v46
	v_fma_f32 v45, v24, s66, -v27
	v_rndne_f32_e32 v46, v27
	v_add_f32_e32 v3, v3, v31
	v_fmac_f32_e32 v45, 0x32a5705f, v24
	v_sub_f32_e32 v27, v27, v46
	v_add_f32_e32 v3, v3, v30
	v_add_f32_e32 v27, v27, v45
	;; [unrolled: 1-line block ×3, first 2 shown]
	v_exp_f32_e32 v27, v27
	v_cvt_i32_f32_e32 v45, v46
	v_add_f32_e32 v3, v3, v28
	v_add_f32_e32 v3, v3, v26
	v_cmp_ngt_f32_e64 s[64:65], s33, v7
	v_add_f32_e32 v3, v3, v25
	v_cndmask_b32_e64 v4, 0, v4, s[64:65]
	v_cmp_nlt_f32_e64 s[64:65], s67, v7
	v_add_f32_e32 v3, v3, v23
	v_cndmask_b32_e64 v7, v44, v4, s[64:65]
	v_ldexp_f32 v4, v27, v45
	v_sub_f32_e32 v27, v6, v2
	v_add_f32_e32 v3, v3, v21
	v_mul_f32_e32 v6, 0x3fb8aa3b, v27
	v_add_f32_e32 v3, v3, v20
	v_fma_f32 v45, v27, s66, -v6
	v_rndne_f32_e32 v46, v6
	v_add_f32_e32 v3, v3, v19
	v_fmac_f32_e32 v45, 0x32a5705f, v27
	v_sub_f32_e32 v6, v6, v46
	v_add_f32_e32 v3, v3, v17
	v_add_f32_e32 v6, v6, v45
	;; [unrolled: 1-line block ×3, first 2 shown]
	v_exp_f32_e32 v45, v6
	v_cvt_i32_f32_e32 v46, v46
	v_add_f32_e32 v3, v3, v15
	v_add_f32_e32 v3, v3, v14
	v_cmp_ngt_f32_e64 s[64:65], s33, v24
	v_sub_f32_e32 v22, v22, v2
	v_add_f32_e32 v3, v3, v13
	v_cndmask_b32_e64 v4, 0, v4, s[64:65]
	v_cmp_nlt_f32_e64 s[64:65], s67, v24
	v_mul_f32_e32 v24, 0x3fb8aa3b, v22
	v_add_f32_e32 v3, v3, v12
	v_cndmask_b32_e64 v6, v44, v4, s[64:65]
	v_ldexp_f32 v4, v45, v46
	v_fma_f32 v45, v22, s66, -v24
	v_rndne_f32_e32 v46, v24
	v_add_f32_e32 v3, v3, v11
	v_fmac_f32_e32 v45, 0x32a5705f, v22
	v_sub_f32_e32 v24, v24, v46
	v_add_f32_e32 v3, v3, v10
	v_add_f32_e32 v24, v24, v45
	;; [unrolled: 1-line block ×3, first 2 shown]
	v_exp_f32_e32 v24, v24
	v_cvt_i32_f32_e32 v45, v46
	v_add_f32_e32 v3, v3, v8
	v_cmp_ngt_f32_e64 s[64:65], s33, v27
	v_add_f32_e32 v3, v3, v7
	v_cndmask_b32_e64 v4, 0, v4, s[64:65]
	v_cmp_nlt_f32_e64 s[64:65], s67, v27
	v_sub_f32_e32 v2, v18, v2
	v_add_f32_e32 v3, v3, v6
	v_cndmask_b32_e64 v4, v44, v4, s[64:65]
	v_mul_f32_e32 v18, 0x3fb8aa3b, v2
	v_add_f32_e32 v27, v3, v4
	v_ldexp_f32 v3, v24, v45
	v_fma_f32 v24, v2, s66, -v18
	v_rndne_f32_e32 v45, v18
	v_fmac_f32_e32 v24, 0x32a5705f, v2
	v_sub_f32_e32 v18, v18, v45
	v_add_f32_e32 v18, v18, v24
	v_exp_f32_e32 v18, v18
	v_cvt_i32_f32_e32 v24, v45
	v_cmp_ngt_f32_e64 s[64:65], s33, v22
	v_cndmask_b32_e64 v3, 0, v3, s[64:65]
	v_cmp_nlt_f32_e64 s[64:65], s67, v22
	v_cndmask_b32_e64 v3, v44, v3, s[64:65]
	v_ldexp_f32 v18, v18, v24
	v_cmp_ngt_f32_e64 s[64:65], s33, v2
	v_cndmask_b32_e64 v18, 0, v18, s[64:65]
	v_cmp_nlt_f32_e64 s[64:65], s67, v2
	v_add_f32_e32 v22, v27, v3
	v_cndmask_b32_e64 v2, v44, v18, s[64:65]
	v_add_f32_e32 v18, v22, v2
	ds_bpermute_b32 v22, v36, v18
	v_cmp_lt_i32_e64 s[64:65], 0, v5
	s_waitcnt lgkmcnt(0)
	v_add_f32_e32 v18, v18, v22
	ds_bpermute_b32 v22, v37, v18
	s_waitcnt lgkmcnt(0)
	v_add_f32_e32 v18, v18, v22
	ds_bpermute_b32 v22, v39, v18
	s_waitcnt lgkmcnt(0)
	v_add_f32_e32 v18, v18, v22
	ds_bpermute_b32 v22, v41, v18
	s_waitcnt lgkmcnt(0)
	v_add_f32_e32 v18, v18, v22
	ds_bpermute_b32 v22, v43, v18
	s_and_saveexec_b64 s[66:67], s[64:65]
	s_cbranch_execz .LBB401_98
; %bb.65:
	s_and_b64 exec, exec, vcc
	s_cbranch_execz .LBB401_98
; %bb.66:
	s_waitcnt lgkmcnt(0)
	v_add_f32_e32 v5, v18, v22
	v_div_scale_f32 v22, s[64:65], v5, v5, v42
	v_rcp_f32_e32 v24, v22
	v_mov_b32_e32 v18, s69
	v_add_co_u32_e32 v0, vcc, s68, v0
	v_addc_co_u32_e32 v1, vcc, v18, v1, vcc
	v_fma_f32 v18, -v22, v24, 1.0
	v_fmac_f32_e32 v24, v18, v24
	v_div_scale_f32 v18, vcc, v42, v5, v42
	v_mul_f32_e32 v27, v18, v24
	v_fma_f32 v36, -v22, v27, v18
	v_fmac_f32_e32 v27, v36, v24
	v_fma_f32 v18, -v22, v27, v18
	v_div_fmas_f32 v18, v18, v24, v27
	v_div_fixup_f32 v22, v18, v5, v42
	v_mov_b32_e32 v18, 0x7fc00000
	v_cmp_eq_f32_e64 s[64:65], 0, v5
	v_cndmask_b32_e64 v22, v22, v18, s[64:65]
	global_store_dword v[0:1], v22, off
	s_and_b64 exec, exec, s[62:63]
	s_cbranch_execz .LBB401_98
; %bb.67:
	v_div_scale_f32 v22, s[62:63], v5, v5, v40
	v_rcp_f32_e32 v24, v22
	v_div_scale_f32 v27, vcc, v40, v5, v40
	v_fma_f32 v36, -v22, v24, 1.0
	v_fmac_f32_e32 v24, v36, v24
	v_mul_f32_e32 v36, v27, v24
	v_fma_f32 v37, -v22, v36, v27
	v_fmac_f32_e32 v36, v37, v24
	v_fma_f32 v22, -v22, v36, v27
	v_div_fmas_f32 v22, v22, v24, v36
	v_div_fixup_f32 v22, v22, v5, v40
	v_cndmask_b32_e64 v18, v22, v18, s[64:65]
	global_store_dword v[0:1], v18, off offset:128
	s_and_b64 exec, exec, s[60:61]
	s_cbranch_execz .LBB401_98
; %bb.68:
	v_div_scale_f32 v18, s[60:61], v5, v5, v38
	v_rcp_f32_e32 v22, v18
	v_div_scale_f32 v24, vcc, v38, v5, v38
	v_fma_f32 v27, -v18, v22, 1.0
	v_fmac_f32_e32 v22, v27, v22
	v_mul_f32_e32 v27, v24, v22
	v_fma_f32 v36, -v18, v27, v24
	v_fmac_f32_e32 v27, v36, v22
	v_fma_f32 v18, -v18, v27, v24
	v_div_fmas_f32 v18, v18, v22, v27
	v_div_fixup_f32 v22, v18, v5, v38
	v_mov_b32_e32 v18, 0x7fc00000
	v_cndmask_b32_e64 v22, v22, v18, s[64:65]
	global_store_dword v[0:1], v22, off offset:256
	s_and_b64 exec, exec, s[58:59]
	s_cbranch_execz .LBB401_98
; %bb.69:
	v_div_scale_f32 v22, s[58:59], v5, v5, v35
	v_rcp_f32_e32 v24, v22
	v_div_scale_f32 v27, vcc, v35, v5, v35
	v_fma_f32 v36, -v22, v24, 1.0
	v_fmac_f32_e32 v24, v36, v24
	v_mul_f32_e32 v36, v27, v24
	v_fma_f32 v37, -v22, v36, v27
	v_fmac_f32_e32 v36, v37, v24
	v_fma_f32 v22, -v22, v36, v27
	v_div_fmas_f32 v22, v22, v24, v36
	v_div_fixup_f32 v22, v22, v5, v35
	v_cndmask_b32_e64 v18, v22, v18, s[64:65]
	global_store_dword v[0:1], v18, off offset:384
	s_and_b64 exec, exec, s[56:57]
	s_cbranch_execz .LBB401_98
; %bb.70:
	v_div_scale_f32 v18, s[56:57], v5, v5, v34
	v_rcp_f32_e32 v22, v18
	v_div_scale_f32 v24, vcc, v34, v5, v34
	v_fma_f32 v27, -v18, v22, 1.0
	v_fmac_f32_e32 v22, v27, v22
	v_mul_f32_e32 v27, v24, v22
	v_fma_f32 v35, -v18, v27, v24
	v_fmac_f32_e32 v27, v35, v22
	v_fma_f32 v18, -v18, v27, v24
	v_div_fmas_f32 v18, v18, v22, v27
	v_div_fixup_f32 v22, v18, v5, v34
	v_mov_b32_e32 v18, 0x7fc00000
	v_cndmask_b32_e64 v22, v22, v18, s[64:65]
	global_store_dword v[0:1], v22, off offset:512
	;; [unrolled: 33-line block ×15, first 2 shown]
	s_and_b64 exec, exec, s[0:1]
	s_cbranch_execz .LBB401_98
; %bb.97:
	v_div_scale_f32 v4, s[0:1], v5, v5, v2
	v_rcp_f32_e32 v6, v4
	v_div_scale_f32 v7, vcc, v2, v5, v2
	v_fma_f32 v8, -v4, v6, 1.0
	v_fmac_f32_e32 v6, v8, v6
	v_mul_f32_e32 v8, v7, v6
	v_fma_f32 v9, -v4, v8, v7
	v_fmac_f32_e32 v8, v9, v6
	v_fma_f32 v4, -v4, v8, v7
	v_div_fmas_f32 v4, v4, v6, v8
	v_div_fixup_f32 v2, v4, v5, v2
	v_cndmask_b32_e64 v2, v2, v3, s[64:65]
	global_store_dword v[0:1], v2, off offset:3968
.LBB401_98:
	s_endpgm
	.section	.rodata,"a",@progbits
	.p2align	6, 0x0
	.amdhsa_kernel _ZN12_GLOBAL__N_120softmax_warp_forwardIfffLi10ELb0ELb0ELi32EEEvPT0_PKT_iiiPKbib
		.amdhsa_group_segment_fixed_size 0
		.amdhsa_private_segment_fixed_size 0
		.amdhsa_kernarg_size 304
		.amdhsa_user_sgpr_count 6
		.amdhsa_user_sgpr_private_segment_buffer 1
		.amdhsa_user_sgpr_dispatch_ptr 0
		.amdhsa_user_sgpr_queue_ptr 0
		.amdhsa_user_sgpr_kernarg_segment_ptr 1
		.amdhsa_user_sgpr_dispatch_id 0
		.amdhsa_user_sgpr_flat_scratch_init 0
		.amdhsa_user_sgpr_kernarg_preload_length 0
		.amdhsa_user_sgpr_kernarg_preload_offset 0
		.amdhsa_user_sgpr_private_segment_size 0
		.amdhsa_uses_dynamic_stack 0
		.amdhsa_system_sgpr_private_segment_wavefront_offset 0
		.amdhsa_system_sgpr_workgroup_id_x 1
		.amdhsa_system_sgpr_workgroup_id_y 0
		.amdhsa_system_sgpr_workgroup_id_z 0
		.amdhsa_system_sgpr_workgroup_info 0
		.amdhsa_system_vgpr_workitem_id 1
		.amdhsa_next_free_vgpr 47
		.amdhsa_next_free_sgpr 76
		.amdhsa_accum_offset 48
		.amdhsa_reserve_vcc 1
		.amdhsa_reserve_flat_scratch 0
		.amdhsa_float_round_mode_32 0
		.amdhsa_float_round_mode_16_64 0
		.amdhsa_float_denorm_mode_32 3
		.amdhsa_float_denorm_mode_16_64 3
		.amdhsa_dx10_clamp 1
		.amdhsa_ieee_mode 1
		.amdhsa_fp16_overflow 0
		.amdhsa_tg_split 0
		.amdhsa_exception_fp_ieee_invalid_op 0
		.amdhsa_exception_fp_denorm_src 0
		.amdhsa_exception_fp_ieee_div_zero 0
		.amdhsa_exception_fp_ieee_overflow 0
		.amdhsa_exception_fp_ieee_underflow 0
		.amdhsa_exception_fp_ieee_inexact 0
		.amdhsa_exception_int_div_zero 0
	.end_amdhsa_kernel
	.section	.text._ZN12_GLOBAL__N_120softmax_warp_forwardIfffLi10ELb0ELb0ELi32EEEvPT0_PKT_iiiPKbib,"axG",@progbits,_ZN12_GLOBAL__N_120softmax_warp_forwardIfffLi10ELb0ELb0ELi32EEEvPT0_PKT_iiiPKbib,comdat
.Lfunc_end401:
	.size	_ZN12_GLOBAL__N_120softmax_warp_forwardIfffLi10ELb0ELb0ELi32EEEvPT0_PKT_iiiPKbib, .Lfunc_end401-_ZN12_GLOBAL__N_120softmax_warp_forwardIfffLi10ELb0ELb0ELi32EEEvPT0_PKT_iiiPKbib
                                        ; -- End function
	.section	.AMDGPU.csdata,"",@progbits
; Kernel info:
; codeLenInByte = 8688
; NumSgprs: 80
; NumVgprs: 47
; NumAgprs: 0
; TotalNumVgprs: 47
; ScratchSize: 0
; MemoryBound: 0
; FloatMode: 240
; IeeeMode: 1
; LDSByteSize: 0 bytes/workgroup (compile time only)
; SGPRBlocks: 9
; VGPRBlocks: 5
; NumSGPRsForWavesPerEU: 80
; NumVGPRsForWavesPerEU: 47
; AccumOffset: 48
; Occupancy: 8
; WaveLimiterHint : 0
; COMPUTE_PGM_RSRC2:SCRATCH_EN: 0
; COMPUTE_PGM_RSRC2:USER_SGPR: 6
; COMPUTE_PGM_RSRC2:TRAP_HANDLER: 0
; COMPUTE_PGM_RSRC2:TGID_X_EN: 1
; COMPUTE_PGM_RSRC2:TGID_Y_EN: 0
; COMPUTE_PGM_RSRC2:TGID_Z_EN: 0
; COMPUTE_PGM_RSRC2:TIDIG_COMP_CNT: 1
; COMPUTE_PGM_RSRC3_GFX90A:ACCUM_OFFSET: 11
; COMPUTE_PGM_RSRC3_GFX90A:TG_SPLIT: 0
	.section	.text._ZN12_GLOBAL__N_120softmax_warp_forwardIfffLi11ELb0ELb0ELi64EEEvPT0_PKT_iiiPKbib,"axG",@progbits,_ZN12_GLOBAL__N_120softmax_warp_forwardIfffLi11ELb0ELb0ELi64EEEvPT0_PKT_iiiPKbib,comdat
	.globl	_ZN12_GLOBAL__N_120softmax_warp_forwardIfffLi11ELb0ELb0ELi64EEEvPT0_PKT_iiiPKbib ; -- Begin function _ZN12_GLOBAL__N_120softmax_warp_forwardIfffLi11ELb0ELb0ELi64EEEvPT0_PKT_iiiPKbib
	.p2align	8
	.type	_ZN12_GLOBAL__N_120softmax_warp_forwardIfffLi11ELb0ELb0ELi64EEEvPT0_PKT_iiiPKbib,@function
_ZN12_GLOBAL__N_120softmax_warp_forwardIfffLi11ELb0ELb0ELi64EEEvPT0_PKT_iiiPKbib: ; @_ZN12_GLOBAL__N_120softmax_warp_forwardIfffLi11ELb0ELb0ELi64EEEvPT0_PKT_iiiPKbib
; %bb.0:
	s_load_dword s0, s[4:5], 0x3c
	s_load_dwordx8 s[68:75], s[4:5], 0x0
	v_bfe_u32 v1, v0, 10, 10
	v_and_b32_e32 v4, 0x3ff, v0
	v_mov_b32_e32 v32, 0xff800000
	s_waitcnt lgkmcnt(0)
	s_lshr_b32 s0, s0, 16
	s_mul_i32 s6, s6, s0
	v_add_u32_e32 v1, s6, v1
	v_sub_u32_e32 v5, s72, v1
	v_mad_u64_u32 v[0:1], s[0:1], v1, s73, v[4:5]
	v_ashrrev_i32_e32 v1, 31, v0
	v_lshlrev_b64 v[0:1], 2, v[0:1]
	v_mov_b32_e32 v3, s71
	v_add_co_u32_e32 v2, vcc, s70, v0
	v_cmp_lt_i32_e64 s[66:67], 0, v5
	v_cmp_gt_i32_e64 s[64:65], s74, v4
	v_addc_co_u32_e32 v3, vcc, v3, v1, vcc
	s_and_b64 s[2:3], s[66:67], s[64:65]
	v_mov_b32_e32 v37, 0xff800000
	s_and_saveexec_b64 s[0:1], s[2:3]
	s_cbranch_execz .LBB402_2
; %bb.1:
	global_load_dword v37, v[2:3], off
.LBB402_2:
	s_or_b64 exec, exec, s[0:1]
	v_add_u32_e32 v6, 64, v4
	v_cmp_gt_i32_e64 s[62:63], s74, v6
	s_and_b64 s[2:3], s[66:67], s[62:63]
	s_and_saveexec_b64 s[0:1], s[2:3]
	s_cbranch_execz .LBB402_4
; %bb.3:
	global_load_dword v32, v[2:3], off offset:256
.LBB402_4:
	s_or_b64 exec, exec, s[0:1]
	v_add_u32_e32 v6, 0x80, v4
	v_cmp_gt_i32_e64 s[60:61], s74, v6
	s_and_b64 s[2:3], s[66:67], s[60:61]
	v_mov_b32_e32 v29, 0xff800000
	v_mov_b32_e32 v36, 0xff800000
	s_and_saveexec_b64 s[0:1], s[2:3]
	s_cbranch_execz .LBB402_6
; %bb.5:
	global_load_dword v36, v[2:3], off offset:512
.LBB402_6:
	s_or_b64 exec, exec, s[0:1]
	v_add_u32_e32 v6, 0xc0, v4
	v_cmp_gt_i32_e64 s[58:59], s74, v6
	s_and_b64 s[2:3], s[66:67], s[58:59]
	s_and_saveexec_b64 s[0:1], s[2:3]
	s_cbranch_execz .LBB402_8
; %bb.7:
	global_load_dword v29, v[2:3], off offset:768
.LBB402_8:
	s_or_b64 exec, exec, s[0:1]
	v_add_u32_e32 v6, 0x100, v4
	v_cmp_gt_i32_e64 s[56:57], s74, v6
	s_and_b64 s[2:3], s[66:67], s[56:57]
	v_mov_b32_e32 v26, 0xff800000
	v_mov_b32_e32 v35, 0xff800000
	s_and_saveexec_b64 s[0:1], s[2:3]
	s_cbranch_execz .LBB402_10
; %bb.9:
	global_load_dword v35, v[2:3], off offset:1024
.LBB402_10:
	;; [unrolled: 20-line block ×7, first 2 shown]
	s_or_b64 exec, exec, s[0:1]
	v_add_u32_e32 v6, 0x3c0, v4
	v_cmp_gt_i32_e64 s[34:35], s74, v6
	s_and_b64 s[2:3], s[66:67], s[34:35]
	s_and_saveexec_b64 s[0:1], s[2:3]
	s_cbranch_execz .LBB402_32
; %bb.31:
	global_load_dword v7, v[2:3], off offset:3840
.LBB402_32:
	s_or_b64 exec, exec, s[0:1]
	v_or_b32_e32 v6, 0x400, v4
	v_cmp_gt_i32_e64 s[30:31], s74, v6
	s_and_b64 s[2:3], s[66:67], s[30:31]
	v_mov_b32_e32 v6, 0xff800000
	v_mov_b32_e32 v13, 0xff800000
	s_and_saveexec_b64 s[0:1], s[2:3]
	s_cbranch_execz .LBB402_34
; %bb.33:
	v_add_co_u32_e32 v12, vcc, 0x1000, v2
	v_addc_co_u32_e32 v13, vcc, 0, v3, vcc
	global_load_dword v13, v[12:13], off
.LBB402_34:
	s_or_b64 exec, exec, s[0:1]
	v_add_u32_e32 v8, 0x440, v4
	v_cmp_gt_i32_e64 s[28:29], s74, v8
	s_and_b64 s[2:3], s[66:67], s[28:29]
	s_and_saveexec_b64 s[0:1], s[2:3]
	s_cbranch_execz .LBB402_36
; %bb.35:
	v_add_co_u32_e32 v16, vcc, 0x1000, v2
	v_addc_co_u32_e32 v17, vcc, 0, v3, vcc
	global_load_dword v6, v[16:17], off offset:256
.LBB402_36:
	s_or_b64 exec, exec, s[0:1]
	v_add_u32_e32 v8, 0x480, v4
	v_cmp_gt_i32_e64 s[26:27], s74, v8
	s_and_b64 s[2:3], s[66:67], s[26:27]
	v_mov_b32_e32 v8, 0xff800000
	v_mov_b32_e32 v16, 0xff800000
	s_and_saveexec_b64 s[0:1], s[2:3]
	s_cbranch_execz .LBB402_38
; %bb.37:
	v_add_co_u32_e32 v16, vcc, 0x1000, v2
	v_addc_co_u32_e32 v17, vcc, 0, v3, vcc
	global_load_dword v16, v[16:17], off offset:512
.LBB402_38:
	s_or_b64 exec, exec, s[0:1]
	v_add_u32_e32 v10, 0x4c0, v4
	v_cmp_gt_i32_e64 s[24:25], s74, v10
	s_and_b64 s[2:3], s[66:67], s[24:25]
	s_and_saveexec_b64 s[0:1], s[2:3]
	s_cbranch_execz .LBB402_40
; %bb.39:
	v_add_co_u32_e32 v24, vcc, 0x1000, v2
	v_addc_co_u32_e32 v25, vcc, 0, v3, vcc
	global_load_dword v8, v[24:25], off offset:768
.LBB402_40:
	s_or_b64 exec, exec, s[0:1]
	v_add_u32_e32 v10, 0x500, v4
	v_cmp_gt_i32_e64 s[22:23], s74, v10
	s_and_b64 s[2:3], s[66:67], s[22:23]
	v_mov_b32_e32 v10, 0xff800000
	v_mov_b32_e32 v21, 0xff800000
	s_and_saveexec_b64 s[0:1], s[2:3]
	s_cbranch_execz .LBB402_42
; %bb.41:
	v_add_co_u32_e32 v24, vcc, 0x1000, v2
	v_addc_co_u32_e32 v25, vcc, 0, v3, vcc
	global_load_dword v21, v[24:25], off offset:1024
.LBB402_42:
	;; [unrolled: 24-line block ×7, first 2 shown]
	s_or_b64 exec, exec, s[0:1]
	v_add_u32_e32 v4, 0x7c0, v4
	v_cmp_gt_i32_e64 s[0:1], s74, v4
	s_and_b64 s[70:71], s[66:67], s[0:1]
	s_and_saveexec_b64 s[66:67], s[70:71]
	s_cbranch_execz .LBB402_64
; %bb.63:
	v_add_co_u32_e32 v2, vcc, 0x1000, v2
	v_addc_co_u32_e32 v3, vcc, 0, v3, vcc
	global_load_dword v25, v[2:3], off offset:3840
.LBB402_64:
	s_or_b64 exec, exec, s[66:67]
	s_waitcnt vmcnt(0)
	v_cmp_gt_f32_e32 vcc, v37, v32
	v_cndmask_b32_e32 v2, v32, v37, vcc
	v_cmp_gt_f32_e32 vcc, v2, v36
	v_cndmask_b32_e32 v2, v36, v2, vcc
	v_cmp_gt_f32_e32 vcc, v2, v29
	v_cndmask_b32_e32 v2, v29, v2, vcc
	v_cmp_gt_f32_e32 vcc, v2, v35
	v_cndmask_b32_e32 v2, v35, v2, vcc
	v_cmp_gt_f32_e32 vcc, v2, v26
	v_cndmask_b32_e32 v2, v26, v2, vcc
	v_cmp_gt_f32_e32 vcc, v2, v31
	v_cndmask_b32_e32 v2, v31, v2, vcc
	v_cmp_gt_f32_e32 vcc, v2, v20
	v_cndmask_b32_e32 v2, v20, v2, vcc
	v_cmp_gt_f32_e32 vcc, v2, v28
	v_cndmask_b32_e32 v2, v28, v2, vcc
	v_cmp_gt_f32_e32 vcc, v2, v15
	v_cndmask_b32_e32 v2, v15, v2, vcc
	v_cmp_gt_f32_e32 vcc, v2, v23
	v_cndmask_b32_e32 v2, v23, v2, vcc
	v_cmp_gt_f32_e32 vcc, v2, v11
	v_cndmask_b32_e32 v2, v11, v2, vcc
	v_cmp_gt_f32_e32 vcc, v2, v19
	v_cndmask_b32_e32 v2, v19, v2, vcc
	v_cmp_gt_f32_e32 vcc, v2, v9
	v_cndmask_b32_e32 v2, v9, v2, vcc
	v_cmp_gt_f32_e32 vcc, v2, v14
	v_cndmask_b32_e32 v2, v14, v2, vcc
	v_cmp_gt_f32_e32 vcc, v2, v7
	v_cndmask_b32_e32 v2, v7, v2, vcc
	v_cmp_gt_f32_e32 vcc, v2, v13
	v_cndmask_b32_e32 v2, v13, v2, vcc
	v_cmp_gt_f32_e32 vcc, v2, v6
	v_cndmask_b32_e32 v2, v6, v2, vcc
	v_cmp_gt_f32_e32 vcc, v2, v16
	v_cndmask_b32_e32 v2, v16, v2, vcc
	v_cmp_gt_f32_e32 vcc, v2, v8
	v_cndmask_b32_e32 v2, v8, v2, vcc
	v_cmp_gt_f32_e32 vcc, v2, v21
	v_cndmask_b32_e32 v2, v21, v2, vcc
	v_cmp_gt_f32_e32 vcc, v2, v10
	v_cndmask_b32_e32 v2, v10, v2, vcc
	v_cmp_gt_f32_e32 vcc, v2, v24
	v_cndmask_b32_e32 v2, v24, v2, vcc
	v_cmp_gt_f32_e32 vcc, v2, v12
	v_cndmask_b32_e32 v2, v12, v2, vcc
	v_cmp_gt_f32_e32 vcc, v2, v27
	v_cndmask_b32_e32 v2, v27, v2, vcc
	v_cmp_gt_f32_e32 vcc, v2, v17
	v_cndmask_b32_e32 v2, v17, v2, vcc
	v_cmp_gt_f32_e32 vcc, v2, v30
	v_cndmask_b32_e32 v2, v30, v2, vcc
	v_cmp_gt_f32_e32 vcc, v2, v18
	v_cndmask_b32_e32 v2, v18, v2, vcc
	v_cmp_gt_f32_e32 vcc, v2, v33
	v_cndmask_b32_e32 v2, v33, v2, vcc
	v_cmp_gt_f32_e32 vcc, v2, v22
	v_cndmask_b32_e32 v2, v22, v2, vcc
	v_mbcnt_lo_u32_b32 v3, -1, 0
	v_cmp_gt_f32_e32 vcc, v2, v34
	v_mbcnt_hi_u32_b32 v3, -1, v3
	v_cndmask_b32_e32 v2, v34, v2, vcc
	v_and_b32_e32 v4, 64, v3
	v_cmp_gt_f32_e32 vcc, v2, v25
	v_add_u32_e32 v38, 64, v4
	v_xor_b32_e32 v4, 32, v3
	v_cndmask_b32_e32 v2, v25, v2, vcc
	v_cmp_lt_i32_e32 vcc, v4, v38
	v_cndmask_b32_e32 v4, v3, v4, vcc
	v_lshlrev_b32_e32 v4, 2, v4
	ds_bpermute_b32 v39, v4, v2
	s_mov_b32 s66, 0x3fb8aa3b
	s_mov_b32 s33, 0xc2ce8ed0
	s_mov_b32 s67, 0x42b17218
	v_mov_b32_e32 v51, 0x7f800000
	s_waitcnt lgkmcnt(0)
	v_cmp_lt_f32_e32 vcc, v2, v39
	v_cndmask_b32_e32 v2, v2, v39, vcc
	v_xor_b32_e32 v39, 16, v3
	v_cmp_lt_i32_e32 vcc, v39, v38
	v_cndmask_b32_e32 v39, v3, v39, vcc
	v_lshlrev_b32_e32 v43, 2, v39
	ds_bpermute_b32 v39, v43, v2
	s_waitcnt lgkmcnt(0)
	v_cmp_lt_f32_e32 vcc, v2, v39
	v_cndmask_b32_e32 v2, v2, v39, vcc
	v_xor_b32_e32 v39, 8, v3
	v_cmp_lt_i32_e32 vcc, v39, v38
	v_cndmask_b32_e32 v39, v3, v39, vcc
	v_lshlrev_b32_e32 v44, 2, v39
	ds_bpermute_b32 v39, v44, v2
	;; [unrolled: 8-line block ×5, first 2 shown]
	s_waitcnt lgkmcnt(0)
	v_cmp_lt_f32_e32 vcc, v2, v3
	v_cndmask_b32_e32 v2, v2, v3, vcc
	v_sub_f32_e32 v3, v37, v2
	v_mul_f32_e32 v37, 0x3fb8aa3b, v3
	v_fma_f32 v38, v3, s66, -v37
	v_rndne_f32_e32 v39, v37
	v_fmac_f32_e32 v38, 0x32a5705f, v3
	v_sub_f32_e32 v37, v37, v39
	v_add_f32_e32 v37, v37, v38
	v_exp_f32_e32 v37, v37
	v_cvt_i32_f32_e32 v38, v39
	v_sub_f32_e32 v32, v32, v2
	v_cmp_ngt_f32_e32 vcc, s33, v3
	v_sub_f32_e32 v36, v36, v2
	v_ldexp_f32 v37, v37, v38
	v_mul_f32_e32 v38, 0x3fb8aa3b, v32
	v_fma_f32 v39, v32, s66, -v38
	v_rndne_f32_e32 v40, v38
	v_fmac_f32_e32 v39, 0x32a5705f, v32
	v_sub_f32_e32 v38, v38, v40
	v_add_f32_e32 v38, v38, v39
	v_exp_f32_e32 v38, v38
	v_cvt_i32_f32_e32 v39, v40
	v_cndmask_b32_e32 v37, 0, v37, vcc
	v_cmp_nlt_f32_e32 vcc, s67, v3
	v_cndmask_b32_e32 v49, v51, v37, vcc
	v_mul_f32_e32 v37, 0x3fb8aa3b, v36
	v_ldexp_f32 v3, v38, v39
	v_fma_f32 v38, v36, s66, -v37
	v_rndne_f32_e32 v39, v37
	v_fmac_f32_e32 v38, 0x32a5705f, v36
	v_sub_f32_e32 v37, v37, v39
	v_add_f32_e32 v37, v37, v38
	v_exp_f32_e32 v37, v37
	v_cvt_i32_f32_e32 v38, v39
	v_cmp_ngt_f32_e32 vcc, s33, v32
	v_sub_f32_e32 v29, v29, v2
	v_cndmask_b32_e32 v3, 0, v3, vcc
	v_cmp_nlt_f32_e32 vcc, s67, v32
	v_ldexp_f32 v32, v37, v38
	v_mul_f32_e32 v37, 0x3fb8aa3b, v29
	v_fma_f32 v38, v29, s66, -v37
	v_rndne_f32_e32 v39, v37
	v_fmac_f32_e32 v38, 0x32a5705f, v29
	v_sub_f32_e32 v37, v37, v39
	v_add_f32_e32 v37, v37, v38
	v_exp_f32_e32 v37, v37
	v_cvt_i32_f32_e32 v38, v39
	v_cndmask_b32_e32 v47, v51, v3, vcc
	v_cmp_ngt_f32_e32 vcc, s33, v36
	v_sub_f32_e32 v35, v35, v2
	v_cndmask_b32_e32 v32, 0, v32, vcc
	v_cmp_nlt_f32_e32 vcc, s67, v36
	v_mul_f32_e32 v36, 0x3fb8aa3b, v35
	v_cndmask_b32_e32 v45, v51, v32, vcc
	v_ldexp_f32 v32, v37, v38
	v_fma_f32 v37, v35, s66, -v36
	v_rndne_f32_e32 v38, v36
	v_fmac_f32_e32 v37, 0x32a5705f, v35
	v_sub_f32_e32 v36, v36, v38
	v_add_f32_e32 v36, v36, v37
	v_exp_f32_e32 v36, v36
	v_cvt_i32_f32_e32 v37, v38
	v_cmp_ngt_f32_e32 vcc, s33, v29
	v_cndmask_b32_e32 v32, 0, v32, vcc
	v_cmp_nlt_f32_e32 vcc, s67, v29
	v_sub_f32_e32 v26, v26, v2
	v_cndmask_b32_e32 v42, v51, v32, vcc
	v_mul_f32_e32 v32, 0x3fb8aa3b, v26
	v_ldexp_f32 v29, v36, v37
	v_fma_f32 v36, v26, s66, -v32
	v_rndne_f32_e32 v37, v32
	v_fmac_f32_e32 v36, 0x32a5705f, v26
	v_sub_f32_e32 v32, v32, v37
	v_add_f32_e32 v32, v32, v36
	v_exp_f32_e32 v32, v32
	v_cvt_i32_f32_e32 v36, v37
	v_cmp_ngt_f32_e32 vcc, s33, v35
	v_cndmask_b32_e32 v29, 0, v29, vcc
	v_cmp_nlt_f32_e32 vcc, s67, v35
	v_sub_f32_e32 v31, v31, v2
	v_cndmask_b32_e32 v41, v51, v29, vcc
	v_ldexp_f32 v29, v32, v36
	v_mul_f32_e32 v32, 0x3fb8aa3b, v31
	v_fma_f32 v35, v31, s66, -v32
	v_rndne_f32_e32 v36, v32
	v_fmac_f32_e32 v35, 0x32a5705f, v31
	v_sub_f32_e32 v32, v32, v36
	v_add_f32_e32 v32, v32, v35
	v_exp_f32_e32 v32, v32
	v_cvt_i32_f32_e32 v35, v36
	v_cmp_ngt_f32_e32 vcc, s33, v26
	v_cndmask_b32_e32 v29, 0, v29, vcc
	v_cmp_nlt_f32_e32 vcc, s67, v26
	v_sub_f32_e32 v20, v20, v2
	v_cndmask_b32_e32 v40, v51, v29, vcc
	v_mul_f32_e32 v29, 0x3fb8aa3b, v20
	v_ldexp_f32 v26, v32, v35
	v_fma_f32 v32, v20, s66, -v29
	v_rndne_f32_e32 v35, v29
	v_fmac_f32_e32 v32, 0x32a5705f, v20
	v_sub_f32_e32 v29, v29, v35
	v_add_f32_e32 v29, v29, v32
	v_exp_f32_e32 v29, v29
	v_cvt_i32_f32_e32 v32, v35
	v_cmp_ngt_f32_e32 vcc, s33, v31
	v_cndmask_b32_e32 v26, 0, v26, vcc
	v_cmp_nlt_f32_e32 vcc, s67, v31
	v_sub_f32_e32 v28, v28, v2
	v_cndmask_b32_e32 v39, v51, v26, vcc
	v_ldexp_f32 v26, v29, v32
	v_mul_f32_e32 v29, 0x3fb8aa3b, v28
	;; [unrolled: 28-line block ×5, first 2 shown]
	v_fma_f32 v19, v14, s66, -v15
	v_rndne_f32_e32 v20, v15
	v_fmac_f32_e32 v19, 0x32a5705f, v14
	v_sub_f32_e32 v15, v15, v20
	v_add_f32_e32 v15, v15, v19
	v_exp_f32_e32 v15, v15
	v_cvt_i32_f32_e32 v19, v20
	v_cmp_ngt_f32_e32 vcc, s33, v9
	v_cndmask_b32_e32 v11, 0, v11, vcc
	v_cmp_nlt_f32_e32 vcc, s67, v9
	v_sub_f32_e32 v7, v7, v2
	v_cndmask_b32_e32 v29, v51, v11, vcc
	v_mul_f32_e32 v11, 0x3fb8aa3b, v7
	v_ldexp_f32 v9, v15, v19
	v_fma_f32 v15, v7, s66, -v11
	v_rndne_f32_e32 v19, v11
	v_fmac_f32_e32 v15, 0x32a5705f, v7
	v_sub_f32_e32 v11, v11, v19
	v_add_f32_e32 v11, v11, v15
	v_exp_f32_e32 v11, v11
	v_cvt_i32_f32_e32 v15, v19
	v_cmp_ngt_f32_e32 vcc, s33, v14
	v_cndmask_b32_e32 v9, 0, v9, vcc
	v_cmp_nlt_f32_e32 vcc, s67, v14
	v_cndmask_b32_e32 v28, v51, v9, vcc
	v_ldexp_f32 v9, v11, v15
	v_sub_f32_e32 v11, v13, v2
	v_mul_f32_e32 v13, 0x3fb8aa3b, v11
	v_fma_f32 v14, v11, s66, -v13
	v_rndne_f32_e32 v15, v13
	v_fmac_f32_e32 v14, 0x32a5705f, v11
	v_sub_f32_e32 v13, v13, v15
	v_add_f32_e32 v13, v13, v14
	v_exp_f32_e32 v13, v13
	v_cvt_i32_f32_e32 v14, v15
	v_cmp_ngt_f32_e32 vcc, s33, v7
	v_cndmask_b32_e32 v9, 0, v9, vcc
	v_cmp_nlt_f32_e32 vcc, s67, v7
	v_sub_f32_e32 v6, v6, v2
	v_cndmask_b32_e32 v26, v51, v9, vcc
	v_mul_f32_e32 v9, 0x3fb8aa3b, v6
	v_ldexp_f32 v7, v13, v14
	v_fma_f32 v13, v6, s66, -v9
	v_rndne_f32_e32 v14, v9
	v_fmac_f32_e32 v13, 0x32a5705f, v6
	v_sub_f32_e32 v9, v9, v14
	v_add_f32_e32 v9, v9, v13
	v_exp_f32_e32 v9, v9
	v_cvt_i32_f32_e32 v13, v14
	v_cmp_ngt_f32_e32 vcc, s33, v11
	v_cndmask_b32_e32 v7, 0, v7, vcc
	v_cmp_nlt_f32_e32 vcc, s67, v11
	v_cndmask_b32_e32 v23, v51, v7, vcc
	v_ldexp_f32 v7, v9, v13
	v_sub_f32_e32 v9, v16, v2
	v_mul_f32_e32 v11, 0x3fb8aa3b, v9
	v_fma_f32 v13, v9, s66, -v11
	v_rndne_f32_e32 v14, v11
	v_fmac_f32_e32 v13, 0x32a5705f, v9
	v_sub_f32_e32 v11, v11, v14
	v_add_f32_e32 v11, v11, v13
	v_cmp_ngt_f32_e32 vcc, s33, v6
	v_exp_f32_e32 v11, v11
	v_cvt_i32_f32_e32 v13, v14
	v_cndmask_b32_e32 v7, 0, v7, vcc
	v_cmp_nlt_f32_e32 vcc, s67, v6
	v_cndmask_b32_e32 v20, v51, v7, vcc
	v_sub_f32_e32 v7, v8, v2
	v_mul_f32_e32 v8, 0x3fb8aa3b, v7
	v_ldexp_f32 v6, v11, v13
	v_fma_f32 v11, v7, s66, -v8
	v_rndne_f32_e32 v13, v8
	v_fmac_f32_e32 v11, 0x32a5705f, v7
	v_sub_f32_e32 v8, v8, v13
	v_add_f32_e32 v8, v8, v11
	v_exp_f32_e32 v8, v8
	v_cvt_i32_f32_e32 v11, v13
	v_cmp_ngt_f32_e32 vcc, s33, v9
	v_cndmask_b32_e32 v6, 0, v6, vcc
	v_cmp_nlt_f32_e32 vcc, s67, v9
	v_cndmask_b32_e32 v19, v51, v6, vcc
	v_ldexp_f32 v6, v8, v11
	v_sub_f32_e32 v8, v21, v2
	v_mul_f32_e32 v9, 0x3fb8aa3b, v8
	v_fma_f32 v11, v8, s66, -v9
	v_rndne_f32_e32 v13, v9
	v_fmac_f32_e32 v11, 0x32a5705f, v8
	v_sub_f32_e32 v9, v9, v13
	v_add_f32_e32 v9, v9, v11
	v_exp_f32_e32 v9, v9
	v_cvt_i32_f32_e32 v11, v13
	v_cmp_ngt_f32_e32 vcc, s33, v7
	v_cndmask_b32_e32 v6, 0, v6, vcc
	v_cmp_nlt_f32_e32 vcc, s67, v7
	v_sub_f32_e32 v7, v10, v2
	v_cndmask_b32_e32 v16, v51, v6, vcc
	v_ldexp_f32 v6, v9, v11
	v_mul_f32_e32 v9, 0x3fb8aa3b, v7
	v_fma_f32 v10, v7, s66, -v9
	v_rndne_f32_e32 v11, v9
	v_fmac_f32_e32 v10, 0x32a5705f, v7
	v_sub_f32_e32 v9, v9, v11
	v_add_f32_e32 v9, v9, v10
	v_exp_f32_e32 v9, v9
	v_cvt_i32_f32_e32 v10, v11
	v_cmp_ngt_f32_e32 vcc, s33, v8
	v_cndmask_b32_e32 v6, 0, v6, vcc
	v_cmp_nlt_f32_e32 vcc, s67, v8
	v_sub_f32_e32 v8, v24, v2
	v_cndmask_b32_e32 v15, v51, v6, vcc
	v_ldexp_f32 v6, v9, v10
	;; [unrolled: 14-line block ×7, first 2 shown]
	v_mul_f32_e32 v9, 0x3fb8aa3b, v7
	v_fma_f32 v17, v7, s66, -v9
	v_rndne_f32_e32 v18, v9
	v_fmac_f32_e32 v17, 0x32a5705f, v7
	v_sub_f32_e32 v9, v9, v18
	v_add_f32_e32 v9, v9, v17
	v_exp_f32_e32 v17, v9
	v_cvt_i32_f32_e32 v18, v18
	v_add_f32_e32 v3, v49, v47
	v_cmp_ngt_f32_e32 vcc, s33, v8
	v_add_f32_e32 v3, v3, v45
	v_cndmask_b32_e32 v6, 0, v6, vcc
	v_cmp_nlt_f32_e32 vcc, s67, v8
	v_add_f32_e32 v3, v3, v42
	v_cndmask_b32_e32 v9, v51, v6, vcc
	v_ldexp_f32 v6, v17, v18
	v_sub_f32_e32 v17, v33, v2
	v_add_f32_e32 v3, v3, v41
	v_mul_f32_e32 v8, 0x3fb8aa3b, v17
	v_add_f32_e32 v3, v3, v40
	v_fma_f32 v18, v17, s66, -v8
	v_rndne_f32_e32 v21, v8
	v_add_f32_e32 v3, v3, v39
	v_fmac_f32_e32 v18, 0x32a5705f, v17
	v_sub_f32_e32 v8, v8, v21
	v_add_f32_e32 v3, v3, v38
	v_add_f32_e32 v8, v8, v18
	;; [unrolled: 1-line block ×3, first 2 shown]
	v_exp_f32_e32 v18, v8
	v_cvt_i32_f32_e32 v21, v21
	v_add_f32_e32 v3, v3, v36
	v_add_f32_e32 v3, v3, v35
	v_cmp_ngt_f32_e32 vcc, s33, v7
	v_add_f32_e32 v3, v3, v32
	v_cndmask_b32_e32 v6, 0, v6, vcc
	v_cmp_nlt_f32_e32 vcc, s67, v7
	v_add_f32_e32 v3, v3, v31
	v_cndmask_b32_e32 v8, v51, v6, vcc
	v_ldexp_f32 v6, v18, v21
	v_sub_f32_e32 v18, v22, v2
	v_add_f32_e32 v3, v3, v29
	v_mul_f32_e32 v7, 0x3fb8aa3b, v18
	v_add_f32_e32 v3, v3, v28
	v_fma_f32 v21, v18, s66, -v7
	v_rndne_f32_e32 v22, v7
	v_add_f32_e32 v3, v3, v26
	v_fmac_f32_e32 v21, 0x32a5705f, v18
	v_sub_f32_e32 v7, v7, v22
	v_add_f32_e32 v3, v3, v23
	v_add_f32_e32 v7, v7, v21
	;; [unrolled: 1-line block ×3, first 2 shown]
	v_exp_f32_e32 v21, v7
	v_cvt_i32_f32_e32 v22, v22
	v_add_f32_e32 v3, v3, v19
	v_add_f32_e32 v3, v3, v16
	v_cmp_ngt_f32_e32 vcc, s33, v17
	v_add_f32_e32 v3, v3, v15
	v_cndmask_b32_e32 v6, 0, v6, vcc
	v_cmp_nlt_f32_e32 vcc, s67, v17
	v_sub_f32_e32 v17, v34, v2
	v_add_f32_e32 v3, v3, v14
	v_cndmask_b32_e32 v7, v51, v6, vcc
	v_ldexp_f32 v6, v21, v22
	v_mul_f32_e32 v21, 0x3fb8aa3b, v17
	v_add_f32_e32 v3, v3, v13
	v_fma_f32 v22, v17, s66, -v21
	v_rndne_f32_e32 v24, v21
	v_add_f32_e32 v3, v3, v12
	v_fmac_f32_e32 v22, 0x32a5705f, v17
	v_sub_f32_e32 v21, v21, v24
	v_add_f32_e32 v3, v3, v11
	v_add_f32_e32 v21, v21, v22
	;; [unrolled: 1-line block ×3, first 2 shown]
	v_exp_f32_e32 v21, v21
	v_cvt_i32_f32_e32 v22, v24
	v_add_f32_e32 v3, v3, v9
	v_cmp_ngt_f32_e32 vcc, s33, v18
	v_add_f32_e32 v3, v3, v8
	v_cndmask_b32_e32 v6, 0, v6, vcc
	v_cmp_nlt_f32_e32 vcc, s67, v18
	v_add_f32_e32 v3, v3, v7
	v_cndmask_b32_e32 v6, v51, v6, vcc
	v_sub_f32_e32 v2, v25, v2
	v_add_f32_e32 v18, v3, v6
	v_ldexp_f32 v3, v21, v22
	v_mul_f32_e32 v21, 0x3fb8aa3b, v2
	v_fma_f32 v22, v2, s66, -v21
	v_rndne_f32_e32 v24, v21
	v_fmac_f32_e32 v22, 0x32a5705f, v2
	v_sub_f32_e32 v21, v21, v24
	v_add_f32_e32 v21, v21, v22
	v_exp_f32_e32 v21, v21
	v_cvt_i32_f32_e32 v22, v24
	v_cmp_ngt_f32_e32 vcc, s33, v17
	v_cndmask_b32_e32 v3, 0, v3, vcc
	v_cmp_nlt_f32_e32 vcc, s67, v17
	v_cndmask_b32_e32 v3, v51, v3, vcc
	v_add_f32_e32 v17, v18, v3
	v_ldexp_f32 v18, v21, v22
	v_cmp_ngt_f32_e32 vcc, s33, v2
	v_cndmask_b32_e32 v18, 0, v18, vcc
	v_cmp_nlt_f32_e32 vcc, s67, v2
	v_cndmask_b32_e32 v2, v51, v18, vcc
	v_add_f32_e32 v17, v17, v2
	ds_bpermute_b32 v4, v4, v17
	v_cmp_lt_i32_e32 vcc, 0, v5
	s_waitcnt lgkmcnt(0)
	v_add_f32_e32 v4, v17, v4
	ds_bpermute_b32 v17, v43, v4
	s_waitcnt lgkmcnt(0)
	v_add_f32_e32 v4, v4, v17
	ds_bpermute_b32 v17, v44, v4
	s_waitcnt lgkmcnt(0)
	v_add_f32_e32 v4, v4, v17
	ds_bpermute_b32 v17, v46, v4
	s_waitcnt lgkmcnt(0)
	v_add_f32_e32 v4, v4, v17
	ds_bpermute_b32 v17, v48, v4
	s_waitcnt lgkmcnt(0)
	v_add_f32_e32 v4, v4, v17
	ds_bpermute_b32 v17, v50, v4
	s_and_saveexec_b64 s[66:67], vcc
	s_cbranch_execz .LBB402_98
; %bb.65:
	s_and_b64 exec, exec, s[64:65]
	s_cbranch_execz .LBB402_98
; %bb.66:
	s_waitcnt lgkmcnt(0)
	v_add_f32_e32 v4, v4, v17
	v_div_scale_f32 v17, s[64:65], v4, v4, v49
	v_rcp_f32_e32 v18, v17
	v_mov_b32_e32 v5, s69
	v_add_co_u32_e32 v0, vcc, s68, v0
	v_addc_co_u32_e32 v1, vcc, v5, v1, vcc
	v_fma_f32 v5, -v17, v18, 1.0
	v_fmac_f32_e32 v18, v5, v18
	v_div_scale_f32 v5, vcc, v49, v4, v49
	v_mul_f32_e32 v21, v5, v18
	v_fma_f32 v22, -v17, v21, v5
	v_fmac_f32_e32 v21, v22, v18
	v_fma_f32 v5, -v17, v21, v5
	v_div_fmas_f32 v5, v5, v18, v21
	v_div_fixup_f32 v17, v5, v4, v49
	v_mov_b32_e32 v5, 0x7fc00000
	v_cmp_eq_f32_e64 s[64:65], 0, v4
	v_cndmask_b32_e64 v17, v17, v5, s[64:65]
	global_store_dword v[0:1], v17, off
	s_and_b64 exec, exec, s[62:63]
	s_cbranch_execz .LBB402_98
; %bb.67:
	v_div_scale_f32 v17, s[62:63], v4, v4, v47
	v_rcp_f32_e32 v18, v17
	v_div_scale_f32 v21, vcc, v47, v4, v47
	v_fma_f32 v22, -v17, v18, 1.0
	v_fmac_f32_e32 v18, v22, v18
	v_mul_f32_e32 v22, v21, v18
	v_fma_f32 v24, -v17, v22, v21
	v_fmac_f32_e32 v22, v24, v18
	v_fma_f32 v17, -v17, v22, v21
	v_div_fmas_f32 v17, v17, v18, v22
	v_div_fixup_f32 v17, v17, v4, v47
	v_cndmask_b32_e64 v5, v17, v5, s[64:65]
	global_store_dword v[0:1], v5, off offset:256
	s_and_b64 exec, exec, s[60:61]
	s_cbranch_execz .LBB402_98
; %bb.68:
	v_div_scale_f32 v5, s[60:61], v4, v4, v45
	v_rcp_f32_e32 v17, v5
	v_div_scale_f32 v18, vcc, v45, v4, v45
	v_fma_f32 v21, -v5, v17, 1.0
	v_fmac_f32_e32 v17, v21, v17
	v_mul_f32_e32 v21, v18, v17
	v_fma_f32 v22, -v5, v21, v18
	v_fmac_f32_e32 v21, v22, v17
	v_fma_f32 v5, -v5, v21, v18
	v_div_fmas_f32 v5, v5, v17, v21
	v_div_fixup_f32 v17, v5, v4, v45
	v_mov_b32_e32 v5, 0x7fc00000
	v_cndmask_b32_e64 v17, v17, v5, s[64:65]
	global_store_dword v[0:1], v17, off offset:512
	s_and_b64 exec, exec, s[58:59]
	s_cbranch_execz .LBB402_98
; %bb.69:
	v_div_scale_f32 v17, s[58:59], v4, v4, v42
	v_rcp_f32_e32 v18, v17
	v_div_scale_f32 v21, vcc, v42, v4, v42
	v_fma_f32 v22, -v17, v18, 1.0
	v_fmac_f32_e32 v18, v22, v18
	v_mul_f32_e32 v22, v21, v18
	v_fma_f32 v24, -v17, v22, v21
	v_fmac_f32_e32 v22, v24, v18
	v_fma_f32 v17, -v17, v22, v21
	v_div_fmas_f32 v17, v17, v18, v22
	v_div_fixup_f32 v17, v17, v4, v42
	v_cndmask_b32_e64 v5, v17, v5, s[64:65]
	global_store_dword v[0:1], v5, off offset:768
	s_and_b64 exec, exec, s[56:57]
	s_cbranch_execz .LBB402_98
; %bb.70:
	v_div_scale_f32 v5, s[56:57], v4, v4, v41
	v_rcp_f32_e32 v17, v5
	v_div_scale_f32 v18, vcc, v41, v4, v41
	v_fma_f32 v21, -v5, v17, 1.0
	v_fmac_f32_e32 v17, v21, v17
	v_mul_f32_e32 v21, v18, v17
	v_fma_f32 v22, -v5, v21, v18
	v_fmac_f32_e32 v21, v22, v17
	v_fma_f32 v5, -v5, v21, v18
	v_div_fmas_f32 v5, v5, v17, v21
	v_div_fixup_f32 v17, v5, v4, v41
	v_mov_b32_e32 v5, 0x7fc00000
	v_cndmask_b32_e64 v17, v17, v5, s[64:65]
	global_store_dword v[0:1], v17, off offset:1024
	;; [unrolled: 33-line block ×7, first 2 shown]
	s_and_b64 exec, exec, s[34:35]
	s_cbranch_execz .LBB402_98
; %bb.81:
	v_div_scale_f32 v17, s[34:35], v4, v4, v26
	v_rcp_f32_e32 v18, v17
	v_div_scale_f32 v21, vcc, v26, v4, v26
	v_fma_f32 v22, -v17, v18, 1.0
	v_fmac_f32_e32 v18, v22, v18
	v_mul_f32_e32 v22, v21, v18
	v_fma_f32 v24, -v17, v22, v21
	v_fmac_f32_e32 v22, v24, v18
	v_fma_f32 v17, -v17, v22, v21
	v_div_fmas_f32 v17, v17, v18, v22
	v_div_fixup_f32 v17, v17, v4, v26
	v_cndmask_b32_e64 v5, v17, v5, s[64:65]
	global_store_dword v[0:1], v5, off offset:3840
	s_and_b64 exec, exec, s[30:31]
	s_cbranch_execz .LBB402_98
; %bb.82:
	v_div_scale_f32 v5, s[30:31], v4, v4, v23
	v_rcp_f32_e32 v17, v5
	v_div_scale_f32 v18, vcc, v23, v4, v23
	v_fma_f32 v21, -v5, v17, 1.0
	v_fmac_f32_e32 v17, v21, v17
	v_mul_f32_e32 v21, v18, v17
	v_fma_f32 v22, -v5, v21, v18
	v_fmac_f32_e32 v21, v22, v17
	v_fma_f32 v5, -v5, v21, v18
	v_div_fmas_f32 v5, v5, v17, v21
	v_div_fixup_f32 v17, v5, v4, v23
	v_mov_b32_e32 v5, 0x7fc00000
	v_add_co_u32_e32 v22, vcc, 0x1000, v0
	v_cndmask_b32_e64 v17, v17, v5, s[64:65]
	v_addc_co_u32_e32 v23, vcc, 0, v1, vcc
	global_store_dword v[22:23], v17, off
	s_and_b64 exec, exec, s[28:29]
	s_cbranch_execz .LBB402_98
; %bb.83:
	v_div_scale_f32 v17, s[28:29], v4, v4, v20
	v_rcp_f32_e32 v18, v17
	v_div_scale_f32 v21, vcc, v20, v4, v20
	v_fma_f32 v22, -v17, v18, 1.0
	v_fmac_f32_e32 v18, v22, v18
	v_mul_f32_e32 v22, v21, v18
	v_fma_f32 v23, -v17, v22, v21
	v_fmac_f32_e32 v22, v23, v18
	v_fma_f32 v17, -v17, v22, v21
	v_div_fmas_f32 v17, v17, v18, v22
	v_div_fixup_f32 v17, v17, v4, v20
	v_add_co_u32_e32 v20, vcc, 0x1000, v0
	v_cndmask_b32_e64 v5, v17, v5, s[64:65]
	v_addc_co_u32_e32 v21, vcc, 0, v1, vcc
	global_store_dword v[20:21], v5, off offset:256
	s_and_b64 exec, exec, s[26:27]
	s_cbranch_execz .LBB402_98
; %bb.84:
	v_div_scale_f32 v5, s[26:27], v4, v4, v19
	v_rcp_f32_e32 v17, v5
	v_div_scale_f32 v18, vcc, v19, v4, v19
	v_fma_f32 v20, -v5, v17, 1.0
	v_fmac_f32_e32 v17, v20, v17
	v_mul_f32_e32 v20, v18, v17
	v_fma_f32 v21, -v5, v20, v18
	v_fmac_f32_e32 v20, v21, v17
	v_fma_f32 v5, -v5, v20, v18
	v_div_fmas_f32 v5, v5, v17, v20
	v_div_fixup_f32 v17, v5, v4, v19
	v_mov_b32_e32 v5, 0x7fc00000
	v_add_co_u32_e32 v18, vcc, 0x1000, v0
	v_cndmask_b32_e64 v17, v17, v5, s[64:65]
	v_addc_co_u32_e32 v19, vcc, 0, v1, vcc
	global_store_dword v[18:19], v17, off offset:512
	s_and_b64 exec, exec, s[24:25]
	s_cbranch_execz .LBB402_98
; %bb.85:
	v_div_scale_f32 v17, s[24:25], v4, v4, v16
	v_rcp_f32_e32 v18, v17
	v_div_scale_f32 v19, vcc, v16, v4, v16
	v_fma_f32 v20, -v17, v18, 1.0
	v_fmac_f32_e32 v18, v20, v18
	v_mul_f32_e32 v20, v19, v18
	v_fma_f32 v21, -v17, v20, v19
	v_fmac_f32_e32 v20, v21, v18
	v_fma_f32 v17, -v17, v20, v19
	v_div_fmas_f32 v17, v17, v18, v20
	v_div_fixup_f32 v16, v17, v4, v16
	v_cndmask_b32_e64 v5, v16, v5, s[64:65]
	v_add_co_u32_e32 v16, vcc, 0x1000, v0
	v_addc_co_u32_e32 v17, vcc, 0, v1, vcc
	global_store_dword v[16:17], v5, off offset:768
	s_and_b64 exec, exec, s[22:23]
	s_cbranch_execz .LBB402_98
; %bb.86:
	v_div_scale_f32 v5, s[22:23], v4, v4, v15
	v_rcp_f32_e32 v16, v5
	v_div_scale_f32 v17, vcc, v15, v4, v15
	v_fma_f32 v18, -v5, v16, 1.0
	v_fmac_f32_e32 v16, v18, v16
	v_mul_f32_e32 v18, v17, v16
	v_fma_f32 v19, -v5, v18, v17
	v_fmac_f32_e32 v18, v19, v16
	v_fma_f32 v5, -v5, v18, v17
	v_div_fmas_f32 v5, v5, v16, v18
	v_div_fixup_f32 v15, v5, v4, v15
	v_mov_b32_e32 v5, 0x7fc00000
	v_add_co_u32_e32 v16, vcc, 0x1000, v0
	v_cndmask_b32_e64 v15, v15, v5, s[64:65]
	v_addc_co_u32_e32 v17, vcc, 0, v1, vcc
	global_store_dword v[16:17], v15, off offset:1024
	s_and_b64 exec, exec, s[20:21]
	s_cbranch_execz .LBB402_98
; %bb.87:
	v_div_scale_f32 v15, s[20:21], v4, v4, v14
	v_rcp_f32_e32 v16, v15
	v_div_scale_f32 v17, vcc, v14, v4, v14
	v_fma_f32 v18, -v15, v16, 1.0
	v_fmac_f32_e32 v16, v18, v16
	v_mul_f32_e32 v18, v17, v16
	v_fma_f32 v19, -v15, v18, v17
	v_fmac_f32_e32 v18, v19, v16
	v_fma_f32 v15, -v15, v18, v17
	v_div_fmas_f32 v15, v15, v16, v18
	v_div_fixup_f32 v14, v15, v4, v14
	v_cndmask_b32_e64 v5, v14, v5, s[64:65]
	v_add_co_u32_e32 v14, vcc, 0x1000, v0
	;; [unrolled: 37-line block ×6, first 2 shown]
	v_addc_co_u32_e32 v7, vcc, 0, v1, vcc
	global_store_dword v[6:7], v5, off offset:3328
	s_and_b64 exec, exec, s[2:3]
	s_cbranch_execz .LBB402_98
; %bb.96:
	v_div_scale_f32 v5, s[2:3], v4, v4, v3
	v_rcp_f32_e32 v6, v5
	v_div_scale_f32 v7, vcc, v3, v4, v3
	v_fma_f32 v8, -v5, v6, 1.0
	v_fmac_f32_e32 v6, v8, v6
	v_mul_f32_e32 v8, v7, v6
	v_fma_f32 v9, -v5, v8, v7
	v_fmac_f32_e32 v8, v9, v6
	v_fma_f32 v5, -v5, v8, v7
	v_div_fmas_f32 v5, v5, v6, v8
	v_div_fixup_f32 v5, v5, v4, v3
	v_mov_b32_e32 v3, 0x7fc00000
	v_add_co_u32_e32 v6, vcc, 0x1000, v0
	v_cndmask_b32_e64 v5, v5, v3, s[64:65]
	v_addc_co_u32_e32 v7, vcc, 0, v1, vcc
	global_store_dword v[6:7], v5, off offset:3584
	s_and_b64 exec, exec, s[0:1]
	s_cbranch_execz .LBB402_98
; %bb.97:
	v_div_scale_f32 v5, s[0:1], v4, v4, v2
	v_rcp_f32_e32 v6, v5
	v_div_scale_f32 v7, vcc, v2, v4, v2
	v_fma_f32 v8, -v5, v6, 1.0
	v_fmac_f32_e32 v6, v8, v6
	v_mul_f32_e32 v8, v7, v6
	v_fma_f32 v9, -v5, v8, v7
	v_fmac_f32_e32 v8, v9, v6
	v_fma_f32 v5, -v5, v8, v7
	v_div_fmas_f32 v5, v5, v6, v8
	v_div_fixup_f32 v2, v5, v4, v2
	v_add_co_u32_e32 v0, vcc, 0x1000, v0
	v_cndmask_b32_e64 v2, v2, v3, s[64:65]
	v_addc_co_u32_e32 v1, vcc, 0, v1, vcc
	global_store_dword v[0:1], v2, off offset:3840
.LBB402_98:
	s_endpgm
	.section	.rodata,"a",@progbits
	.p2align	6, 0x0
	.amdhsa_kernel _ZN12_GLOBAL__N_120softmax_warp_forwardIfffLi11ELb0ELb0ELi64EEEvPT0_PKT_iiiPKbib
		.amdhsa_group_segment_fixed_size 0
		.amdhsa_private_segment_fixed_size 0
		.amdhsa_kernarg_size 304
		.amdhsa_user_sgpr_count 6
		.amdhsa_user_sgpr_private_segment_buffer 1
		.amdhsa_user_sgpr_dispatch_ptr 0
		.amdhsa_user_sgpr_queue_ptr 0
		.amdhsa_user_sgpr_kernarg_segment_ptr 1
		.amdhsa_user_sgpr_dispatch_id 0
		.amdhsa_user_sgpr_flat_scratch_init 0
		.amdhsa_user_sgpr_kernarg_preload_length 0
		.amdhsa_user_sgpr_kernarg_preload_offset 0
		.amdhsa_user_sgpr_private_segment_size 0
		.amdhsa_uses_dynamic_stack 0
		.amdhsa_system_sgpr_private_segment_wavefront_offset 0
		.amdhsa_system_sgpr_workgroup_id_x 1
		.amdhsa_system_sgpr_workgroup_id_y 0
		.amdhsa_system_sgpr_workgroup_id_z 0
		.amdhsa_system_sgpr_workgroup_info 0
		.amdhsa_system_vgpr_workitem_id 1
		.amdhsa_next_free_vgpr 52
		.amdhsa_next_free_sgpr 76
		.amdhsa_accum_offset 52
		.amdhsa_reserve_vcc 1
		.amdhsa_reserve_flat_scratch 0
		.amdhsa_float_round_mode_32 0
		.amdhsa_float_round_mode_16_64 0
		.amdhsa_float_denorm_mode_32 3
		.amdhsa_float_denorm_mode_16_64 3
		.amdhsa_dx10_clamp 1
		.amdhsa_ieee_mode 1
		.amdhsa_fp16_overflow 0
		.amdhsa_tg_split 0
		.amdhsa_exception_fp_ieee_invalid_op 0
		.amdhsa_exception_fp_denorm_src 0
		.amdhsa_exception_fp_ieee_div_zero 0
		.amdhsa_exception_fp_ieee_overflow 0
		.amdhsa_exception_fp_ieee_underflow 0
		.amdhsa_exception_fp_ieee_inexact 0
		.amdhsa_exception_int_div_zero 0
	.end_amdhsa_kernel
	.section	.text._ZN12_GLOBAL__N_120softmax_warp_forwardIfffLi11ELb0ELb0ELi64EEEvPT0_PKT_iiiPKbib,"axG",@progbits,_ZN12_GLOBAL__N_120softmax_warp_forwardIfffLi11ELb0ELb0ELi64EEEvPT0_PKT_iiiPKbib,comdat
.Lfunc_end402:
	.size	_ZN12_GLOBAL__N_120softmax_warp_forwardIfffLi11ELb0ELb0ELi64EEEvPT0_PKT_iiiPKbib, .Lfunc_end402-_ZN12_GLOBAL__N_120softmax_warp_forwardIfffLi11ELb0ELb0ELi64EEEvPT0_PKT_iiiPKbib
                                        ; -- End function
	.section	.AMDGPU.csdata,"",@progbits
; Kernel info:
; codeLenInByte = 8284
; NumSgprs: 80
; NumVgprs: 52
; NumAgprs: 0
; TotalNumVgprs: 52
; ScratchSize: 0
; MemoryBound: 0
; FloatMode: 240
; IeeeMode: 1
; LDSByteSize: 0 bytes/workgroup (compile time only)
; SGPRBlocks: 9
; VGPRBlocks: 6
; NumSGPRsForWavesPerEU: 80
; NumVGPRsForWavesPerEU: 52
; AccumOffset: 52
; Occupancy: 8
; WaveLimiterHint : 0
; COMPUTE_PGM_RSRC2:SCRATCH_EN: 0
; COMPUTE_PGM_RSRC2:USER_SGPR: 6
; COMPUTE_PGM_RSRC2:TRAP_HANDLER: 0
; COMPUTE_PGM_RSRC2:TGID_X_EN: 1
; COMPUTE_PGM_RSRC2:TGID_Y_EN: 0
; COMPUTE_PGM_RSRC2:TGID_Z_EN: 0
; COMPUTE_PGM_RSRC2:TIDIG_COMP_CNT: 1
; COMPUTE_PGM_RSRC3_GFX90A:ACCUM_OFFSET: 12
; COMPUTE_PGM_RSRC3_GFX90A:TG_SPLIT: 0
	.section	.text._ZN12_GLOBAL__N_120softmax_warp_forwardIfffLi11ELb0ELb0ELi32EEEvPT0_PKT_iiiPKbib,"axG",@progbits,_ZN12_GLOBAL__N_120softmax_warp_forwardIfffLi11ELb0ELb0ELi32EEEvPT0_PKT_iiiPKbib,comdat
	.globl	_ZN12_GLOBAL__N_120softmax_warp_forwardIfffLi11ELb0ELb0ELi32EEEvPT0_PKT_iiiPKbib ; -- Begin function _ZN12_GLOBAL__N_120softmax_warp_forwardIfffLi11ELb0ELb0ELi32EEEvPT0_PKT_iiiPKbib
	.p2align	8
	.type	_ZN12_GLOBAL__N_120softmax_warp_forwardIfffLi11ELb0ELb0ELi32EEEvPT0_PKT_iiiPKbib,@function
_ZN12_GLOBAL__N_120softmax_warp_forwardIfffLi11ELb0ELb0ELi32EEEvPT0_PKT_iiiPKbib: ; @_ZN12_GLOBAL__N_120softmax_warp_forwardIfffLi11ELb0ELb0ELi32EEEvPT0_PKT_iiiPKbib
; %bb.0:
	s_load_dword s0, s[4:5], 0x3c
	s_load_dwordx8 s[40:47], s[4:5], 0x0
	v_bfe_u32 v1, v0, 10, 10
	v_and_b32_e32 v4, 0x3ff, v0
	v_mov_b32_e32 v6, 0xff800000
	s_waitcnt lgkmcnt(0)
	s_lshr_b32 s0, s0, 16
	s_mul_i32 s6, s6, s0
	v_add_u32_e32 v1, s6, v1
	v_sub_u32_e32 v5, s44, v1
	v_mad_u64_u32 v[0:1], s[0:1], v1, s45, v[4:5]
	v_ashrrev_i32_e32 v1, 31, v0
	v_lshlrev_b64 v[0:1], 2, v[0:1]
	v_mov_b32_e32 v3, s43
	v_add_co_u32_e32 v2, vcc, s42, v0
	v_cmp_lt_i32_e64 s[36:37], 0, v5
	v_cmp_gt_i32_e64 s[34:35], s46, v4
	v_addc_co_u32_e32 v3, vcc, v3, v1, vcc
	s_and_b64 s[2:3], s[36:37], s[34:35]
	v_mov_b32_e32 v31, 0xff800000
	s_and_saveexec_b64 s[0:1], s[2:3]
	s_cbranch_execz .LBB403_2
; %bb.1:
	global_load_dword v31, v[2:3], off
.LBB403_2:
	s_or_b64 exec, exec, s[0:1]
	v_add_u32_e32 v7, 32, v4
	v_cmp_gt_i32_e64 s[30:31], s46, v7
	s_and_b64 s[2:3], s[36:37], s[30:31]
	s_and_saveexec_b64 s[0:1], s[2:3]
	s_cbranch_execz .LBB403_4
; %bb.3:
	global_load_dword v6, v[2:3], off offset:128
.LBB403_4:
	s_or_b64 exec, exec, s[0:1]
	v_add_u32_e32 v7, 64, v4
	v_cmp_gt_i32_e64 s[28:29], s46, v7
	s_and_b64 s[2:3], s[36:37], s[28:29]
	v_mov_b32_e32 v11, 0xff800000
	v_mov_b32_e32 v10, 0xff800000
	s_and_saveexec_b64 s[0:1], s[2:3]
	s_cbranch_execz .LBB403_6
; %bb.5:
	global_load_dword v10, v[2:3], off offset:256
.LBB403_6:
	s_or_b64 exec, exec, s[0:1]
	v_add_u32_e32 v7, 0x60, v4
	v_cmp_gt_i32_e64 s[26:27], s46, v7
	s_and_b64 s[2:3], s[36:37], s[26:27]
	s_and_saveexec_b64 s[0:1], s[2:3]
	s_cbranch_execz .LBB403_8
; %bb.7:
	global_load_dword v11, v[2:3], off offset:384
.LBB403_8:
	s_or_b64 exec, exec, s[0:1]
	v_add_u32_e32 v7, 0x80, v4
	v_cmp_gt_i32_e64 s[24:25], s46, v7
	s_and_b64 s[2:3], s[36:37], s[24:25]
	v_mov_b32_e32 v13, 0xff800000
	v_mov_b32_e32 v12, 0xff800000
	s_and_saveexec_b64 s[0:1], s[2:3]
	s_cbranch_execz .LBB403_10
; %bb.9:
	global_load_dword v12, v[2:3], off offset:512
.LBB403_10:
	;; [unrolled: 20-line block ×15, first 2 shown]
	s_or_b64 exec, exec, s[38:39]
	v_add_u32_e32 v7, 0x3e0, v4
	v_cmp_gt_i32_e64 s[66:67], s46, v7
	s_and_b64 s[42:43], s[36:37], s[66:67]
	s_and_saveexec_b64 s[38:39], s[42:43]
	s_cbranch_execz .LBB403_64
; %bb.63:
	global_load_dword v39, v[2:3], off offset:3968
.LBB403_64:
	s_or_b64 exec, exec, s[38:39]
	v_or_b32_e32 v7, 0x400, v4
	v_cmp_gt_i32_e64 s[64:65], s46, v7
	s_and_b64 s[42:43], s[36:37], s[64:65]
	v_mov_b32_e32 v41, 0xff800000
	v_mov_b32_e32 v40, 0xff800000
	s_and_saveexec_b64 s[38:39], s[42:43]
	s_cbranch_execz .LBB403_66
; %bb.65:
	v_add_co_u32_e32 v8, vcc, 0x1000, v2
	v_addc_co_u32_e32 v9, vcc, 0, v3, vcc
	global_load_dword v40, v[8:9], off
.LBB403_66:
	s_or_b64 exec, exec, s[38:39]
	v_add_u32_e32 v7, 0x420, v4
	v_cmp_gt_i32_e64 s[62:63], s46, v7
	s_and_b64 s[42:43], s[36:37], s[62:63]
	s_and_saveexec_b64 s[38:39], s[42:43]
	s_cbranch_execz .LBB403_68
; %bb.67:
	v_add_co_u32_e32 v8, vcc, 0x1000, v2
	v_addc_co_u32_e32 v9, vcc, 0, v3, vcc
	global_load_dword v41, v[8:9], off offset:128
.LBB403_68:
	s_or_b64 exec, exec, s[38:39]
	v_add_u32_e32 v7, 0x440, v4
	v_cmp_gt_i32_e64 s[60:61], s46, v7
	s_and_b64 s[42:43], s[36:37], s[60:61]
	v_mov_b32_e32 v43, 0xff800000
	v_mov_b32_e32 v42, 0xff800000
	s_and_saveexec_b64 s[38:39], s[42:43]
	s_cbranch_execz .LBB403_70
; %bb.69:
	v_add_co_u32_e32 v8, vcc, 0x1000, v2
	v_addc_co_u32_e32 v9, vcc, 0, v3, vcc
	global_load_dword v42, v[8:9], off offset:256
.LBB403_70:
	s_or_b64 exec, exec, s[38:39]
	v_add_u32_e32 v7, 0x460, v4
	v_cmp_gt_i32_e64 s[58:59], s46, v7
	s_and_b64 s[42:43], s[36:37], s[58:59]
	s_and_saveexec_b64 s[38:39], s[42:43]
	s_cbranch_execz .LBB403_72
; %bb.71:
	v_add_co_u32_e32 v8, vcc, 0x1000, v2
	v_addc_co_u32_e32 v9, vcc, 0, v3, vcc
	global_load_dword v43, v[8:9], off offset:384
.LBB403_72:
	s_or_b64 exec, exec, s[38:39]
	v_add_u32_e32 v7, 0x480, v4
	v_cmp_gt_i32_e64 s[56:57], s46, v7
	s_and_b64 s[42:43], s[36:37], s[56:57]
	v_mov_b32_e32 v45, 0xff800000
	v_mov_b32_e32 v44, 0xff800000
	s_and_saveexec_b64 s[38:39], s[42:43]
	s_cbranch_execz .LBB403_74
; %bb.73:
	v_add_co_u32_e32 v8, vcc, 0x1000, v2
	v_addc_co_u32_e32 v9, vcc, 0, v3, vcc
	global_load_dword v44, v[8:9], off offset:512
.LBB403_74:
	;; [unrolled: 24-line block ×4, first 2 shown]
	s_or_b64 exec, exec, s[38:39]
	v_add_u32_e32 v7, 0x520, v4
	v_cmp_gt_i32_e64 s[38:39], s46, v7
                                        ; implicit-def: $vgpr78 : SGPR spill to VGPR lane
	v_writelane_b32 v78, s38, 0
	s_and_b64 s[42:43], s[36:37], s[38:39]
	v_writelane_b32 v78, s39, 1
	s_and_saveexec_b64 s[38:39], s[42:43]
	s_cbranch_execz .LBB403_84
; %bb.83:
	v_add_co_u32_e32 v8, vcc, 0x1000, v2
	v_addc_co_u32_e32 v9, vcc, 0, v3, vcc
	global_load_dword v49, v[8:9], off offset:1152
.LBB403_84:
	s_or_b64 exec, exec, s[38:39]
	v_add_u32_e32 v7, 0x540, v4
	v_cmp_gt_i32_e64 s[38:39], s46, v7
	s_and_b64 s[44:45], s[36:37], s[38:39]
	v_mov_b32_e32 v52, 0xff800000
	v_mov_b32_e32 v51, 0xff800000
	s_and_saveexec_b64 s[42:43], s[44:45]
	s_cbranch_execz .LBB403_86
; %bb.85:
	v_add_co_u32_e32 v8, vcc, 0x1000, v2
	v_addc_co_u32_e32 v9, vcc, 0, v3, vcc
	global_load_dword v51, v[8:9], off offset:1280
.LBB403_86:
	s_or_b64 exec, exec, s[42:43]
	v_add_u32_e32 v7, 0x560, v4
	v_cmp_gt_i32_e64 s[44:45], s46, v7
	s_and_b64 vcc, s[36:37], s[44:45]
	s_and_saveexec_b64 s[42:43], vcc
	s_cbranch_execz .LBB403_88
; %bb.87:
	v_add_co_u32_e32 v8, vcc, 0x1000, v2
	v_addc_co_u32_e32 v9, vcc, 0, v3, vcc
	global_load_dword v52, v[8:9], off offset:1408
.LBB403_88:
	s_or_b64 exec, exec, s[42:43]
	v_add_u32_e32 v7, 0x580, v4
	v_cmp_gt_i32_e64 s[42:43], s46, v7
	v_writelane_b32 v78, s42, 2
	s_and_b64 vcc, s[36:37], s[42:43]
	v_mov_b32_e32 v54, 0xff800000
	v_mov_b32_e32 v53, 0xff800000
	v_writelane_b32 v78, s43, 3
	s_and_saveexec_b64 s[42:43], vcc
	s_cbranch_execz .LBB403_90
; %bb.89:
	v_add_co_u32_e32 v8, vcc, 0x1000, v2
	v_addc_co_u32_e32 v9, vcc, 0, v3, vcc
	global_load_dword v53, v[8:9], off offset:1536
.LBB403_90:
	s_or_b64 exec, exec, s[42:43]
	v_add_u32_e32 v7, 0x5a0, v4
	v_cmp_gt_i32_e64 s[42:43], s46, v7
	v_writelane_b32 v78, s42, 4
	s_and_b64 vcc, s[36:37], s[42:43]
	v_writelane_b32 v78, s43, 5
	s_and_saveexec_b64 s[42:43], vcc
	s_cbranch_execz .LBB403_92
; %bb.91:
	v_add_co_u32_e32 v8, vcc, 0x1000, v2
	v_addc_co_u32_e32 v9, vcc, 0, v3, vcc
	global_load_dword v54, v[8:9], off offset:1664
.LBB403_92:
	s_or_b64 exec, exec, s[42:43]
	v_add_u32_e32 v7, 0x5c0, v4
	v_cmp_gt_i32_e64 s[42:43], s46, v7
	v_writelane_b32 v78, s42, 6
	s_and_b64 vcc, s[36:37], s[42:43]
	v_mov_b32_e32 v56, 0xff800000
	v_mov_b32_e32 v55, 0xff800000
	v_writelane_b32 v78, s43, 7
	s_and_saveexec_b64 s[42:43], vcc
	s_cbranch_execz .LBB403_94
; %bb.93:
	v_add_co_u32_e32 v8, vcc, 0x1000, v2
	v_addc_co_u32_e32 v9, vcc, 0, v3, vcc
	global_load_dword v55, v[8:9], off offset:1792
.LBB403_94:
	s_or_b64 exec, exec, s[42:43]
	v_add_u32_e32 v7, 0x5e0, v4
	v_cmp_gt_i32_e64 s[42:43], s46, v7
	v_writelane_b32 v78, s42, 8
	s_and_b64 vcc, s[36:37], s[42:43]
	v_writelane_b32 v78, s43, 9
	;; [unrolled: 28-line block ×9, first 2 shown]
	s_and_saveexec_b64 s[42:43], vcc
	s_cbranch_execz .LBB403_124
; %bb.123:
	v_add_co_u32_e32 v8, vcc, 0x1000, v2
	v_addc_co_u32_e32 v9, vcc, 0, v3, vcc
	global_load_dword v71, v[8:9], off offset:3712
.LBB403_124:
	s_or_b64 exec, exec, s[42:43]
	v_add_u32_e32 v7, 0x7c0, v4
	v_cmp_gt_i32_e64 s[42:43], s46, v7
	v_writelane_b32 v78, s42, 38
	s_and_b64 vcc, s[36:37], s[42:43]
	v_mov_b32_e32 v66, 0xff800000
	v_mov_b32_e32 v73, 0xff800000
	v_writelane_b32 v78, s43, 39
	s_and_saveexec_b64 s[42:43], vcc
	s_cbranch_execz .LBB403_126
; %bb.125:
	v_add_co_u32_e32 v8, vcc, 0x1000, v2
	v_addc_co_u32_e32 v9, vcc, 0, v3, vcc
	global_load_dword v73, v[8:9], off offset:3840
.LBB403_126:
	s_or_b64 exec, exec, s[42:43]
	v_add_u32_e32 v4, 0x7e0, v4
	v_cmp_gt_i32_e64 s[46:47], s46, v4
	s_and_b64 s[42:43], s[36:37], s[46:47]
	s_and_saveexec_b64 s[36:37], s[42:43]
	s_cbranch_execz .LBB403_128
; %bb.127:
	v_add_co_u32_e32 v2, vcc, 0x1000, v2
	v_addc_co_u32_e32 v3, vcc, 0, v3, vcc
	global_load_dword v66, v[2:3], off offset:3968
.LBB403_128:
	s_or_b64 exec, exec, s[36:37]
	s_waitcnt vmcnt(0)
	v_cmp_gt_f32_e32 vcc, v31, v6
	v_cndmask_b32_e32 v2, v6, v31, vcc
	v_cmp_gt_f32_e32 vcc, v2, v10
	v_cndmask_b32_e32 v2, v10, v2, vcc
	;; [unrolled: 2-line block ×63, first 2 shown]
	v_mbcnt_lo_u32_b32 v2, -1, 0
	v_mbcnt_hi_u32_b32 v9, -1, v2
	v_and_b32_e32 v2, 0x60, v9
	v_add_u32_e32 v50, 32, v2
	v_xor_b32_e32 v2, 16, v9
	v_cmp_lt_i32_e32 vcc, v2, v50
	v_cndmask_b32_e32 v2, v9, v2, vcc
	v_lshlrev_b32_e32 v2, 2, v2
	ds_bpermute_b32 v4, v2, v3
	s_mov_b32 s37, 0x3fb8aa3b
	s_mov_b32 s36, 0xc2ce8ed0
	s_mov_b32 s33, 0x42b17218
	s_waitcnt lgkmcnt(0)
	v_cmp_lt_f32_e32 vcc, v3, v4
	v_cndmask_b32_e32 v3, v3, v4, vcc
	v_xor_b32_e32 v4, 8, v9
	v_cmp_lt_i32_e32 vcc, v4, v50
	v_cndmask_b32_e32 v4, v9, v4, vcc
	v_lshlrev_b32_e32 v4, 2, v4
	ds_bpermute_b32 v7, v4, v3
	s_waitcnt lgkmcnt(0)
	v_cmp_lt_f32_e32 vcc, v3, v7
	v_cndmask_b32_e32 v3, v3, v7, vcc
	v_xor_b32_e32 v7, 4, v9
	v_cmp_lt_i32_e32 vcc, v7, v50
	v_cndmask_b32_e32 v7, v9, v7, vcc
	v_lshlrev_b32_e32 v7, 2, v7
	ds_bpermute_b32 v8, v7, v3
	;; [unrolled: 8-line block ×4, first 2 shown]
	s_waitcnt lgkmcnt(0)
	v_cmp_lt_f32_e32 vcc, v3, v50
	v_cndmask_b32_e32 v72, v3, v50, vcc
	v_sub_f32_e32 v3, v31, v72
	v_mul_f32_e32 v31, 0x3fb8aa3b, v3
	v_fma_f32 v50, v3, s37, -v31
	v_rndne_f32_e32 v75, v31
	v_fmac_f32_e32 v50, 0x32a5705f, v3
	v_sub_f32_e32 v31, v31, v75
	v_add_f32_e32 v31, v31, v50
	v_exp_f32_e32 v31, v31
	v_cvt_i32_f32_e32 v50, v75
	v_cmp_ngt_f32_e32 vcc, s36, v3
	v_sub_f32_e32 v6, v6, v72
	v_sub_f32_e32 v10, v10, v72
	v_ldexp_f32 v31, v31, v50
	v_cndmask_b32_e32 v31, 0, v31, vcc
	v_cmp_nlt_f32_e32 vcc, s33, v3
	v_mov_b32_e32 v50, 0x7f800000
	v_cndmask_b32_e32 v3, v50, v31, vcc
	v_mul_f32_e32 v31, 0x3fb8aa3b, v6
	v_fma_f32 v75, v6, s37, -v31
	v_rndne_f32_e32 v76, v31
	v_fmac_f32_e32 v75, 0x32a5705f, v6
	v_sub_f32_e32 v31, v31, v76
	v_add_f32_e32 v31, v31, v75
	v_exp_f32_e32 v31, v31
	v_cvt_i32_f32_e32 v75, v76
	v_cmp_ngt_f32_e32 vcc, s36, v6
	v_sub_f32_e32 v11, v11, v72
	v_sub_f32_e32 v12, v12, v72
	v_ldexp_f32 v31, v31, v75
	v_mul_f32_e32 v75, 0x3fb8aa3b, v10
	v_fma_f32 v76, v10, s37, -v75
	v_rndne_f32_e32 v77, v75
	v_fmac_f32_e32 v76, 0x32a5705f, v10
	v_sub_f32_e32 v75, v75, v77
	v_add_f32_e32 v75, v75, v76
	v_exp_f32_e32 v75, v75
	v_cvt_i32_f32_e32 v76, v77
	v_cndmask_b32_e32 v31, 0, v31, vcc
	v_cmp_nlt_f32_e32 vcc, s33, v6
	v_cndmask_b32_e32 v6, v50, v31, vcc
	v_ldexp_f32 v75, v75, v76
	v_cmp_ngt_f32_e32 vcc, s36, v10
	v_cndmask_b32_e32 v75, 0, v75, vcc
	v_cmp_nlt_f32_e32 vcc, s33, v10
	v_cndmask_b32_e32 v10, v50, v75, vcc
	v_mul_f32_e32 v75, 0x3fb8aa3b, v11
	v_fma_f32 v76, v11, s37, -v75
	v_rndne_f32_e32 v77, v75
	v_fmac_f32_e32 v76, 0x32a5705f, v11
	v_sub_f32_e32 v75, v75, v77
	v_add_f32_e32 v75, v75, v76
	v_exp_f32_e32 v75, v75
	v_cvt_i32_f32_e32 v76, v77
	v_cmp_ngt_f32_e32 vcc, s36, v11
	v_sub_f32_e32 v13, v13, v72
	v_sub_f32_e32 v14, v14, v72
	v_ldexp_f32 v75, v75, v76
	v_cndmask_b32_e32 v75, 0, v75, vcc
	v_cmp_nlt_f32_e32 vcc, s33, v11
	v_cndmask_b32_e32 v11, v50, v75, vcc
	v_mul_f32_e32 v75, 0x3fb8aa3b, v12
	v_fma_f32 v76, v12, s37, -v75
	v_rndne_f32_e32 v77, v75
	v_fmac_f32_e32 v76, 0x32a5705f, v12
	v_sub_f32_e32 v75, v75, v77
	v_add_f32_e32 v75, v75, v76
	v_exp_f32_e32 v75, v75
	v_cvt_i32_f32_e32 v76, v77
	v_cmp_ngt_f32_e32 vcc, s36, v12
	v_sub_f32_e32 v15, v15, v72
	v_sub_f32_e32 v16, v16, v72
	v_ldexp_f32 v75, v75, v76
	;; [unrolled: 15-line block ×6, first 2 shown]
	v_cndmask_b32_e32 v75, 0, v75, vcc
	v_cmp_nlt_f32_e32 vcc, s33, v16
	v_cndmask_b32_e32 v16, v50, v75, vcc
	v_mul_f32_e32 v75, 0x3fb8aa3b, v17
	v_fma_f32 v76, v17, s37, -v75
	v_rndne_f32_e32 v77, v75
	v_fmac_f32_e32 v76, 0x32a5705f, v17
	v_sub_f32_e32 v75, v75, v77
	v_add_f32_e32 v75, v75, v76
	v_exp_f32_e32 v75, v75
	v_cvt_i32_f32_e32 v76, v77
	v_cmp_ngt_f32_e32 vcc, s36, v17
	v_sub_f32_e32 v25, v25, v72
	v_add_f32_e32 v31, v3, v6
	v_ldexp_f32 v75, v75, v76
	v_cndmask_b32_e32 v75, 0, v75, vcc
	v_cmp_nlt_f32_e32 vcc, s33, v17
	v_cndmask_b32_e32 v17, v50, v75, vcc
	v_mul_f32_e32 v75, 0x3fb8aa3b, v18
	v_fma_f32 v76, v18, s37, -v75
	v_rndne_f32_e32 v77, v75
	v_fmac_f32_e32 v76, 0x32a5705f, v18
	v_sub_f32_e32 v75, v75, v77
	v_add_f32_e32 v75, v75, v76
	v_exp_f32_e32 v75, v75
	v_cvt_i32_f32_e32 v76, v77
	v_cmp_ngt_f32_e32 vcc, s36, v18
	v_add_f32_e32 v31, v31, v10
	v_add_f32_e32 v31, v31, v11
	v_ldexp_f32 v75, v75, v76
	v_cndmask_b32_e32 v75, 0, v75, vcc
	v_cmp_nlt_f32_e32 vcc, s33, v18
	v_cndmask_b32_e32 v18, v50, v75, vcc
	v_mul_f32_e32 v75, 0x3fb8aa3b, v19
	v_fma_f32 v76, v19, s37, -v75
	v_rndne_f32_e32 v77, v75
	v_fmac_f32_e32 v76, 0x32a5705f, v19
	v_sub_f32_e32 v75, v75, v77
	v_add_f32_e32 v75, v75, v76
	v_exp_f32_e32 v75, v75
	v_cvt_i32_f32_e32 v76, v77
	v_cmp_ngt_f32_e32 vcc, s36, v19
	v_add_f32_e32 v31, v31, v12
	;; [unrolled: 15-line block ×3, first 2 shown]
	v_sub_f32_e32 v26, v26, v72
	v_ldexp_f32 v75, v75, v76
	v_cndmask_b32_e32 v75, 0, v75, vcc
	v_cmp_nlt_f32_e32 vcc, s33, v20
	v_cndmask_b32_e32 v20, v50, v75, vcc
	v_mul_f32_e32 v75, 0x3fb8aa3b, v21
	v_fma_f32 v76, v21, s37, -v75
	v_rndne_f32_e32 v77, v75
	v_fmac_f32_e32 v76, 0x32a5705f, v21
	v_sub_f32_e32 v75, v75, v77
	v_add_f32_e32 v75, v75, v76
	v_exp_f32_e32 v75, v75
	v_cvt_i32_f32_e32 v76, v77
	v_cmp_ngt_f32_e32 vcc, s36, v21
	v_add_f32_e32 v31, v31, v15
	v_add_f32_e32 v31, v31, v16
	v_ldexp_f32 v75, v75, v76
	v_cndmask_b32_e32 v75, 0, v75, vcc
	v_cmp_nlt_f32_e32 vcc, s33, v21
	v_cndmask_b32_e32 v21, v50, v75, vcc
	v_mul_f32_e32 v75, 0x3fb8aa3b, v22
	v_fma_f32 v76, v22, s37, -v75
	v_rndne_f32_e32 v77, v75
	v_fmac_f32_e32 v76, 0x32a5705f, v22
	v_sub_f32_e32 v75, v75, v77
	v_add_f32_e32 v75, v75, v76
	v_exp_f32_e32 v75, v75
	v_cvt_i32_f32_e32 v76, v77
	v_cmp_ngt_f32_e32 vcc, s36, v22
	v_add_f32_e32 v31, v31, v17
	v_add_f32_e32 v31, v31, v18
	;; [unrolled: 15-line block ×5, first 2 shown]
	v_ldexp_f32 v75, v75, v76
	v_cndmask_b32_e32 v75, 0, v75, vcc
	v_cmp_nlt_f32_e32 vcc, s33, v25
	v_cndmask_b32_e32 v25, v50, v75, vcc
	v_mul_f32_e32 v75, 0x3fb8aa3b, v26
	v_fma_f32 v76, v26, s37, -v75
	v_rndne_f32_e32 v77, v75
	v_fmac_f32_e32 v76, 0x32a5705f, v26
	v_sub_f32_e32 v75, v75, v77
	v_add_f32_e32 v75, v75, v76
	v_exp_f32_e32 v75, v75
	v_cvt_i32_f32_e32 v76, v77
	v_cmp_ngt_f32_e32 vcc, s36, v26
	v_add_f32_e32 v31, v31, v25
	v_sub_f32_e32 v27, v27, v72
	v_ldexp_f32 v75, v75, v76
	v_cndmask_b32_e32 v75, 0, v75, vcc
	v_cmp_nlt_f32_e32 vcc, s33, v26
	v_cndmask_b32_e32 v26, v50, v75, vcc
	v_add_f32_e32 v75, v31, v26
	v_mul_f32_e32 v31, 0x3fb8aa3b, v27
	v_fma_f32 v76, v27, s37, -v31
	v_rndne_f32_e32 v77, v31
	v_fmac_f32_e32 v76, 0x32a5705f, v27
	v_sub_f32_e32 v31, v31, v77
	v_add_f32_e32 v31, v31, v76
	v_exp_f32_e32 v31, v31
	v_cvt_i32_f32_e32 v76, v77
	v_cmp_ngt_f32_e32 vcc, s36, v27
	v_sub_f32_e32 v28, v28, v72
	v_sub_f32_e32 v29, v29, v72
	v_ldexp_f32 v31, v31, v76
	v_cndmask_b32_e32 v31, 0, v31, vcc
	v_cmp_nlt_f32_e32 vcc, s33, v27
	v_sub_f32_e32 v27, v74, v72
	v_mul_f32_e32 v74, 0x3fb8aa3b, v27
	v_fma_f32 v76, v27, s37, -v74
	v_rndne_f32_e32 v77, v74
	v_fmac_f32_e32 v76, 0x32a5705f, v27
	v_sub_f32_e32 v74, v74, v77
	v_add_f32_e32 v74, v74, v76
	v_exp_f32_e32 v74, v74
	v_cvt_i32_f32_e32 v76, v77
	v_cndmask_b32_e32 v31, v50, v31, vcc
	v_cmp_ngt_f32_e32 vcc, s36, v27
	v_add_f32_e32 v75, v75, v31
	v_ldexp_f32 v74, v74, v76
	v_cndmask_b32_e32 v74, 0, v74, vcc
	v_cmp_nlt_f32_e32 vcc, s33, v27
	v_cndmask_b32_e32 v27, v50, v74, vcc
	v_add_f32_e32 v74, v75, v27
	v_mul_f32_e32 v75, 0x3fb8aa3b, v28
	v_fma_f32 v76, v28, s37, -v75
	v_rndne_f32_e32 v77, v75
	v_fmac_f32_e32 v76, 0x32a5705f, v28
	v_sub_f32_e32 v75, v75, v77
	v_add_f32_e32 v75, v75, v76
	v_exp_f32_e32 v75, v75
	v_cvt_i32_f32_e32 v76, v77
	v_cmp_ngt_f32_e32 vcc, s36, v28
	v_sub_f32_e32 v30, v30, v72
	v_sub_f32_e32 v32, v32, v72
	v_ldexp_f32 v75, v75, v76
	v_cndmask_b32_e32 v75, 0, v75, vcc
	v_cmp_nlt_f32_e32 vcc, s33, v28
	v_cndmask_b32_e32 v28, v50, v75, vcc
	v_mul_f32_e32 v75, 0x3fb8aa3b, v29
	v_fma_f32 v76, v29, s37, -v75
	v_rndne_f32_e32 v77, v75
	v_fmac_f32_e32 v76, 0x32a5705f, v29
	v_sub_f32_e32 v75, v75, v77
	v_add_f32_e32 v75, v75, v76
	v_exp_f32_e32 v75, v75
	v_cvt_i32_f32_e32 v76, v77
	v_cmp_ngt_f32_e32 vcc, s36, v29
	v_sub_f32_e32 v33, v33, v72
	v_sub_f32_e32 v34, v34, v72
	v_ldexp_f32 v75, v75, v76
	v_cndmask_b32_e32 v75, 0, v75, vcc
	v_cmp_nlt_f32_e32 vcc, s33, v29
	v_cndmask_b32_e32 v29, v50, v75, vcc
	;; [unrolled: 15-line block ×18, first 2 shown]
	v_mul_f32_e32 v75, 0x3fb8aa3b, v47
	v_fma_f32 v76, v47, s37, -v75
	v_rndne_f32_e32 v77, v75
	v_fmac_f32_e32 v76, 0x32a5705f, v47
	v_sub_f32_e32 v75, v75, v77
	v_add_f32_e32 v75, v75, v76
	v_exp_f32_e32 v75, v75
	v_cvt_i32_f32_e32 v76, v77
	v_cmp_ngt_f32_e32 vcc, s36, v47
	v_sub_f32_e32 v69, v69, v72
	v_add_f32_e32 v74, v74, v28
	v_ldexp_f32 v75, v75, v76
	v_cndmask_b32_e32 v75, 0, v75, vcc
	v_cmp_nlt_f32_e32 vcc, s33, v47
	v_cndmask_b32_e32 v47, v50, v75, vcc
	v_mul_f32_e32 v75, 0x3fb8aa3b, v48
	v_fma_f32 v76, v48, s37, -v75
	v_rndne_f32_e32 v77, v75
	v_fmac_f32_e32 v76, 0x32a5705f, v48
	v_sub_f32_e32 v75, v75, v77
	v_add_f32_e32 v75, v75, v76
	v_exp_f32_e32 v75, v75
	v_cvt_i32_f32_e32 v76, v77
	v_cmp_ngt_f32_e32 vcc, s36, v48
	v_add_f32_e32 v74, v74, v29
	v_sub_f32_e32 v70, v70, v72
	v_ldexp_f32 v75, v75, v76
	v_cndmask_b32_e32 v75, 0, v75, vcc
	v_cmp_nlt_f32_e32 vcc, s33, v48
	v_cndmask_b32_e32 v48, v50, v75, vcc
	v_mul_f32_e32 v75, 0x3fb8aa3b, v49
	v_fma_f32 v76, v49, s37, -v75
	v_rndne_f32_e32 v77, v75
	v_fmac_f32_e32 v76, 0x32a5705f, v49
	v_sub_f32_e32 v75, v75, v77
	v_add_f32_e32 v75, v75, v76
	v_exp_f32_e32 v75, v75
	v_cvt_i32_f32_e32 v76, v77
	v_cmp_ngt_f32_e32 vcc, s36, v49
	v_add_f32_e32 v74, v74, v30
	v_add_f32_e32 v74, v74, v32
	v_ldexp_f32 v75, v75, v76
	v_cndmask_b32_e32 v75, 0, v75, vcc
	v_cmp_nlt_f32_e32 vcc, s33, v49
	v_cndmask_b32_e32 v49, v50, v75, vcc
	v_mul_f32_e32 v75, 0x3fb8aa3b, v51
	v_fma_f32 v76, v51, s37, -v75
	v_rndne_f32_e32 v77, v75
	v_fmac_f32_e32 v76, 0x32a5705f, v51
	v_sub_f32_e32 v75, v75, v77
	v_add_f32_e32 v75, v75, v76
	v_exp_f32_e32 v75, v75
	v_cvt_i32_f32_e32 v76, v77
	v_cmp_ngt_f32_e32 vcc, s36, v51
	v_add_f32_e32 v74, v74, v33
	v_add_f32_e32 v74, v74, v34
	;; [unrolled: 15-line block ×5, first 2 shown]
	v_ldexp_f32 v75, v75, v76
	v_cndmask_b32_e32 v75, 0, v75, vcc
	v_cmp_nlt_f32_e32 vcc, s33, v54
	v_cndmask_b32_e32 v54, v50, v75, vcc
	v_mul_f32_e32 v75, 0x3fb8aa3b, v55
	v_fma_f32 v76, v55, s37, -v75
	v_rndne_f32_e32 v77, v75
	v_fmac_f32_e32 v76, 0x32a5705f, v55
	v_sub_f32_e32 v75, v75, v77
	v_add_f32_e32 v75, v75, v76
	v_exp_f32_e32 v75, v75
	v_cvt_i32_f32_e32 v76, v77
	v_cmp_ngt_f32_e32 vcc, s36, v55
	v_sub_f32_e32 v71, v71, v72
	v_add_f32_e32 v74, v74, v41
	v_ldexp_f32 v75, v75, v76
	v_cndmask_b32_e32 v75, 0, v75, vcc
	v_cmp_nlt_f32_e32 vcc, s33, v55
	v_cndmask_b32_e32 v55, v50, v75, vcc
	v_mul_f32_e32 v75, 0x3fb8aa3b, v56
	v_fma_f32 v76, v56, s37, -v75
	v_rndne_f32_e32 v77, v75
	v_fmac_f32_e32 v76, 0x32a5705f, v56
	v_sub_f32_e32 v75, v75, v77
	v_add_f32_e32 v75, v75, v76
	v_exp_f32_e32 v75, v75
	v_cvt_i32_f32_e32 v76, v77
	v_cmp_ngt_f32_e32 vcc, s36, v56
	v_add_f32_e32 v74, v74, v42
	v_add_f32_e32 v74, v74, v43
	v_ldexp_f32 v75, v75, v76
	v_cndmask_b32_e32 v75, 0, v75, vcc
	v_cmp_nlt_f32_e32 vcc, s33, v56
	v_cndmask_b32_e32 v56, v50, v75, vcc
	v_mul_f32_e32 v75, 0x3fb8aa3b, v57
	v_fma_f32 v76, v57, s37, -v75
	v_rndne_f32_e32 v77, v75
	v_fmac_f32_e32 v76, 0x32a5705f, v57
	v_sub_f32_e32 v75, v75, v77
	v_add_f32_e32 v75, v75, v76
	v_exp_f32_e32 v75, v75
	v_cvt_i32_f32_e32 v76, v77
	v_cmp_ngt_f32_e32 vcc, s36, v57
	v_add_f32_e32 v74, v74, v44
	;; [unrolled: 15-line block ×5, first 2 shown]
	v_sub_f32_e32 v73, v73, v72
	v_ldexp_f32 v75, v75, v76
	v_cndmask_b32_e32 v75, 0, v75, vcc
	v_cmp_nlt_f32_e32 vcc, s33, v60
	v_cndmask_b32_e32 v60, v50, v75, vcc
	v_mul_f32_e32 v75, 0x3fb8aa3b, v61
	v_fma_f32 v76, v61, s37, -v75
	v_rndne_f32_e32 v77, v75
	v_fmac_f32_e32 v76, 0x32a5705f, v61
	v_sub_f32_e32 v75, v75, v77
	v_add_f32_e32 v75, v75, v76
	v_exp_f32_e32 v75, v75
	v_cvt_i32_f32_e32 v76, v77
	v_cmp_ngt_f32_e32 vcc, s36, v61
	v_add_f32_e32 v74, v74, v52
	v_add_f32_e32 v74, v74, v53
	v_ldexp_f32 v75, v75, v76
	v_cndmask_b32_e32 v75, 0, v75, vcc
	v_cmp_nlt_f32_e32 vcc, s33, v61
	v_cndmask_b32_e32 v61, v50, v75, vcc
	v_mul_f32_e32 v75, 0x3fb8aa3b, v62
	v_fma_f32 v76, v62, s37, -v75
	v_rndne_f32_e32 v77, v75
	v_fmac_f32_e32 v76, 0x32a5705f, v62
	v_sub_f32_e32 v75, v75, v77
	v_add_f32_e32 v75, v75, v76
	v_exp_f32_e32 v75, v75
	v_cvt_i32_f32_e32 v76, v77
	v_cmp_ngt_f32_e32 vcc, s36, v62
	v_add_f32_e32 v74, v74, v54
	v_add_f32_e32 v74, v74, v55
	;; [unrolled: 15-line block ×4, first 2 shown]
	v_ldexp_f32 v75, v75, v76
	v_cndmask_b32_e32 v75, 0, v75, vcc
	v_cmp_nlt_f32_e32 vcc, s33, v64
	v_cndmask_b32_e32 v64, v50, v75, vcc
	v_mul_f32_e32 v75, 0x3fb8aa3b, v65
	v_fma_f32 v76, v65, s37, -v75
	v_rndne_f32_e32 v77, v75
	v_fmac_f32_e32 v76, 0x32a5705f, v65
	v_sub_f32_e32 v75, v75, v77
	v_add_f32_e32 v75, v75, v76
	v_exp_f32_e32 v75, v75
	v_cvt_i32_f32_e32 v76, v77
	v_cmp_ngt_f32_e32 vcc, s36, v65
	v_add_f32_e32 v74, v74, v60
	v_sub_f32_e32 v66, v66, v72
	v_ldexp_f32 v75, v75, v76
	v_cndmask_b32_e32 v75, 0, v75, vcc
	v_cmp_nlt_f32_e32 vcc, s33, v65
	v_cndmask_b32_e32 v65, v50, v75, vcc
	v_mul_f32_e32 v75, 0x3fb8aa3b, v67
	v_fma_f32 v76, v67, s37, -v75
	v_rndne_f32_e32 v77, v75
	v_fmac_f32_e32 v76, 0x32a5705f, v67
	v_sub_f32_e32 v75, v75, v77
	v_add_f32_e32 v75, v75, v76
	v_exp_f32_e32 v75, v75
	v_cvt_i32_f32_e32 v76, v77
	v_cmp_ngt_f32_e32 vcc, s36, v67
	v_add_f32_e32 v74, v74, v61
	v_mul_f32_e32 v72, 0x3fb8aa3b, v66
	v_ldexp_f32 v75, v75, v76
	v_cndmask_b32_e32 v75, 0, v75, vcc
	v_cmp_nlt_f32_e32 vcc, s33, v67
	v_cndmask_b32_e32 v67, v50, v75, vcc
	v_mul_f32_e32 v75, 0x3fb8aa3b, v68
	v_fma_f32 v76, v68, s37, -v75
	v_rndne_f32_e32 v77, v75
	v_fmac_f32_e32 v76, 0x32a5705f, v68
	v_sub_f32_e32 v75, v75, v77
	v_add_f32_e32 v75, v75, v76
	v_exp_f32_e32 v75, v75
	v_cvt_i32_f32_e32 v76, v77
	v_cmp_ngt_f32_e32 vcc, s36, v68
	v_add_f32_e32 v74, v74, v62
	v_add_f32_e32 v74, v74, v63
	v_ldexp_f32 v75, v75, v76
	v_cndmask_b32_e32 v75, 0, v75, vcc
	v_cmp_nlt_f32_e32 vcc, s33, v68
	v_cndmask_b32_e32 v68, v50, v75, vcc
	v_mul_f32_e32 v75, 0x3fb8aa3b, v69
	v_fma_f32 v76, v69, s37, -v75
	v_rndne_f32_e32 v77, v75
	v_fmac_f32_e32 v76, 0x32a5705f, v69
	v_sub_f32_e32 v75, v75, v77
	v_add_f32_e32 v75, v75, v76
	v_exp_f32_e32 v75, v75
	v_cvt_i32_f32_e32 v76, v77
	v_cmp_ngt_f32_e32 vcc, s36, v69
	v_add_f32_e32 v74, v74, v64
	v_add_f32_e32 v74, v74, v65
	;; [unrolled: 15-line block ×4, first 2 shown]
	v_ldexp_f32 v75, v75, v76
	v_cndmask_b32_e32 v75, 0, v75, vcc
	v_cmp_nlt_f32_e32 vcc, s33, v71
	v_cndmask_b32_e32 v71, v50, v75, vcc
	v_mul_f32_e32 v75, 0x3fb8aa3b, v73
	v_fma_f32 v76, v73, s37, -v75
	v_rndne_f32_e32 v77, v75
	v_fmac_f32_e32 v76, 0x32a5705f, v73
	v_sub_f32_e32 v75, v75, v77
	v_add_f32_e32 v75, v75, v76
	v_exp_f32_e32 v75, v75
	v_cvt_i32_f32_e32 v76, v77
	v_cmp_ngt_f32_e32 vcc, s36, v73
	v_add_f32_e32 v74, v74, v71
	v_ldexp_f32 v75, v75, v76
	v_cndmask_b32_e32 v75, 0, v75, vcc
	v_cmp_nlt_f32_e32 vcc, s33, v73
	v_cndmask_b32_e32 v73, v50, v75, vcc
	v_fma_f32 v75, v66, s37, -v72
	v_rndne_f32_e32 v76, v72
	v_fmac_f32_e32 v75, 0x32a5705f, v66
	v_sub_f32_e32 v72, v72, v76
	v_add_f32_e32 v72, v72, v75
	v_exp_f32_e32 v72, v72
	v_cvt_i32_f32_e32 v75, v76
	v_cmp_ngt_f32_e32 vcc, s36, v66
	v_add_f32_e32 v74, v74, v73
	v_ldexp_f32 v72, v72, v75
	v_cndmask_b32_e32 v72, 0, v72, vcc
	v_cmp_nlt_f32_e32 vcc, s33, v66
	v_cndmask_b32_e32 v50, v50, v72, vcc
	v_add_f32_e32 v66, v74, v50
	ds_bpermute_b32 v2, v2, v66
	v_cmp_lt_i32_e32 vcc, 0, v5
	s_waitcnt lgkmcnt(0)
	v_add_f32_e32 v2, v66, v2
	ds_bpermute_b32 v4, v4, v2
	s_waitcnt lgkmcnt(0)
	v_add_f32_e32 v2, v2, v4
	ds_bpermute_b32 v4, v7, v2
	;; [unrolled: 3-line block ×4, first 2 shown]
	s_and_saveexec_b64 s[36:37], vcc
	s_cbranch_execz .LBB403_194
; %bb.129:
	s_and_b64 exec, exec, s[34:35]
	s_cbranch_execz .LBB403_194
; %bb.130:
	s_waitcnt lgkmcnt(0)
	v_add_f32_e32 v2, v2, v4
	v_div_scale_f32 v5, s[34:35], v2, v2, v3
	v_rcp_f32_e32 v7, v5
	v_mov_b32_e32 v4, s41
	v_add_co_u32_e32 v0, vcc, s40, v0
	v_addc_co_u32_e32 v1, vcc, v4, v1, vcc
	v_fma_f32 v4, -v5, v7, 1.0
	v_fmac_f32_e32 v7, v4, v7
	v_div_scale_f32 v4, vcc, v3, v2, v3
	v_mul_f32_e32 v8, v4, v7
	v_fma_f32 v9, -v5, v8, v4
	v_fmac_f32_e32 v8, v9, v7
	v_fma_f32 v4, -v5, v8, v4
	v_div_fmas_f32 v4, v4, v7, v8
	v_div_fixup_f32 v4, v4, v2, v3
	v_mov_b32_e32 v3, 0x7fc00000
	v_cmp_eq_f32_e64 s[34:35], 0, v2
	v_cndmask_b32_e64 v4, v4, v3, s[34:35]
	global_store_dword v[0:1], v4, off
	s_and_b64 exec, exec, s[30:31]
	s_cbranch_execz .LBB403_194
; %bb.131:
	v_div_scale_f32 v4, s[30:31], v2, v2, v6
	v_rcp_f32_e32 v5, v4
	v_div_scale_f32 v7, vcc, v6, v2, v6
	v_fma_f32 v8, -v4, v5, 1.0
	v_fmac_f32_e32 v5, v8, v5
	v_mul_f32_e32 v8, v7, v5
	v_fma_f32 v9, -v4, v8, v7
	v_fmac_f32_e32 v8, v9, v5
	v_fma_f32 v4, -v4, v8, v7
	v_div_fmas_f32 v4, v4, v5, v8
	v_div_fixup_f32 v4, v4, v2, v6
	v_cndmask_b32_e64 v3, v4, v3, s[34:35]
	global_store_dword v[0:1], v3, off offset:128
	s_and_b64 exec, exec, s[28:29]
	s_cbranch_execz .LBB403_194
; %bb.132:
	v_div_scale_f32 v3, s[28:29], v2, v2, v10
	v_rcp_f32_e32 v4, v3
	v_div_scale_f32 v5, vcc, v10, v2, v10
	v_fma_f32 v6, -v3, v4, 1.0
	v_fmac_f32_e32 v4, v6, v4
	v_mul_f32_e32 v6, v5, v4
	v_fma_f32 v7, -v3, v6, v5
	v_fmac_f32_e32 v6, v7, v4
	v_fma_f32 v3, -v3, v6, v5
	v_div_fmas_f32 v3, v3, v4, v6
	v_div_fixup_f32 v4, v3, v2, v10
	v_mov_b32_e32 v3, 0x7fc00000
	v_cndmask_b32_e64 v4, v4, v3, s[34:35]
	global_store_dword v[0:1], v4, off offset:256
	s_and_b64 exec, exec, s[26:27]
	s_cbranch_execz .LBB403_194
; %bb.133:
	v_div_scale_f32 v4, s[26:27], v2, v2, v11
	v_rcp_f32_e32 v5, v4
	v_div_scale_f32 v6, vcc, v11, v2, v11
	v_fma_f32 v7, -v4, v5, 1.0
	v_fmac_f32_e32 v5, v7, v5
	v_mul_f32_e32 v7, v6, v5
	v_fma_f32 v8, -v4, v7, v6
	v_fmac_f32_e32 v7, v8, v5
	v_fma_f32 v4, -v4, v7, v6
	v_div_fmas_f32 v4, v4, v5, v7
	v_div_fixup_f32 v4, v4, v2, v11
	v_cndmask_b32_e64 v3, v4, v3, s[34:35]
	global_store_dword v[0:1], v3, off offset:384
	s_and_b64 exec, exec, s[24:25]
	s_cbranch_execz .LBB403_194
; %bb.134:
	v_div_scale_f32 v3, s[24:25], v2, v2, v12
	v_rcp_f32_e32 v4, v3
	v_div_scale_f32 v5, vcc, v12, v2, v12
	v_fma_f32 v6, -v3, v4, 1.0
	v_fmac_f32_e32 v4, v6, v4
	v_mul_f32_e32 v6, v5, v4
	v_fma_f32 v7, -v3, v6, v5
	v_fmac_f32_e32 v6, v7, v4
	v_fma_f32 v3, -v3, v6, v5
	v_div_fmas_f32 v3, v3, v4, v6
	v_div_fixup_f32 v4, v3, v2, v12
	v_mov_b32_e32 v3, 0x7fc00000
	v_cndmask_b32_e64 v4, v4, v3, s[34:35]
	global_store_dword v[0:1], v4, off offset:512
	;; [unrolled: 33-line block ×15, first 2 shown]
	s_and_b64 exec, exec, s[66:67]
	s_cbranch_execz .LBB403_194
; %bb.161:
	v_div_scale_f32 v4, s[0:1], v2, v2, v39
	v_rcp_f32_e32 v5, v4
	v_div_scale_f32 v6, vcc, v39, v2, v39
	v_fma_f32 v7, -v4, v5, 1.0
	v_fmac_f32_e32 v5, v7, v5
	v_mul_f32_e32 v7, v6, v5
	v_fma_f32 v8, -v4, v7, v6
	v_fmac_f32_e32 v7, v8, v5
	v_fma_f32 v4, -v4, v7, v6
	v_div_fmas_f32 v4, v4, v5, v7
	v_div_fixup_f32 v4, v4, v2, v39
	v_cndmask_b32_e64 v3, v4, v3, s[34:35]
	global_store_dword v[0:1], v3, off offset:3968
	s_and_b64 exec, exec, s[64:65]
	s_cbranch_execz .LBB403_194
; %bb.162:
	v_div_scale_f32 v3, s[0:1], v2, v2, v40
	v_rcp_f32_e32 v4, v3
	v_div_scale_f32 v5, vcc, v40, v2, v40
	v_fma_f32 v6, -v3, v4, 1.0
	v_fmac_f32_e32 v4, v6, v4
	v_mul_f32_e32 v6, v5, v4
	v_fma_f32 v7, -v3, v6, v5
	v_fmac_f32_e32 v6, v7, v4
	v_fma_f32 v3, -v3, v6, v5
	v_div_fmas_f32 v3, v3, v4, v6
	v_div_fixup_f32 v4, v3, v2, v40
	v_mov_b32_e32 v3, 0x7fc00000
	v_cndmask_b32_e64 v6, v4, v3, s[34:35]
	v_add_co_u32_e32 v4, vcc, 0x1000, v0
	v_addc_co_u32_e32 v5, vcc, 0, v1, vcc
	global_store_dword v[4:5], v6, off
	s_and_b64 exec, exec, s[62:63]
	s_cbranch_execz .LBB403_194
; %bb.163:
	v_div_scale_f32 v4, s[0:1], v2, v2, v41
	v_rcp_f32_e32 v5, v4
	v_div_scale_f32 v6, vcc, v41, v2, v41
	v_fma_f32 v7, -v4, v5, 1.0
	v_fmac_f32_e32 v5, v7, v5
	v_mul_f32_e32 v7, v6, v5
	v_fma_f32 v8, -v4, v7, v6
	v_fmac_f32_e32 v7, v8, v5
	v_fma_f32 v4, -v4, v7, v6
	v_div_fmas_f32 v4, v4, v5, v7
	v_div_fixup_f32 v4, v4, v2, v41
	v_cndmask_b32_e64 v3, v4, v3, s[34:35]
	v_add_co_u32_e32 v4, vcc, 0x1000, v0
	v_addc_co_u32_e32 v5, vcc, 0, v1, vcc
	global_store_dword v[4:5], v3, off offset:128
	s_and_b64 exec, exec, s[60:61]
	s_cbranch_execz .LBB403_194
; %bb.164:
	v_div_scale_f32 v3, s[0:1], v2, v2, v42
	v_rcp_f32_e32 v4, v3
	v_div_scale_f32 v5, vcc, v42, v2, v42
	v_fma_f32 v6, -v3, v4, 1.0
	v_fmac_f32_e32 v4, v6, v4
	v_mul_f32_e32 v6, v5, v4
	v_fma_f32 v7, -v3, v6, v5
	v_fmac_f32_e32 v6, v7, v4
	v_fma_f32 v3, -v3, v6, v5
	v_div_fmas_f32 v3, v3, v4, v6
	v_div_fixup_f32 v4, v3, v2, v42
	v_mov_b32_e32 v3, 0x7fc00000
	v_cndmask_b32_e64 v6, v4, v3, s[34:35]
	v_add_co_u32_e32 v4, vcc, 0x1000, v0
	v_addc_co_u32_e32 v5, vcc, 0, v1, vcc
	global_store_dword v[4:5], v6, off offset:256
	s_and_b64 exec, exec, s[58:59]
	s_cbranch_execz .LBB403_194
; %bb.165:
	v_div_scale_f32 v4, s[0:1], v2, v2, v43
	v_rcp_f32_e32 v5, v4
	v_div_scale_f32 v6, vcc, v43, v2, v43
	v_fma_f32 v7, -v4, v5, 1.0
	v_fmac_f32_e32 v5, v7, v5
	v_mul_f32_e32 v7, v6, v5
	v_fma_f32 v8, -v4, v7, v6
	v_fmac_f32_e32 v7, v8, v5
	v_fma_f32 v4, -v4, v7, v6
	v_div_fmas_f32 v4, v4, v5, v7
	v_div_fixup_f32 v4, v4, v2, v43
	v_cndmask_b32_e64 v3, v4, v3, s[34:35]
	v_add_co_u32_e32 v4, vcc, 0x1000, v0
	v_addc_co_u32_e32 v5, vcc, 0, v1, vcc
	global_store_dword v[4:5], v3, off offset:384
	s_and_b64 exec, exec, s[56:57]
	s_cbranch_execz .LBB403_194
; %bb.166:
	v_div_scale_f32 v3, s[0:1], v2, v2, v44
	v_rcp_f32_e32 v4, v3
	v_div_scale_f32 v5, vcc, v44, v2, v44
	v_fma_f32 v6, -v3, v4, 1.0
	v_fmac_f32_e32 v4, v6, v4
	v_mul_f32_e32 v6, v5, v4
	v_fma_f32 v7, -v3, v6, v5
	v_fmac_f32_e32 v6, v7, v4
	v_fma_f32 v3, -v3, v6, v5
	v_div_fmas_f32 v3, v3, v4, v6
	v_div_fixup_f32 v4, v3, v2, v44
	v_mov_b32_e32 v3, 0x7fc00000
	v_cndmask_b32_e64 v6, v4, v3, s[34:35]
	v_add_co_u32_e32 v4, vcc, 0x1000, v0
	v_addc_co_u32_e32 v5, vcc, 0, v1, vcc
	global_store_dword v[4:5], v6, off offset:512
	;; [unrolled: 37-line block ×3, first 2 shown]
	s_and_b64 exec, exec, s[50:51]
	s_cbranch_execz .LBB403_194
; %bb.169:
	v_div_scale_f32 v4, s[0:1], v2, v2, v47
	v_rcp_f32_e32 v5, v4
	v_div_scale_f32 v6, vcc, v47, v2, v47
	v_fma_f32 v7, -v4, v5, 1.0
	v_fmac_f32_e32 v5, v7, v5
	v_mul_f32_e32 v7, v6, v5
	v_fma_f32 v8, -v4, v7, v6
	v_fmac_f32_e32 v7, v8, v5
	v_fma_f32 v4, -v4, v7, v6
	v_div_fmas_f32 v4, v4, v5, v7
	v_div_fixup_f32 v4, v4, v2, v47
	v_cndmask_b32_e64 v3, v4, v3, s[34:35]
	v_add_co_u32_e32 v4, vcc, 0x1000, v0
	v_addc_co_u32_e32 v5, vcc, 0, v1, vcc
	global_store_dword v[4:5], v3, off offset:896
	s_and_b64 exec, exec, s[48:49]
	s_cbranch_execz .LBB403_194
; %bb.170:
	v_div_scale_f32 v3, s[0:1], v2, v2, v48
	v_rcp_f32_e32 v4, v3
	v_div_scale_f32 v5, vcc, v48, v2, v48
	v_readlane_b32 s0, v78, 0
	v_fma_f32 v6, -v3, v4, 1.0
	v_fmac_f32_e32 v4, v6, v4
	v_mul_f32_e32 v6, v5, v4
	v_fma_f32 v7, -v3, v6, v5
	v_fmac_f32_e32 v6, v7, v4
	v_fma_f32 v3, -v3, v6, v5
	v_div_fmas_f32 v3, v3, v4, v6
	v_div_fixup_f32 v4, v3, v2, v48
	v_mov_b32_e32 v3, 0x7fc00000
	v_cndmask_b32_e64 v6, v4, v3, s[34:35]
	v_add_co_u32_e32 v4, vcc, 0x1000, v0
	v_addc_co_u32_e32 v5, vcc, 0, v1, vcc
	v_readlane_b32 s1, v78, 1
	global_store_dword v[4:5], v6, off offset:1024
	s_and_b64 exec, exec, s[0:1]
	s_cbranch_execz .LBB403_194
; %bb.171:
	v_div_scale_f32 v4, s[0:1], v2, v2, v49
	v_rcp_f32_e32 v5, v4
	v_div_scale_f32 v6, vcc, v49, v2, v49
	v_fma_f32 v7, -v4, v5, 1.0
	v_fmac_f32_e32 v5, v7, v5
	v_mul_f32_e32 v7, v6, v5
	v_fma_f32 v8, -v4, v7, v6
	v_fmac_f32_e32 v7, v8, v5
	v_fma_f32 v4, -v4, v7, v6
	v_div_fmas_f32 v4, v4, v5, v7
	v_div_fixup_f32 v4, v4, v2, v49
	v_cndmask_b32_e64 v3, v4, v3, s[34:35]
	v_add_co_u32_e32 v4, vcc, 0x1000, v0
	v_addc_co_u32_e32 v5, vcc, 0, v1, vcc
	global_store_dword v[4:5], v3, off offset:1152
	s_and_b64 exec, exec, s[38:39]
	s_cbranch_execz .LBB403_194
; %bb.172:
	v_div_scale_f32 v3, s[0:1], v2, v2, v51
	v_rcp_f32_e32 v4, v3
	v_div_scale_f32 v5, vcc, v51, v2, v51
	v_fma_f32 v6, -v3, v4, 1.0
	v_fmac_f32_e32 v4, v6, v4
	v_mul_f32_e32 v6, v5, v4
	v_fma_f32 v7, -v3, v6, v5
	v_fmac_f32_e32 v6, v7, v4
	v_fma_f32 v3, -v3, v6, v5
	v_div_fmas_f32 v3, v3, v4, v6
	v_div_fixup_f32 v4, v3, v2, v51
	v_mov_b32_e32 v3, 0x7fc00000
	v_cndmask_b32_e64 v6, v4, v3, s[34:35]
	v_add_co_u32_e32 v4, vcc, 0x1000, v0
	v_addc_co_u32_e32 v5, vcc, 0, v1, vcc
	global_store_dword v[4:5], v6, off offset:1280
	s_and_b64 exec, exec, s[44:45]
	s_cbranch_execz .LBB403_194
; %bb.173:
	v_div_scale_f32 v4, s[0:1], v2, v2, v52
	v_rcp_f32_e32 v5, v4
	v_div_scale_f32 v6, vcc, v52, v2, v52
	v_readlane_b32 s0, v78, 2
	v_fma_f32 v7, -v4, v5, 1.0
	v_fmac_f32_e32 v5, v7, v5
	v_mul_f32_e32 v7, v6, v5
	v_fma_f32 v8, -v4, v7, v6
	v_fmac_f32_e32 v7, v8, v5
	v_fma_f32 v4, -v4, v7, v6
	v_div_fmas_f32 v4, v4, v5, v7
	v_div_fixup_f32 v4, v4, v2, v52
	v_cndmask_b32_e64 v3, v4, v3, s[34:35]
	v_add_co_u32_e32 v4, vcc, 0x1000, v0
	v_addc_co_u32_e32 v5, vcc, 0, v1, vcc
	v_readlane_b32 s1, v78, 3
	global_store_dword v[4:5], v3, off offset:1408
	s_and_b64 exec, exec, s[0:1]
	s_cbranch_execz .LBB403_194
; %bb.174:
	v_div_scale_f32 v3, s[0:1], v2, v2, v53
	v_rcp_f32_e32 v4, v3
	v_div_scale_f32 v5, vcc, v53, v2, v53
	v_readlane_b32 s0, v78, 4
	v_fma_f32 v6, -v3, v4, 1.0
	v_fmac_f32_e32 v4, v6, v4
	v_mul_f32_e32 v6, v5, v4
	v_fma_f32 v7, -v3, v6, v5
	v_fmac_f32_e32 v6, v7, v4
	v_fma_f32 v3, -v3, v6, v5
	v_div_fmas_f32 v3, v3, v4, v6
	v_div_fixup_f32 v4, v3, v2, v53
	v_mov_b32_e32 v3, 0x7fc00000
	v_cndmask_b32_e64 v6, v4, v3, s[34:35]
	v_add_co_u32_e32 v4, vcc, 0x1000, v0
	v_addc_co_u32_e32 v5, vcc, 0, v1, vcc
	v_readlane_b32 s1, v78, 5
	global_store_dword v[4:5], v6, off offset:1536
	s_and_b64 exec, exec, s[0:1]
	s_cbranch_execz .LBB403_194
; %bb.175:
	v_div_scale_f32 v4, s[0:1], v2, v2, v54
	v_rcp_f32_e32 v5, v4
	v_div_scale_f32 v6, vcc, v54, v2, v54
	v_readlane_b32 s0, v78, 6
	v_fma_f32 v7, -v4, v5, 1.0
	v_fmac_f32_e32 v5, v7, v5
	v_mul_f32_e32 v7, v6, v5
	v_fma_f32 v8, -v4, v7, v6
	v_fmac_f32_e32 v7, v8, v5
	v_fma_f32 v4, -v4, v7, v6
	v_div_fmas_f32 v4, v4, v5, v7
	v_div_fixup_f32 v4, v4, v2, v54
	v_cndmask_b32_e64 v3, v4, v3, s[34:35]
	v_add_co_u32_e32 v4, vcc, 0x1000, v0
	v_addc_co_u32_e32 v5, vcc, 0, v1, vcc
	v_readlane_b32 s1, v78, 7
	global_store_dword v[4:5], v3, off offset:1664
	s_and_b64 exec, exec, s[0:1]
	s_cbranch_execz .LBB403_194
; %bb.176:
	v_div_scale_f32 v3, s[0:1], v2, v2, v55
	v_rcp_f32_e32 v4, v3
	v_div_scale_f32 v5, vcc, v55, v2, v55
	v_readlane_b32 s0, v78, 8
	v_fma_f32 v6, -v3, v4, 1.0
	v_fmac_f32_e32 v4, v6, v4
	v_mul_f32_e32 v6, v5, v4
	v_fma_f32 v7, -v3, v6, v5
	v_fmac_f32_e32 v6, v7, v4
	v_fma_f32 v3, -v3, v6, v5
	v_div_fmas_f32 v3, v3, v4, v6
	v_div_fixup_f32 v4, v3, v2, v55
	v_mov_b32_e32 v3, 0x7fc00000
	v_cndmask_b32_e64 v6, v4, v3, s[34:35]
	v_add_co_u32_e32 v4, vcc, 0x1000, v0
	v_addc_co_u32_e32 v5, vcc, 0, v1, vcc
	v_readlane_b32 s1, v78, 9
	;; [unrolled: 41-line block ×9, first 2 shown]
	global_store_dword v[4:5], v6, off offset:3584
	s_and_b64 exec, exec, s[0:1]
	s_cbranch_execz .LBB403_194
; %bb.191:
	v_div_scale_f32 v4, s[0:1], v2, v2, v71
	v_rcp_f32_e32 v5, v4
	v_div_scale_f32 v6, vcc, v71, v2, v71
	v_readlane_b32 s0, v78, 38
	v_fma_f32 v7, -v4, v5, 1.0
	v_fmac_f32_e32 v5, v7, v5
	v_mul_f32_e32 v7, v6, v5
	v_fma_f32 v8, -v4, v7, v6
	v_fmac_f32_e32 v7, v8, v5
	v_fma_f32 v4, -v4, v7, v6
	v_div_fmas_f32 v4, v4, v5, v7
	v_div_fixup_f32 v4, v4, v2, v71
	v_cndmask_b32_e64 v3, v4, v3, s[34:35]
	v_add_co_u32_e32 v4, vcc, 0x1000, v0
	v_addc_co_u32_e32 v5, vcc, 0, v1, vcc
	v_readlane_b32 s1, v78, 39
	global_store_dword v[4:5], v3, off offset:3712
	s_and_b64 exec, exec, s[0:1]
	s_cbranch_execz .LBB403_194
; %bb.192:
	v_div_scale_f32 v3, s[0:1], v2, v2, v73
	v_rcp_f32_e32 v4, v3
	v_div_scale_f32 v5, vcc, v73, v2, v73
	v_fma_f32 v6, -v3, v4, 1.0
	v_fmac_f32_e32 v4, v6, v4
	v_mul_f32_e32 v6, v5, v4
	v_fma_f32 v7, -v3, v6, v5
	v_fmac_f32_e32 v6, v7, v4
	v_fma_f32 v3, -v3, v6, v5
	v_div_fmas_f32 v3, v3, v4, v6
	v_div_fixup_f32 v4, v3, v2, v73
	v_mov_b32_e32 v3, 0x7fc00000
	v_cndmask_b32_e64 v6, v4, v3, s[34:35]
	v_add_co_u32_e32 v4, vcc, 0x1000, v0
	v_addc_co_u32_e32 v5, vcc, 0, v1, vcc
	global_store_dword v[4:5], v6, off offset:3840
	s_and_b64 exec, exec, s[46:47]
	s_cbranch_execz .LBB403_194
; %bb.193:
	v_div_scale_f32 v4, s[0:1], v2, v2, v50
	v_rcp_f32_e32 v5, v4
	v_div_scale_f32 v6, vcc, v50, v2, v50
	v_fma_f32 v7, -v4, v5, 1.0
	v_fmac_f32_e32 v5, v7, v5
	v_mul_f32_e32 v7, v6, v5
	v_fma_f32 v8, -v4, v7, v6
	v_fmac_f32_e32 v7, v8, v5
	v_fma_f32 v4, -v4, v7, v6
	v_div_fmas_f32 v4, v4, v5, v7
	v_div_fixup_f32 v2, v4, v2, v50
	v_add_co_u32_e32 v0, vcc, 0x1000, v0
	v_cndmask_b32_e64 v2, v2, v3, s[34:35]
	v_addc_co_u32_e32 v1, vcc, 0, v1, vcc
	global_store_dword v[0:1], v2, off offset:3968
.LBB403_194:
	s_endpgm
	.section	.rodata,"a",@progbits
	.p2align	6, 0x0
	.amdhsa_kernel _ZN12_GLOBAL__N_120softmax_warp_forwardIfffLi11ELb0ELb0ELi32EEEvPT0_PKT_iiiPKbib
		.amdhsa_group_segment_fixed_size 0
		.amdhsa_private_segment_fixed_size 0
		.amdhsa_kernarg_size 304
		.amdhsa_user_sgpr_count 6
		.amdhsa_user_sgpr_private_segment_buffer 1
		.amdhsa_user_sgpr_dispatch_ptr 0
		.amdhsa_user_sgpr_queue_ptr 0
		.amdhsa_user_sgpr_kernarg_segment_ptr 1
		.amdhsa_user_sgpr_dispatch_id 0
		.amdhsa_user_sgpr_flat_scratch_init 0
		.amdhsa_user_sgpr_kernarg_preload_length 0
		.amdhsa_user_sgpr_kernarg_preload_offset 0
		.amdhsa_user_sgpr_private_segment_size 0
		.amdhsa_uses_dynamic_stack 0
		.amdhsa_system_sgpr_private_segment_wavefront_offset 0
		.amdhsa_system_sgpr_workgroup_id_x 1
		.amdhsa_system_sgpr_workgroup_id_y 0
		.amdhsa_system_sgpr_workgroup_id_z 0
		.amdhsa_system_sgpr_workgroup_info 0
		.amdhsa_system_vgpr_workitem_id 1
		.amdhsa_next_free_vgpr 79
		.amdhsa_next_free_sgpr 96
		.amdhsa_accum_offset 80
		.amdhsa_reserve_vcc 1
		.amdhsa_reserve_flat_scratch 0
		.amdhsa_float_round_mode_32 0
		.amdhsa_float_round_mode_16_64 0
		.amdhsa_float_denorm_mode_32 3
		.amdhsa_float_denorm_mode_16_64 3
		.amdhsa_dx10_clamp 1
		.amdhsa_ieee_mode 1
		.amdhsa_fp16_overflow 0
		.amdhsa_tg_split 0
		.amdhsa_exception_fp_ieee_invalid_op 0
		.amdhsa_exception_fp_denorm_src 0
		.amdhsa_exception_fp_ieee_div_zero 0
		.amdhsa_exception_fp_ieee_overflow 0
		.amdhsa_exception_fp_ieee_underflow 0
		.amdhsa_exception_fp_ieee_inexact 0
		.amdhsa_exception_int_div_zero 0
	.end_amdhsa_kernel
	.section	.text._ZN12_GLOBAL__N_120softmax_warp_forwardIfffLi11ELb0ELb0ELi32EEEvPT0_PKT_iiiPKbib,"axG",@progbits,_ZN12_GLOBAL__N_120softmax_warp_forwardIfffLi11ELb0ELb0ELi32EEEvPT0_PKT_iiiPKbib,comdat
.Lfunc_end403:
	.size	_ZN12_GLOBAL__N_120softmax_warp_forwardIfffLi11ELb0ELb0ELi32EEEvPT0_PKT_iiiPKbib, .Lfunc_end403-_ZN12_GLOBAL__N_120softmax_warp_forwardIfffLi11ELb0ELb0ELi32EEEvPT0_PKT_iiiPKbib
                                        ; -- End function
	.section	.AMDGPU.csdata,"",@progbits
; Kernel info:
; codeLenInByte = 16680
; NumSgprs: 100
; NumVgprs: 79
; NumAgprs: 0
; TotalNumVgprs: 79
; ScratchSize: 0
; MemoryBound: 0
; FloatMode: 240
; IeeeMode: 1
; LDSByteSize: 0 bytes/workgroup (compile time only)
; SGPRBlocks: 12
; VGPRBlocks: 9
; NumSGPRsForWavesPerEU: 100
; NumVGPRsForWavesPerEU: 79
; AccumOffset: 80
; Occupancy: 6
; WaveLimiterHint : 0
; COMPUTE_PGM_RSRC2:SCRATCH_EN: 0
; COMPUTE_PGM_RSRC2:USER_SGPR: 6
; COMPUTE_PGM_RSRC2:TRAP_HANDLER: 0
; COMPUTE_PGM_RSRC2:TGID_X_EN: 1
; COMPUTE_PGM_RSRC2:TGID_Y_EN: 0
; COMPUTE_PGM_RSRC2:TGID_Z_EN: 0
; COMPUTE_PGM_RSRC2:TIDIG_COMP_CNT: 1
; COMPUTE_PGM_RSRC3_GFX90A:ACCUM_OFFSET: 19
; COMPUTE_PGM_RSRC3_GFX90A:TG_SPLIT: 0
	.section	.text._ZN2at6native12_GLOBAL__N_123cunn_SoftMaxForwardGmemILi4EfffNS1_29SoftMaxForwardWithMulEpilogueElEEvPT2_PKT0_T4_,"axG",@progbits,_ZN2at6native12_GLOBAL__N_123cunn_SoftMaxForwardGmemILi4EfffNS1_29SoftMaxForwardWithMulEpilogueElEEvPT2_PKT0_T4_,comdat
	.globl	_ZN2at6native12_GLOBAL__N_123cunn_SoftMaxForwardGmemILi4EfffNS1_29SoftMaxForwardWithMulEpilogueElEEvPT2_PKT0_T4_ ; -- Begin function _ZN2at6native12_GLOBAL__N_123cunn_SoftMaxForwardGmemILi4EfffNS1_29SoftMaxForwardWithMulEpilogueElEEvPT2_PKT0_T4_
	.p2align	8
	.type	_ZN2at6native12_GLOBAL__N_123cunn_SoftMaxForwardGmemILi4EfffNS1_29SoftMaxForwardWithMulEpilogueElEEvPT2_PKT0_T4_,@function
_ZN2at6native12_GLOBAL__N_123cunn_SoftMaxForwardGmemILi4EfffNS1_29SoftMaxForwardWithMulEpilogueElEEvPT2_PKT0_T4_: ; @_ZN2at6native12_GLOBAL__N_123cunn_SoftMaxForwardGmemILi4EfffNS1_29SoftMaxForwardWithMulEpilogueElEEvPT2_PKT0_T4_
; %bb.0:
	s_load_dwordx2 s[10:11], s[4:5], 0x10
	s_load_dwordx4 s[12:15], s[4:5], 0x0
	v_mov_b32_e32 v1, 0
	v_lshlrev_b32_e32 v2, 2, v0
	v_mov_b32_e32 v3, v1
	s_waitcnt lgkmcnt(0)
	s_mul_i32 s0, s6, s11
	s_mul_hi_u32 s1, s6, s10
	s_add_i32 s17, s1, s0
	s_mul_i32 s16, s6, s10
	s_mov_b32 s18, 0
	v_cmp_gt_i64_e64 s[0:1], s[10:11], v[2:3]
	v_mov_b32_e32 v3, 0xff7fffff
	v_lshlrev_b32_e32 v2, 4, v0
	s_and_saveexec_b64 s[2:3], s[0:1]
	s_cbranch_execz .LBB404_4
; %bb.1:
	s_load_dword s8, s[4:5], 0x24
	s_lshl_b64 s[6:7], s[16:17], 2
	v_mov_b32_e32 v8, s18
	v_mov_b32_e32 v9, s18
	v_pk_mov_b32 v[6:7], v[0:1], v[0:1] op_sel:[0,1]
	s_waitcnt lgkmcnt(0)
	s_and_b32 s8, s8, 0xffff
	s_add_u32 s6, s14, s6
	s_addc_u32 s7, s15, s7
	v_mov_b32_e32 v3, s7
	v_add_co_u32_e32 v4, vcc, s6, v2
	v_addc_co_u32_e32 v3, vcc, 0, v3, vcc
	v_add_co_u32_e32 v4, vcc, 8, v4
	v_addc_co_u32_e32 v5, vcc, 0, v3, vcc
	s_lshl_b32 s9, s8, 4
	s_mov_b64 s[6:7], 0
	v_mov_b32_e32 v3, 0xff7fffff
.LBB404_2:                              ; =>This Inner Loop Header: Depth=1
	global_load_dwordx4 v[10:13], v[4:5], off offset:-8
	v_add_co_u32_e32 v6, vcc, s8, v6
	v_addc_co_u32_e32 v7, vcc, v7, v8, vcc
	v_add_co_u32_e32 v4, vcc, s9, v4
	v_addc_co_u32_e32 v5, vcc, v5, v9, vcc
	v_lshlrev_b64 v[14:15], 2, v[6:7]
	v_cmp_le_i64_e32 vcc, s[10:11], v[14:15]
	s_or_b64 s[6:7], vcc, s[6:7]
	s_waitcnt vmcnt(0)
	v_max3_f32 v3, v3, v10, v11
	v_max3_f32 v3, v3, v12, v13
	s_andn2_b64 exec, exec, s[6:7]
	s_cbranch_execnz .LBB404_2
; %bb.3:
	s_or_b64 exec, exec, s[6:7]
.LBB404_4:
	s_or_b64 exec, exec, s[2:3]
	v_mbcnt_lo_u32_b32 v4, -1, 0
	v_mbcnt_hi_u32_b32 v5, -1, v4
	v_and_b32_e32 v6, 63, v5
	v_cmp_gt_u32_e32 vcc, 32, v6
	v_cndmask_b32_e64 v4, 0, 1, vcc
	v_lshlrev_b32_e32 v4, 5, v4
	v_add_lshl_u32 v8, v4, v5, 2
	ds_bpermute_b32 v4, v8, v3
	v_cmp_gt_u32_e32 vcc, 48, v6
	v_cndmask_b32_e64 v7, 0, 1, vcc
	v_lshrrev_b32_e32 v14, 4, v0
	s_waitcnt lgkmcnt(0)
	v_cmp_lt_f32_e32 vcc, v3, v4
	v_cndmask_b32_e32 v3, v3, v4, vcc
	v_lshlrev_b32_e32 v4, 4, v7
	v_add_lshl_u32 v9, v4, v5, 2
	ds_bpermute_b32 v4, v9, v3
	s_barrier
	s_waitcnt lgkmcnt(0)
	v_cmp_lt_f32_e32 vcc, v3, v4
	v_cndmask_b32_e32 v3, v3, v4, vcc
	v_cmp_gt_u32_e32 vcc, 56, v6
	v_cndmask_b32_e64 v4, 0, 1, vcc
	v_lshlrev_b32_e32 v4, 3, v4
	v_add_lshl_u32 v10, v4, v5, 2
	ds_bpermute_b32 v4, v10, v3
	s_waitcnt lgkmcnt(0)
	v_cmp_lt_f32_e32 vcc, v3, v4
	v_cndmask_b32_e32 v3, v3, v4, vcc
	v_cmp_gt_u32_e32 vcc, 60, v6
	v_cndmask_b32_e64 v4, 0, 1, vcc
	v_lshlrev_b32_e32 v4, 2, v4
	v_add_lshl_u32 v11, v4, v5, 2
	ds_bpermute_b32 v4, v11, v3
	;; [unrolled: 8-line block ×3, first 2 shown]
	v_and_b32_e32 v4, 63, v0
	s_waitcnt lgkmcnt(0)
	v_cmp_lt_f32_e32 vcc, v3, v7
	v_cndmask_b32_e32 v3, v3, v7, vcc
	v_cmp_ne_u32_e32 vcc, 63, v6
	v_addc_co_u32_e32 v5, vcc, 0, v5, vcc
	v_lshlrev_b32_e32 v13, 2, v5
	ds_bpermute_b32 v5, v13, v3
	v_cmp_eq_u32_e32 vcc, 0, v4
	s_and_saveexec_b64 s[6:7], vcc
	s_cbranch_execz .LBB404_6
; %bb.5:
	s_waitcnt lgkmcnt(0)
	v_cmp_lt_f32_e64 s[2:3], v3, v5
	v_add_u32_e32 v6, 0, v14
	v_cndmask_b32_e64 v3, v3, v5, s[2:3]
	ds_write_b32 v6, v3
.LBB404_6:
	s_or_b64 exec, exec, s[6:7]
	s_waitcnt lgkmcnt(0)
	s_barrier
	s_load_dword s22, s[4:5], 0x24
	v_mov_b32_e32 v3, 0xff7fffff
	v_lshl_add_u32 v15, v4, 2, 0
	s_waitcnt lgkmcnt(0)
	s_bfe_u32 s2, s22, 0xa0006
	v_cmp_gt_u32_e64 s[2:3], s2, v0
	s_and_saveexec_b64 s[4:5], s[2:3]
	s_cbranch_execnz .LBB404_24
; %bb.7:
	s_or_b64 exec, exec, s[4:5]
	v_cmp_gt_u32_e64 s[4:5], 64, v0
	s_and_saveexec_b64 s[8:9], s[4:5]
	s_cbranch_execnz .LBB404_25
.LBB404_8:
	s_or_b64 exec, exec, s[8:9]
	v_cmp_eq_u32_e64 s[6:7], 0, v0
	s_and_saveexec_b64 s[8:9], s[6:7]
	s_cbranch_execz .LBB404_10
.LBB404_9:
	v_mov_b32_e32 v4, 0
	s_waitcnt lgkmcnt(0)
	ds_write_b32 v4, v3
.LBB404_10:
	s_or_b64 exec, exec, s[8:9]
	v_mov_b32_e32 v16, 0
	s_waitcnt lgkmcnt(0)
	s_barrier
	ds_read_b32 v3, v16
	s_mov_b32 s25, 0
	s_and_saveexec_b64 s[18:19], s[0:1]
	s_cbranch_execz .LBB404_14
; %bb.11:
	s_and_b32 s23, s22, 0xffff
	s_lshl_b64 s[8:9], s[16:17], 2
	s_add_u32 s8, s14, s8
	s_addc_u32 s9, s15, s9
	v_mov_b32_e32 v4, s9
	v_add_co_u32_e64 v5, s[8:9], s8, v2
	v_addc_co_u32_e64 v6, s[8:9], 0, v4, s[8:9]
	v_add_co_u32_e64 v4, s[8:9], 8, v5
	v_addc_co_u32_e64 v5, s[8:9], 0, v6, s[8:9]
	s_lshl_b32 s24, s23, 4
	s_mov_b64 s[20:21], 0
	v_mov_b32_e32 v16, 0
	v_mov_b32_e32 v17, s25
	;; [unrolled: 1-line block ×3, first 2 shown]
	v_pk_mov_b32 v[6:7], v[0:1], v[0:1] op_sel:[0,1]
.LBB404_12:                             ; =>This Inner Loop Header: Depth=1
	global_load_dwordx4 v[20:23], v[4:5], off offset:-8
	v_add_co_u32_e64 v6, s[8:9], s23, v6
	v_addc_co_u32_e64 v7, s[8:9], v7, v17, s[8:9]
	v_add_co_u32_e64 v4, s[8:9], s24, v4
	v_addc_co_u32_e64 v5, s[8:9], v5, v18, s[8:9]
	v_lshlrev_b64 v[24:25], 2, v[6:7]
	v_cmp_le_i64_e64 s[8:9], s[10:11], v[24:25]
	s_or_b64 s[20:21], s[8:9], s[20:21]
	s_waitcnt vmcnt(0) lgkmcnt(0)
	v_sub_f32_e32 v19, v20, v3
	v_sub_f32_e32 v20, v21, v3
	v_mul_f32_e32 v19, 0x3fb8aa3b, v19
	v_sub_f32_e32 v21, v22, v3
	v_mul_f32_e32 v20, 0x3fb8aa3b, v20
	v_exp_f32_e32 v19, v19
	v_sub_f32_e32 v22, v23, v3
	v_mul_f32_e32 v21, 0x3fb8aa3b, v21
	v_exp_f32_e32 v20, v20
	v_mul_f32_e32 v22, 0x3fb8aa3b, v22
	v_exp_f32_e32 v21, v21
	v_exp_f32_e32 v22, v22
	v_add_f32_e32 v16, v16, v19
	v_add_f32_e32 v16, v16, v20
	;; [unrolled: 1-line block ×4, first 2 shown]
	s_andn2_b64 exec, exec, s[20:21]
	s_cbranch_execnz .LBB404_12
; %bb.13:
	s_or_b64 exec, exec, s[20:21]
.LBB404_14:
	s_or_b64 exec, exec, s[18:19]
	ds_bpermute_b32 v4, v8, v16
	s_waitcnt lgkmcnt(0)
	s_barrier
	v_add_f32_e32 v4, v16, v4
	ds_bpermute_b32 v5, v9, v4
	s_waitcnt lgkmcnt(0)
	v_add_f32_e32 v4, v4, v5
	ds_bpermute_b32 v5, v10, v4
	s_waitcnt lgkmcnt(0)
	;; [unrolled: 3-line block ×4, first 2 shown]
	v_add_f32_e32 v4, v4, v5
	ds_bpermute_b32 v5, v13, v4
	s_and_saveexec_b64 s[8:9], vcc
	s_cbranch_execz .LBB404_16
; %bb.15:
	v_add_u32_e32 v6, 0, v14
	s_waitcnt lgkmcnt(0)
	v_add_f32_e32 v4, v4, v5
	ds_write_b32 v6, v4
.LBB404_16:
	s_or_b64 exec, exec, s[8:9]
	v_mov_b32_e32 v4, 0
	s_waitcnt lgkmcnt(0)
	s_barrier
	s_and_saveexec_b64 s[8:9], s[2:3]
	s_cbranch_execnz .LBB404_26
; %bb.17:
	s_or_b64 exec, exec, s[8:9]
	s_and_saveexec_b64 s[2:3], s[4:5]
	s_cbranch_execnz .LBB404_27
.LBB404_18:
	s_or_b64 exec, exec, s[2:3]
	s_and_saveexec_b64 s[2:3], s[6:7]
	s_cbranch_execz .LBB404_20
.LBB404_19:
	s_waitcnt lgkmcnt(0)
	v_div_scale_f32 v5, s[4:5], v4, v4, 1.0
	v_rcp_f32_e32 v6, v5
	v_div_scale_f32 v7, vcc, 1.0, v4, 1.0
	v_fma_f32 v8, -v5, v6, 1.0
	v_fmac_f32_e32 v6, v8, v6
	v_mul_f32_e32 v8, v7, v6
	v_fma_f32 v9, -v5, v8, v7
	v_fmac_f32_e32 v8, v9, v6
	v_fma_f32 v5, -v5, v8, v7
	v_div_fmas_f32 v5, v5, v6, v8
	v_div_fixup_f32 v4, v5, v4, 1.0
	v_mov_b32_e32 v5, 0
	ds_write_b32 v5, v4
.LBB404_20:
	s_or_b64 exec, exec, s[2:3]
	s_waitcnt lgkmcnt(0)
	s_barrier
	s_and_saveexec_b64 s[2:3], s[0:1]
	s_cbranch_execz .LBB404_23
; %bb.21:
	s_lshl_b64 s[0:1], s[16:17], 2
	v_mov_b32_e32 v4, 0
	s_add_u32 s2, s14, s0
	ds_read_b32 v4, v4
	s_addc_u32 s3, s15, s1
	s_and_b32 s4, s22, 0xffff
	s_lshl_b32 s5, s4, 4
	s_add_u32 s0, s0, s12
	s_addc_u32 s1, s1, s13
	s_mov_b32 s8, 0
	s_add_u32 s6, s0, 8
	s_waitcnt lgkmcnt(0)
	v_mov_b32_e32 v5, v4
	s_addc_u32 s7, s1, 0
	s_mov_b64 s[0:1], 0
	v_mov_b32_e32 v6, s8
.LBB404_22:                             ; =>This Inner Loop Header: Depth=1
	v_mov_b32_e32 v7, s3
	v_add_co_u32_e32 v8, vcc, s2, v2
	v_addc_co_u32_e32 v9, vcc, 0, v7, vcc
	global_load_dwordx4 v[8:11], v[8:9], off
	v_add_co_u32_e32 v0, vcc, s4, v0
	v_addc_co_u32_e32 v1, vcc, v1, v6, vcc
	v_mov_b32_e32 v7, s7
	v_add_co_u32_e32 v12, vcc, s6, v2
	v_addc_co_u32_e32 v13, vcc, 0, v7, vcc
	v_lshlrev_b64 v[14:15], 2, v[0:1]
	v_cmp_le_i64_e32 vcc, s[10:11], v[14:15]
	s_add_u32 s2, s2, s5
	s_addc_u32 s3, s3, 0
	s_add_u32 s6, s6, s5
	s_addc_u32 s7, s7, 0
	s_or_b64 s[0:1], vcc, s[0:1]
	s_waitcnt vmcnt(0)
	v_sub_f32_e32 v7, v8, v3
	v_sub_f32_e32 v8, v9, v3
	;; [unrolled: 1-line block ×4, first 2 shown]
	v_mul_f32_e32 v7, 0x3fb8aa3b, v7
	v_mul_f32_e32 v11, 0x3fb8aa3b, v8
	v_mul_f32_e32 v14, 0x3fb8aa3b, v9
	v_mul_f32_e32 v15, 0x3fb8aa3b, v10
	v_exp_f32_e32 v8, v7
	v_exp_f32_e32 v9, v11
	;; [unrolled: 1-line block ×4, first 2 shown]
	v_pk_mul_f32 v[8:9], v[4:5], v[8:9]
	v_pk_mul_f32 v[10:11], v[4:5], v[10:11]
	global_store_dwordx4 v[12:13], v[8:11], off offset:-8
	s_andn2_b64 exec, exec, s[0:1]
	s_cbranch_execnz .LBB404_22
.LBB404_23:
	s_endpgm
.LBB404_24:
	ds_read_b32 v3, v15
	s_or_b64 exec, exec, s[4:5]
	v_cmp_gt_u32_e64 s[4:5], 64, v0
	s_and_saveexec_b64 s[8:9], s[4:5]
	s_cbranch_execz .LBB404_8
.LBB404_25:
	s_waitcnt lgkmcnt(0)
	ds_bpermute_b32 v4, v8, v3
	s_waitcnt lgkmcnt(0)
	v_cmp_lt_f32_e64 s[6:7], v3, v4
	v_cndmask_b32_e64 v3, v3, v4, s[6:7]
	ds_bpermute_b32 v4, v9, v3
	s_waitcnt lgkmcnt(0)
	v_cmp_lt_f32_e64 s[6:7], v3, v4
	v_cndmask_b32_e64 v3, v3, v4, s[6:7]
	;; [unrolled: 4-line block ×6, first 2 shown]
	s_or_b64 exec, exec, s[8:9]
	v_cmp_eq_u32_e64 s[6:7], 0, v0
	s_and_saveexec_b64 s[8:9], s[6:7]
	s_cbranch_execnz .LBB404_9
	s_branch .LBB404_10
.LBB404_26:
	ds_read_b32 v4, v15
	s_or_b64 exec, exec, s[8:9]
	s_and_saveexec_b64 s[2:3], s[4:5]
	s_cbranch_execz .LBB404_18
.LBB404_27:
	s_waitcnt lgkmcnt(0)
	ds_bpermute_b32 v5, v8, v4
	s_waitcnt lgkmcnt(0)
	v_add_f32_e32 v4, v4, v5
	ds_bpermute_b32 v5, v9, v4
	s_waitcnt lgkmcnt(0)
	v_add_f32_e32 v4, v4, v5
	;; [unrolled: 3-line block ×6, first 2 shown]
	s_or_b64 exec, exec, s[2:3]
	s_and_saveexec_b64 s[2:3], s[6:7]
	s_cbranch_execnz .LBB404_19
	s_branch .LBB404_20
	.section	.rodata,"a",@progbits
	.p2align	6, 0x0
	.amdhsa_kernel _ZN2at6native12_GLOBAL__N_123cunn_SoftMaxForwardGmemILi4EfffNS1_29SoftMaxForwardWithMulEpilogueElEEvPT2_PKT0_T4_
		.amdhsa_group_segment_fixed_size 0
		.amdhsa_private_segment_fixed_size 0
		.amdhsa_kernarg_size 280
		.amdhsa_user_sgpr_count 6
		.amdhsa_user_sgpr_private_segment_buffer 1
		.amdhsa_user_sgpr_dispatch_ptr 0
		.amdhsa_user_sgpr_queue_ptr 0
		.amdhsa_user_sgpr_kernarg_segment_ptr 1
		.amdhsa_user_sgpr_dispatch_id 0
		.amdhsa_user_sgpr_flat_scratch_init 0
		.amdhsa_user_sgpr_kernarg_preload_length 0
		.amdhsa_user_sgpr_kernarg_preload_offset 0
		.amdhsa_user_sgpr_private_segment_size 0
		.amdhsa_uses_dynamic_stack 0
		.amdhsa_system_sgpr_private_segment_wavefront_offset 0
		.amdhsa_system_sgpr_workgroup_id_x 1
		.amdhsa_system_sgpr_workgroup_id_y 0
		.amdhsa_system_sgpr_workgroup_id_z 0
		.amdhsa_system_sgpr_workgroup_info 0
		.amdhsa_system_vgpr_workitem_id 0
		.amdhsa_next_free_vgpr 26
		.amdhsa_next_free_sgpr 26
		.amdhsa_accum_offset 28
		.amdhsa_reserve_vcc 1
		.amdhsa_reserve_flat_scratch 0
		.amdhsa_float_round_mode_32 0
		.amdhsa_float_round_mode_16_64 0
		.amdhsa_float_denorm_mode_32 3
		.amdhsa_float_denorm_mode_16_64 3
		.amdhsa_dx10_clamp 1
		.amdhsa_ieee_mode 1
		.amdhsa_fp16_overflow 0
		.amdhsa_tg_split 0
		.amdhsa_exception_fp_ieee_invalid_op 0
		.amdhsa_exception_fp_denorm_src 0
		.amdhsa_exception_fp_ieee_div_zero 0
		.amdhsa_exception_fp_ieee_overflow 0
		.amdhsa_exception_fp_ieee_underflow 0
		.amdhsa_exception_fp_ieee_inexact 0
		.amdhsa_exception_int_div_zero 0
	.end_amdhsa_kernel
	.section	.text._ZN2at6native12_GLOBAL__N_123cunn_SoftMaxForwardGmemILi4EfffNS1_29SoftMaxForwardWithMulEpilogueElEEvPT2_PKT0_T4_,"axG",@progbits,_ZN2at6native12_GLOBAL__N_123cunn_SoftMaxForwardGmemILi4EfffNS1_29SoftMaxForwardWithMulEpilogueElEEvPT2_PKT0_T4_,comdat
.Lfunc_end404:
	.size	_ZN2at6native12_GLOBAL__N_123cunn_SoftMaxForwardGmemILi4EfffNS1_29SoftMaxForwardWithMulEpilogueElEEvPT2_PKT0_T4_, .Lfunc_end404-_ZN2at6native12_GLOBAL__N_123cunn_SoftMaxForwardGmemILi4EfffNS1_29SoftMaxForwardWithMulEpilogueElEEvPT2_PKT0_T4_
                                        ; -- End function
	.section	.AMDGPU.csdata,"",@progbits
; Kernel info:
; codeLenInByte = 1840
; NumSgprs: 30
; NumVgprs: 26
; NumAgprs: 0
; TotalNumVgprs: 26
; ScratchSize: 0
; MemoryBound: 0
; FloatMode: 240
; IeeeMode: 1
; LDSByteSize: 0 bytes/workgroup (compile time only)
; SGPRBlocks: 3
; VGPRBlocks: 3
; NumSGPRsForWavesPerEU: 30
; NumVGPRsForWavesPerEU: 26
; AccumOffset: 28
; Occupancy: 8
; WaveLimiterHint : 0
; COMPUTE_PGM_RSRC2:SCRATCH_EN: 0
; COMPUTE_PGM_RSRC2:USER_SGPR: 6
; COMPUTE_PGM_RSRC2:TRAP_HANDLER: 0
; COMPUTE_PGM_RSRC2:TGID_X_EN: 1
; COMPUTE_PGM_RSRC2:TGID_Y_EN: 0
; COMPUTE_PGM_RSRC2:TGID_Z_EN: 0
; COMPUTE_PGM_RSRC2:TIDIG_COMP_CNT: 0
; COMPUTE_PGM_RSRC3_GFX90A:ACCUM_OFFSET: 6
; COMPUTE_PGM_RSRC3_GFX90A:TG_SPLIT: 0
	.section	.text._ZN2at6native12_GLOBAL__N_123cunn_SoftMaxForwardFastILi4EfffNS1_29SoftMaxForwardWithMulEpilogueEEEvPT2_PKT0_i,"axG",@progbits,_ZN2at6native12_GLOBAL__N_123cunn_SoftMaxForwardFastILi4EfffNS1_29SoftMaxForwardWithMulEpilogueEEEvPT2_PKT0_i,comdat
	.globl	_ZN2at6native12_GLOBAL__N_123cunn_SoftMaxForwardFastILi4EfffNS1_29SoftMaxForwardWithMulEpilogueEEEvPT2_PKT0_i ; -- Begin function _ZN2at6native12_GLOBAL__N_123cunn_SoftMaxForwardFastILi4EfffNS1_29SoftMaxForwardWithMulEpilogueEEEvPT2_PKT0_i
	.p2align	8
	.type	_ZN2at6native12_GLOBAL__N_123cunn_SoftMaxForwardFastILi4EfffNS1_29SoftMaxForwardWithMulEpilogueEEEvPT2_PKT0_i,@function
_ZN2at6native12_GLOBAL__N_123cunn_SoftMaxForwardFastILi4EfffNS1_29SoftMaxForwardWithMulEpilogueEEEvPT2_PKT0_i: ; @_ZN2at6native12_GLOBAL__N_123cunn_SoftMaxForwardFastILi4EfffNS1_29SoftMaxForwardWithMulEpilogueEEEvPT2_PKT0_i
; %bb.0:
	s_load_dword s24, s[4:5], 0x10
	s_load_dwordx4 s[12:15], s[4:5], 0x0
	s_mov_b32 s11, 0
	s_waitcnt lgkmcnt(0)
	s_ashr_i32 s0, s24, 31
	s_mul_hi_u32 s1, s24, s6
	s_mul_i32 s0, s0, s6
	s_add_i32 s1, s1, s0
	s_mul_i32 s0, s24, s6
	s_lshl_b64 s[16:17], s[0:1], 2
	s_add_u32 s14, s14, s16
	s_addc_u32 s15, s15, s17
	s_bfe_u32 s10, s14, 0x20002
	s_cmp_lg_u32 s10, 0
	s_cselect_b64 s[18:19], -1, 0
	s_and_b64 vcc, exec, s[18:19]
	v_cmp_le_u32_e64 s[0:1], s10, v0
	s_cbranch_vccz .LBB405_25
; %bb.1:
	s_lshl_b64 s[2:3], s[10:11], 2
	s_sub_u32 s8, s14, s2
	s_subb_u32 s9, s15, s3
	s_add_i32 s7, s10, s24
	v_cmp_gt_i32_e32 vcc, s7, v0
	s_and_b64 s[2:3], s[0:1], vcc
	v_mov_b32_e32 v4, 0xff7fffff
	s_and_saveexec_b64 s[0:1], s[2:3]
	s_cbranch_execz .LBB405_3
; %bb.2:
	v_lshlrev_b32_e32 v1, 2, v0
	global_load_dword v1, v1, s[8:9]
	s_waitcnt vmcnt(0)
	v_max_f32_e32 v1, v1, v1
	v_max_f32_e32 v4, 0xff7fffff, v1
.LBB405_3:
	s_or_b64 exec, exec, s[0:1]
	s_load_dword s0, s[4:5], 0x24
	s_add_u32 s2, s4, 24
	s_addc_u32 s3, s5, 0
	s_waitcnt lgkmcnt(0)
	s_and_b32 s0, s0, 0xffff
	v_mov_b32_e32 v1, s0
	s_lshl_b32 s0, s0, 2
	v_sub_u32_e64 v1, s7, v1 clamp
	s_add_u32 s0, s8, s0
	v_readfirstlane_b32 s7, v1
	s_addc_u32 s1, s9, 0
	s_branch .LBB405_5
.LBB405_4:
	s_add_u32 s2, s4, 24
	s_addc_u32 s3, s5, 0
	v_mov_b32_e32 v4, 0xff7fffff
	s_mov_b32 s7, s24
	s_mov_b64 s[0:1], s[14:15]
.LBB405_5:
	s_load_dword s8, s[2:3], 0x0
	v_mov_b32_e32 v1, 0
	v_lshlrev_b32_e32 v10, 2, v0
	s_waitcnt lgkmcnt(0)
	s_cmp_lt_u32 s6, s8
	s_cselect_b32 s8, 12, 18
	s_add_u32 s2, s2, s8
	s_addc_u32 s3, s3, 0
	global_load_ushort v1, v1, s[2:3]
	s_waitcnt vmcnt(0)
	v_readfirstlane_b32 s2, v1
	s_lshl_b32 s2, s2, 2
	v_cvt_f32_u32_e32 v2, s2
	s_sub_i32 s3, 0, s2
	v_rcp_iflag_f32_e32 v2, v2
	v_mul_f32_e32 v2, 0x4f7ffffe, v2
	v_cvt_u32_f32_e32 v2, v2
	v_readfirstlane_b32 s8, v2
	s_mul_i32 s3, s3, s8
	s_mul_hi_u32 s3, s8, s3
	s_add_i32 s8, s8, s3
	s_mul_hi_u32 s3, s7, s8
	s_mul_i32 s3, s3, s2
	s_sub_i32 s3, s7, s3
	s_sub_i32 s8, s3, s2
	s_cmp_ge_u32 s3, s2
	s_cselect_b32 s3, s8, s3
	s_sub_i32 s8, s3, s2
	s_cmp_ge_u32 s3, s2
	s_cselect_b32 s2, s8, s3
	s_sub_i32 s11, s7, s2
	v_cmp_gt_i32_e32 vcc, s11, v10
	s_and_saveexec_b64 s[2:3], vcc
	s_cbranch_execz .LBB405_9
; %bb.6:
	s_mov_b64 s[8:9], 0
	v_mov_b32_e32 v5, s1
	v_mov_b32_e32 v2, v0
.LBB405_7:                              ; =>This Inner Loop Header: Depth=1
	v_ashrrev_i32_e32 v3, 31, v2
	v_lshlrev_b64 v[6:7], 4, v[2:3]
	v_add_co_u32_e32 v6, vcc, s0, v6
	v_addc_co_u32_e32 v7, vcc, v5, v7, vcc
	global_load_dwordx4 v[6:9], v[6:7], off
	v_add_u32_e32 v2, v2, v1
	v_lshlrev_b32_e32 v3, 2, v2
	v_cmp_le_i32_e32 vcc, s11, v3
	s_or_b64 s[8:9], vcc, s[8:9]
	s_waitcnt vmcnt(0)
	v_max3_f32 v3, v4, v6, v7
	v_max3_f32 v4, v3, v8, v9
	s_andn2_b64 exec, exec, s[8:9]
	s_cbranch_execnz .LBB405_7
; %bb.8:
	s_or_b64 exec, exec, s[8:9]
.LBB405_9:
	s_or_b64 exec, exec, s[2:3]
	v_add_u32_e32 v2, s11, v0
	v_cmp_gt_i32_e32 vcc, s7, v2
	s_and_saveexec_b64 s[2:3], vcc
	s_cbranch_execz .LBB405_13
; %bb.10:
	s_mov_b64 s[8:9], 0
	v_mov_b32_e32 v5, s1
.LBB405_11:                             ; =>This Inner Loop Header: Depth=1
	v_ashrrev_i32_e32 v3, 31, v2
	v_lshlrev_b64 v[6:7], 2, v[2:3]
	v_add_co_u32_e32 v6, vcc, s0, v6
	v_addc_co_u32_e32 v7, vcc, v5, v7, vcc
	global_load_dword v3, v[6:7], off
	v_add_u32_e32 v2, v2, v1
	v_max_f32_e32 v4, v4, v4
	v_cmp_le_i32_e32 vcc, s7, v2
	s_or_b64 s[8:9], vcc, s[8:9]
	s_waitcnt vmcnt(0)
	v_max_f32_e32 v3, v3, v3
	v_max_f32_e32 v4, v4, v3
	s_andn2_b64 exec, exec, s[8:9]
	s_cbranch_execnz .LBB405_11
; %bb.12:
	s_or_b64 exec, exec, s[8:9]
.LBB405_13:
	s_or_b64 exec, exec, s[2:3]
	v_mbcnt_lo_u32_b32 v1, -1, 0
	v_mbcnt_hi_u32_b32 v8, -1, v1
	v_and_b32_e32 v9, 63, v8
	v_cmp_gt_u32_e32 vcc, 32, v9
	v_cndmask_b32_e64 v1, 0, 1, vcc
	v_lshlrev_b32_e32 v1, 5, v1
	v_add_lshl_u32 v1, v1, v8, 2
	ds_bpermute_b32 v2, v1, v4
	v_cmp_gt_u32_e32 vcc, 48, v9
	v_cndmask_b32_e64 v3, 0, 1, vcc
	v_lshlrev_b32_e32 v3, 4, v3
	s_waitcnt lgkmcnt(0)
	v_cmp_lt_f32_e32 vcc, v4, v2
	v_cndmask_b32_e32 v2, v4, v2, vcc
	v_add_lshl_u32 v4, v3, v8, 2
	ds_bpermute_b32 v3, v4, v2
	s_barrier
	s_waitcnt lgkmcnt(0)
	v_cmp_lt_f32_e32 vcc, v2, v3
	v_cndmask_b32_e32 v2, v2, v3, vcc
	v_cmp_gt_u32_e32 vcc, 56, v9
	v_cndmask_b32_e64 v3, 0, 1, vcc
	v_lshlrev_b32_e32 v3, 3, v3
	v_add_lshl_u32 v5, v3, v8, 2
	ds_bpermute_b32 v3, v5, v2
	s_waitcnt lgkmcnt(0)
	v_cmp_lt_f32_e32 vcc, v2, v3
	v_cndmask_b32_e32 v2, v2, v3, vcc
	v_cmp_gt_u32_e32 vcc, 60, v9
	v_cndmask_b32_e64 v3, 0, 1, vcc
	v_lshlrev_b32_e32 v3, 2, v3
	v_add_lshl_u32 v6, v3, v8, 2
	ds_bpermute_b32 v3, v6, v2
	;; [unrolled: 8-line block ×3, first 2 shown]
	v_and_b32_e32 v3, 63, v0
	v_cmp_eq_u32_e64 s[0:1], 0, v3
	s_waitcnt lgkmcnt(0)
	v_cmp_lt_f32_e32 vcc, v2, v11
	v_cndmask_b32_e32 v2, v2, v11, vcc
	v_cmp_ne_u32_e32 vcc, 63, v9
	v_addc_co_u32_e32 v8, vcc, 0, v8, vcc
	v_lshlrev_b32_e32 v8, 2, v8
	ds_bpermute_b32 v9, v8, v2
	v_lshrrev_b32_e32 v11, 4, v0
	s_and_saveexec_b64 s[2:3], s[0:1]
	s_cbranch_execz .LBB405_15
; %bb.14:
	s_waitcnt lgkmcnt(0)
	v_cmp_lt_f32_e32 vcc, v2, v9
	v_add_u32_e32 v12, 0, v11
	v_cndmask_b32_e32 v2, v2, v9, vcc
	ds_write_b32 v12, v2
.LBB405_15:
	s_or_b64 exec, exec, s[2:3]
	s_waitcnt lgkmcnt(0)
	s_barrier
	s_load_dword s7, s[4:5], 0x24
	s_add_u32 s20, s4, 24
	s_addc_u32 s21, s5, 0
	v_mov_b32_e32 v2, 0xff7fffff
	v_lshl_add_u32 v12, v3, 2, 0
	s_waitcnt lgkmcnt(0)
	s_bfe_u32 s2, s7, 0xa0006
	v_cmp_gt_u32_e64 s[2:3], s2, v0
	s_and_saveexec_b64 s[4:5], s[2:3]
	s_cbranch_execnz .LBB405_23
; %bb.16:
	s_or_b64 exec, exec, s[4:5]
	v_cmp_gt_u32_e64 s[4:5], 64, v0
	s_and_saveexec_b64 s[8:9], s[4:5]
	s_cbranch_execnz .LBB405_24
.LBB405_17:
	s_or_b64 exec, exec, s[8:9]
	v_cmp_eq_u32_e64 s[8:9], 0, v0
	s_and_saveexec_b64 s[22:23], s[8:9]
	s_cbranch_execz .LBB405_19
.LBB405_18:
	v_mov_b32_e32 v3, 0
	s_waitcnt lgkmcnt(0)
	ds_write_b32 v3, v2
.LBB405_19:
	s_or_b64 exec, exec, s[22:23]
	v_mov_b32_e32 v13, 0
	s_waitcnt lgkmcnt(0)
	s_barrier
	ds_read_b32 v9, v13
	s_and_b32 s22, s7, 0xffff
	s_andn2_b64 vcc, exec, s[18:19]
	s_mov_b32 s11, 0
	s_cbranch_vccnz .LBB405_26
; %bb.20:
	s_lshl_b64 s[18:19], s[10:11], 2
	s_sub_u32 s18, s14, s18
	s_subb_u32 s19, s15, s19
	s_add_i32 s7, s10, s24
	v_cmp_le_u32_e32 vcc, s10, v0
	v_cmp_gt_i32_e64 s[10:11], s7, v0
	s_and_b64 s[26:27], vcc, s[10:11]
	v_mov_b32_e32 v13, 0
	s_and_saveexec_b64 s[10:11], s[26:27]
	s_cbranch_execz .LBB405_22
; %bb.21:
	global_load_dword v2, v10, s[18:19]
	s_waitcnt vmcnt(0) lgkmcnt(0)
	v_sub_f32_e32 v2, v2, v9
	v_mul_f32_e32 v2, 0x3fb8aa3b, v2
	v_exp_f32_e32 v2, v2
	v_add_f32_e32 v13, 0, v2
.LBB405_22:
	s_or_b64 exec, exec, s[10:11]
	v_mov_b32_e32 v2, s22
	v_sub_u32_e64 v2, s7, v2 clamp
	s_lshl_b32 s7, s22, 2
	s_add_u32 s10, s18, s7
	v_readfirstlane_b32 s23, v2
	s_addc_u32 s11, s19, 0
	s_branch .LBB405_27
.LBB405_23:
	ds_read_b32 v2, v12
	s_or_b64 exec, exec, s[4:5]
	v_cmp_gt_u32_e64 s[4:5], 64, v0
	s_and_saveexec_b64 s[8:9], s[4:5]
	s_cbranch_execz .LBB405_17
.LBB405_24:
	s_waitcnt lgkmcnt(0)
	ds_bpermute_b32 v3, v1, v2
	s_waitcnt lgkmcnt(0)
	v_cmp_lt_f32_e32 vcc, v2, v3
	v_cndmask_b32_e32 v2, v2, v3, vcc
	ds_bpermute_b32 v3, v4, v2
	s_waitcnt lgkmcnt(0)
	v_cmp_lt_f32_e32 vcc, v2, v3
	v_cndmask_b32_e32 v2, v2, v3, vcc
	;; [unrolled: 4-line block ×6, first 2 shown]
	s_or_b64 exec, exec, s[8:9]
	v_cmp_eq_u32_e64 s[8:9], 0, v0
	s_and_saveexec_b64 s[22:23], s[8:9]
	s_cbranch_execnz .LBB405_18
	s_branch .LBB405_19
.LBB405_25:
                                        ; implicit-def: $sgpr0_sgpr1
                                        ; implicit-def: $sgpr7
                                        ; implicit-def: $vgpr4
                                        ; implicit-def: $sgpr2_sgpr3
	s_cbranch_execnz .LBB405_4
	s_branch .LBB405_5
.LBB405_26:
	s_mov_b64 s[10:11], s[14:15]
	s_mov_b32 s23, s24
.LBB405_27:
	s_load_dword s7, s[20:21], 0x0
	v_mov_b32_e32 v2, 0
	s_waitcnt lgkmcnt(0)
	s_cmp_lt_u32 s6, s7
	s_cselect_b32 s6, 12, 18
	s_add_u32 s6, s20, s6
	s_addc_u32 s7, s21, 0
	global_load_ushort v14, v2, s[6:7]
	s_waitcnt vmcnt(0)
	v_readfirstlane_b32 s6, v14
	s_lshl_b32 s6, s6, 2
	v_cvt_f32_u32_e32 v2, s6
	s_sub_i32 s7, 0, s6
	v_rcp_iflag_f32_e32 v2, v2
	v_mul_f32_e32 v2, 0x4f7ffffe, v2
	v_cvt_u32_f32_e32 v2, v2
	v_readfirstlane_b32 s18, v2
	s_mul_i32 s7, s7, s18
	s_mul_hi_u32 s7, s18, s7
	s_add_i32 s18, s18, s7
	s_mul_hi_u32 s7, s23, s18
	s_mul_i32 s7, s7, s6
	s_sub_i32 s7, s23, s7
	s_sub_i32 s18, s7, s6
	s_cmp_ge_u32 s7, s6
	s_cselect_b32 s7, s18, s7
	s_sub_i32 s18, s7, s6
	s_cmp_ge_u32 s7, s6
	s_cselect_b32 s6, s18, s7
	s_sub_i32 s20, s23, s6
	v_cmp_gt_i32_e32 vcc, s20, v10
	s_and_saveexec_b64 s[6:7], vcc
	s_cbranch_execz .LBB405_31
; %bb.28:
	s_mov_b64 s[18:19], 0
	v_mov_b32_e32 v10, s11
	v_mov_b32_e32 v2, v0
.LBB405_29:                             ; =>This Inner Loop Header: Depth=1
	v_ashrrev_i32_e32 v3, 31, v2
	v_lshlrev_b64 v[16:17], 4, v[2:3]
	v_add_co_u32_e32 v16, vcc, s10, v16
	v_addc_co_u32_e32 v17, vcc, v10, v17, vcc
	global_load_dwordx4 v[16:19], v[16:17], off
	v_add_u32_e32 v2, v2, v14
	v_lshlrev_b32_e32 v3, 2, v2
	v_cmp_le_i32_e32 vcc, s20, v3
	s_or_b64 s[18:19], vcc, s[18:19]
	s_waitcnt vmcnt(0)
	v_sub_f32_e32 v3, v16, v9
	v_sub_f32_e32 v15, v17, v9
	v_mul_f32_e32 v3, 0x3fb8aa3b, v3
	v_sub_f32_e32 v16, v18, v9
	v_mul_f32_e32 v15, 0x3fb8aa3b, v15
	v_exp_f32_e32 v3, v3
	v_sub_f32_e32 v17, v19, v9
	v_mul_f32_e32 v16, 0x3fb8aa3b, v16
	v_exp_f32_e32 v15, v15
	v_mul_f32_e32 v17, 0x3fb8aa3b, v17
	v_exp_f32_e32 v16, v16
	v_exp_f32_e32 v17, v17
	v_add_f32_e32 v3, v13, v3
	v_add_f32_e32 v3, v3, v15
	;; [unrolled: 1-line block ×4, first 2 shown]
	s_andn2_b64 exec, exec, s[18:19]
	s_cbranch_execnz .LBB405_29
; %bb.30:
	s_or_b64 exec, exec, s[18:19]
.LBB405_31:
	s_or_b64 exec, exec, s[6:7]
	v_add_u32_e32 v2, s20, v0
	v_cmp_gt_i32_e32 vcc, s23, v2
	s_and_saveexec_b64 s[6:7], vcc
	s_cbranch_execz .LBB405_35
; %bb.32:
	s_mov_b64 s[18:19], 0
	v_mov_b32_e32 v10, s11
.LBB405_33:                             ; =>This Inner Loop Header: Depth=1
	v_ashrrev_i32_e32 v3, 31, v2
	v_lshlrev_b64 v[16:17], 2, v[2:3]
	v_add_co_u32_e32 v16, vcc, s10, v16
	v_addc_co_u32_e32 v17, vcc, v10, v17, vcc
	global_load_dword v3, v[16:17], off
	v_add_u32_e32 v2, v2, v14
	v_cmp_le_i32_e32 vcc, s23, v2
	s_or_b64 s[18:19], vcc, s[18:19]
	s_waitcnt vmcnt(0)
	v_sub_f32_e32 v3, v3, v9
	v_mul_f32_e32 v3, 0x3fb8aa3b, v3
	v_exp_f32_e32 v3, v3
	v_add_f32_e32 v13, v13, v3
	s_andn2_b64 exec, exec, s[18:19]
	s_cbranch_execnz .LBB405_33
; %bb.34:
	s_or_b64 exec, exec, s[18:19]
.LBB405_35:
	s_or_b64 exec, exec, s[6:7]
	ds_bpermute_b32 v2, v1, v13
	s_waitcnt lgkmcnt(0)
	s_barrier
	v_add_f32_e32 v2, v13, v2
	ds_bpermute_b32 v3, v4, v2
	s_waitcnt lgkmcnt(0)
	v_add_f32_e32 v2, v2, v3
	ds_bpermute_b32 v3, v5, v2
	s_waitcnt lgkmcnt(0)
	;; [unrolled: 3-line block ×4, first 2 shown]
	v_add_f32_e32 v2, v2, v3
	ds_bpermute_b32 v3, v8, v2
	s_and_saveexec_b64 s[6:7], s[0:1]
	s_cbranch_execz .LBB405_37
; %bb.36:
	v_add_u32_e32 v10, 0, v11
	s_waitcnt lgkmcnt(0)
	v_add_f32_e32 v2, v2, v3
	ds_write_b32 v10, v2
.LBB405_37:
	s_or_b64 exec, exec, s[6:7]
	v_mov_b32_e32 v2, 0
	s_waitcnt lgkmcnt(0)
	s_barrier
	s_and_saveexec_b64 s[0:1], s[2:3]
	s_cbranch_execnz .LBB405_45
; %bb.38:
	s_or_b64 exec, exec, s[0:1]
	s_and_saveexec_b64 s[0:1], s[4:5]
	s_cbranch_execnz .LBB405_46
.LBB405_39:
	s_or_b64 exec, exec, s[0:1]
	s_and_saveexec_b64 s[0:1], s[8:9]
	s_cbranch_execz .LBB405_41
.LBB405_40:
	s_waitcnt lgkmcnt(0)
	v_div_scale_f32 v1, s[2:3], v2, v2, 1.0
	v_rcp_f32_e32 v3, v1
	v_div_scale_f32 v4, vcc, 1.0, v2, 1.0
	v_fma_f32 v5, -v1, v3, 1.0
	v_fmac_f32_e32 v3, v5, v3
	v_mul_f32_e32 v5, v4, v3
	v_fma_f32 v6, -v1, v5, v4
	v_fmac_f32_e32 v5, v6, v3
	v_fma_f32 v1, -v1, v5, v4
	v_div_fmas_f32 v1, v1, v3, v5
	v_div_fixup_f32 v1, v1, v2, 1.0
	v_mov_b32_e32 v2, 0
	ds_write_b32 v2, v1
.LBB405_41:
	s_or_b64 exec, exec, s[0:1]
	v_cmp_gt_i32_e32 vcc, s24, v0
	s_waitcnt lgkmcnt(0)
	s_barrier
	s_and_saveexec_b64 s[0:1], vcc
	s_cbranch_execz .LBB405_44
; %bb.42:
	v_mov_b32_e32 v1, 0
	ds_read_b32 v2, v1
	s_add_u32 s2, s12, s16
	s_addc_u32 s3, s13, s17
	s_mov_b64 s[0:1], 0
	v_mov_b32_e32 v3, s15
	v_mov_b32_e32 v4, s3
.LBB405_43:                             ; =>This Inner Loop Header: Depth=1
	v_ashrrev_i32_e32 v1, 31, v0
	v_lshlrev_b64 v[6:7], 2, v[0:1]
	v_add_co_u32_e32 v10, vcc, s14, v6
	v_addc_co_u32_e32 v11, vcc, v3, v7, vcc
	global_load_dword v1, v[10:11], off
	v_add_co_u32_e32 v6, vcc, s2, v6
	v_add_u32_e32 v0, s22, v0
	v_addc_co_u32_e32 v7, vcc, v4, v7, vcc
	v_cmp_le_i32_e32 vcc, s24, v0
	s_or_b64 s[0:1], vcc, s[0:1]
	s_waitcnt vmcnt(0)
	v_sub_f32_e32 v1, v1, v9
	v_mul_f32_e32 v1, 0x3fb8aa3b, v1
	v_exp_f32_e32 v1, v1
	s_waitcnt lgkmcnt(0)
	v_mul_f32_e32 v1, v2, v1
	global_store_dword v[6:7], v1, off
	s_andn2_b64 exec, exec, s[0:1]
	s_cbranch_execnz .LBB405_43
.LBB405_44:
	s_endpgm
.LBB405_45:
	ds_read_b32 v2, v12
	s_or_b64 exec, exec, s[0:1]
	s_and_saveexec_b64 s[0:1], s[4:5]
	s_cbranch_execz .LBB405_39
.LBB405_46:
	s_waitcnt lgkmcnt(0)
	ds_bpermute_b32 v1, v1, v2
	s_waitcnt lgkmcnt(0)
	v_add_f32_e32 v1, v2, v1
	ds_bpermute_b32 v2, v4, v1
	s_waitcnt lgkmcnt(0)
	v_add_f32_e32 v1, v1, v2
	;; [unrolled: 3-line block ×6, first 2 shown]
	s_or_b64 exec, exec, s[0:1]
	s_and_saveexec_b64 s[0:1], s[8:9]
	s_cbranch_execnz .LBB405_40
	s_branch .LBB405_41
	.section	.rodata,"a",@progbits
	.p2align	6, 0x0
	.amdhsa_kernel _ZN2at6native12_GLOBAL__N_123cunn_SoftMaxForwardFastILi4EfffNS1_29SoftMaxForwardWithMulEpilogueEEEvPT2_PKT0_i
		.amdhsa_group_segment_fixed_size 0
		.amdhsa_private_segment_fixed_size 0
		.amdhsa_kernarg_size 280
		.amdhsa_user_sgpr_count 6
		.amdhsa_user_sgpr_private_segment_buffer 1
		.amdhsa_user_sgpr_dispatch_ptr 0
		.amdhsa_user_sgpr_queue_ptr 0
		.amdhsa_user_sgpr_kernarg_segment_ptr 1
		.amdhsa_user_sgpr_dispatch_id 0
		.amdhsa_user_sgpr_flat_scratch_init 0
		.amdhsa_user_sgpr_kernarg_preload_length 0
		.amdhsa_user_sgpr_kernarg_preload_offset 0
		.amdhsa_user_sgpr_private_segment_size 0
		.amdhsa_uses_dynamic_stack 0
		.amdhsa_system_sgpr_private_segment_wavefront_offset 0
		.amdhsa_system_sgpr_workgroup_id_x 1
		.amdhsa_system_sgpr_workgroup_id_y 0
		.amdhsa_system_sgpr_workgroup_id_z 0
		.amdhsa_system_sgpr_workgroup_info 0
		.amdhsa_system_vgpr_workitem_id 0
		.amdhsa_next_free_vgpr 20
		.amdhsa_next_free_sgpr 28
		.amdhsa_accum_offset 20
		.amdhsa_reserve_vcc 1
		.amdhsa_reserve_flat_scratch 0
		.amdhsa_float_round_mode_32 0
		.amdhsa_float_round_mode_16_64 0
		.amdhsa_float_denorm_mode_32 3
		.amdhsa_float_denorm_mode_16_64 3
		.amdhsa_dx10_clamp 1
		.amdhsa_ieee_mode 1
		.amdhsa_fp16_overflow 0
		.amdhsa_tg_split 0
		.amdhsa_exception_fp_ieee_invalid_op 0
		.amdhsa_exception_fp_denorm_src 0
		.amdhsa_exception_fp_ieee_div_zero 0
		.amdhsa_exception_fp_ieee_overflow 0
		.amdhsa_exception_fp_ieee_underflow 0
		.amdhsa_exception_fp_ieee_inexact 0
		.amdhsa_exception_int_div_zero 0
	.end_amdhsa_kernel
	.section	.text._ZN2at6native12_GLOBAL__N_123cunn_SoftMaxForwardFastILi4EfffNS1_29SoftMaxForwardWithMulEpilogueEEEvPT2_PKT0_i,"axG",@progbits,_ZN2at6native12_GLOBAL__N_123cunn_SoftMaxForwardFastILi4EfffNS1_29SoftMaxForwardWithMulEpilogueEEEvPT2_PKT0_i,comdat
.Lfunc_end405:
	.size	_ZN2at6native12_GLOBAL__N_123cunn_SoftMaxForwardFastILi4EfffNS1_29SoftMaxForwardWithMulEpilogueEEEvPT2_PKT0_i, .Lfunc_end405-_ZN2at6native12_GLOBAL__N_123cunn_SoftMaxForwardFastILi4EfffNS1_29SoftMaxForwardWithMulEpilogueEEEvPT2_PKT0_i
                                        ; -- End function
	.section	.AMDGPU.csdata,"",@progbits
; Kernel info:
; codeLenInByte = 2316
; NumSgprs: 32
; NumVgprs: 20
; NumAgprs: 0
; TotalNumVgprs: 20
; ScratchSize: 0
; MemoryBound: 0
; FloatMode: 240
; IeeeMode: 1
; LDSByteSize: 0 bytes/workgroup (compile time only)
; SGPRBlocks: 3
; VGPRBlocks: 2
; NumSGPRsForWavesPerEU: 32
; NumVGPRsForWavesPerEU: 20
; AccumOffset: 20
; Occupancy: 8
; WaveLimiterHint : 0
; COMPUTE_PGM_RSRC2:SCRATCH_EN: 0
; COMPUTE_PGM_RSRC2:USER_SGPR: 6
; COMPUTE_PGM_RSRC2:TRAP_HANDLER: 0
; COMPUTE_PGM_RSRC2:TGID_X_EN: 1
; COMPUTE_PGM_RSRC2:TGID_Y_EN: 0
; COMPUTE_PGM_RSRC2:TGID_Z_EN: 0
; COMPUTE_PGM_RSRC2:TIDIG_COMP_CNT: 0
; COMPUTE_PGM_RSRC3_GFX90A:ACCUM_OFFSET: 4
; COMPUTE_PGM_RSRC3_GFX90A:TG_SPLIT: 0
	.section	.text._ZN12_GLOBAL__N_120softmax_warp_forwardIN3c104HalfES2_fLi0ELb0ELb0ELi64EEEvPT0_PKT_iiiPKbib,"axG",@progbits,_ZN12_GLOBAL__N_120softmax_warp_forwardIN3c104HalfES2_fLi0ELb0ELb0ELi64EEEvPT0_PKT_iiiPKbib,comdat
	.globl	_ZN12_GLOBAL__N_120softmax_warp_forwardIN3c104HalfES2_fLi0ELb0ELb0ELi64EEEvPT0_PKT_iiiPKbib ; -- Begin function _ZN12_GLOBAL__N_120softmax_warp_forwardIN3c104HalfES2_fLi0ELb0ELb0ELi64EEEvPT0_PKT_iiiPKbib
	.p2align	8
	.type	_ZN12_GLOBAL__N_120softmax_warp_forwardIN3c104HalfES2_fLi0ELb0ELb0ELi64EEEvPT0_PKT_iiiPKbib,@function
_ZN12_GLOBAL__N_120softmax_warp_forwardIN3c104HalfES2_fLi0ELb0ELb0ELi64EEEvPT0_PKT_iiiPKbib: ; @_ZN12_GLOBAL__N_120softmax_warp_forwardIN3c104HalfES2_fLi0ELb0ELb0ELi64EEEvPT0_PKT_iiiPKbib
; %bb.0:
	s_load_dword s0, s[4:5], 0x3c
	s_load_dwordx8 s[8:15], s[4:5], 0x0
	v_bfe_u32 v1, v0, 10, 10
	v_and_b32_e32 v2, 0x3ff, v0
	s_waitcnt lgkmcnt(0)
	s_lshr_b32 s0, s0, 16
	s_mul_i32 s6, s6, s0
	v_add_lshl_u32 v1, s6, v1, 1
	v_sub_u32_e32 v6, s12, v1
	v_mad_u64_u32 v[0:1], s[0:1], v1, s13, v[2:3]
	v_ashrrev_i32_e32 v1, 31, v0
	v_lshlrev_b64 v[0:1], 1, v[0:1]
	v_mov_b32_e32 v3, s11
	v_add_co_u32_e32 v4, vcc, s10, v0
	v_addc_co_u32_e32 v5, vcc, v3, v1, vcc
	v_cmp_gt_i32_e64 s[0:1], s14, v2
	v_cmp_lt_i32_e32 vcc, 0, v6
	s_and_b64 s[4:5], s[0:1], vcc
	v_mov_b32_e32 v3, 0xff800000
	v_mov_b32_e32 v2, 0xff800000
	s_and_saveexec_b64 s[2:3], s[4:5]
	s_cbranch_execz .LBB406_2
; %bb.1:
	global_load_ushort v2, v[4:5], off
	s_waitcnt vmcnt(0)
	v_cvt_f32_f16_e32 v2, v2
.LBB406_2:
	s_or_b64 exec, exec, s[2:3]
	v_cmp_lt_i32_e64 s[2:3], 1, v6
	s_and_b64 s[2:3], s[0:1], s[2:3]
	s_and_saveexec_b64 s[4:5], s[2:3]
	s_cbranch_execz .LBB406_4
; %bb.3:
	s_mov_b32 s15, 0
	s_lshl_b64 s[2:3], s[14:15], 1
	v_mov_b32_e32 v3, s3
	v_add_co_u32_e64 v4, s[2:3], s2, v4
	v_addc_co_u32_e64 v5, s[2:3], v5, v3, s[2:3]
	global_load_ushort v3, v[4:5], off
	s_waitcnt vmcnt(0)
	v_cvt_f32_f16_e32 v3, v3
.LBB406_4:
	s_or_b64 exec, exec, s[4:5]
	s_and_saveexec_b64 s[2:3], vcc
	s_cbranch_execz .LBB406_16
; %bb.5:
	v_pk_add_f32 v[4:5], v[2:3], v[2:3] neg_lo:[0,1] neg_hi:[0,1]
	s_mov_b32 s2, 0x3fb8aa3b
	v_mul_f32_e32 v2, 0x3fb8aa3b, v5
	v_fma_f32 v3, v5, s2, -v2
	v_rndne_f32_e32 v7, v2
	v_fmac_f32_e32 v3, 0x32a5705f, v5
	v_sub_f32_e32 v2, v2, v7
	v_add_f32_e32 v2, v2, v3
	v_exp_f32_e32 v2, v2
	v_cvt_i32_f32_e32 v3, v7
	s_mov_b32 s3, 0xc2ce8ed0
	v_cmp_ngt_f32_e32 vcc, s3, v5
	s_mov_b32 s4, 0x42b17218
	v_ldexp_f32 v2, v2, v3
	v_mul_f32_e32 v3, 0x3fb8aa3b, v4
	v_fma_f32 v7, v4, s2, -v3
	v_rndne_f32_e32 v8, v3
	v_fmac_f32_e32 v7, 0x32a5705f, v4
	v_sub_f32_e32 v3, v3, v8
	v_add_f32_e32 v3, v3, v7
	v_exp_f32_e32 v3, v3
	v_cvt_i32_f32_e32 v7, v8
	v_cndmask_b32_e32 v2, 0, v2, vcc
	v_mov_b32_e32 v8, 0x7f800000
	v_cmp_nlt_f32_e32 vcc, s4, v5
	v_cndmask_b32_e32 v2, v8, v2, vcc
	v_ldexp_f32 v3, v3, v7
	v_cmp_ngt_f32_e32 vcc, s3, v4
	v_cndmask_b32_e32 v3, 0, v3, vcc
	v_cmp_nlt_f32_e32 vcc, s4, v4
	v_cndmask_b32_e32 v3, v8, v3, vcc
	v_mov_b32_e32 v4, s9
	v_add_co_u32_e32 v0, vcc, s8, v0
	v_addc_co_u32_e32 v1, vcc, v4, v1, vcc
	s_and_saveexec_b64 s[2:3], s[0:1]
	s_cbranch_execz .LBB406_10
; %bb.6:
	v_cmp_neq_f32_e32 vcc, 0, v3
	s_and_saveexec_b64 s[4:5], vcc
	s_xor_b64 s[4:5], exec, s[4:5]
	s_cbranch_execz .LBB406_8
; %bb.7:
	v_div_scale_f32 v4, vcc, v3, v3, v3
	v_rcp_f32_e32 v5, v4
	v_fma_f32 v7, -v4, v5, 1.0
	v_fmac_f32_e32 v5, v7, v5
	v_mul_f32_e32 v7, v4, v5
	v_fma_f32 v8, -v4, v7, v4
	v_fmac_f32_e32 v7, v8, v5
	v_fma_f32 v4, -v4, v7, v4
	v_div_fmas_f32 v4, v4, v5, v7
	v_div_fixup_f32 v3, v4, v3, v3
	v_cvt_f16_f32_e32 v3, v3
	global_store_short v[0:1], v3, off
.LBB406_8:
	s_andn2_saveexec_b64 s[4:5], s[4:5]
	s_cbranch_execz .LBB406_10
; %bb.9:
	v_mov_b32_e32 v3, 0x7e00
	global_store_short v[0:1], v3, off
.LBB406_10:
	s_or_b64 exec, exec, s[2:3]
	v_cmp_ne_u32_e32 vcc, 1, v6
	s_and_b64 exec, exec, vcc
	s_cbranch_execz .LBB406_16
; %bb.11:
	s_and_b64 exec, exec, s[0:1]
	s_cbranch_execz .LBB406_16
; %bb.12:
	s_mov_b32 s15, 0
	s_lshl_b64 s[0:1], s[14:15], 1
	v_mov_b32_e32 v3, s1
	v_add_co_u32_e64 v0, s[0:1], s0, v0
	v_cmp_neq_f32_e32 vcc, 0, v2
	v_addc_co_u32_e64 v1, s[0:1], v1, v3, s[0:1]
	s_and_saveexec_b64 s[0:1], vcc
	s_xor_b64 s[0:1], exec, s[0:1]
	s_cbranch_execz .LBB406_14
; %bb.13:
	v_div_scale_f32 v3, vcc, v2, v2, v2
	v_rcp_f32_e32 v4, v3
	v_fma_f32 v5, -v3, v4, 1.0
	v_fmac_f32_e32 v4, v5, v4
	v_mul_f32_e32 v5, v3, v4
	v_fma_f32 v6, -v3, v5, v3
	v_fmac_f32_e32 v5, v6, v4
	v_fma_f32 v3, -v3, v5, v3
	v_div_fmas_f32 v3, v3, v4, v5
	v_div_fixup_f32 v2, v3, v2, v2
	v_cvt_f16_f32_e32 v2, v2
	global_store_short v[0:1], v2, off
                                        ; implicit-def: $vgpr0_vgpr1
.LBB406_14:
	s_andn2_saveexec_b64 s[0:1], s[0:1]
	s_cbranch_execz .LBB406_16
; %bb.15:
	v_mov_b32_e32 v2, 0x7e00
	global_store_short v[0:1], v2, off
.LBB406_16:
	s_endpgm
	.section	.rodata,"a",@progbits
	.p2align	6, 0x0
	.amdhsa_kernel _ZN12_GLOBAL__N_120softmax_warp_forwardIN3c104HalfES2_fLi0ELb0ELb0ELi64EEEvPT0_PKT_iiiPKbib
		.amdhsa_group_segment_fixed_size 0
		.amdhsa_private_segment_fixed_size 0
		.amdhsa_kernarg_size 304
		.amdhsa_user_sgpr_count 6
		.amdhsa_user_sgpr_private_segment_buffer 1
		.amdhsa_user_sgpr_dispatch_ptr 0
		.amdhsa_user_sgpr_queue_ptr 0
		.amdhsa_user_sgpr_kernarg_segment_ptr 1
		.amdhsa_user_sgpr_dispatch_id 0
		.amdhsa_user_sgpr_flat_scratch_init 0
		.amdhsa_user_sgpr_kernarg_preload_length 0
		.amdhsa_user_sgpr_kernarg_preload_offset 0
		.amdhsa_user_sgpr_private_segment_size 0
		.amdhsa_uses_dynamic_stack 0
		.amdhsa_system_sgpr_private_segment_wavefront_offset 0
		.amdhsa_system_sgpr_workgroup_id_x 1
		.amdhsa_system_sgpr_workgroup_id_y 0
		.amdhsa_system_sgpr_workgroup_id_z 0
		.amdhsa_system_sgpr_workgroup_info 0
		.amdhsa_system_vgpr_workitem_id 1
		.amdhsa_next_free_vgpr 9
		.amdhsa_next_free_sgpr 16
		.amdhsa_accum_offset 12
		.amdhsa_reserve_vcc 1
		.amdhsa_reserve_flat_scratch 0
		.amdhsa_float_round_mode_32 0
		.amdhsa_float_round_mode_16_64 0
		.amdhsa_float_denorm_mode_32 3
		.amdhsa_float_denorm_mode_16_64 3
		.amdhsa_dx10_clamp 1
		.amdhsa_ieee_mode 1
		.amdhsa_fp16_overflow 0
		.amdhsa_tg_split 0
		.amdhsa_exception_fp_ieee_invalid_op 0
		.amdhsa_exception_fp_denorm_src 0
		.amdhsa_exception_fp_ieee_div_zero 0
		.amdhsa_exception_fp_ieee_overflow 0
		.amdhsa_exception_fp_ieee_underflow 0
		.amdhsa_exception_fp_ieee_inexact 0
		.amdhsa_exception_int_div_zero 0
	.end_amdhsa_kernel
	.section	.text._ZN12_GLOBAL__N_120softmax_warp_forwardIN3c104HalfES2_fLi0ELb0ELb0ELi64EEEvPT0_PKT_iiiPKbib,"axG",@progbits,_ZN12_GLOBAL__N_120softmax_warp_forwardIN3c104HalfES2_fLi0ELb0ELb0ELi64EEEvPT0_PKT_iiiPKbib,comdat
.Lfunc_end406:
	.size	_ZN12_GLOBAL__N_120softmax_warp_forwardIN3c104HalfES2_fLi0ELb0ELb0ELi64EEEvPT0_PKT_iiiPKbib, .Lfunc_end406-_ZN12_GLOBAL__N_120softmax_warp_forwardIN3c104HalfES2_fLi0ELb0ELb0ELi64EEEvPT0_PKT_iiiPKbib
                                        ; -- End function
	.section	.AMDGPU.csdata,"",@progbits
; Kernel info:
; codeLenInByte = 708
; NumSgprs: 20
; NumVgprs: 9
; NumAgprs: 0
; TotalNumVgprs: 9
; ScratchSize: 0
; MemoryBound: 0
; FloatMode: 240
; IeeeMode: 1
; LDSByteSize: 0 bytes/workgroup (compile time only)
; SGPRBlocks: 2
; VGPRBlocks: 1
; NumSGPRsForWavesPerEU: 20
; NumVGPRsForWavesPerEU: 9
; AccumOffset: 12
; Occupancy: 8
; WaveLimiterHint : 0
; COMPUTE_PGM_RSRC2:SCRATCH_EN: 0
; COMPUTE_PGM_RSRC2:USER_SGPR: 6
; COMPUTE_PGM_RSRC2:TRAP_HANDLER: 0
; COMPUTE_PGM_RSRC2:TGID_X_EN: 1
; COMPUTE_PGM_RSRC2:TGID_Y_EN: 0
; COMPUTE_PGM_RSRC2:TGID_Z_EN: 0
; COMPUTE_PGM_RSRC2:TIDIG_COMP_CNT: 1
; COMPUTE_PGM_RSRC3_GFX90A:ACCUM_OFFSET: 2
; COMPUTE_PGM_RSRC3_GFX90A:TG_SPLIT: 0
	.section	.text._ZN12_GLOBAL__N_120softmax_warp_forwardIN3c104HalfES2_fLi0ELb0ELb0ELi32EEEvPT0_PKT_iiiPKbib,"axG",@progbits,_ZN12_GLOBAL__N_120softmax_warp_forwardIN3c104HalfES2_fLi0ELb0ELb0ELi32EEEvPT0_PKT_iiiPKbib,comdat
	.globl	_ZN12_GLOBAL__N_120softmax_warp_forwardIN3c104HalfES2_fLi0ELb0ELb0ELi32EEEvPT0_PKT_iiiPKbib ; -- Begin function _ZN12_GLOBAL__N_120softmax_warp_forwardIN3c104HalfES2_fLi0ELb0ELb0ELi32EEEvPT0_PKT_iiiPKbib
	.p2align	8
	.type	_ZN12_GLOBAL__N_120softmax_warp_forwardIN3c104HalfES2_fLi0ELb0ELb0ELi32EEEvPT0_PKT_iiiPKbib,@function
_ZN12_GLOBAL__N_120softmax_warp_forwardIN3c104HalfES2_fLi0ELb0ELb0ELi32EEEvPT0_PKT_iiiPKbib: ; @_ZN12_GLOBAL__N_120softmax_warp_forwardIN3c104HalfES2_fLi0ELb0ELb0ELi32EEEvPT0_PKT_iiiPKbib
; %bb.0:
	s_load_dword s0, s[4:5], 0x3c
	s_load_dwordx8 s[8:15], s[4:5], 0x0
	v_bfe_u32 v1, v0, 10, 10
	v_and_b32_e32 v2, 0x3ff, v0
	s_waitcnt lgkmcnt(0)
	s_lshr_b32 s0, s0, 16
	s_mul_i32 s6, s6, s0
	v_add_lshl_u32 v1, s6, v1, 1
	v_sub_u32_e32 v6, s12, v1
	v_mad_u64_u32 v[0:1], s[0:1], v1, s13, v[2:3]
	v_ashrrev_i32_e32 v1, 31, v0
	v_lshlrev_b64 v[0:1], 1, v[0:1]
	v_mov_b32_e32 v3, s11
	v_add_co_u32_e32 v4, vcc, s10, v0
	v_addc_co_u32_e32 v5, vcc, v3, v1, vcc
	v_cmp_gt_i32_e64 s[0:1], s14, v2
	v_cmp_lt_i32_e32 vcc, 0, v6
	s_and_b64 s[4:5], s[0:1], vcc
	v_mov_b32_e32 v3, 0xff800000
	v_mov_b32_e32 v2, 0xff800000
	s_and_saveexec_b64 s[2:3], s[4:5]
	s_cbranch_execz .LBB407_2
; %bb.1:
	global_load_ushort v2, v[4:5], off
	s_waitcnt vmcnt(0)
	v_cvt_f32_f16_e32 v2, v2
.LBB407_2:
	s_or_b64 exec, exec, s[2:3]
	v_cmp_lt_i32_e64 s[2:3], 1, v6
	s_and_b64 s[2:3], s[0:1], s[2:3]
	s_and_saveexec_b64 s[4:5], s[2:3]
	s_cbranch_execz .LBB407_4
; %bb.3:
	s_mov_b32 s15, 0
	s_lshl_b64 s[2:3], s[14:15], 1
	v_mov_b32_e32 v3, s3
	v_add_co_u32_e64 v4, s[2:3], s2, v4
	v_addc_co_u32_e64 v5, s[2:3], v5, v3, s[2:3]
	global_load_ushort v3, v[4:5], off
	s_waitcnt vmcnt(0)
	v_cvt_f32_f16_e32 v3, v3
.LBB407_4:
	s_or_b64 exec, exec, s[4:5]
	s_and_saveexec_b64 s[2:3], vcc
	s_cbranch_execz .LBB407_16
; %bb.5:
	v_pk_add_f32 v[4:5], v[2:3], v[2:3] neg_lo:[0,1] neg_hi:[0,1]
	s_mov_b32 s2, 0x3fb8aa3b
	v_mul_f32_e32 v2, 0x3fb8aa3b, v5
	v_fma_f32 v3, v5, s2, -v2
	v_rndne_f32_e32 v7, v2
	v_fmac_f32_e32 v3, 0x32a5705f, v5
	v_sub_f32_e32 v2, v2, v7
	v_add_f32_e32 v2, v2, v3
	v_exp_f32_e32 v2, v2
	v_cvt_i32_f32_e32 v3, v7
	s_mov_b32 s3, 0xc2ce8ed0
	v_cmp_ngt_f32_e32 vcc, s3, v5
	s_mov_b32 s4, 0x42b17218
	v_ldexp_f32 v2, v2, v3
	v_mul_f32_e32 v3, 0x3fb8aa3b, v4
	v_fma_f32 v7, v4, s2, -v3
	v_rndne_f32_e32 v8, v3
	v_fmac_f32_e32 v7, 0x32a5705f, v4
	v_sub_f32_e32 v3, v3, v8
	v_add_f32_e32 v3, v3, v7
	v_exp_f32_e32 v3, v3
	v_cvt_i32_f32_e32 v7, v8
	v_cndmask_b32_e32 v2, 0, v2, vcc
	v_mov_b32_e32 v8, 0x7f800000
	v_cmp_nlt_f32_e32 vcc, s4, v5
	v_cndmask_b32_e32 v2, v8, v2, vcc
	v_ldexp_f32 v3, v3, v7
	v_cmp_ngt_f32_e32 vcc, s3, v4
	v_cndmask_b32_e32 v3, 0, v3, vcc
	v_cmp_nlt_f32_e32 vcc, s4, v4
	v_cndmask_b32_e32 v3, v8, v3, vcc
	v_mov_b32_e32 v4, s9
	v_add_co_u32_e32 v0, vcc, s8, v0
	v_addc_co_u32_e32 v1, vcc, v4, v1, vcc
	s_and_saveexec_b64 s[2:3], s[0:1]
	s_cbranch_execz .LBB407_10
; %bb.6:
	v_cmp_neq_f32_e32 vcc, 0, v3
	s_and_saveexec_b64 s[4:5], vcc
	s_xor_b64 s[4:5], exec, s[4:5]
	s_cbranch_execz .LBB407_8
; %bb.7:
	v_div_scale_f32 v4, vcc, v3, v3, v3
	v_rcp_f32_e32 v5, v4
	v_fma_f32 v7, -v4, v5, 1.0
	v_fmac_f32_e32 v5, v7, v5
	v_mul_f32_e32 v7, v4, v5
	v_fma_f32 v8, -v4, v7, v4
	v_fmac_f32_e32 v7, v8, v5
	v_fma_f32 v4, -v4, v7, v4
	v_div_fmas_f32 v4, v4, v5, v7
	v_div_fixup_f32 v3, v4, v3, v3
	v_cvt_f16_f32_e32 v3, v3
	global_store_short v[0:1], v3, off
.LBB407_8:
	s_andn2_saveexec_b64 s[4:5], s[4:5]
	s_cbranch_execz .LBB407_10
; %bb.9:
	v_mov_b32_e32 v3, 0x7e00
	global_store_short v[0:1], v3, off
.LBB407_10:
	s_or_b64 exec, exec, s[2:3]
	v_cmp_ne_u32_e32 vcc, 1, v6
	s_and_b64 exec, exec, vcc
	s_cbranch_execz .LBB407_16
; %bb.11:
	s_and_b64 exec, exec, s[0:1]
	s_cbranch_execz .LBB407_16
; %bb.12:
	s_mov_b32 s15, 0
	s_lshl_b64 s[0:1], s[14:15], 1
	v_mov_b32_e32 v3, s1
	v_add_co_u32_e64 v0, s[0:1], s0, v0
	v_cmp_neq_f32_e32 vcc, 0, v2
	v_addc_co_u32_e64 v1, s[0:1], v1, v3, s[0:1]
	s_and_saveexec_b64 s[0:1], vcc
	s_xor_b64 s[0:1], exec, s[0:1]
	s_cbranch_execz .LBB407_14
; %bb.13:
	v_div_scale_f32 v3, vcc, v2, v2, v2
	v_rcp_f32_e32 v4, v3
	v_fma_f32 v5, -v3, v4, 1.0
	v_fmac_f32_e32 v4, v5, v4
	v_mul_f32_e32 v5, v3, v4
	v_fma_f32 v6, -v3, v5, v3
	v_fmac_f32_e32 v5, v6, v4
	v_fma_f32 v3, -v3, v5, v3
	v_div_fmas_f32 v3, v3, v4, v5
	v_div_fixup_f32 v2, v3, v2, v2
	v_cvt_f16_f32_e32 v2, v2
	global_store_short v[0:1], v2, off
                                        ; implicit-def: $vgpr0_vgpr1
.LBB407_14:
	s_andn2_saveexec_b64 s[0:1], s[0:1]
	s_cbranch_execz .LBB407_16
; %bb.15:
	v_mov_b32_e32 v2, 0x7e00
	global_store_short v[0:1], v2, off
.LBB407_16:
	s_endpgm
	.section	.rodata,"a",@progbits
	.p2align	6, 0x0
	.amdhsa_kernel _ZN12_GLOBAL__N_120softmax_warp_forwardIN3c104HalfES2_fLi0ELb0ELb0ELi32EEEvPT0_PKT_iiiPKbib
		.amdhsa_group_segment_fixed_size 0
		.amdhsa_private_segment_fixed_size 0
		.amdhsa_kernarg_size 304
		.amdhsa_user_sgpr_count 6
		.amdhsa_user_sgpr_private_segment_buffer 1
		.amdhsa_user_sgpr_dispatch_ptr 0
		.amdhsa_user_sgpr_queue_ptr 0
		.amdhsa_user_sgpr_kernarg_segment_ptr 1
		.amdhsa_user_sgpr_dispatch_id 0
		.amdhsa_user_sgpr_flat_scratch_init 0
		.amdhsa_user_sgpr_kernarg_preload_length 0
		.amdhsa_user_sgpr_kernarg_preload_offset 0
		.amdhsa_user_sgpr_private_segment_size 0
		.amdhsa_uses_dynamic_stack 0
		.amdhsa_system_sgpr_private_segment_wavefront_offset 0
		.amdhsa_system_sgpr_workgroup_id_x 1
		.amdhsa_system_sgpr_workgroup_id_y 0
		.amdhsa_system_sgpr_workgroup_id_z 0
		.amdhsa_system_sgpr_workgroup_info 0
		.amdhsa_system_vgpr_workitem_id 1
		.amdhsa_next_free_vgpr 9
		.amdhsa_next_free_sgpr 16
		.amdhsa_accum_offset 12
		.amdhsa_reserve_vcc 1
		.amdhsa_reserve_flat_scratch 0
		.amdhsa_float_round_mode_32 0
		.amdhsa_float_round_mode_16_64 0
		.amdhsa_float_denorm_mode_32 3
		.amdhsa_float_denorm_mode_16_64 3
		.amdhsa_dx10_clamp 1
		.amdhsa_ieee_mode 1
		.amdhsa_fp16_overflow 0
		.amdhsa_tg_split 0
		.amdhsa_exception_fp_ieee_invalid_op 0
		.amdhsa_exception_fp_denorm_src 0
		.amdhsa_exception_fp_ieee_div_zero 0
		.amdhsa_exception_fp_ieee_overflow 0
		.amdhsa_exception_fp_ieee_underflow 0
		.amdhsa_exception_fp_ieee_inexact 0
		.amdhsa_exception_int_div_zero 0
	.end_amdhsa_kernel
	.section	.text._ZN12_GLOBAL__N_120softmax_warp_forwardIN3c104HalfES2_fLi0ELb0ELb0ELi32EEEvPT0_PKT_iiiPKbib,"axG",@progbits,_ZN12_GLOBAL__N_120softmax_warp_forwardIN3c104HalfES2_fLi0ELb0ELb0ELi32EEEvPT0_PKT_iiiPKbib,comdat
.Lfunc_end407:
	.size	_ZN12_GLOBAL__N_120softmax_warp_forwardIN3c104HalfES2_fLi0ELb0ELb0ELi32EEEvPT0_PKT_iiiPKbib, .Lfunc_end407-_ZN12_GLOBAL__N_120softmax_warp_forwardIN3c104HalfES2_fLi0ELb0ELb0ELi32EEEvPT0_PKT_iiiPKbib
                                        ; -- End function
	.section	.AMDGPU.csdata,"",@progbits
; Kernel info:
; codeLenInByte = 708
; NumSgprs: 20
; NumVgprs: 9
; NumAgprs: 0
; TotalNumVgprs: 9
; ScratchSize: 0
; MemoryBound: 0
; FloatMode: 240
; IeeeMode: 1
; LDSByteSize: 0 bytes/workgroup (compile time only)
; SGPRBlocks: 2
; VGPRBlocks: 1
; NumSGPRsForWavesPerEU: 20
; NumVGPRsForWavesPerEU: 9
; AccumOffset: 12
; Occupancy: 8
; WaveLimiterHint : 0
; COMPUTE_PGM_RSRC2:SCRATCH_EN: 0
; COMPUTE_PGM_RSRC2:USER_SGPR: 6
; COMPUTE_PGM_RSRC2:TRAP_HANDLER: 0
; COMPUTE_PGM_RSRC2:TGID_X_EN: 1
; COMPUTE_PGM_RSRC2:TGID_Y_EN: 0
; COMPUTE_PGM_RSRC2:TGID_Z_EN: 0
; COMPUTE_PGM_RSRC2:TIDIG_COMP_CNT: 1
; COMPUTE_PGM_RSRC3_GFX90A:ACCUM_OFFSET: 2
; COMPUTE_PGM_RSRC3_GFX90A:TG_SPLIT: 0
	.section	.text._ZN12_GLOBAL__N_120softmax_warp_forwardIN3c104HalfES2_fLi1ELb0ELb0ELi64EEEvPT0_PKT_iiiPKbib,"axG",@progbits,_ZN12_GLOBAL__N_120softmax_warp_forwardIN3c104HalfES2_fLi1ELb0ELb0ELi64EEEvPT0_PKT_iiiPKbib,comdat
	.globl	_ZN12_GLOBAL__N_120softmax_warp_forwardIN3c104HalfES2_fLi1ELb0ELb0ELi64EEEvPT0_PKT_iiiPKbib ; -- Begin function _ZN12_GLOBAL__N_120softmax_warp_forwardIN3c104HalfES2_fLi1ELb0ELb0ELi64EEEvPT0_PKT_iiiPKbib
	.p2align	8
	.type	_ZN12_GLOBAL__N_120softmax_warp_forwardIN3c104HalfES2_fLi1ELb0ELb0ELi64EEEvPT0_PKT_iiiPKbib,@function
_ZN12_GLOBAL__N_120softmax_warp_forwardIN3c104HalfES2_fLi1ELb0ELb0ELi64EEEvPT0_PKT_iiiPKbib: ; @_ZN12_GLOBAL__N_120softmax_warp_forwardIN3c104HalfES2_fLi1ELb0ELb0ELi64EEEvPT0_PKT_iiiPKbib
; %bb.0:
	s_load_dword s0, s[4:5], 0x3c
	s_load_dwordx8 s[8:15], s[4:5], 0x0
	v_bfe_u32 v1, v0, 10, 10
	v_and_b32_e32 v0, 0x3ff, v0
	s_waitcnt lgkmcnt(0)
	s_lshr_b32 s0, s0, 16
	s_mul_i32 s6, s6, s0
	v_add_lshl_u32 v1, s6, v1, 1
	v_mad_u64_u32 v[2:3], s[0:1], v1, s13, v[0:1]
	v_ashrrev_i32_e32 v3, 31, v2
	v_lshlrev_b64 v[2:3], 1, v[2:3]
	v_sub_u32_e32 v8, s12, v1
	v_mov_b32_e32 v1, s11
	v_add_co_u32_e32 v4, vcc, s10, v2
	v_addc_co_u32_e32 v5, vcc, v1, v3, vcc
	v_cmp_gt_i32_e64 s[0:1], s14, v0
	v_cmp_lt_i32_e32 vcc, 0, v8
	s_and_b64 s[4:5], s[0:1], vcc
	v_mov_b32_e32 v1, 0xff800000
	v_mov_b32_e32 v0, 0xff800000
	s_and_saveexec_b64 s[2:3], s[4:5]
	s_cbranch_execz .LBB408_2
; %bb.1:
	global_load_ushort v0, v[4:5], off
	s_waitcnt vmcnt(0)
	v_cvt_f32_f16_e32 v0, v0
.LBB408_2:
	s_or_b64 exec, exec, s[2:3]
	v_cmp_lt_i32_e64 s[2:3], 1, v8
	s_and_b64 s[2:3], s[0:1], s[2:3]
	s_and_saveexec_b64 s[4:5], s[2:3]
	s_cbranch_execz .LBB408_4
; %bb.3:
	s_mov_b32 s15, 0
	s_lshl_b64 s[2:3], s[14:15], 1
	v_mov_b32_e32 v1, s3
	v_add_co_u32_e64 v4, s[2:3], s2, v4
	v_addc_co_u32_e64 v5, s[2:3], v5, v1, s[2:3]
	global_load_ushort v1, v[4:5], off
	s_waitcnt vmcnt(0)
	v_cvt_f32_f16_e32 v1, v1
.LBB408_4:
	s_or_b64 exec, exec, s[4:5]
	v_mbcnt_lo_u32_b32 v4, -1, 0
	v_mbcnt_hi_u32_b32 v4, -1, v4
	v_and_b32_e32 v6, 0x7e, v4
	v_xor_b32_e32 v5, 1, v4
	v_add_u32_e32 v6, 2, v6
	v_cmp_lt_i32_e64 s[2:3], v5, v6
	v_cndmask_b32_e64 v4, v4, v5, s[2:3]
	v_lshlrev_b32_e32 v7, 2, v4
	ds_bpermute_b32 v4, v7, v1
	ds_bpermute_b32 v6, v7, v0
	s_mov_b32 s4, 0x3fb8aa3b
	s_mov_b32 s5, 0xc2ce8ed0
	;; [unrolled: 1-line block ×3, first 2 shown]
	s_waitcnt lgkmcnt(1)
	v_cmp_lt_f32_e64 s[2:3], v1, v4
	v_cndmask_b32_e64 v5, v1, v4, s[2:3]
	s_waitcnt lgkmcnt(0)
	v_cmp_lt_f32_e64 s[2:3], v0, v6
	v_cndmask_b32_e64 v4, v0, v6, s[2:3]
	v_pk_add_f32 v[0:1], v[0:1], v[4:5] neg_lo:[0,1] neg_hi:[0,1]
	v_mul_f32_e32 v4, 0x3fb8aa3b, v1
	v_fma_f32 v5, v1, s4, -v4
	v_rndne_f32_e32 v6, v4
	v_fmac_f32_e32 v5, 0x32a5705f, v1
	v_sub_f32_e32 v4, v4, v6
	v_add_f32_e32 v4, v4, v5
	v_exp_f32_e32 v4, v4
	v_cvt_i32_f32_e32 v5, v6
	v_cmp_ngt_f32_e64 s[2:3], s5, v1
	v_ldexp_f32 v4, v4, v5
	v_mul_f32_e32 v5, 0x3fb8aa3b, v0
	v_fma_f32 v6, v0, s4, -v5
	v_rndne_f32_e32 v9, v5
	v_fmac_f32_e32 v6, 0x32a5705f, v0
	v_sub_f32_e32 v5, v5, v9
	v_add_f32_e32 v5, v5, v6
	v_exp_f32_e32 v5, v5
	v_cvt_i32_f32_e32 v6, v9
	v_cndmask_b32_e64 v4, 0, v4, s[2:3]
	v_mov_b32_e32 v9, 0x7f800000
	v_cmp_nlt_f32_e64 s[2:3], s6, v1
	v_cndmask_b32_e64 v1, v9, v4, s[2:3]
	v_ldexp_f32 v4, v5, v6
	v_cmp_ngt_f32_e64 s[2:3], s5, v0
	v_cndmask_b32_e64 v4, 0, v4, s[2:3]
	v_cmp_nlt_f32_e64 s[2:3], s6, v0
	v_cndmask_b32_e64 v0, v9, v4, s[2:3]
	ds_bpermute_b32 v6, v7, v0
	ds_bpermute_b32 v7, v7, v1
	s_and_saveexec_b64 s[2:3], vcc
	s_cbranch_execz .LBB408_16
; %bb.5:
	v_mov_b32_e32 v5, s9
	v_add_co_u32_e32 v4, vcc, s8, v2
	v_addc_co_u32_e32 v5, vcc, v5, v3, vcc
	s_waitcnt lgkmcnt(0)
	v_pk_add_f32 v[2:3], v[0:1], v[6:7]
	s_and_saveexec_b64 s[2:3], s[0:1]
	s_cbranch_execz .LBB408_10
; %bb.6:
	v_cmp_neq_f32_e32 vcc, 0, v2
	s_and_saveexec_b64 s[4:5], vcc
	s_xor_b64 s[4:5], exec, s[4:5]
	s_cbranch_execz .LBB408_8
; %bb.7:
	v_div_scale_f32 v6, s[6:7], v2, v2, v0
	v_rcp_f32_e32 v7, v6
	v_div_scale_f32 v9, vcc, v0, v2, v0
	v_fma_f32 v10, -v6, v7, 1.0
	v_fmac_f32_e32 v7, v10, v7
	v_mul_f32_e32 v10, v9, v7
	v_fma_f32 v11, -v6, v10, v9
	v_fmac_f32_e32 v10, v11, v7
	v_fma_f32 v6, -v6, v10, v9
	v_div_fmas_f32 v6, v6, v7, v10
	v_div_fixup_f32 v0, v6, v2, v0
	v_cvt_f16_f32_e32 v0, v0
	global_store_short v[4:5], v0, off
.LBB408_8:
	s_andn2_saveexec_b64 s[4:5], s[4:5]
	s_cbranch_execz .LBB408_10
; %bb.9:
	v_mov_b32_e32 v0, 0x7e00
	global_store_short v[4:5], v0, off
.LBB408_10:
	s_or_b64 exec, exec, s[2:3]
	v_cmp_ne_u32_e32 vcc, 1, v8
	s_and_b64 exec, exec, vcc
	s_cbranch_execz .LBB408_16
; %bb.11:
	s_and_b64 exec, exec, s[0:1]
	s_cbranch_execz .LBB408_16
; %bb.12:
	s_mov_b32 s15, 0
	s_lshl_b64 s[0:1], s[14:15], 1
	v_mov_b32_e32 v0, s1
	v_add_co_u32_e64 v4, s[0:1], s0, v4
	v_cmp_neq_f32_e32 vcc, 0, v3
	v_addc_co_u32_e64 v5, s[0:1], v5, v0, s[0:1]
	s_and_saveexec_b64 s[0:1], vcc
	s_xor_b64 s[0:1], exec, s[0:1]
	s_cbranch_execz .LBB408_14
; %bb.13:
	v_div_scale_f32 v0, s[2:3], v3, v3, v1
	v_rcp_f32_e32 v2, v0
	v_div_scale_f32 v6, vcc, v1, v3, v1
	v_fma_f32 v7, -v0, v2, 1.0
	v_fmac_f32_e32 v2, v7, v2
	v_mul_f32_e32 v7, v6, v2
	v_fma_f32 v8, -v0, v7, v6
	v_fmac_f32_e32 v7, v8, v2
	v_fma_f32 v0, -v0, v7, v6
	v_div_fmas_f32 v0, v0, v2, v7
	v_div_fixup_f32 v0, v0, v3, v1
	v_cvt_f16_f32_e32 v0, v0
	global_store_short v[4:5], v0, off
                                        ; implicit-def: $vgpr4_vgpr5
.LBB408_14:
	s_andn2_saveexec_b64 s[0:1], s[0:1]
	s_cbranch_execz .LBB408_16
; %bb.15:
	v_mov_b32_e32 v0, 0x7e00
	global_store_short v[4:5], v0, off
.LBB408_16:
	s_endpgm
	.section	.rodata,"a",@progbits
	.p2align	6, 0x0
	.amdhsa_kernel _ZN12_GLOBAL__N_120softmax_warp_forwardIN3c104HalfES2_fLi1ELb0ELb0ELi64EEEvPT0_PKT_iiiPKbib
		.amdhsa_group_segment_fixed_size 0
		.amdhsa_private_segment_fixed_size 0
		.amdhsa_kernarg_size 304
		.amdhsa_user_sgpr_count 6
		.amdhsa_user_sgpr_private_segment_buffer 1
		.amdhsa_user_sgpr_dispatch_ptr 0
		.amdhsa_user_sgpr_queue_ptr 0
		.amdhsa_user_sgpr_kernarg_segment_ptr 1
		.amdhsa_user_sgpr_dispatch_id 0
		.amdhsa_user_sgpr_flat_scratch_init 0
		.amdhsa_user_sgpr_kernarg_preload_length 0
		.amdhsa_user_sgpr_kernarg_preload_offset 0
		.amdhsa_user_sgpr_private_segment_size 0
		.amdhsa_uses_dynamic_stack 0
		.amdhsa_system_sgpr_private_segment_wavefront_offset 0
		.amdhsa_system_sgpr_workgroup_id_x 1
		.amdhsa_system_sgpr_workgroup_id_y 0
		.amdhsa_system_sgpr_workgroup_id_z 0
		.amdhsa_system_sgpr_workgroup_info 0
		.amdhsa_system_vgpr_workitem_id 1
		.amdhsa_next_free_vgpr 12
		.amdhsa_next_free_sgpr 16
		.amdhsa_accum_offset 12
		.amdhsa_reserve_vcc 1
		.amdhsa_reserve_flat_scratch 0
		.amdhsa_float_round_mode_32 0
		.amdhsa_float_round_mode_16_64 0
		.amdhsa_float_denorm_mode_32 3
		.amdhsa_float_denorm_mode_16_64 3
		.amdhsa_dx10_clamp 1
		.amdhsa_ieee_mode 1
		.amdhsa_fp16_overflow 0
		.amdhsa_tg_split 0
		.amdhsa_exception_fp_ieee_invalid_op 0
		.amdhsa_exception_fp_denorm_src 0
		.amdhsa_exception_fp_ieee_div_zero 0
		.amdhsa_exception_fp_ieee_overflow 0
		.amdhsa_exception_fp_ieee_underflow 0
		.amdhsa_exception_fp_ieee_inexact 0
		.amdhsa_exception_int_div_zero 0
	.end_amdhsa_kernel
	.section	.text._ZN12_GLOBAL__N_120softmax_warp_forwardIN3c104HalfES2_fLi1ELb0ELb0ELi64EEEvPT0_PKT_iiiPKbib,"axG",@progbits,_ZN12_GLOBAL__N_120softmax_warp_forwardIN3c104HalfES2_fLi1ELb0ELb0ELi64EEEvPT0_PKT_iiiPKbib,comdat
.Lfunc_end408:
	.size	_ZN12_GLOBAL__N_120softmax_warp_forwardIN3c104HalfES2_fLi1ELb0ELb0ELi64EEEvPT0_PKT_iiiPKbib, .Lfunc_end408-_ZN12_GLOBAL__N_120softmax_warp_forwardIN3c104HalfES2_fLi1ELb0ELb0ELi64EEEvPT0_PKT_iiiPKbib
                                        ; -- End function
	.section	.AMDGPU.csdata,"",@progbits
; Kernel info:
; codeLenInByte = 892
; NumSgprs: 20
; NumVgprs: 12
; NumAgprs: 0
; TotalNumVgprs: 12
; ScratchSize: 0
; MemoryBound: 0
; FloatMode: 240
; IeeeMode: 1
; LDSByteSize: 0 bytes/workgroup (compile time only)
; SGPRBlocks: 2
; VGPRBlocks: 1
; NumSGPRsForWavesPerEU: 20
; NumVGPRsForWavesPerEU: 12
; AccumOffset: 12
; Occupancy: 8
; WaveLimiterHint : 0
; COMPUTE_PGM_RSRC2:SCRATCH_EN: 0
; COMPUTE_PGM_RSRC2:USER_SGPR: 6
; COMPUTE_PGM_RSRC2:TRAP_HANDLER: 0
; COMPUTE_PGM_RSRC2:TGID_X_EN: 1
; COMPUTE_PGM_RSRC2:TGID_Y_EN: 0
; COMPUTE_PGM_RSRC2:TGID_Z_EN: 0
; COMPUTE_PGM_RSRC2:TIDIG_COMP_CNT: 1
; COMPUTE_PGM_RSRC3_GFX90A:ACCUM_OFFSET: 2
; COMPUTE_PGM_RSRC3_GFX90A:TG_SPLIT: 0
	.section	.text._ZN12_GLOBAL__N_120softmax_warp_forwardIN3c104HalfES2_fLi1ELb0ELb0ELi32EEEvPT0_PKT_iiiPKbib,"axG",@progbits,_ZN12_GLOBAL__N_120softmax_warp_forwardIN3c104HalfES2_fLi1ELb0ELb0ELi32EEEvPT0_PKT_iiiPKbib,comdat
	.globl	_ZN12_GLOBAL__N_120softmax_warp_forwardIN3c104HalfES2_fLi1ELb0ELb0ELi32EEEvPT0_PKT_iiiPKbib ; -- Begin function _ZN12_GLOBAL__N_120softmax_warp_forwardIN3c104HalfES2_fLi1ELb0ELb0ELi32EEEvPT0_PKT_iiiPKbib
	.p2align	8
	.type	_ZN12_GLOBAL__N_120softmax_warp_forwardIN3c104HalfES2_fLi1ELb0ELb0ELi32EEEvPT0_PKT_iiiPKbib,@function
_ZN12_GLOBAL__N_120softmax_warp_forwardIN3c104HalfES2_fLi1ELb0ELb0ELi32EEEvPT0_PKT_iiiPKbib: ; @_ZN12_GLOBAL__N_120softmax_warp_forwardIN3c104HalfES2_fLi1ELb0ELb0ELi32EEEvPT0_PKT_iiiPKbib
; %bb.0:
	s_load_dword s0, s[4:5], 0x3c
	s_load_dwordx8 s[8:15], s[4:5], 0x0
	v_bfe_u32 v1, v0, 10, 10
	v_and_b32_e32 v0, 0x3ff, v0
	s_waitcnt lgkmcnt(0)
	s_lshr_b32 s0, s0, 16
	s_mul_i32 s6, s6, s0
	v_add_lshl_u32 v1, s6, v1, 1
	v_mad_u64_u32 v[2:3], s[0:1], v1, s13, v[0:1]
	v_ashrrev_i32_e32 v3, 31, v2
	v_lshlrev_b64 v[2:3], 1, v[2:3]
	v_sub_u32_e32 v8, s12, v1
	v_mov_b32_e32 v1, s11
	v_add_co_u32_e32 v4, vcc, s10, v2
	v_addc_co_u32_e32 v5, vcc, v1, v3, vcc
	v_cmp_gt_i32_e64 s[0:1], s14, v0
	v_cmp_lt_i32_e32 vcc, 0, v8
	s_and_b64 s[4:5], s[0:1], vcc
	v_mov_b32_e32 v1, 0xff800000
	v_mov_b32_e32 v0, 0xff800000
	s_and_saveexec_b64 s[2:3], s[4:5]
	s_cbranch_execz .LBB409_2
; %bb.1:
	global_load_ushort v0, v[4:5], off
	s_waitcnt vmcnt(0)
	v_cvt_f32_f16_e32 v0, v0
.LBB409_2:
	s_or_b64 exec, exec, s[2:3]
	v_cmp_lt_i32_e64 s[2:3], 1, v8
	s_and_b64 s[2:3], s[0:1], s[2:3]
	s_and_saveexec_b64 s[4:5], s[2:3]
	s_cbranch_execz .LBB409_4
; %bb.3:
	s_mov_b32 s15, 0
	s_lshl_b64 s[2:3], s[14:15], 1
	v_mov_b32_e32 v1, s3
	v_add_co_u32_e64 v4, s[2:3], s2, v4
	v_addc_co_u32_e64 v5, s[2:3], v5, v1, s[2:3]
	global_load_ushort v1, v[4:5], off
	s_waitcnt vmcnt(0)
	v_cvt_f32_f16_e32 v1, v1
.LBB409_4:
	s_or_b64 exec, exec, s[4:5]
	v_mbcnt_lo_u32_b32 v4, -1, 0
	v_mbcnt_hi_u32_b32 v4, -1, v4
	v_and_b32_e32 v6, 0x7e, v4
	v_xor_b32_e32 v5, 1, v4
	v_add_u32_e32 v6, 2, v6
	v_cmp_lt_i32_e64 s[2:3], v5, v6
	v_cndmask_b32_e64 v4, v4, v5, s[2:3]
	v_lshlrev_b32_e32 v7, 2, v4
	ds_bpermute_b32 v4, v7, v1
	ds_bpermute_b32 v6, v7, v0
	s_mov_b32 s4, 0x3fb8aa3b
	s_mov_b32 s5, 0xc2ce8ed0
	;; [unrolled: 1-line block ×3, first 2 shown]
	s_waitcnt lgkmcnt(1)
	v_cmp_lt_f32_e64 s[2:3], v1, v4
	v_cndmask_b32_e64 v5, v1, v4, s[2:3]
	s_waitcnt lgkmcnt(0)
	v_cmp_lt_f32_e64 s[2:3], v0, v6
	v_cndmask_b32_e64 v4, v0, v6, s[2:3]
	v_pk_add_f32 v[0:1], v[0:1], v[4:5] neg_lo:[0,1] neg_hi:[0,1]
	v_mul_f32_e32 v4, 0x3fb8aa3b, v1
	v_fma_f32 v5, v1, s4, -v4
	v_rndne_f32_e32 v6, v4
	v_fmac_f32_e32 v5, 0x32a5705f, v1
	v_sub_f32_e32 v4, v4, v6
	v_add_f32_e32 v4, v4, v5
	v_exp_f32_e32 v4, v4
	v_cvt_i32_f32_e32 v5, v6
	v_cmp_ngt_f32_e64 s[2:3], s5, v1
	v_ldexp_f32 v4, v4, v5
	v_mul_f32_e32 v5, 0x3fb8aa3b, v0
	v_fma_f32 v6, v0, s4, -v5
	v_rndne_f32_e32 v9, v5
	v_fmac_f32_e32 v6, 0x32a5705f, v0
	v_sub_f32_e32 v5, v5, v9
	v_add_f32_e32 v5, v5, v6
	v_exp_f32_e32 v5, v5
	v_cvt_i32_f32_e32 v6, v9
	v_cndmask_b32_e64 v4, 0, v4, s[2:3]
	v_mov_b32_e32 v9, 0x7f800000
	v_cmp_nlt_f32_e64 s[2:3], s6, v1
	v_cndmask_b32_e64 v1, v9, v4, s[2:3]
	v_ldexp_f32 v4, v5, v6
	v_cmp_ngt_f32_e64 s[2:3], s5, v0
	v_cndmask_b32_e64 v4, 0, v4, s[2:3]
	v_cmp_nlt_f32_e64 s[2:3], s6, v0
	v_cndmask_b32_e64 v0, v9, v4, s[2:3]
	ds_bpermute_b32 v6, v7, v0
	ds_bpermute_b32 v7, v7, v1
	s_and_saveexec_b64 s[2:3], vcc
	s_cbranch_execz .LBB409_16
; %bb.5:
	v_mov_b32_e32 v5, s9
	v_add_co_u32_e32 v4, vcc, s8, v2
	v_addc_co_u32_e32 v5, vcc, v5, v3, vcc
	s_waitcnt lgkmcnt(0)
	v_pk_add_f32 v[2:3], v[0:1], v[6:7]
	s_and_saveexec_b64 s[2:3], s[0:1]
	s_cbranch_execz .LBB409_10
; %bb.6:
	v_cmp_neq_f32_e32 vcc, 0, v2
	s_and_saveexec_b64 s[4:5], vcc
	s_xor_b64 s[4:5], exec, s[4:5]
	s_cbranch_execz .LBB409_8
; %bb.7:
	v_div_scale_f32 v6, s[6:7], v2, v2, v0
	v_rcp_f32_e32 v7, v6
	v_div_scale_f32 v9, vcc, v0, v2, v0
	v_fma_f32 v10, -v6, v7, 1.0
	v_fmac_f32_e32 v7, v10, v7
	v_mul_f32_e32 v10, v9, v7
	v_fma_f32 v11, -v6, v10, v9
	v_fmac_f32_e32 v10, v11, v7
	v_fma_f32 v6, -v6, v10, v9
	v_div_fmas_f32 v6, v6, v7, v10
	v_div_fixup_f32 v0, v6, v2, v0
	v_cvt_f16_f32_e32 v0, v0
	global_store_short v[4:5], v0, off
.LBB409_8:
	s_andn2_saveexec_b64 s[4:5], s[4:5]
	s_cbranch_execz .LBB409_10
; %bb.9:
	v_mov_b32_e32 v0, 0x7e00
	global_store_short v[4:5], v0, off
.LBB409_10:
	s_or_b64 exec, exec, s[2:3]
	v_cmp_ne_u32_e32 vcc, 1, v8
	s_and_b64 exec, exec, vcc
	s_cbranch_execz .LBB409_16
; %bb.11:
	s_and_b64 exec, exec, s[0:1]
	s_cbranch_execz .LBB409_16
; %bb.12:
	s_mov_b32 s15, 0
	s_lshl_b64 s[0:1], s[14:15], 1
	v_mov_b32_e32 v0, s1
	v_add_co_u32_e64 v4, s[0:1], s0, v4
	v_cmp_neq_f32_e32 vcc, 0, v3
	v_addc_co_u32_e64 v5, s[0:1], v5, v0, s[0:1]
	s_and_saveexec_b64 s[0:1], vcc
	s_xor_b64 s[0:1], exec, s[0:1]
	s_cbranch_execz .LBB409_14
; %bb.13:
	v_div_scale_f32 v0, s[2:3], v3, v3, v1
	v_rcp_f32_e32 v2, v0
	v_div_scale_f32 v6, vcc, v1, v3, v1
	v_fma_f32 v7, -v0, v2, 1.0
	v_fmac_f32_e32 v2, v7, v2
	v_mul_f32_e32 v7, v6, v2
	v_fma_f32 v8, -v0, v7, v6
	v_fmac_f32_e32 v7, v8, v2
	v_fma_f32 v0, -v0, v7, v6
	v_div_fmas_f32 v0, v0, v2, v7
	v_div_fixup_f32 v0, v0, v3, v1
	v_cvt_f16_f32_e32 v0, v0
	global_store_short v[4:5], v0, off
                                        ; implicit-def: $vgpr4_vgpr5
.LBB409_14:
	s_andn2_saveexec_b64 s[0:1], s[0:1]
	s_cbranch_execz .LBB409_16
; %bb.15:
	v_mov_b32_e32 v0, 0x7e00
	global_store_short v[4:5], v0, off
.LBB409_16:
	s_endpgm
	.section	.rodata,"a",@progbits
	.p2align	6, 0x0
	.amdhsa_kernel _ZN12_GLOBAL__N_120softmax_warp_forwardIN3c104HalfES2_fLi1ELb0ELb0ELi32EEEvPT0_PKT_iiiPKbib
		.amdhsa_group_segment_fixed_size 0
		.amdhsa_private_segment_fixed_size 0
		.amdhsa_kernarg_size 304
		.amdhsa_user_sgpr_count 6
		.amdhsa_user_sgpr_private_segment_buffer 1
		.amdhsa_user_sgpr_dispatch_ptr 0
		.amdhsa_user_sgpr_queue_ptr 0
		.amdhsa_user_sgpr_kernarg_segment_ptr 1
		.amdhsa_user_sgpr_dispatch_id 0
		.amdhsa_user_sgpr_flat_scratch_init 0
		.amdhsa_user_sgpr_kernarg_preload_length 0
		.amdhsa_user_sgpr_kernarg_preload_offset 0
		.amdhsa_user_sgpr_private_segment_size 0
		.amdhsa_uses_dynamic_stack 0
		.amdhsa_system_sgpr_private_segment_wavefront_offset 0
		.amdhsa_system_sgpr_workgroup_id_x 1
		.amdhsa_system_sgpr_workgroup_id_y 0
		.amdhsa_system_sgpr_workgroup_id_z 0
		.amdhsa_system_sgpr_workgroup_info 0
		.amdhsa_system_vgpr_workitem_id 1
		.amdhsa_next_free_vgpr 12
		.amdhsa_next_free_sgpr 16
		.amdhsa_accum_offset 12
		.amdhsa_reserve_vcc 1
		.amdhsa_reserve_flat_scratch 0
		.amdhsa_float_round_mode_32 0
		.amdhsa_float_round_mode_16_64 0
		.amdhsa_float_denorm_mode_32 3
		.amdhsa_float_denorm_mode_16_64 3
		.amdhsa_dx10_clamp 1
		.amdhsa_ieee_mode 1
		.amdhsa_fp16_overflow 0
		.amdhsa_tg_split 0
		.amdhsa_exception_fp_ieee_invalid_op 0
		.amdhsa_exception_fp_denorm_src 0
		.amdhsa_exception_fp_ieee_div_zero 0
		.amdhsa_exception_fp_ieee_overflow 0
		.amdhsa_exception_fp_ieee_underflow 0
		.amdhsa_exception_fp_ieee_inexact 0
		.amdhsa_exception_int_div_zero 0
	.end_amdhsa_kernel
	.section	.text._ZN12_GLOBAL__N_120softmax_warp_forwardIN3c104HalfES2_fLi1ELb0ELb0ELi32EEEvPT0_PKT_iiiPKbib,"axG",@progbits,_ZN12_GLOBAL__N_120softmax_warp_forwardIN3c104HalfES2_fLi1ELb0ELb0ELi32EEEvPT0_PKT_iiiPKbib,comdat
.Lfunc_end409:
	.size	_ZN12_GLOBAL__N_120softmax_warp_forwardIN3c104HalfES2_fLi1ELb0ELb0ELi32EEEvPT0_PKT_iiiPKbib, .Lfunc_end409-_ZN12_GLOBAL__N_120softmax_warp_forwardIN3c104HalfES2_fLi1ELb0ELb0ELi32EEEvPT0_PKT_iiiPKbib
                                        ; -- End function
	.section	.AMDGPU.csdata,"",@progbits
; Kernel info:
; codeLenInByte = 892
; NumSgprs: 20
; NumVgprs: 12
; NumAgprs: 0
; TotalNumVgprs: 12
; ScratchSize: 0
; MemoryBound: 0
; FloatMode: 240
; IeeeMode: 1
; LDSByteSize: 0 bytes/workgroup (compile time only)
; SGPRBlocks: 2
; VGPRBlocks: 1
; NumSGPRsForWavesPerEU: 20
; NumVGPRsForWavesPerEU: 12
; AccumOffset: 12
; Occupancy: 8
; WaveLimiterHint : 0
; COMPUTE_PGM_RSRC2:SCRATCH_EN: 0
; COMPUTE_PGM_RSRC2:USER_SGPR: 6
; COMPUTE_PGM_RSRC2:TRAP_HANDLER: 0
; COMPUTE_PGM_RSRC2:TGID_X_EN: 1
; COMPUTE_PGM_RSRC2:TGID_Y_EN: 0
; COMPUTE_PGM_RSRC2:TGID_Z_EN: 0
; COMPUTE_PGM_RSRC2:TIDIG_COMP_CNT: 1
; COMPUTE_PGM_RSRC3_GFX90A:ACCUM_OFFSET: 2
; COMPUTE_PGM_RSRC3_GFX90A:TG_SPLIT: 0
	.section	.text._ZN12_GLOBAL__N_120softmax_warp_forwardIN3c104HalfES2_fLi2ELb0ELb0ELi64EEEvPT0_PKT_iiiPKbib,"axG",@progbits,_ZN12_GLOBAL__N_120softmax_warp_forwardIN3c104HalfES2_fLi2ELb0ELb0ELi64EEEvPT0_PKT_iiiPKbib,comdat
	.globl	_ZN12_GLOBAL__N_120softmax_warp_forwardIN3c104HalfES2_fLi2ELb0ELb0ELi64EEEvPT0_PKT_iiiPKbib ; -- Begin function _ZN12_GLOBAL__N_120softmax_warp_forwardIN3c104HalfES2_fLi2ELb0ELb0ELi64EEEvPT0_PKT_iiiPKbib
	.p2align	8
	.type	_ZN12_GLOBAL__N_120softmax_warp_forwardIN3c104HalfES2_fLi2ELb0ELb0ELi64EEEvPT0_PKT_iiiPKbib,@function
_ZN12_GLOBAL__N_120softmax_warp_forwardIN3c104HalfES2_fLi2ELb0ELb0ELi64EEEvPT0_PKT_iiiPKbib: ; @_ZN12_GLOBAL__N_120softmax_warp_forwardIN3c104HalfES2_fLi2ELb0ELb0ELi64EEEvPT0_PKT_iiiPKbib
; %bb.0:
	s_load_dword s0, s[4:5], 0x3c
	s_load_dwordx8 s[8:15], s[4:5], 0x0
	v_bfe_u32 v1, v0, 10, 10
	v_and_b32_e32 v2, 0x3ff, v0
	s_waitcnt lgkmcnt(0)
	s_lshr_b32 s0, s0, 16
	s_mul_i32 s6, s6, s0
	v_add_lshl_u32 v1, s6, v1, 1
	v_sub_u32_e32 v10, s12, v1
	v_mad_u64_u32 v[0:1], s[0:1], v1, s13, v[2:3]
	v_ashrrev_i32_e32 v1, 31, v0
	v_lshlrev_b64 v[0:1], 1, v[0:1]
	v_mov_b32_e32 v3, s11
	v_add_co_u32_e32 v4, vcc, s10, v0
	v_addc_co_u32_e32 v5, vcc, v3, v1, vcc
	v_cmp_gt_i32_e64 s[0:1], s14, v2
	v_cmp_lt_i32_e32 vcc, 0, v10
	s_and_b64 s[4:5], s[0:1], vcc
	v_mov_b32_e32 v3, 0xff800000
	v_mov_b32_e32 v2, 0xff800000
	s_and_saveexec_b64 s[2:3], s[4:5]
	s_cbranch_execz .LBB410_2
; %bb.1:
	global_load_ushort v2, v[4:5], off
	s_waitcnt vmcnt(0)
	v_cvt_f32_f16_e32 v2, v2
.LBB410_2:
	s_or_b64 exec, exec, s[2:3]
	v_cmp_lt_i32_e64 s[2:3], 1, v10
	s_and_b64 s[2:3], s[0:1], s[2:3]
	s_and_saveexec_b64 s[4:5], s[2:3]
	s_cbranch_execz .LBB410_4
; %bb.3:
	s_mov_b32 s15, 0
	s_lshl_b64 s[2:3], s[14:15], 1
	v_mov_b32_e32 v3, s3
	v_add_co_u32_e64 v4, s[2:3], s2, v4
	v_addc_co_u32_e64 v5, s[2:3], v5, v3, s[2:3]
	global_load_ushort v3, v[4:5], off
	s_waitcnt vmcnt(0)
	v_cvt_f32_f16_e32 v3, v3
.LBB410_4:
	s_or_b64 exec, exec, s[4:5]
	v_mbcnt_lo_u32_b32 v4, -1, 0
	v_mbcnt_hi_u32_b32 v4, -1, v4
	v_and_b32_e32 v5, 0x7c, v4
	v_add_u32_e32 v5, 4, v5
	v_xor_b32_e32 v6, 2, v4
	v_cmp_lt_i32_e64 s[2:3], v6, v5
	v_cndmask_b32_e64 v6, v4, v6, s[2:3]
	v_lshlrev_b32_e32 v6, 2, v6
	ds_bpermute_b32 v8, v6, v3
	ds_bpermute_b32 v7, v6, v2
	v_xor_b32_e32 v9, 1, v4
	v_cmp_lt_i32_e64 s[2:3], v9, v5
	v_cndmask_b32_e64 v4, v4, v9, s[2:3]
	s_waitcnt lgkmcnt(1)
	v_cmp_lt_f32_e64 s[2:3], v3, v8
	v_lshlrev_b32_e32 v9, 2, v4
	v_cndmask_b32_e64 v4, v3, v8, s[2:3]
	s_waitcnt lgkmcnt(0)
	v_cmp_lt_f32_e64 s[2:3], v2, v7
	ds_bpermute_b32 v5, v9, v4
	v_cndmask_b32_e64 v7, v2, v7, s[2:3]
	ds_bpermute_b32 v8, v9, v7
	s_mov_b32 s4, 0x3fb8aa3b
	s_mov_b32 s5, 0xc2ce8ed0
	s_waitcnt lgkmcnt(1)
	v_cmp_lt_f32_e64 s[2:3], v4, v5
	v_cndmask_b32_e64 v5, v4, v5, s[2:3]
	s_waitcnt lgkmcnt(0)
	v_cmp_lt_f32_e64 s[2:3], v7, v8
	v_cndmask_b32_e64 v4, v7, v8, s[2:3]
	v_pk_add_f32 v[2:3], v[2:3], v[4:5] neg_lo:[0,1] neg_hi:[0,1]
	v_mul_f32_e32 v4, 0x3fb8aa3b, v3
	v_fma_f32 v5, v3, s4, -v4
	v_rndne_f32_e32 v7, v4
	v_fmac_f32_e32 v5, 0x32a5705f, v3
	v_sub_f32_e32 v4, v4, v7
	v_add_f32_e32 v4, v4, v5
	v_exp_f32_e32 v4, v4
	v_cvt_i32_f32_e32 v5, v7
	v_cmp_ngt_f32_e64 s[2:3], s5, v3
	s_mov_b32 s6, 0x42b17218
	v_ldexp_f32 v4, v4, v5
	v_mul_f32_e32 v5, 0x3fb8aa3b, v2
	v_fma_f32 v7, v2, s4, -v5
	v_rndne_f32_e32 v8, v5
	v_fmac_f32_e32 v7, 0x32a5705f, v2
	v_sub_f32_e32 v5, v5, v8
	v_add_f32_e32 v5, v5, v7
	v_exp_f32_e32 v5, v5
	v_cvt_i32_f32_e32 v7, v8
	v_cndmask_b32_e64 v4, 0, v4, s[2:3]
	v_mov_b32_e32 v8, 0x7f800000
	v_cmp_nlt_f32_e64 s[2:3], s6, v3
	v_cndmask_b32_e64 v3, v8, v4, s[2:3]
	v_ldexp_f32 v4, v5, v7
	v_cmp_ngt_f32_e64 s[2:3], s5, v2
	v_cndmask_b32_e64 v4, 0, v4, s[2:3]
	v_cmp_nlt_f32_e64 s[2:3], s6, v2
	v_cndmask_b32_e64 v2, v8, v4, s[2:3]
	ds_bpermute_b32 v4, v6, v2
	ds_bpermute_b32 v5, v6, v3
	s_waitcnt lgkmcnt(0)
	v_pk_add_f32 v[6:7], v[2:3], v[4:5]
	ds_bpermute_b32 v8, v9, v6
	ds_bpermute_b32 v9, v9, v7
	s_and_saveexec_b64 s[2:3], vcc
	s_cbranch_execz .LBB410_16
; %bb.5:
	v_mov_b32_e32 v5, s9
	v_add_co_u32_e32 v4, vcc, s8, v0
	v_addc_co_u32_e32 v5, vcc, v5, v1, vcc
	s_waitcnt lgkmcnt(0)
	v_pk_add_f32 v[0:1], v[6:7], v[8:9]
	s_and_saveexec_b64 s[2:3], s[0:1]
	s_cbranch_execz .LBB410_10
; %bb.6:
	v_cmp_neq_f32_e32 vcc, 0, v0
	s_and_saveexec_b64 s[4:5], vcc
	s_xor_b64 s[4:5], exec, s[4:5]
	s_cbranch_execz .LBB410_8
; %bb.7:
	v_div_scale_f32 v6, s[6:7], v0, v0, v2
	v_rcp_f32_e32 v7, v6
	v_div_scale_f32 v8, vcc, v2, v0, v2
	v_fma_f32 v9, -v6, v7, 1.0
	v_fmac_f32_e32 v7, v9, v7
	v_mul_f32_e32 v9, v8, v7
	v_fma_f32 v11, -v6, v9, v8
	v_fmac_f32_e32 v9, v11, v7
	v_fma_f32 v6, -v6, v9, v8
	v_div_fmas_f32 v6, v6, v7, v9
	v_div_fixup_f32 v0, v6, v0, v2
	v_cvt_f16_f32_e32 v0, v0
	global_store_short v[4:5], v0, off
.LBB410_8:
	s_andn2_saveexec_b64 s[4:5], s[4:5]
	s_cbranch_execz .LBB410_10
; %bb.9:
	v_mov_b32_e32 v0, 0x7e00
	global_store_short v[4:5], v0, off
.LBB410_10:
	s_or_b64 exec, exec, s[2:3]
	v_cmp_ne_u32_e32 vcc, 1, v10
	s_and_b64 exec, exec, vcc
	s_cbranch_execz .LBB410_16
; %bb.11:
	s_and_b64 exec, exec, s[0:1]
	s_cbranch_execz .LBB410_16
; %bb.12:
	s_mov_b32 s15, 0
	s_lshl_b64 s[0:1], s[14:15], 1
	v_mov_b32_e32 v0, s1
	v_add_co_u32_e64 v4, s[0:1], s0, v4
	v_cmp_neq_f32_e32 vcc, 0, v1
	v_addc_co_u32_e64 v5, s[0:1], v5, v0, s[0:1]
	s_and_saveexec_b64 s[0:1], vcc
	s_xor_b64 s[0:1], exec, s[0:1]
	s_cbranch_execz .LBB410_14
; %bb.13:
	v_div_scale_f32 v0, s[2:3], v1, v1, v3
	v_rcp_f32_e32 v2, v0
	v_div_scale_f32 v6, vcc, v3, v1, v3
	v_fma_f32 v7, -v0, v2, 1.0
	v_fmac_f32_e32 v2, v7, v2
	v_mul_f32_e32 v7, v6, v2
	v_fma_f32 v8, -v0, v7, v6
	v_fmac_f32_e32 v7, v8, v2
	v_fma_f32 v0, -v0, v7, v6
	v_div_fmas_f32 v0, v0, v2, v7
	v_div_fixup_f32 v0, v0, v1, v3
	v_cvt_f16_f32_e32 v0, v0
	global_store_short v[4:5], v0, off
                                        ; implicit-def: $vgpr4_vgpr5
.LBB410_14:
	s_andn2_saveexec_b64 s[0:1], s[0:1]
	s_cbranch_execz .LBB410_16
; %bb.15:
	v_mov_b32_e32 v0, 0x7e00
	global_store_short v[4:5], v0, off
.LBB410_16:
	s_endpgm
	.section	.rodata,"a",@progbits
	.p2align	6, 0x0
	.amdhsa_kernel _ZN12_GLOBAL__N_120softmax_warp_forwardIN3c104HalfES2_fLi2ELb0ELb0ELi64EEEvPT0_PKT_iiiPKbib
		.amdhsa_group_segment_fixed_size 0
		.amdhsa_private_segment_fixed_size 0
		.amdhsa_kernarg_size 304
		.amdhsa_user_sgpr_count 6
		.amdhsa_user_sgpr_private_segment_buffer 1
		.amdhsa_user_sgpr_dispatch_ptr 0
		.amdhsa_user_sgpr_queue_ptr 0
		.amdhsa_user_sgpr_kernarg_segment_ptr 1
		.amdhsa_user_sgpr_dispatch_id 0
		.amdhsa_user_sgpr_flat_scratch_init 0
		.amdhsa_user_sgpr_kernarg_preload_length 0
		.amdhsa_user_sgpr_kernarg_preload_offset 0
		.amdhsa_user_sgpr_private_segment_size 0
		.amdhsa_uses_dynamic_stack 0
		.amdhsa_system_sgpr_private_segment_wavefront_offset 0
		.amdhsa_system_sgpr_workgroup_id_x 1
		.amdhsa_system_sgpr_workgroup_id_y 0
		.amdhsa_system_sgpr_workgroup_id_z 0
		.amdhsa_system_sgpr_workgroup_info 0
		.amdhsa_system_vgpr_workitem_id 1
		.amdhsa_next_free_vgpr 12
		.amdhsa_next_free_sgpr 16
		.amdhsa_accum_offset 12
		.amdhsa_reserve_vcc 1
		.amdhsa_reserve_flat_scratch 0
		.amdhsa_float_round_mode_32 0
		.amdhsa_float_round_mode_16_64 0
		.amdhsa_float_denorm_mode_32 3
		.amdhsa_float_denorm_mode_16_64 3
		.amdhsa_dx10_clamp 1
		.amdhsa_ieee_mode 1
		.amdhsa_fp16_overflow 0
		.amdhsa_tg_split 0
		.amdhsa_exception_fp_ieee_invalid_op 0
		.amdhsa_exception_fp_denorm_src 0
		.amdhsa_exception_fp_ieee_div_zero 0
		.amdhsa_exception_fp_ieee_overflow 0
		.amdhsa_exception_fp_ieee_underflow 0
		.amdhsa_exception_fp_ieee_inexact 0
		.amdhsa_exception_int_div_zero 0
	.end_amdhsa_kernel
	.section	.text._ZN12_GLOBAL__N_120softmax_warp_forwardIN3c104HalfES2_fLi2ELb0ELb0ELi64EEEvPT0_PKT_iiiPKbib,"axG",@progbits,_ZN12_GLOBAL__N_120softmax_warp_forwardIN3c104HalfES2_fLi2ELb0ELb0ELi64EEEvPT0_PKT_iiiPKbib,comdat
.Lfunc_end410:
	.size	_ZN12_GLOBAL__N_120softmax_warp_forwardIN3c104HalfES2_fLi2ELb0ELb0ELi64EEEvPT0_PKT_iiiPKbib, .Lfunc_end410-_ZN12_GLOBAL__N_120softmax_warp_forwardIN3c104HalfES2_fLi2ELb0ELb0ELi64EEEvPT0_PKT_iiiPKbib
                                        ; -- End function
	.section	.AMDGPU.csdata,"",@progbits
; Kernel info:
; codeLenInByte = 1000
; NumSgprs: 20
; NumVgprs: 12
; NumAgprs: 0
; TotalNumVgprs: 12
; ScratchSize: 0
; MemoryBound: 0
; FloatMode: 240
; IeeeMode: 1
; LDSByteSize: 0 bytes/workgroup (compile time only)
; SGPRBlocks: 2
; VGPRBlocks: 1
; NumSGPRsForWavesPerEU: 20
; NumVGPRsForWavesPerEU: 12
; AccumOffset: 12
; Occupancy: 8
; WaveLimiterHint : 0
; COMPUTE_PGM_RSRC2:SCRATCH_EN: 0
; COMPUTE_PGM_RSRC2:USER_SGPR: 6
; COMPUTE_PGM_RSRC2:TRAP_HANDLER: 0
; COMPUTE_PGM_RSRC2:TGID_X_EN: 1
; COMPUTE_PGM_RSRC2:TGID_Y_EN: 0
; COMPUTE_PGM_RSRC2:TGID_Z_EN: 0
; COMPUTE_PGM_RSRC2:TIDIG_COMP_CNT: 1
; COMPUTE_PGM_RSRC3_GFX90A:ACCUM_OFFSET: 2
; COMPUTE_PGM_RSRC3_GFX90A:TG_SPLIT: 0
	.section	.text._ZN12_GLOBAL__N_120softmax_warp_forwardIN3c104HalfES2_fLi2ELb0ELb0ELi32EEEvPT0_PKT_iiiPKbib,"axG",@progbits,_ZN12_GLOBAL__N_120softmax_warp_forwardIN3c104HalfES2_fLi2ELb0ELb0ELi32EEEvPT0_PKT_iiiPKbib,comdat
	.globl	_ZN12_GLOBAL__N_120softmax_warp_forwardIN3c104HalfES2_fLi2ELb0ELb0ELi32EEEvPT0_PKT_iiiPKbib ; -- Begin function _ZN12_GLOBAL__N_120softmax_warp_forwardIN3c104HalfES2_fLi2ELb0ELb0ELi32EEEvPT0_PKT_iiiPKbib
	.p2align	8
	.type	_ZN12_GLOBAL__N_120softmax_warp_forwardIN3c104HalfES2_fLi2ELb0ELb0ELi32EEEvPT0_PKT_iiiPKbib,@function
_ZN12_GLOBAL__N_120softmax_warp_forwardIN3c104HalfES2_fLi2ELb0ELb0ELi32EEEvPT0_PKT_iiiPKbib: ; @_ZN12_GLOBAL__N_120softmax_warp_forwardIN3c104HalfES2_fLi2ELb0ELb0ELi32EEEvPT0_PKT_iiiPKbib
; %bb.0:
	s_load_dword s0, s[4:5], 0x3c
	s_load_dwordx8 s[8:15], s[4:5], 0x0
	v_bfe_u32 v1, v0, 10, 10
	v_and_b32_e32 v2, 0x3ff, v0
	s_waitcnt lgkmcnt(0)
	s_lshr_b32 s0, s0, 16
	s_mul_i32 s6, s6, s0
	v_add_lshl_u32 v1, s6, v1, 1
	v_sub_u32_e32 v10, s12, v1
	v_mad_u64_u32 v[0:1], s[0:1], v1, s13, v[2:3]
	v_ashrrev_i32_e32 v1, 31, v0
	v_lshlrev_b64 v[0:1], 1, v[0:1]
	v_mov_b32_e32 v3, s11
	v_add_co_u32_e32 v4, vcc, s10, v0
	v_addc_co_u32_e32 v5, vcc, v3, v1, vcc
	v_cmp_gt_i32_e64 s[0:1], s14, v2
	v_cmp_lt_i32_e32 vcc, 0, v10
	s_and_b64 s[4:5], s[0:1], vcc
	v_mov_b32_e32 v3, 0xff800000
	v_mov_b32_e32 v2, 0xff800000
	s_and_saveexec_b64 s[2:3], s[4:5]
	s_cbranch_execz .LBB411_2
; %bb.1:
	global_load_ushort v2, v[4:5], off
	s_waitcnt vmcnt(0)
	v_cvt_f32_f16_e32 v2, v2
.LBB411_2:
	s_or_b64 exec, exec, s[2:3]
	v_cmp_lt_i32_e64 s[2:3], 1, v10
	s_and_b64 s[2:3], s[0:1], s[2:3]
	s_and_saveexec_b64 s[4:5], s[2:3]
	s_cbranch_execz .LBB411_4
; %bb.3:
	s_mov_b32 s15, 0
	s_lshl_b64 s[2:3], s[14:15], 1
	v_mov_b32_e32 v3, s3
	v_add_co_u32_e64 v4, s[2:3], s2, v4
	v_addc_co_u32_e64 v5, s[2:3], v5, v3, s[2:3]
	global_load_ushort v3, v[4:5], off
	s_waitcnt vmcnt(0)
	v_cvt_f32_f16_e32 v3, v3
.LBB411_4:
	s_or_b64 exec, exec, s[4:5]
	v_mbcnt_lo_u32_b32 v4, -1, 0
	v_mbcnt_hi_u32_b32 v4, -1, v4
	v_and_b32_e32 v5, 0x7c, v4
	v_add_u32_e32 v5, 4, v5
	v_xor_b32_e32 v6, 2, v4
	v_cmp_lt_i32_e64 s[2:3], v6, v5
	v_cndmask_b32_e64 v6, v4, v6, s[2:3]
	v_lshlrev_b32_e32 v6, 2, v6
	ds_bpermute_b32 v8, v6, v3
	ds_bpermute_b32 v7, v6, v2
	v_xor_b32_e32 v9, 1, v4
	v_cmp_lt_i32_e64 s[2:3], v9, v5
	v_cndmask_b32_e64 v4, v4, v9, s[2:3]
	s_waitcnt lgkmcnt(1)
	v_cmp_lt_f32_e64 s[2:3], v3, v8
	v_lshlrev_b32_e32 v9, 2, v4
	v_cndmask_b32_e64 v4, v3, v8, s[2:3]
	s_waitcnt lgkmcnt(0)
	v_cmp_lt_f32_e64 s[2:3], v2, v7
	ds_bpermute_b32 v5, v9, v4
	v_cndmask_b32_e64 v7, v2, v7, s[2:3]
	ds_bpermute_b32 v8, v9, v7
	s_mov_b32 s4, 0x3fb8aa3b
	s_mov_b32 s5, 0xc2ce8ed0
	s_waitcnt lgkmcnt(1)
	v_cmp_lt_f32_e64 s[2:3], v4, v5
	v_cndmask_b32_e64 v5, v4, v5, s[2:3]
	s_waitcnt lgkmcnt(0)
	v_cmp_lt_f32_e64 s[2:3], v7, v8
	v_cndmask_b32_e64 v4, v7, v8, s[2:3]
	v_pk_add_f32 v[2:3], v[2:3], v[4:5] neg_lo:[0,1] neg_hi:[0,1]
	v_mul_f32_e32 v4, 0x3fb8aa3b, v3
	v_fma_f32 v5, v3, s4, -v4
	v_rndne_f32_e32 v7, v4
	v_fmac_f32_e32 v5, 0x32a5705f, v3
	v_sub_f32_e32 v4, v4, v7
	v_add_f32_e32 v4, v4, v5
	v_exp_f32_e32 v4, v4
	v_cvt_i32_f32_e32 v5, v7
	v_cmp_ngt_f32_e64 s[2:3], s5, v3
	s_mov_b32 s6, 0x42b17218
	v_ldexp_f32 v4, v4, v5
	v_mul_f32_e32 v5, 0x3fb8aa3b, v2
	v_fma_f32 v7, v2, s4, -v5
	v_rndne_f32_e32 v8, v5
	v_fmac_f32_e32 v7, 0x32a5705f, v2
	v_sub_f32_e32 v5, v5, v8
	v_add_f32_e32 v5, v5, v7
	v_exp_f32_e32 v5, v5
	v_cvt_i32_f32_e32 v7, v8
	v_cndmask_b32_e64 v4, 0, v4, s[2:3]
	v_mov_b32_e32 v8, 0x7f800000
	v_cmp_nlt_f32_e64 s[2:3], s6, v3
	v_cndmask_b32_e64 v3, v8, v4, s[2:3]
	v_ldexp_f32 v4, v5, v7
	v_cmp_ngt_f32_e64 s[2:3], s5, v2
	v_cndmask_b32_e64 v4, 0, v4, s[2:3]
	v_cmp_nlt_f32_e64 s[2:3], s6, v2
	v_cndmask_b32_e64 v2, v8, v4, s[2:3]
	ds_bpermute_b32 v4, v6, v2
	ds_bpermute_b32 v5, v6, v3
	s_waitcnt lgkmcnt(0)
	v_pk_add_f32 v[6:7], v[2:3], v[4:5]
	ds_bpermute_b32 v8, v9, v6
	ds_bpermute_b32 v9, v9, v7
	s_and_saveexec_b64 s[2:3], vcc
	s_cbranch_execz .LBB411_16
; %bb.5:
	v_mov_b32_e32 v5, s9
	v_add_co_u32_e32 v4, vcc, s8, v0
	v_addc_co_u32_e32 v5, vcc, v5, v1, vcc
	s_waitcnt lgkmcnt(0)
	v_pk_add_f32 v[0:1], v[6:7], v[8:9]
	s_and_saveexec_b64 s[2:3], s[0:1]
	s_cbranch_execz .LBB411_10
; %bb.6:
	v_cmp_neq_f32_e32 vcc, 0, v0
	s_and_saveexec_b64 s[4:5], vcc
	s_xor_b64 s[4:5], exec, s[4:5]
	s_cbranch_execz .LBB411_8
; %bb.7:
	v_div_scale_f32 v6, s[6:7], v0, v0, v2
	v_rcp_f32_e32 v7, v6
	v_div_scale_f32 v8, vcc, v2, v0, v2
	v_fma_f32 v9, -v6, v7, 1.0
	v_fmac_f32_e32 v7, v9, v7
	v_mul_f32_e32 v9, v8, v7
	v_fma_f32 v11, -v6, v9, v8
	v_fmac_f32_e32 v9, v11, v7
	v_fma_f32 v6, -v6, v9, v8
	v_div_fmas_f32 v6, v6, v7, v9
	v_div_fixup_f32 v0, v6, v0, v2
	v_cvt_f16_f32_e32 v0, v0
	global_store_short v[4:5], v0, off
.LBB411_8:
	s_andn2_saveexec_b64 s[4:5], s[4:5]
	s_cbranch_execz .LBB411_10
; %bb.9:
	v_mov_b32_e32 v0, 0x7e00
	global_store_short v[4:5], v0, off
.LBB411_10:
	s_or_b64 exec, exec, s[2:3]
	v_cmp_ne_u32_e32 vcc, 1, v10
	s_and_b64 exec, exec, vcc
	s_cbranch_execz .LBB411_16
; %bb.11:
	s_and_b64 exec, exec, s[0:1]
	s_cbranch_execz .LBB411_16
; %bb.12:
	s_mov_b32 s15, 0
	s_lshl_b64 s[0:1], s[14:15], 1
	v_mov_b32_e32 v0, s1
	v_add_co_u32_e64 v4, s[0:1], s0, v4
	v_cmp_neq_f32_e32 vcc, 0, v1
	v_addc_co_u32_e64 v5, s[0:1], v5, v0, s[0:1]
	s_and_saveexec_b64 s[0:1], vcc
	s_xor_b64 s[0:1], exec, s[0:1]
	s_cbranch_execz .LBB411_14
; %bb.13:
	v_div_scale_f32 v0, s[2:3], v1, v1, v3
	v_rcp_f32_e32 v2, v0
	v_div_scale_f32 v6, vcc, v3, v1, v3
	v_fma_f32 v7, -v0, v2, 1.0
	v_fmac_f32_e32 v2, v7, v2
	v_mul_f32_e32 v7, v6, v2
	v_fma_f32 v8, -v0, v7, v6
	v_fmac_f32_e32 v7, v8, v2
	v_fma_f32 v0, -v0, v7, v6
	v_div_fmas_f32 v0, v0, v2, v7
	v_div_fixup_f32 v0, v0, v1, v3
	v_cvt_f16_f32_e32 v0, v0
	global_store_short v[4:5], v0, off
                                        ; implicit-def: $vgpr4_vgpr5
.LBB411_14:
	s_andn2_saveexec_b64 s[0:1], s[0:1]
	s_cbranch_execz .LBB411_16
; %bb.15:
	v_mov_b32_e32 v0, 0x7e00
	global_store_short v[4:5], v0, off
.LBB411_16:
	s_endpgm
	.section	.rodata,"a",@progbits
	.p2align	6, 0x0
	.amdhsa_kernel _ZN12_GLOBAL__N_120softmax_warp_forwardIN3c104HalfES2_fLi2ELb0ELb0ELi32EEEvPT0_PKT_iiiPKbib
		.amdhsa_group_segment_fixed_size 0
		.amdhsa_private_segment_fixed_size 0
		.amdhsa_kernarg_size 304
		.amdhsa_user_sgpr_count 6
		.amdhsa_user_sgpr_private_segment_buffer 1
		.amdhsa_user_sgpr_dispatch_ptr 0
		.amdhsa_user_sgpr_queue_ptr 0
		.amdhsa_user_sgpr_kernarg_segment_ptr 1
		.amdhsa_user_sgpr_dispatch_id 0
		.amdhsa_user_sgpr_flat_scratch_init 0
		.amdhsa_user_sgpr_kernarg_preload_length 0
		.amdhsa_user_sgpr_kernarg_preload_offset 0
		.amdhsa_user_sgpr_private_segment_size 0
		.amdhsa_uses_dynamic_stack 0
		.amdhsa_system_sgpr_private_segment_wavefront_offset 0
		.amdhsa_system_sgpr_workgroup_id_x 1
		.amdhsa_system_sgpr_workgroup_id_y 0
		.amdhsa_system_sgpr_workgroup_id_z 0
		.amdhsa_system_sgpr_workgroup_info 0
		.amdhsa_system_vgpr_workitem_id 1
		.amdhsa_next_free_vgpr 12
		.amdhsa_next_free_sgpr 16
		.amdhsa_accum_offset 12
		.amdhsa_reserve_vcc 1
		.amdhsa_reserve_flat_scratch 0
		.amdhsa_float_round_mode_32 0
		.amdhsa_float_round_mode_16_64 0
		.amdhsa_float_denorm_mode_32 3
		.amdhsa_float_denorm_mode_16_64 3
		.amdhsa_dx10_clamp 1
		.amdhsa_ieee_mode 1
		.amdhsa_fp16_overflow 0
		.amdhsa_tg_split 0
		.amdhsa_exception_fp_ieee_invalid_op 0
		.amdhsa_exception_fp_denorm_src 0
		.amdhsa_exception_fp_ieee_div_zero 0
		.amdhsa_exception_fp_ieee_overflow 0
		.amdhsa_exception_fp_ieee_underflow 0
		.amdhsa_exception_fp_ieee_inexact 0
		.amdhsa_exception_int_div_zero 0
	.end_amdhsa_kernel
	.section	.text._ZN12_GLOBAL__N_120softmax_warp_forwardIN3c104HalfES2_fLi2ELb0ELb0ELi32EEEvPT0_PKT_iiiPKbib,"axG",@progbits,_ZN12_GLOBAL__N_120softmax_warp_forwardIN3c104HalfES2_fLi2ELb0ELb0ELi32EEEvPT0_PKT_iiiPKbib,comdat
.Lfunc_end411:
	.size	_ZN12_GLOBAL__N_120softmax_warp_forwardIN3c104HalfES2_fLi2ELb0ELb0ELi32EEEvPT0_PKT_iiiPKbib, .Lfunc_end411-_ZN12_GLOBAL__N_120softmax_warp_forwardIN3c104HalfES2_fLi2ELb0ELb0ELi32EEEvPT0_PKT_iiiPKbib
                                        ; -- End function
	.section	.AMDGPU.csdata,"",@progbits
; Kernel info:
; codeLenInByte = 1000
; NumSgprs: 20
; NumVgprs: 12
; NumAgprs: 0
; TotalNumVgprs: 12
; ScratchSize: 0
; MemoryBound: 0
; FloatMode: 240
; IeeeMode: 1
; LDSByteSize: 0 bytes/workgroup (compile time only)
; SGPRBlocks: 2
; VGPRBlocks: 1
; NumSGPRsForWavesPerEU: 20
; NumVGPRsForWavesPerEU: 12
; AccumOffset: 12
; Occupancy: 8
; WaveLimiterHint : 0
; COMPUTE_PGM_RSRC2:SCRATCH_EN: 0
; COMPUTE_PGM_RSRC2:USER_SGPR: 6
; COMPUTE_PGM_RSRC2:TRAP_HANDLER: 0
; COMPUTE_PGM_RSRC2:TGID_X_EN: 1
; COMPUTE_PGM_RSRC2:TGID_Y_EN: 0
; COMPUTE_PGM_RSRC2:TGID_Z_EN: 0
; COMPUTE_PGM_RSRC2:TIDIG_COMP_CNT: 1
; COMPUTE_PGM_RSRC3_GFX90A:ACCUM_OFFSET: 2
; COMPUTE_PGM_RSRC3_GFX90A:TG_SPLIT: 0
	.section	.text._ZN12_GLOBAL__N_120softmax_warp_forwardIN3c104HalfES2_fLi3ELb0ELb0ELi64EEEvPT0_PKT_iiiPKbib,"axG",@progbits,_ZN12_GLOBAL__N_120softmax_warp_forwardIN3c104HalfES2_fLi3ELb0ELb0ELi64EEEvPT0_PKT_iiiPKbib,comdat
	.globl	_ZN12_GLOBAL__N_120softmax_warp_forwardIN3c104HalfES2_fLi3ELb0ELb0ELi64EEEvPT0_PKT_iiiPKbib ; -- Begin function _ZN12_GLOBAL__N_120softmax_warp_forwardIN3c104HalfES2_fLi3ELb0ELb0ELi64EEEvPT0_PKT_iiiPKbib
	.p2align	8
	.type	_ZN12_GLOBAL__N_120softmax_warp_forwardIN3c104HalfES2_fLi3ELb0ELb0ELi64EEEvPT0_PKT_iiiPKbib,@function
_ZN12_GLOBAL__N_120softmax_warp_forwardIN3c104HalfES2_fLi3ELb0ELb0ELi64EEEvPT0_PKT_iiiPKbib: ; @_ZN12_GLOBAL__N_120softmax_warp_forwardIN3c104HalfES2_fLi3ELb0ELb0ELi64EEEvPT0_PKT_iiiPKbib
; %bb.0:
	s_load_dword s0, s[4:5], 0x3c
	s_load_dwordx8 s[8:15], s[4:5], 0x0
	v_bfe_u32 v1, v0, 10, 10
	v_and_b32_e32 v2, 0x3ff, v0
	s_waitcnt lgkmcnt(0)
	s_lshr_b32 s0, s0, 16
	s_mul_i32 s6, s6, s0
	v_add_lshl_u32 v1, s6, v1, 1
	v_sub_u32_e32 v10, s12, v1
	v_mad_u64_u32 v[0:1], s[0:1], v1, s13, v[2:3]
	v_ashrrev_i32_e32 v1, 31, v0
	v_lshlrev_b64 v[0:1], 1, v[0:1]
	v_mov_b32_e32 v3, s11
	v_add_co_u32_e32 v4, vcc, s10, v0
	v_addc_co_u32_e32 v5, vcc, v3, v1, vcc
	v_cmp_gt_i32_e64 s[0:1], s14, v2
	v_cmp_lt_i32_e32 vcc, 0, v10
	s_and_b64 s[4:5], s[0:1], vcc
	v_mov_b32_e32 v3, 0xff800000
	v_mov_b32_e32 v2, 0xff800000
	s_and_saveexec_b64 s[2:3], s[4:5]
	s_cbranch_execz .LBB412_2
; %bb.1:
	global_load_ushort v2, v[4:5], off
	s_waitcnt vmcnt(0)
	v_cvt_f32_f16_e32 v2, v2
.LBB412_2:
	s_or_b64 exec, exec, s[2:3]
	v_cmp_lt_i32_e64 s[2:3], 1, v10
	s_and_b64 s[2:3], s[0:1], s[2:3]
	s_and_saveexec_b64 s[4:5], s[2:3]
	s_cbranch_execz .LBB412_4
; %bb.3:
	s_mov_b32 s15, 0
	s_lshl_b64 s[2:3], s[14:15], 1
	v_mov_b32_e32 v3, s3
	v_add_co_u32_e64 v4, s[2:3], s2, v4
	v_addc_co_u32_e64 v5, s[2:3], v5, v3, s[2:3]
	global_load_ushort v3, v[4:5], off
	s_waitcnt vmcnt(0)
	v_cvt_f32_f16_e32 v3, v3
.LBB412_4:
	s_or_b64 exec, exec, s[4:5]
	v_mbcnt_lo_u32_b32 v4, -1, 0
	v_mbcnt_hi_u32_b32 v4, -1, v4
	v_and_b32_e32 v5, 0x78, v4
	v_add_u32_e32 v5, 8, v5
	v_xor_b32_e32 v6, 4, v4
	v_cmp_lt_i32_e64 s[2:3], v6, v5
	v_cndmask_b32_e64 v6, v4, v6, s[2:3]
	v_lshlrev_b32_e32 v6, 2, v6
	ds_bpermute_b32 v8, v6, v3
	ds_bpermute_b32 v7, v6, v2
	v_xor_b32_e32 v9, 2, v4
	v_cmp_lt_i32_e64 s[2:3], v9, v5
	v_xor_b32_e32 v11, 1, v4
	v_cndmask_b32_e64 v9, v4, v9, s[2:3]
	v_cmp_lt_i32_e64 s[2:3], v11, v5
	v_cndmask_b32_e64 v4, v4, v11, s[2:3]
	s_waitcnt lgkmcnt(1)
	v_cmp_lt_f32_e64 s[2:3], v3, v8
	v_lshlrev_b32_e32 v9, 2, v9
	v_cndmask_b32_e64 v5, v3, v8, s[2:3]
	s_waitcnt lgkmcnt(0)
	v_cmp_lt_f32_e64 s[2:3], v2, v7
	ds_bpermute_b32 v8, v9, v5
	v_cndmask_b32_e64 v7, v2, v7, s[2:3]
	ds_bpermute_b32 v11, v9, v7
	v_lshlrev_b32_e32 v12, 2, v4
	s_mov_b32 s4, 0x3fb8aa3b
	s_waitcnt lgkmcnt(1)
	v_cmp_lt_f32_e64 s[2:3], v5, v8
	v_cndmask_b32_e64 v4, v5, v8, s[2:3]
	s_waitcnt lgkmcnt(0)
	v_cmp_lt_f32_e64 s[2:3], v7, v11
	ds_bpermute_b32 v5, v12, v4
	v_cndmask_b32_e64 v7, v7, v11, s[2:3]
	ds_bpermute_b32 v8, v12, v7
	s_mov_b32 s5, 0xc2ce8ed0
	s_mov_b32 s6, 0x42b17218
	s_waitcnt lgkmcnt(1)
	v_cmp_lt_f32_e64 s[2:3], v4, v5
	v_cndmask_b32_e64 v5, v4, v5, s[2:3]
	s_waitcnt lgkmcnt(0)
	v_cmp_lt_f32_e64 s[2:3], v7, v8
	v_cndmask_b32_e64 v4, v7, v8, s[2:3]
	v_pk_add_f32 v[2:3], v[2:3], v[4:5] neg_lo:[0,1] neg_hi:[0,1]
	v_mul_f32_e32 v4, 0x3fb8aa3b, v3
	v_fma_f32 v5, v3, s4, -v4
	v_rndne_f32_e32 v7, v4
	v_fmac_f32_e32 v5, 0x32a5705f, v3
	v_sub_f32_e32 v4, v4, v7
	v_add_f32_e32 v4, v4, v5
	v_exp_f32_e32 v4, v4
	v_cvt_i32_f32_e32 v5, v7
	v_cmp_ngt_f32_e64 s[2:3], s5, v3
	v_ldexp_f32 v4, v4, v5
	v_mul_f32_e32 v5, 0x3fb8aa3b, v2
	v_fma_f32 v7, v2, s4, -v5
	v_rndne_f32_e32 v8, v5
	v_fmac_f32_e32 v7, 0x32a5705f, v2
	v_sub_f32_e32 v5, v5, v8
	v_add_f32_e32 v5, v5, v7
	v_exp_f32_e32 v5, v5
	v_cvt_i32_f32_e32 v7, v8
	v_cndmask_b32_e64 v4, 0, v4, s[2:3]
	v_mov_b32_e32 v8, 0x7f800000
	v_cmp_nlt_f32_e64 s[2:3], s6, v3
	v_cndmask_b32_e64 v3, v8, v4, s[2:3]
	v_ldexp_f32 v4, v5, v7
	v_cmp_ngt_f32_e64 s[2:3], s5, v2
	v_cndmask_b32_e64 v4, 0, v4, s[2:3]
	v_cmp_nlt_f32_e64 s[2:3], s6, v2
	v_cndmask_b32_e64 v2, v8, v4, s[2:3]
	ds_bpermute_b32 v4, v6, v2
	ds_bpermute_b32 v5, v6, v3
	s_waitcnt lgkmcnt(0)
	v_pk_add_f32 v[4:5], v[2:3], v[4:5]
	ds_bpermute_b32 v6, v9, v4
	ds_bpermute_b32 v7, v9, v5
	s_waitcnt lgkmcnt(0)
	v_pk_add_f32 v[6:7], v[4:5], v[6:7]
	ds_bpermute_b32 v8, v12, v6
	ds_bpermute_b32 v9, v12, v7
	s_and_saveexec_b64 s[2:3], vcc
	s_cbranch_execz .LBB412_16
; %bb.5:
	v_mov_b32_e32 v5, s9
	v_add_co_u32_e32 v4, vcc, s8, v0
	v_addc_co_u32_e32 v5, vcc, v5, v1, vcc
	s_waitcnt lgkmcnt(0)
	v_pk_add_f32 v[0:1], v[6:7], v[8:9]
	s_and_saveexec_b64 s[2:3], s[0:1]
	s_cbranch_execz .LBB412_10
; %bb.6:
	v_cmp_neq_f32_e32 vcc, 0, v0
	s_and_saveexec_b64 s[4:5], vcc
	s_xor_b64 s[4:5], exec, s[4:5]
	s_cbranch_execz .LBB412_8
; %bb.7:
	v_div_scale_f32 v6, s[6:7], v0, v0, v2
	v_rcp_f32_e32 v7, v6
	v_div_scale_f32 v8, vcc, v2, v0, v2
	v_fma_f32 v9, -v6, v7, 1.0
	v_fmac_f32_e32 v7, v9, v7
	v_mul_f32_e32 v9, v8, v7
	v_fma_f32 v11, -v6, v9, v8
	v_fmac_f32_e32 v9, v11, v7
	v_fma_f32 v6, -v6, v9, v8
	v_div_fmas_f32 v6, v6, v7, v9
	v_div_fixup_f32 v0, v6, v0, v2
	v_cvt_f16_f32_e32 v0, v0
	global_store_short v[4:5], v0, off
.LBB412_8:
	s_andn2_saveexec_b64 s[4:5], s[4:5]
	s_cbranch_execz .LBB412_10
; %bb.9:
	v_mov_b32_e32 v0, 0x7e00
	global_store_short v[4:5], v0, off
.LBB412_10:
	s_or_b64 exec, exec, s[2:3]
	v_cmp_ne_u32_e32 vcc, 1, v10
	s_and_b64 exec, exec, vcc
	s_cbranch_execz .LBB412_16
; %bb.11:
	s_and_b64 exec, exec, s[0:1]
	s_cbranch_execz .LBB412_16
; %bb.12:
	s_mov_b32 s15, 0
	s_lshl_b64 s[0:1], s[14:15], 1
	v_mov_b32_e32 v0, s1
	v_add_co_u32_e64 v4, s[0:1], s0, v4
	v_cmp_neq_f32_e32 vcc, 0, v1
	v_addc_co_u32_e64 v5, s[0:1], v5, v0, s[0:1]
	s_and_saveexec_b64 s[0:1], vcc
	s_xor_b64 s[0:1], exec, s[0:1]
	s_cbranch_execz .LBB412_14
; %bb.13:
	v_div_scale_f32 v0, s[2:3], v1, v1, v3
	v_rcp_f32_e32 v2, v0
	v_div_scale_f32 v6, vcc, v3, v1, v3
	v_fma_f32 v7, -v0, v2, 1.0
	v_fmac_f32_e32 v2, v7, v2
	v_mul_f32_e32 v7, v6, v2
	v_fma_f32 v8, -v0, v7, v6
	v_fmac_f32_e32 v7, v8, v2
	v_fma_f32 v0, -v0, v7, v6
	v_div_fmas_f32 v0, v0, v2, v7
	v_div_fixup_f32 v0, v0, v1, v3
	v_cvt_f16_f32_e32 v0, v0
	global_store_short v[4:5], v0, off
                                        ; implicit-def: $vgpr4_vgpr5
.LBB412_14:
	s_andn2_saveexec_b64 s[0:1], s[0:1]
	s_cbranch_execz .LBB412_16
; %bb.15:
	v_mov_b32_e32 v0, 0x7e00
	global_store_short v[4:5], v0, off
.LBB412_16:
	s_endpgm
	.section	.rodata,"a",@progbits
	.p2align	6, 0x0
	.amdhsa_kernel _ZN12_GLOBAL__N_120softmax_warp_forwardIN3c104HalfES2_fLi3ELb0ELb0ELi64EEEvPT0_PKT_iiiPKbib
		.amdhsa_group_segment_fixed_size 0
		.amdhsa_private_segment_fixed_size 0
		.amdhsa_kernarg_size 304
		.amdhsa_user_sgpr_count 6
		.amdhsa_user_sgpr_private_segment_buffer 1
		.amdhsa_user_sgpr_dispatch_ptr 0
		.amdhsa_user_sgpr_queue_ptr 0
		.amdhsa_user_sgpr_kernarg_segment_ptr 1
		.amdhsa_user_sgpr_dispatch_id 0
		.amdhsa_user_sgpr_flat_scratch_init 0
		.amdhsa_user_sgpr_kernarg_preload_length 0
		.amdhsa_user_sgpr_kernarg_preload_offset 0
		.amdhsa_user_sgpr_private_segment_size 0
		.amdhsa_uses_dynamic_stack 0
		.amdhsa_system_sgpr_private_segment_wavefront_offset 0
		.amdhsa_system_sgpr_workgroup_id_x 1
		.amdhsa_system_sgpr_workgroup_id_y 0
		.amdhsa_system_sgpr_workgroup_id_z 0
		.amdhsa_system_sgpr_workgroup_info 0
		.amdhsa_system_vgpr_workitem_id 1
		.amdhsa_next_free_vgpr 13
		.amdhsa_next_free_sgpr 16
		.amdhsa_accum_offset 16
		.amdhsa_reserve_vcc 1
		.amdhsa_reserve_flat_scratch 0
		.amdhsa_float_round_mode_32 0
		.amdhsa_float_round_mode_16_64 0
		.amdhsa_float_denorm_mode_32 3
		.amdhsa_float_denorm_mode_16_64 3
		.amdhsa_dx10_clamp 1
		.amdhsa_ieee_mode 1
		.amdhsa_fp16_overflow 0
		.amdhsa_tg_split 0
		.amdhsa_exception_fp_ieee_invalid_op 0
		.amdhsa_exception_fp_denorm_src 0
		.amdhsa_exception_fp_ieee_div_zero 0
		.amdhsa_exception_fp_ieee_overflow 0
		.amdhsa_exception_fp_ieee_underflow 0
		.amdhsa_exception_fp_ieee_inexact 0
		.amdhsa_exception_int_div_zero 0
	.end_amdhsa_kernel
	.section	.text._ZN12_GLOBAL__N_120softmax_warp_forwardIN3c104HalfES2_fLi3ELb0ELb0ELi64EEEvPT0_PKT_iiiPKbib,"axG",@progbits,_ZN12_GLOBAL__N_120softmax_warp_forwardIN3c104HalfES2_fLi3ELb0ELb0ELi64EEEvPT0_PKT_iiiPKbib,comdat
.Lfunc_end412:
	.size	_ZN12_GLOBAL__N_120softmax_warp_forwardIN3c104HalfES2_fLi3ELb0ELb0ELi64EEEvPT0_PKT_iiiPKbib, .Lfunc_end412-_ZN12_GLOBAL__N_120softmax_warp_forwardIN3c104HalfES2_fLi3ELb0ELb0ELi64EEEvPT0_PKT_iiiPKbib
                                        ; -- End function
	.section	.AMDGPU.csdata,"",@progbits
; Kernel info:
; codeLenInByte = 1108
; NumSgprs: 20
; NumVgprs: 13
; NumAgprs: 0
; TotalNumVgprs: 13
; ScratchSize: 0
; MemoryBound: 0
; FloatMode: 240
; IeeeMode: 1
; LDSByteSize: 0 bytes/workgroup (compile time only)
; SGPRBlocks: 2
; VGPRBlocks: 1
; NumSGPRsForWavesPerEU: 20
; NumVGPRsForWavesPerEU: 13
; AccumOffset: 16
; Occupancy: 8
; WaveLimiterHint : 0
; COMPUTE_PGM_RSRC2:SCRATCH_EN: 0
; COMPUTE_PGM_RSRC2:USER_SGPR: 6
; COMPUTE_PGM_RSRC2:TRAP_HANDLER: 0
; COMPUTE_PGM_RSRC2:TGID_X_EN: 1
; COMPUTE_PGM_RSRC2:TGID_Y_EN: 0
; COMPUTE_PGM_RSRC2:TGID_Z_EN: 0
; COMPUTE_PGM_RSRC2:TIDIG_COMP_CNT: 1
; COMPUTE_PGM_RSRC3_GFX90A:ACCUM_OFFSET: 3
; COMPUTE_PGM_RSRC3_GFX90A:TG_SPLIT: 0
	.section	.text._ZN12_GLOBAL__N_120softmax_warp_forwardIN3c104HalfES2_fLi3ELb0ELb0ELi32EEEvPT0_PKT_iiiPKbib,"axG",@progbits,_ZN12_GLOBAL__N_120softmax_warp_forwardIN3c104HalfES2_fLi3ELb0ELb0ELi32EEEvPT0_PKT_iiiPKbib,comdat
	.globl	_ZN12_GLOBAL__N_120softmax_warp_forwardIN3c104HalfES2_fLi3ELb0ELb0ELi32EEEvPT0_PKT_iiiPKbib ; -- Begin function _ZN12_GLOBAL__N_120softmax_warp_forwardIN3c104HalfES2_fLi3ELb0ELb0ELi32EEEvPT0_PKT_iiiPKbib
	.p2align	8
	.type	_ZN12_GLOBAL__N_120softmax_warp_forwardIN3c104HalfES2_fLi3ELb0ELb0ELi32EEEvPT0_PKT_iiiPKbib,@function
_ZN12_GLOBAL__N_120softmax_warp_forwardIN3c104HalfES2_fLi3ELb0ELb0ELi32EEEvPT0_PKT_iiiPKbib: ; @_ZN12_GLOBAL__N_120softmax_warp_forwardIN3c104HalfES2_fLi3ELb0ELb0ELi32EEEvPT0_PKT_iiiPKbib
; %bb.0:
	s_load_dword s0, s[4:5], 0x3c
	s_load_dwordx8 s[8:15], s[4:5], 0x0
	v_bfe_u32 v1, v0, 10, 10
	v_and_b32_e32 v2, 0x3ff, v0
	s_waitcnt lgkmcnt(0)
	s_lshr_b32 s0, s0, 16
	s_mul_i32 s6, s6, s0
	v_add_lshl_u32 v1, s6, v1, 1
	v_sub_u32_e32 v10, s12, v1
	v_mad_u64_u32 v[0:1], s[0:1], v1, s13, v[2:3]
	v_ashrrev_i32_e32 v1, 31, v0
	v_lshlrev_b64 v[0:1], 1, v[0:1]
	v_mov_b32_e32 v3, s11
	v_add_co_u32_e32 v4, vcc, s10, v0
	v_addc_co_u32_e32 v5, vcc, v3, v1, vcc
	v_cmp_gt_i32_e64 s[0:1], s14, v2
	v_cmp_lt_i32_e32 vcc, 0, v10
	s_and_b64 s[4:5], s[0:1], vcc
	v_mov_b32_e32 v3, 0xff800000
	v_mov_b32_e32 v2, 0xff800000
	s_and_saveexec_b64 s[2:3], s[4:5]
	s_cbranch_execz .LBB413_2
; %bb.1:
	global_load_ushort v2, v[4:5], off
	s_waitcnt vmcnt(0)
	v_cvt_f32_f16_e32 v2, v2
.LBB413_2:
	s_or_b64 exec, exec, s[2:3]
	v_cmp_lt_i32_e64 s[2:3], 1, v10
	s_and_b64 s[2:3], s[0:1], s[2:3]
	s_and_saveexec_b64 s[4:5], s[2:3]
	s_cbranch_execz .LBB413_4
; %bb.3:
	s_mov_b32 s15, 0
	s_lshl_b64 s[2:3], s[14:15], 1
	v_mov_b32_e32 v3, s3
	v_add_co_u32_e64 v4, s[2:3], s2, v4
	v_addc_co_u32_e64 v5, s[2:3], v5, v3, s[2:3]
	global_load_ushort v3, v[4:5], off
	s_waitcnt vmcnt(0)
	v_cvt_f32_f16_e32 v3, v3
.LBB413_4:
	s_or_b64 exec, exec, s[4:5]
	v_mbcnt_lo_u32_b32 v4, -1, 0
	v_mbcnt_hi_u32_b32 v4, -1, v4
	v_and_b32_e32 v5, 0x78, v4
	v_add_u32_e32 v5, 8, v5
	v_xor_b32_e32 v6, 4, v4
	v_cmp_lt_i32_e64 s[2:3], v6, v5
	v_cndmask_b32_e64 v6, v4, v6, s[2:3]
	v_lshlrev_b32_e32 v6, 2, v6
	ds_bpermute_b32 v8, v6, v3
	ds_bpermute_b32 v7, v6, v2
	v_xor_b32_e32 v9, 2, v4
	v_cmp_lt_i32_e64 s[2:3], v9, v5
	v_xor_b32_e32 v11, 1, v4
	v_cndmask_b32_e64 v9, v4, v9, s[2:3]
	v_cmp_lt_i32_e64 s[2:3], v11, v5
	v_cndmask_b32_e64 v4, v4, v11, s[2:3]
	s_waitcnt lgkmcnt(1)
	v_cmp_lt_f32_e64 s[2:3], v3, v8
	v_lshlrev_b32_e32 v9, 2, v9
	v_cndmask_b32_e64 v5, v3, v8, s[2:3]
	s_waitcnt lgkmcnt(0)
	v_cmp_lt_f32_e64 s[2:3], v2, v7
	ds_bpermute_b32 v8, v9, v5
	v_cndmask_b32_e64 v7, v2, v7, s[2:3]
	ds_bpermute_b32 v11, v9, v7
	v_lshlrev_b32_e32 v12, 2, v4
	s_mov_b32 s4, 0x3fb8aa3b
	s_waitcnt lgkmcnt(1)
	v_cmp_lt_f32_e64 s[2:3], v5, v8
	v_cndmask_b32_e64 v4, v5, v8, s[2:3]
	s_waitcnt lgkmcnt(0)
	v_cmp_lt_f32_e64 s[2:3], v7, v11
	ds_bpermute_b32 v5, v12, v4
	v_cndmask_b32_e64 v7, v7, v11, s[2:3]
	ds_bpermute_b32 v8, v12, v7
	s_mov_b32 s5, 0xc2ce8ed0
	s_mov_b32 s6, 0x42b17218
	s_waitcnt lgkmcnt(1)
	v_cmp_lt_f32_e64 s[2:3], v4, v5
	v_cndmask_b32_e64 v5, v4, v5, s[2:3]
	s_waitcnt lgkmcnt(0)
	v_cmp_lt_f32_e64 s[2:3], v7, v8
	v_cndmask_b32_e64 v4, v7, v8, s[2:3]
	v_pk_add_f32 v[2:3], v[2:3], v[4:5] neg_lo:[0,1] neg_hi:[0,1]
	v_mul_f32_e32 v4, 0x3fb8aa3b, v3
	v_fma_f32 v5, v3, s4, -v4
	v_rndne_f32_e32 v7, v4
	v_fmac_f32_e32 v5, 0x32a5705f, v3
	v_sub_f32_e32 v4, v4, v7
	v_add_f32_e32 v4, v4, v5
	v_exp_f32_e32 v4, v4
	v_cvt_i32_f32_e32 v5, v7
	v_cmp_ngt_f32_e64 s[2:3], s5, v3
	v_ldexp_f32 v4, v4, v5
	v_mul_f32_e32 v5, 0x3fb8aa3b, v2
	v_fma_f32 v7, v2, s4, -v5
	v_rndne_f32_e32 v8, v5
	v_fmac_f32_e32 v7, 0x32a5705f, v2
	v_sub_f32_e32 v5, v5, v8
	v_add_f32_e32 v5, v5, v7
	v_exp_f32_e32 v5, v5
	v_cvt_i32_f32_e32 v7, v8
	v_cndmask_b32_e64 v4, 0, v4, s[2:3]
	v_mov_b32_e32 v8, 0x7f800000
	v_cmp_nlt_f32_e64 s[2:3], s6, v3
	v_cndmask_b32_e64 v3, v8, v4, s[2:3]
	v_ldexp_f32 v4, v5, v7
	v_cmp_ngt_f32_e64 s[2:3], s5, v2
	v_cndmask_b32_e64 v4, 0, v4, s[2:3]
	v_cmp_nlt_f32_e64 s[2:3], s6, v2
	v_cndmask_b32_e64 v2, v8, v4, s[2:3]
	ds_bpermute_b32 v4, v6, v2
	ds_bpermute_b32 v5, v6, v3
	s_waitcnt lgkmcnt(0)
	v_pk_add_f32 v[4:5], v[2:3], v[4:5]
	ds_bpermute_b32 v6, v9, v4
	ds_bpermute_b32 v7, v9, v5
	s_waitcnt lgkmcnt(0)
	v_pk_add_f32 v[6:7], v[4:5], v[6:7]
	ds_bpermute_b32 v8, v12, v6
	ds_bpermute_b32 v9, v12, v7
	s_and_saveexec_b64 s[2:3], vcc
	s_cbranch_execz .LBB413_16
; %bb.5:
	v_mov_b32_e32 v5, s9
	v_add_co_u32_e32 v4, vcc, s8, v0
	v_addc_co_u32_e32 v5, vcc, v5, v1, vcc
	s_waitcnt lgkmcnt(0)
	v_pk_add_f32 v[0:1], v[6:7], v[8:9]
	s_and_saveexec_b64 s[2:3], s[0:1]
	s_cbranch_execz .LBB413_10
; %bb.6:
	v_cmp_neq_f32_e32 vcc, 0, v0
	s_and_saveexec_b64 s[4:5], vcc
	s_xor_b64 s[4:5], exec, s[4:5]
	s_cbranch_execz .LBB413_8
; %bb.7:
	v_div_scale_f32 v6, s[6:7], v0, v0, v2
	v_rcp_f32_e32 v7, v6
	v_div_scale_f32 v8, vcc, v2, v0, v2
	v_fma_f32 v9, -v6, v7, 1.0
	v_fmac_f32_e32 v7, v9, v7
	v_mul_f32_e32 v9, v8, v7
	v_fma_f32 v11, -v6, v9, v8
	v_fmac_f32_e32 v9, v11, v7
	v_fma_f32 v6, -v6, v9, v8
	v_div_fmas_f32 v6, v6, v7, v9
	v_div_fixup_f32 v0, v6, v0, v2
	v_cvt_f16_f32_e32 v0, v0
	global_store_short v[4:5], v0, off
.LBB413_8:
	s_andn2_saveexec_b64 s[4:5], s[4:5]
	s_cbranch_execz .LBB413_10
; %bb.9:
	v_mov_b32_e32 v0, 0x7e00
	global_store_short v[4:5], v0, off
.LBB413_10:
	s_or_b64 exec, exec, s[2:3]
	v_cmp_ne_u32_e32 vcc, 1, v10
	s_and_b64 exec, exec, vcc
	s_cbranch_execz .LBB413_16
; %bb.11:
	s_and_b64 exec, exec, s[0:1]
	s_cbranch_execz .LBB413_16
; %bb.12:
	s_mov_b32 s15, 0
	s_lshl_b64 s[0:1], s[14:15], 1
	v_mov_b32_e32 v0, s1
	v_add_co_u32_e64 v4, s[0:1], s0, v4
	v_cmp_neq_f32_e32 vcc, 0, v1
	v_addc_co_u32_e64 v5, s[0:1], v5, v0, s[0:1]
	s_and_saveexec_b64 s[0:1], vcc
	s_xor_b64 s[0:1], exec, s[0:1]
	s_cbranch_execz .LBB413_14
; %bb.13:
	v_div_scale_f32 v0, s[2:3], v1, v1, v3
	v_rcp_f32_e32 v2, v0
	v_div_scale_f32 v6, vcc, v3, v1, v3
	v_fma_f32 v7, -v0, v2, 1.0
	v_fmac_f32_e32 v2, v7, v2
	v_mul_f32_e32 v7, v6, v2
	v_fma_f32 v8, -v0, v7, v6
	v_fmac_f32_e32 v7, v8, v2
	v_fma_f32 v0, -v0, v7, v6
	v_div_fmas_f32 v0, v0, v2, v7
	v_div_fixup_f32 v0, v0, v1, v3
	v_cvt_f16_f32_e32 v0, v0
	global_store_short v[4:5], v0, off
                                        ; implicit-def: $vgpr4_vgpr5
.LBB413_14:
	s_andn2_saveexec_b64 s[0:1], s[0:1]
	s_cbranch_execz .LBB413_16
; %bb.15:
	v_mov_b32_e32 v0, 0x7e00
	global_store_short v[4:5], v0, off
.LBB413_16:
	s_endpgm
	.section	.rodata,"a",@progbits
	.p2align	6, 0x0
	.amdhsa_kernel _ZN12_GLOBAL__N_120softmax_warp_forwardIN3c104HalfES2_fLi3ELb0ELb0ELi32EEEvPT0_PKT_iiiPKbib
		.amdhsa_group_segment_fixed_size 0
		.amdhsa_private_segment_fixed_size 0
		.amdhsa_kernarg_size 304
		.amdhsa_user_sgpr_count 6
		.amdhsa_user_sgpr_private_segment_buffer 1
		.amdhsa_user_sgpr_dispatch_ptr 0
		.amdhsa_user_sgpr_queue_ptr 0
		.amdhsa_user_sgpr_kernarg_segment_ptr 1
		.amdhsa_user_sgpr_dispatch_id 0
		.amdhsa_user_sgpr_flat_scratch_init 0
		.amdhsa_user_sgpr_kernarg_preload_length 0
		.amdhsa_user_sgpr_kernarg_preload_offset 0
		.amdhsa_user_sgpr_private_segment_size 0
		.amdhsa_uses_dynamic_stack 0
		.amdhsa_system_sgpr_private_segment_wavefront_offset 0
		.amdhsa_system_sgpr_workgroup_id_x 1
		.amdhsa_system_sgpr_workgroup_id_y 0
		.amdhsa_system_sgpr_workgroup_id_z 0
		.amdhsa_system_sgpr_workgroup_info 0
		.amdhsa_system_vgpr_workitem_id 1
		.amdhsa_next_free_vgpr 13
		.amdhsa_next_free_sgpr 16
		.amdhsa_accum_offset 16
		.amdhsa_reserve_vcc 1
		.amdhsa_reserve_flat_scratch 0
		.amdhsa_float_round_mode_32 0
		.amdhsa_float_round_mode_16_64 0
		.amdhsa_float_denorm_mode_32 3
		.amdhsa_float_denorm_mode_16_64 3
		.amdhsa_dx10_clamp 1
		.amdhsa_ieee_mode 1
		.amdhsa_fp16_overflow 0
		.amdhsa_tg_split 0
		.amdhsa_exception_fp_ieee_invalid_op 0
		.amdhsa_exception_fp_denorm_src 0
		.amdhsa_exception_fp_ieee_div_zero 0
		.amdhsa_exception_fp_ieee_overflow 0
		.amdhsa_exception_fp_ieee_underflow 0
		.amdhsa_exception_fp_ieee_inexact 0
		.amdhsa_exception_int_div_zero 0
	.end_amdhsa_kernel
	.section	.text._ZN12_GLOBAL__N_120softmax_warp_forwardIN3c104HalfES2_fLi3ELb0ELb0ELi32EEEvPT0_PKT_iiiPKbib,"axG",@progbits,_ZN12_GLOBAL__N_120softmax_warp_forwardIN3c104HalfES2_fLi3ELb0ELb0ELi32EEEvPT0_PKT_iiiPKbib,comdat
.Lfunc_end413:
	.size	_ZN12_GLOBAL__N_120softmax_warp_forwardIN3c104HalfES2_fLi3ELb0ELb0ELi32EEEvPT0_PKT_iiiPKbib, .Lfunc_end413-_ZN12_GLOBAL__N_120softmax_warp_forwardIN3c104HalfES2_fLi3ELb0ELb0ELi32EEEvPT0_PKT_iiiPKbib
                                        ; -- End function
	.section	.AMDGPU.csdata,"",@progbits
; Kernel info:
; codeLenInByte = 1108
; NumSgprs: 20
; NumVgprs: 13
; NumAgprs: 0
; TotalNumVgprs: 13
; ScratchSize: 0
; MemoryBound: 0
; FloatMode: 240
; IeeeMode: 1
; LDSByteSize: 0 bytes/workgroup (compile time only)
; SGPRBlocks: 2
; VGPRBlocks: 1
; NumSGPRsForWavesPerEU: 20
; NumVGPRsForWavesPerEU: 13
; AccumOffset: 16
; Occupancy: 8
; WaveLimiterHint : 0
; COMPUTE_PGM_RSRC2:SCRATCH_EN: 0
; COMPUTE_PGM_RSRC2:USER_SGPR: 6
; COMPUTE_PGM_RSRC2:TRAP_HANDLER: 0
; COMPUTE_PGM_RSRC2:TGID_X_EN: 1
; COMPUTE_PGM_RSRC2:TGID_Y_EN: 0
; COMPUTE_PGM_RSRC2:TGID_Z_EN: 0
; COMPUTE_PGM_RSRC2:TIDIG_COMP_CNT: 1
; COMPUTE_PGM_RSRC3_GFX90A:ACCUM_OFFSET: 3
; COMPUTE_PGM_RSRC3_GFX90A:TG_SPLIT: 0
	.section	.text._ZN12_GLOBAL__N_120softmax_warp_forwardIN3c104HalfES2_fLi4ELb0ELb0ELi64EEEvPT0_PKT_iiiPKbib,"axG",@progbits,_ZN12_GLOBAL__N_120softmax_warp_forwardIN3c104HalfES2_fLi4ELb0ELb0ELi64EEEvPT0_PKT_iiiPKbib,comdat
	.globl	_ZN12_GLOBAL__N_120softmax_warp_forwardIN3c104HalfES2_fLi4ELb0ELb0ELi64EEEvPT0_PKT_iiiPKbib ; -- Begin function _ZN12_GLOBAL__N_120softmax_warp_forwardIN3c104HalfES2_fLi4ELb0ELb0ELi64EEEvPT0_PKT_iiiPKbib
	.p2align	8
	.type	_ZN12_GLOBAL__N_120softmax_warp_forwardIN3c104HalfES2_fLi4ELb0ELb0ELi64EEEvPT0_PKT_iiiPKbib,@function
_ZN12_GLOBAL__N_120softmax_warp_forwardIN3c104HalfES2_fLi4ELb0ELb0ELi64EEEvPT0_PKT_iiiPKbib: ; @_ZN12_GLOBAL__N_120softmax_warp_forwardIN3c104HalfES2_fLi4ELb0ELb0ELi64EEEvPT0_PKT_iiiPKbib
; %bb.0:
	s_load_dword s0, s[4:5], 0x3c
	s_load_dwordx8 s[8:15], s[4:5], 0x0
	v_bfe_u32 v1, v0, 10, 10
	v_and_b32_e32 v2, 0x3ff, v0
	s_waitcnt lgkmcnt(0)
	s_lshr_b32 s0, s0, 16
	s_mul_i32 s6, s6, s0
	v_add_lshl_u32 v1, s6, v1, 1
	v_sub_u32_e32 v10, s12, v1
	v_mad_u64_u32 v[0:1], s[0:1], v1, s13, v[2:3]
	v_ashrrev_i32_e32 v1, 31, v0
	v_lshlrev_b64 v[0:1], 1, v[0:1]
	v_mov_b32_e32 v3, s11
	v_add_co_u32_e32 v4, vcc, s10, v0
	v_addc_co_u32_e32 v5, vcc, v3, v1, vcc
	v_cmp_gt_i32_e64 s[0:1], s14, v2
	v_cmp_lt_i32_e32 vcc, 0, v10
	s_and_b64 s[4:5], s[0:1], vcc
	v_mov_b32_e32 v3, 0xff800000
	v_mov_b32_e32 v2, 0xff800000
	s_and_saveexec_b64 s[2:3], s[4:5]
	s_cbranch_execz .LBB414_2
; %bb.1:
	global_load_ushort v2, v[4:5], off
	s_waitcnt vmcnt(0)
	v_cvt_f32_f16_e32 v2, v2
.LBB414_2:
	s_or_b64 exec, exec, s[2:3]
	v_cmp_lt_i32_e64 s[2:3], 1, v10
	s_and_b64 s[2:3], s[0:1], s[2:3]
	s_and_saveexec_b64 s[4:5], s[2:3]
	s_cbranch_execz .LBB414_4
; %bb.3:
	s_mov_b32 s15, 0
	s_lshl_b64 s[2:3], s[14:15], 1
	v_mov_b32_e32 v3, s3
	v_add_co_u32_e64 v4, s[2:3], s2, v4
	v_addc_co_u32_e64 v5, s[2:3], v5, v3, s[2:3]
	global_load_ushort v3, v[4:5], off
	s_waitcnt vmcnt(0)
	v_cvt_f32_f16_e32 v3, v3
.LBB414_4:
	s_or_b64 exec, exec, s[4:5]
	v_mbcnt_lo_u32_b32 v4, -1, 0
	v_mbcnt_hi_u32_b32 v4, -1, v4
	v_and_b32_e32 v5, 0x70, v4
	v_add_u32_e32 v5, 16, v5
	v_xor_b32_e32 v6, 8, v4
	v_cmp_lt_i32_e64 s[2:3], v6, v5
	v_cndmask_b32_e64 v6, v4, v6, s[2:3]
	v_lshlrev_b32_e32 v6, 2, v6
	ds_bpermute_b32 v8, v6, v3
	ds_bpermute_b32 v7, v6, v2
	v_xor_b32_e32 v9, 4, v4
	v_cmp_lt_i32_e64 s[2:3], v9, v5
	v_xor_b32_e32 v11, 2, v4
	v_cndmask_b32_e64 v9, v4, v9, s[2:3]
	v_cmp_lt_i32_e64 s[2:3], v11, v5
	v_cndmask_b32_e64 v11, v4, v11, s[2:3]
	s_waitcnt lgkmcnt(1)
	v_cmp_lt_f32_e64 s[2:3], v3, v8
	v_lshlrev_b32_e32 v9, 2, v9
	v_cndmask_b32_e64 v8, v3, v8, s[2:3]
	s_waitcnt lgkmcnt(0)
	v_cmp_lt_f32_e64 s[2:3], v2, v7
	ds_bpermute_b32 v13, v9, v8
	v_cndmask_b32_e64 v7, v2, v7, s[2:3]
	ds_bpermute_b32 v14, v9, v7
	v_xor_b32_e32 v12, 1, v4
	v_cmp_lt_i32_e64 s[2:3], v12, v5
	v_cndmask_b32_e64 v4, v4, v12, s[2:3]
	s_waitcnt lgkmcnt(1)
	v_cmp_lt_f32_e64 s[2:3], v8, v13
	v_lshlrev_b32_e32 v11, 2, v11
	v_cndmask_b32_e64 v5, v8, v13, s[2:3]
	s_waitcnt lgkmcnt(0)
	v_cmp_lt_f32_e64 s[2:3], v7, v14
	ds_bpermute_b32 v8, v11, v5
	v_cndmask_b32_e64 v7, v7, v14, s[2:3]
	ds_bpermute_b32 v12, v11, v7
	v_lshlrev_b32_e32 v13, 2, v4
	s_mov_b32 s4, 0x3fb8aa3b
	s_waitcnt lgkmcnt(1)
	v_cmp_lt_f32_e64 s[2:3], v5, v8
	v_cndmask_b32_e64 v4, v5, v8, s[2:3]
	s_waitcnt lgkmcnt(0)
	v_cmp_lt_f32_e64 s[2:3], v7, v12
	ds_bpermute_b32 v5, v13, v4
	v_cndmask_b32_e64 v7, v7, v12, s[2:3]
	ds_bpermute_b32 v8, v13, v7
	s_mov_b32 s5, 0xc2ce8ed0
	s_mov_b32 s6, 0x42b17218
	s_waitcnt lgkmcnt(1)
	v_cmp_lt_f32_e64 s[2:3], v4, v5
	v_cndmask_b32_e64 v5, v4, v5, s[2:3]
	s_waitcnt lgkmcnt(0)
	v_cmp_lt_f32_e64 s[2:3], v7, v8
	v_cndmask_b32_e64 v4, v7, v8, s[2:3]
	v_pk_add_f32 v[2:3], v[2:3], v[4:5] neg_lo:[0,1] neg_hi:[0,1]
	v_mul_f32_e32 v4, 0x3fb8aa3b, v3
	v_fma_f32 v5, v3, s4, -v4
	v_rndne_f32_e32 v7, v4
	v_fmac_f32_e32 v5, 0x32a5705f, v3
	v_sub_f32_e32 v4, v4, v7
	v_add_f32_e32 v4, v4, v5
	v_exp_f32_e32 v4, v4
	v_cvt_i32_f32_e32 v5, v7
	v_cmp_ngt_f32_e64 s[2:3], s5, v3
	v_ldexp_f32 v4, v4, v5
	v_mul_f32_e32 v5, 0x3fb8aa3b, v2
	v_fma_f32 v7, v2, s4, -v5
	v_rndne_f32_e32 v8, v5
	v_fmac_f32_e32 v7, 0x32a5705f, v2
	v_sub_f32_e32 v5, v5, v8
	v_add_f32_e32 v5, v5, v7
	v_exp_f32_e32 v5, v5
	v_cvt_i32_f32_e32 v7, v8
	v_cndmask_b32_e64 v4, 0, v4, s[2:3]
	v_mov_b32_e32 v8, 0x7f800000
	v_cmp_nlt_f32_e64 s[2:3], s6, v3
	v_cndmask_b32_e64 v3, v8, v4, s[2:3]
	v_ldexp_f32 v4, v5, v7
	v_cmp_ngt_f32_e64 s[2:3], s5, v2
	v_cndmask_b32_e64 v4, 0, v4, s[2:3]
	v_cmp_nlt_f32_e64 s[2:3], s6, v2
	v_cndmask_b32_e64 v2, v8, v4, s[2:3]
	ds_bpermute_b32 v4, v6, v2
	ds_bpermute_b32 v5, v6, v3
	s_waitcnt lgkmcnt(0)
	v_pk_add_f32 v[4:5], v[2:3], v[4:5]
	ds_bpermute_b32 v6, v9, v4
	ds_bpermute_b32 v7, v9, v5
	s_waitcnt lgkmcnt(0)
	v_pk_add_f32 v[4:5], v[4:5], v[6:7]
	;; [unrolled: 4-line block ×3, first 2 shown]
	ds_bpermute_b32 v8, v13, v6
	ds_bpermute_b32 v9, v13, v7
	s_and_saveexec_b64 s[2:3], vcc
	s_cbranch_execz .LBB414_16
; %bb.5:
	v_mov_b32_e32 v5, s9
	v_add_co_u32_e32 v4, vcc, s8, v0
	v_addc_co_u32_e32 v5, vcc, v5, v1, vcc
	s_waitcnt lgkmcnt(0)
	v_pk_add_f32 v[0:1], v[6:7], v[8:9]
	s_and_saveexec_b64 s[2:3], s[0:1]
	s_cbranch_execz .LBB414_10
; %bb.6:
	v_cmp_neq_f32_e32 vcc, 0, v0
	s_and_saveexec_b64 s[4:5], vcc
	s_xor_b64 s[4:5], exec, s[4:5]
	s_cbranch_execz .LBB414_8
; %bb.7:
	v_div_scale_f32 v6, s[6:7], v0, v0, v2
	v_rcp_f32_e32 v7, v6
	v_div_scale_f32 v8, vcc, v2, v0, v2
	v_fma_f32 v9, -v6, v7, 1.0
	v_fmac_f32_e32 v7, v9, v7
	v_mul_f32_e32 v9, v8, v7
	v_fma_f32 v11, -v6, v9, v8
	v_fmac_f32_e32 v9, v11, v7
	v_fma_f32 v6, -v6, v9, v8
	v_div_fmas_f32 v6, v6, v7, v9
	v_div_fixup_f32 v0, v6, v0, v2
	v_cvt_f16_f32_e32 v0, v0
	global_store_short v[4:5], v0, off
.LBB414_8:
	s_andn2_saveexec_b64 s[4:5], s[4:5]
	s_cbranch_execz .LBB414_10
; %bb.9:
	v_mov_b32_e32 v0, 0x7e00
	global_store_short v[4:5], v0, off
.LBB414_10:
	s_or_b64 exec, exec, s[2:3]
	v_cmp_ne_u32_e32 vcc, 1, v10
	s_and_b64 exec, exec, vcc
	s_cbranch_execz .LBB414_16
; %bb.11:
	s_and_b64 exec, exec, s[0:1]
	s_cbranch_execz .LBB414_16
; %bb.12:
	s_mov_b32 s15, 0
	s_lshl_b64 s[0:1], s[14:15], 1
	v_mov_b32_e32 v0, s1
	v_add_co_u32_e64 v4, s[0:1], s0, v4
	v_cmp_neq_f32_e32 vcc, 0, v1
	v_addc_co_u32_e64 v5, s[0:1], v5, v0, s[0:1]
	s_and_saveexec_b64 s[0:1], vcc
	s_xor_b64 s[0:1], exec, s[0:1]
	s_cbranch_execz .LBB414_14
; %bb.13:
	v_div_scale_f32 v0, s[2:3], v1, v1, v3
	v_rcp_f32_e32 v2, v0
	v_div_scale_f32 v6, vcc, v3, v1, v3
	v_fma_f32 v7, -v0, v2, 1.0
	v_fmac_f32_e32 v2, v7, v2
	v_mul_f32_e32 v7, v6, v2
	v_fma_f32 v8, -v0, v7, v6
	v_fmac_f32_e32 v7, v8, v2
	v_fma_f32 v0, -v0, v7, v6
	v_div_fmas_f32 v0, v0, v2, v7
	v_div_fixup_f32 v0, v0, v1, v3
	v_cvt_f16_f32_e32 v0, v0
	global_store_short v[4:5], v0, off
                                        ; implicit-def: $vgpr4_vgpr5
.LBB414_14:
	s_andn2_saveexec_b64 s[0:1], s[0:1]
	s_cbranch_execz .LBB414_16
; %bb.15:
	v_mov_b32_e32 v0, 0x7e00
	global_store_short v[4:5], v0, off
.LBB414_16:
	s_endpgm
	.section	.rodata,"a",@progbits
	.p2align	6, 0x0
	.amdhsa_kernel _ZN12_GLOBAL__N_120softmax_warp_forwardIN3c104HalfES2_fLi4ELb0ELb0ELi64EEEvPT0_PKT_iiiPKbib
		.amdhsa_group_segment_fixed_size 0
		.amdhsa_private_segment_fixed_size 0
		.amdhsa_kernarg_size 304
		.amdhsa_user_sgpr_count 6
		.amdhsa_user_sgpr_private_segment_buffer 1
		.amdhsa_user_sgpr_dispatch_ptr 0
		.amdhsa_user_sgpr_queue_ptr 0
		.amdhsa_user_sgpr_kernarg_segment_ptr 1
		.amdhsa_user_sgpr_dispatch_id 0
		.amdhsa_user_sgpr_flat_scratch_init 0
		.amdhsa_user_sgpr_kernarg_preload_length 0
		.amdhsa_user_sgpr_kernarg_preload_offset 0
		.amdhsa_user_sgpr_private_segment_size 0
		.amdhsa_uses_dynamic_stack 0
		.amdhsa_system_sgpr_private_segment_wavefront_offset 0
		.amdhsa_system_sgpr_workgroup_id_x 1
		.amdhsa_system_sgpr_workgroup_id_y 0
		.amdhsa_system_sgpr_workgroup_id_z 0
		.amdhsa_system_sgpr_workgroup_info 0
		.amdhsa_system_vgpr_workitem_id 1
		.amdhsa_next_free_vgpr 15
		.amdhsa_next_free_sgpr 16
		.amdhsa_accum_offset 16
		.amdhsa_reserve_vcc 1
		.amdhsa_reserve_flat_scratch 0
		.amdhsa_float_round_mode_32 0
		.amdhsa_float_round_mode_16_64 0
		.amdhsa_float_denorm_mode_32 3
		.amdhsa_float_denorm_mode_16_64 3
		.amdhsa_dx10_clamp 1
		.amdhsa_ieee_mode 1
		.amdhsa_fp16_overflow 0
		.amdhsa_tg_split 0
		.amdhsa_exception_fp_ieee_invalid_op 0
		.amdhsa_exception_fp_denorm_src 0
		.amdhsa_exception_fp_ieee_div_zero 0
		.amdhsa_exception_fp_ieee_overflow 0
		.amdhsa_exception_fp_ieee_underflow 0
		.amdhsa_exception_fp_ieee_inexact 0
		.amdhsa_exception_int_div_zero 0
	.end_amdhsa_kernel
	.section	.text._ZN12_GLOBAL__N_120softmax_warp_forwardIN3c104HalfES2_fLi4ELb0ELb0ELi64EEEvPT0_PKT_iiiPKbib,"axG",@progbits,_ZN12_GLOBAL__N_120softmax_warp_forwardIN3c104HalfES2_fLi4ELb0ELb0ELi64EEEvPT0_PKT_iiiPKbib,comdat
.Lfunc_end414:
	.size	_ZN12_GLOBAL__N_120softmax_warp_forwardIN3c104HalfES2_fLi4ELb0ELb0ELi64EEEvPT0_PKT_iiiPKbib, .Lfunc_end414-_ZN12_GLOBAL__N_120softmax_warp_forwardIN3c104HalfES2_fLi4ELb0ELb0ELi64EEEvPT0_PKT_iiiPKbib
                                        ; -- End function
	.section	.AMDGPU.csdata,"",@progbits
; Kernel info:
; codeLenInByte = 1216
; NumSgprs: 20
; NumVgprs: 15
; NumAgprs: 0
; TotalNumVgprs: 15
; ScratchSize: 0
; MemoryBound: 0
; FloatMode: 240
; IeeeMode: 1
; LDSByteSize: 0 bytes/workgroup (compile time only)
; SGPRBlocks: 2
; VGPRBlocks: 1
; NumSGPRsForWavesPerEU: 20
; NumVGPRsForWavesPerEU: 15
; AccumOffset: 16
; Occupancy: 8
; WaveLimiterHint : 0
; COMPUTE_PGM_RSRC2:SCRATCH_EN: 0
; COMPUTE_PGM_RSRC2:USER_SGPR: 6
; COMPUTE_PGM_RSRC2:TRAP_HANDLER: 0
; COMPUTE_PGM_RSRC2:TGID_X_EN: 1
; COMPUTE_PGM_RSRC2:TGID_Y_EN: 0
; COMPUTE_PGM_RSRC2:TGID_Z_EN: 0
; COMPUTE_PGM_RSRC2:TIDIG_COMP_CNT: 1
; COMPUTE_PGM_RSRC3_GFX90A:ACCUM_OFFSET: 3
; COMPUTE_PGM_RSRC3_GFX90A:TG_SPLIT: 0
	.section	.text._ZN12_GLOBAL__N_120softmax_warp_forwardIN3c104HalfES2_fLi4ELb0ELb0ELi32EEEvPT0_PKT_iiiPKbib,"axG",@progbits,_ZN12_GLOBAL__N_120softmax_warp_forwardIN3c104HalfES2_fLi4ELb0ELb0ELi32EEEvPT0_PKT_iiiPKbib,comdat
	.globl	_ZN12_GLOBAL__N_120softmax_warp_forwardIN3c104HalfES2_fLi4ELb0ELb0ELi32EEEvPT0_PKT_iiiPKbib ; -- Begin function _ZN12_GLOBAL__N_120softmax_warp_forwardIN3c104HalfES2_fLi4ELb0ELb0ELi32EEEvPT0_PKT_iiiPKbib
	.p2align	8
	.type	_ZN12_GLOBAL__N_120softmax_warp_forwardIN3c104HalfES2_fLi4ELb0ELb0ELi32EEEvPT0_PKT_iiiPKbib,@function
_ZN12_GLOBAL__N_120softmax_warp_forwardIN3c104HalfES2_fLi4ELb0ELb0ELi32EEEvPT0_PKT_iiiPKbib: ; @_ZN12_GLOBAL__N_120softmax_warp_forwardIN3c104HalfES2_fLi4ELb0ELb0ELi32EEEvPT0_PKT_iiiPKbib
; %bb.0:
	s_load_dword s0, s[4:5], 0x3c
	s_load_dwordx8 s[8:15], s[4:5], 0x0
	v_bfe_u32 v1, v0, 10, 10
	v_and_b32_e32 v2, 0x3ff, v0
	s_waitcnt lgkmcnt(0)
	s_lshr_b32 s0, s0, 16
	s_mul_i32 s6, s6, s0
	v_add_lshl_u32 v1, s6, v1, 1
	v_sub_u32_e32 v10, s12, v1
	v_mad_u64_u32 v[0:1], s[0:1], v1, s13, v[2:3]
	v_ashrrev_i32_e32 v1, 31, v0
	v_lshlrev_b64 v[0:1], 1, v[0:1]
	v_mov_b32_e32 v3, s11
	v_add_co_u32_e32 v4, vcc, s10, v0
	v_addc_co_u32_e32 v5, vcc, v3, v1, vcc
	v_cmp_gt_i32_e64 s[0:1], s14, v2
	v_cmp_lt_i32_e32 vcc, 0, v10
	s_and_b64 s[4:5], s[0:1], vcc
	v_mov_b32_e32 v3, 0xff800000
	v_mov_b32_e32 v2, 0xff800000
	s_and_saveexec_b64 s[2:3], s[4:5]
	s_cbranch_execz .LBB415_2
; %bb.1:
	global_load_ushort v2, v[4:5], off
	s_waitcnt vmcnt(0)
	v_cvt_f32_f16_e32 v2, v2
.LBB415_2:
	s_or_b64 exec, exec, s[2:3]
	v_cmp_lt_i32_e64 s[2:3], 1, v10
	s_and_b64 s[2:3], s[0:1], s[2:3]
	s_and_saveexec_b64 s[4:5], s[2:3]
	s_cbranch_execz .LBB415_4
; %bb.3:
	s_mov_b32 s15, 0
	s_lshl_b64 s[2:3], s[14:15], 1
	v_mov_b32_e32 v3, s3
	v_add_co_u32_e64 v4, s[2:3], s2, v4
	v_addc_co_u32_e64 v5, s[2:3], v5, v3, s[2:3]
	global_load_ushort v3, v[4:5], off
	s_waitcnt vmcnt(0)
	v_cvt_f32_f16_e32 v3, v3
.LBB415_4:
	s_or_b64 exec, exec, s[4:5]
	v_mbcnt_lo_u32_b32 v4, -1, 0
	v_mbcnt_hi_u32_b32 v4, -1, v4
	v_and_b32_e32 v5, 0x70, v4
	v_add_u32_e32 v5, 16, v5
	v_xor_b32_e32 v6, 8, v4
	v_cmp_lt_i32_e64 s[2:3], v6, v5
	v_cndmask_b32_e64 v6, v4, v6, s[2:3]
	v_lshlrev_b32_e32 v6, 2, v6
	ds_bpermute_b32 v8, v6, v3
	ds_bpermute_b32 v7, v6, v2
	v_xor_b32_e32 v9, 4, v4
	v_cmp_lt_i32_e64 s[2:3], v9, v5
	v_xor_b32_e32 v11, 2, v4
	v_cndmask_b32_e64 v9, v4, v9, s[2:3]
	v_cmp_lt_i32_e64 s[2:3], v11, v5
	v_cndmask_b32_e64 v11, v4, v11, s[2:3]
	s_waitcnt lgkmcnt(1)
	v_cmp_lt_f32_e64 s[2:3], v3, v8
	v_lshlrev_b32_e32 v9, 2, v9
	v_cndmask_b32_e64 v8, v3, v8, s[2:3]
	s_waitcnt lgkmcnt(0)
	v_cmp_lt_f32_e64 s[2:3], v2, v7
	ds_bpermute_b32 v13, v9, v8
	v_cndmask_b32_e64 v7, v2, v7, s[2:3]
	ds_bpermute_b32 v14, v9, v7
	v_xor_b32_e32 v12, 1, v4
	v_cmp_lt_i32_e64 s[2:3], v12, v5
	v_cndmask_b32_e64 v4, v4, v12, s[2:3]
	s_waitcnt lgkmcnt(1)
	v_cmp_lt_f32_e64 s[2:3], v8, v13
	v_lshlrev_b32_e32 v11, 2, v11
	v_cndmask_b32_e64 v5, v8, v13, s[2:3]
	s_waitcnt lgkmcnt(0)
	v_cmp_lt_f32_e64 s[2:3], v7, v14
	ds_bpermute_b32 v8, v11, v5
	v_cndmask_b32_e64 v7, v7, v14, s[2:3]
	ds_bpermute_b32 v12, v11, v7
	v_lshlrev_b32_e32 v13, 2, v4
	s_mov_b32 s4, 0x3fb8aa3b
	s_waitcnt lgkmcnt(1)
	v_cmp_lt_f32_e64 s[2:3], v5, v8
	v_cndmask_b32_e64 v4, v5, v8, s[2:3]
	s_waitcnt lgkmcnt(0)
	v_cmp_lt_f32_e64 s[2:3], v7, v12
	ds_bpermute_b32 v5, v13, v4
	v_cndmask_b32_e64 v7, v7, v12, s[2:3]
	ds_bpermute_b32 v8, v13, v7
	s_mov_b32 s5, 0xc2ce8ed0
	s_mov_b32 s6, 0x42b17218
	s_waitcnt lgkmcnt(1)
	v_cmp_lt_f32_e64 s[2:3], v4, v5
	v_cndmask_b32_e64 v5, v4, v5, s[2:3]
	s_waitcnt lgkmcnt(0)
	v_cmp_lt_f32_e64 s[2:3], v7, v8
	v_cndmask_b32_e64 v4, v7, v8, s[2:3]
	v_pk_add_f32 v[2:3], v[2:3], v[4:5] neg_lo:[0,1] neg_hi:[0,1]
	v_mul_f32_e32 v4, 0x3fb8aa3b, v3
	v_fma_f32 v5, v3, s4, -v4
	v_rndne_f32_e32 v7, v4
	v_fmac_f32_e32 v5, 0x32a5705f, v3
	v_sub_f32_e32 v4, v4, v7
	v_add_f32_e32 v4, v4, v5
	v_exp_f32_e32 v4, v4
	v_cvt_i32_f32_e32 v5, v7
	v_cmp_ngt_f32_e64 s[2:3], s5, v3
	v_ldexp_f32 v4, v4, v5
	v_mul_f32_e32 v5, 0x3fb8aa3b, v2
	v_fma_f32 v7, v2, s4, -v5
	v_rndne_f32_e32 v8, v5
	v_fmac_f32_e32 v7, 0x32a5705f, v2
	v_sub_f32_e32 v5, v5, v8
	v_add_f32_e32 v5, v5, v7
	v_exp_f32_e32 v5, v5
	v_cvt_i32_f32_e32 v7, v8
	v_cndmask_b32_e64 v4, 0, v4, s[2:3]
	v_mov_b32_e32 v8, 0x7f800000
	v_cmp_nlt_f32_e64 s[2:3], s6, v3
	v_cndmask_b32_e64 v3, v8, v4, s[2:3]
	v_ldexp_f32 v4, v5, v7
	v_cmp_ngt_f32_e64 s[2:3], s5, v2
	v_cndmask_b32_e64 v4, 0, v4, s[2:3]
	v_cmp_nlt_f32_e64 s[2:3], s6, v2
	v_cndmask_b32_e64 v2, v8, v4, s[2:3]
	ds_bpermute_b32 v4, v6, v2
	ds_bpermute_b32 v5, v6, v3
	s_waitcnt lgkmcnt(0)
	v_pk_add_f32 v[4:5], v[2:3], v[4:5]
	ds_bpermute_b32 v6, v9, v4
	ds_bpermute_b32 v7, v9, v5
	s_waitcnt lgkmcnt(0)
	v_pk_add_f32 v[4:5], v[4:5], v[6:7]
	;; [unrolled: 4-line block ×3, first 2 shown]
	ds_bpermute_b32 v8, v13, v6
	ds_bpermute_b32 v9, v13, v7
	s_and_saveexec_b64 s[2:3], vcc
	s_cbranch_execz .LBB415_16
; %bb.5:
	v_mov_b32_e32 v5, s9
	v_add_co_u32_e32 v4, vcc, s8, v0
	v_addc_co_u32_e32 v5, vcc, v5, v1, vcc
	s_waitcnt lgkmcnt(0)
	v_pk_add_f32 v[0:1], v[6:7], v[8:9]
	s_and_saveexec_b64 s[2:3], s[0:1]
	s_cbranch_execz .LBB415_10
; %bb.6:
	v_cmp_neq_f32_e32 vcc, 0, v0
	s_and_saveexec_b64 s[4:5], vcc
	s_xor_b64 s[4:5], exec, s[4:5]
	s_cbranch_execz .LBB415_8
; %bb.7:
	v_div_scale_f32 v6, s[6:7], v0, v0, v2
	v_rcp_f32_e32 v7, v6
	v_div_scale_f32 v8, vcc, v2, v0, v2
	v_fma_f32 v9, -v6, v7, 1.0
	v_fmac_f32_e32 v7, v9, v7
	v_mul_f32_e32 v9, v8, v7
	v_fma_f32 v11, -v6, v9, v8
	v_fmac_f32_e32 v9, v11, v7
	v_fma_f32 v6, -v6, v9, v8
	v_div_fmas_f32 v6, v6, v7, v9
	v_div_fixup_f32 v0, v6, v0, v2
	v_cvt_f16_f32_e32 v0, v0
	global_store_short v[4:5], v0, off
.LBB415_8:
	s_andn2_saveexec_b64 s[4:5], s[4:5]
	s_cbranch_execz .LBB415_10
; %bb.9:
	v_mov_b32_e32 v0, 0x7e00
	global_store_short v[4:5], v0, off
.LBB415_10:
	s_or_b64 exec, exec, s[2:3]
	v_cmp_ne_u32_e32 vcc, 1, v10
	s_and_b64 exec, exec, vcc
	s_cbranch_execz .LBB415_16
; %bb.11:
	s_and_b64 exec, exec, s[0:1]
	s_cbranch_execz .LBB415_16
; %bb.12:
	s_mov_b32 s15, 0
	s_lshl_b64 s[0:1], s[14:15], 1
	v_mov_b32_e32 v0, s1
	v_add_co_u32_e64 v4, s[0:1], s0, v4
	v_cmp_neq_f32_e32 vcc, 0, v1
	v_addc_co_u32_e64 v5, s[0:1], v5, v0, s[0:1]
	s_and_saveexec_b64 s[0:1], vcc
	s_xor_b64 s[0:1], exec, s[0:1]
	s_cbranch_execz .LBB415_14
; %bb.13:
	v_div_scale_f32 v0, s[2:3], v1, v1, v3
	v_rcp_f32_e32 v2, v0
	v_div_scale_f32 v6, vcc, v3, v1, v3
	v_fma_f32 v7, -v0, v2, 1.0
	v_fmac_f32_e32 v2, v7, v2
	v_mul_f32_e32 v7, v6, v2
	v_fma_f32 v8, -v0, v7, v6
	v_fmac_f32_e32 v7, v8, v2
	v_fma_f32 v0, -v0, v7, v6
	v_div_fmas_f32 v0, v0, v2, v7
	v_div_fixup_f32 v0, v0, v1, v3
	v_cvt_f16_f32_e32 v0, v0
	global_store_short v[4:5], v0, off
                                        ; implicit-def: $vgpr4_vgpr5
.LBB415_14:
	s_andn2_saveexec_b64 s[0:1], s[0:1]
	s_cbranch_execz .LBB415_16
; %bb.15:
	v_mov_b32_e32 v0, 0x7e00
	global_store_short v[4:5], v0, off
.LBB415_16:
	s_endpgm
	.section	.rodata,"a",@progbits
	.p2align	6, 0x0
	.amdhsa_kernel _ZN12_GLOBAL__N_120softmax_warp_forwardIN3c104HalfES2_fLi4ELb0ELb0ELi32EEEvPT0_PKT_iiiPKbib
		.amdhsa_group_segment_fixed_size 0
		.amdhsa_private_segment_fixed_size 0
		.amdhsa_kernarg_size 304
		.amdhsa_user_sgpr_count 6
		.amdhsa_user_sgpr_private_segment_buffer 1
		.amdhsa_user_sgpr_dispatch_ptr 0
		.amdhsa_user_sgpr_queue_ptr 0
		.amdhsa_user_sgpr_kernarg_segment_ptr 1
		.amdhsa_user_sgpr_dispatch_id 0
		.amdhsa_user_sgpr_flat_scratch_init 0
		.amdhsa_user_sgpr_kernarg_preload_length 0
		.amdhsa_user_sgpr_kernarg_preload_offset 0
		.amdhsa_user_sgpr_private_segment_size 0
		.amdhsa_uses_dynamic_stack 0
		.amdhsa_system_sgpr_private_segment_wavefront_offset 0
		.amdhsa_system_sgpr_workgroup_id_x 1
		.amdhsa_system_sgpr_workgroup_id_y 0
		.amdhsa_system_sgpr_workgroup_id_z 0
		.amdhsa_system_sgpr_workgroup_info 0
		.amdhsa_system_vgpr_workitem_id 1
		.amdhsa_next_free_vgpr 15
		.amdhsa_next_free_sgpr 16
		.amdhsa_accum_offset 16
		.amdhsa_reserve_vcc 1
		.amdhsa_reserve_flat_scratch 0
		.amdhsa_float_round_mode_32 0
		.amdhsa_float_round_mode_16_64 0
		.amdhsa_float_denorm_mode_32 3
		.amdhsa_float_denorm_mode_16_64 3
		.amdhsa_dx10_clamp 1
		.amdhsa_ieee_mode 1
		.amdhsa_fp16_overflow 0
		.amdhsa_tg_split 0
		.amdhsa_exception_fp_ieee_invalid_op 0
		.amdhsa_exception_fp_denorm_src 0
		.amdhsa_exception_fp_ieee_div_zero 0
		.amdhsa_exception_fp_ieee_overflow 0
		.amdhsa_exception_fp_ieee_underflow 0
		.amdhsa_exception_fp_ieee_inexact 0
		.amdhsa_exception_int_div_zero 0
	.end_amdhsa_kernel
	.section	.text._ZN12_GLOBAL__N_120softmax_warp_forwardIN3c104HalfES2_fLi4ELb0ELb0ELi32EEEvPT0_PKT_iiiPKbib,"axG",@progbits,_ZN12_GLOBAL__N_120softmax_warp_forwardIN3c104HalfES2_fLi4ELb0ELb0ELi32EEEvPT0_PKT_iiiPKbib,comdat
.Lfunc_end415:
	.size	_ZN12_GLOBAL__N_120softmax_warp_forwardIN3c104HalfES2_fLi4ELb0ELb0ELi32EEEvPT0_PKT_iiiPKbib, .Lfunc_end415-_ZN12_GLOBAL__N_120softmax_warp_forwardIN3c104HalfES2_fLi4ELb0ELb0ELi32EEEvPT0_PKT_iiiPKbib
                                        ; -- End function
	.section	.AMDGPU.csdata,"",@progbits
; Kernel info:
; codeLenInByte = 1216
; NumSgprs: 20
; NumVgprs: 15
; NumAgprs: 0
; TotalNumVgprs: 15
; ScratchSize: 0
; MemoryBound: 0
; FloatMode: 240
; IeeeMode: 1
; LDSByteSize: 0 bytes/workgroup (compile time only)
; SGPRBlocks: 2
; VGPRBlocks: 1
; NumSGPRsForWavesPerEU: 20
; NumVGPRsForWavesPerEU: 15
; AccumOffset: 16
; Occupancy: 8
; WaveLimiterHint : 0
; COMPUTE_PGM_RSRC2:SCRATCH_EN: 0
; COMPUTE_PGM_RSRC2:USER_SGPR: 6
; COMPUTE_PGM_RSRC2:TRAP_HANDLER: 0
; COMPUTE_PGM_RSRC2:TGID_X_EN: 1
; COMPUTE_PGM_RSRC2:TGID_Y_EN: 0
; COMPUTE_PGM_RSRC2:TGID_Z_EN: 0
; COMPUTE_PGM_RSRC2:TIDIG_COMP_CNT: 1
; COMPUTE_PGM_RSRC3_GFX90A:ACCUM_OFFSET: 3
; COMPUTE_PGM_RSRC3_GFX90A:TG_SPLIT: 0
	.section	.text._ZN12_GLOBAL__N_120softmax_warp_forwardIN3c104HalfES2_fLi5ELb0ELb0ELi64EEEvPT0_PKT_iiiPKbib,"axG",@progbits,_ZN12_GLOBAL__N_120softmax_warp_forwardIN3c104HalfES2_fLi5ELb0ELb0ELi64EEEvPT0_PKT_iiiPKbib,comdat
	.globl	_ZN12_GLOBAL__N_120softmax_warp_forwardIN3c104HalfES2_fLi5ELb0ELb0ELi64EEEvPT0_PKT_iiiPKbib ; -- Begin function _ZN12_GLOBAL__N_120softmax_warp_forwardIN3c104HalfES2_fLi5ELb0ELb0ELi64EEEvPT0_PKT_iiiPKbib
	.p2align	8
	.type	_ZN12_GLOBAL__N_120softmax_warp_forwardIN3c104HalfES2_fLi5ELb0ELb0ELi64EEEvPT0_PKT_iiiPKbib,@function
_ZN12_GLOBAL__N_120softmax_warp_forwardIN3c104HalfES2_fLi5ELb0ELb0ELi64EEEvPT0_PKT_iiiPKbib: ; @_ZN12_GLOBAL__N_120softmax_warp_forwardIN3c104HalfES2_fLi5ELb0ELb0ELi64EEEvPT0_PKT_iiiPKbib
; %bb.0:
	s_load_dword s0, s[4:5], 0x3c
	s_load_dwordx8 s[8:15], s[4:5], 0x0
	v_bfe_u32 v1, v0, 10, 10
	v_and_b32_e32 v2, 0x3ff, v0
	s_waitcnt lgkmcnt(0)
	s_lshr_b32 s0, s0, 16
	s_mul_i32 s6, s6, s0
	v_add_lshl_u32 v1, s6, v1, 1
	v_sub_u32_e32 v10, s12, v1
	v_mad_u64_u32 v[0:1], s[0:1], v1, s13, v[2:3]
	v_ashrrev_i32_e32 v1, 31, v0
	v_lshlrev_b64 v[0:1], 1, v[0:1]
	v_mov_b32_e32 v3, s11
	v_add_co_u32_e32 v4, vcc, s10, v0
	v_addc_co_u32_e32 v5, vcc, v3, v1, vcc
	v_cmp_gt_i32_e64 s[0:1], s14, v2
	v_cmp_lt_i32_e32 vcc, 0, v10
	s_and_b64 s[4:5], s[0:1], vcc
	v_mov_b32_e32 v3, 0xff800000
	v_mov_b32_e32 v2, 0xff800000
	s_and_saveexec_b64 s[2:3], s[4:5]
	s_cbranch_execz .LBB416_2
; %bb.1:
	global_load_ushort v2, v[4:5], off
	s_waitcnt vmcnt(0)
	v_cvt_f32_f16_e32 v2, v2
.LBB416_2:
	s_or_b64 exec, exec, s[2:3]
	v_cmp_lt_i32_e64 s[2:3], 1, v10
	s_and_b64 s[2:3], s[0:1], s[2:3]
	s_and_saveexec_b64 s[4:5], s[2:3]
	s_cbranch_execz .LBB416_4
; %bb.3:
	s_mov_b32 s15, 0
	s_lshl_b64 s[2:3], s[14:15], 1
	v_mov_b32_e32 v3, s3
	v_add_co_u32_e64 v4, s[2:3], s2, v4
	v_addc_co_u32_e64 v5, s[2:3], v5, v3, s[2:3]
	global_load_ushort v3, v[4:5], off
	s_waitcnt vmcnt(0)
	v_cvt_f32_f16_e32 v3, v3
.LBB416_4:
	s_or_b64 exec, exec, s[4:5]
	v_mbcnt_lo_u32_b32 v4, -1, 0
	v_mbcnt_hi_u32_b32 v4, -1, v4
	v_and_b32_e32 v5, 0x60, v4
	v_add_u32_e32 v5, 32, v5
	v_xor_b32_e32 v6, 16, v4
	v_cmp_lt_i32_e64 s[2:3], v6, v5
	v_cndmask_b32_e64 v6, v4, v6, s[2:3]
	v_lshlrev_b32_e32 v6, 2, v6
	ds_bpermute_b32 v8, v6, v3
	ds_bpermute_b32 v7, v6, v2
	v_xor_b32_e32 v9, 8, v4
	v_cmp_lt_i32_e64 s[2:3], v9, v5
	v_xor_b32_e32 v11, 4, v4
	v_cndmask_b32_e64 v9, v4, v9, s[2:3]
	v_cmp_lt_i32_e64 s[2:3], v11, v5
	v_xor_b32_e32 v12, 2, v4
	v_cndmask_b32_e64 v11, v4, v11, s[2:3]
	v_cmp_lt_i32_e64 s[2:3], v12, v5
	v_cndmask_b32_e64 v12, v4, v12, s[2:3]
	s_waitcnt lgkmcnt(1)
	v_cmp_lt_f32_e64 s[2:3], v3, v8
	v_lshlrev_b32_e32 v9, 2, v9
	v_cndmask_b32_e64 v8, v3, v8, s[2:3]
	s_waitcnt lgkmcnt(0)
	v_cmp_lt_f32_e64 s[2:3], v2, v7
	ds_bpermute_b32 v13, v9, v8
	v_cndmask_b32_e64 v7, v2, v7, s[2:3]
	ds_bpermute_b32 v14, v9, v7
	v_lshlrev_b32_e32 v11, 2, v11
	v_xor_b32_e32 v15, 1, v4
	s_waitcnt lgkmcnt(1)
	v_cmp_lt_f32_e64 s[2:3], v8, v13
	v_cndmask_b32_e64 v8, v8, v13, s[2:3]
	s_waitcnt lgkmcnt(0)
	v_cmp_lt_f32_e64 s[2:3], v7, v14
	ds_bpermute_b32 v13, v11, v8
	v_cndmask_b32_e64 v7, v7, v14, s[2:3]
	ds_bpermute_b32 v14, v11, v7
	v_cmp_lt_i32_e64 s[2:3], v15, v5
	v_cndmask_b32_e64 v4, v4, v15, s[2:3]
	s_waitcnt lgkmcnt(1)
	v_cmp_lt_f32_e64 s[2:3], v8, v13
	v_lshlrev_b32_e32 v12, 2, v12
	v_cndmask_b32_e64 v5, v8, v13, s[2:3]
	s_waitcnt lgkmcnt(0)
	v_cmp_lt_f32_e64 s[2:3], v7, v14
	ds_bpermute_b32 v8, v12, v5
	v_cndmask_b32_e64 v7, v7, v14, s[2:3]
	ds_bpermute_b32 v13, v12, v7
	v_lshlrev_b32_e32 v14, 2, v4
	s_mov_b32 s4, 0x3fb8aa3b
	s_waitcnt lgkmcnt(1)
	v_cmp_lt_f32_e64 s[2:3], v5, v8
	v_cndmask_b32_e64 v4, v5, v8, s[2:3]
	s_waitcnt lgkmcnt(0)
	v_cmp_lt_f32_e64 s[2:3], v7, v13
	ds_bpermute_b32 v5, v14, v4
	v_cndmask_b32_e64 v7, v7, v13, s[2:3]
	ds_bpermute_b32 v8, v14, v7
	s_mov_b32 s5, 0xc2ce8ed0
	s_mov_b32 s6, 0x42b17218
	s_waitcnt lgkmcnt(1)
	v_cmp_lt_f32_e64 s[2:3], v4, v5
	v_cndmask_b32_e64 v5, v4, v5, s[2:3]
	s_waitcnt lgkmcnt(0)
	v_cmp_lt_f32_e64 s[2:3], v7, v8
	v_cndmask_b32_e64 v4, v7, v8, s[2:3]
	v_pk_add_f32 v[2:3], v[2:3], v[4:5] neg_lo:[0,1] neg_hi:[0,1]
	v_mul_f32_e32 v4, 0x3fb8aa3b, v3
	v_fma_f32 v5, v3, s4, -v4
	v_rndne_f32_e32 v7, v4
	v_fmac_f32_e32 v5, 0x32a5705f, v3
	v_sub_f32_e32 v4, v4, v7
	v_add_f32_e32 v4, v4, v5
	v_exp_f32_e32 v4, v4
	v_cvt_i32_f32_e32 v5, v7
	v_cmp_ngt_f32_e64 s[2:3], s5, v3
	v_ldexp_f32 v4, v4, v5
	v_mul_f32_e32 v5, 0x3fb8aa3b, v2
	v_fma_f32 v7, v2, s4, -v5
	v_rndne_f32_e32 v8, v5
	v_fmac_f32_e32 v7, 0x32a5705f, v2
	v_sub_f32_e32 v5, v5, v8
	v_add_f32_e32 v5, v5, v7
	v_exp_f32_e32 v5, v5
	v_cvt_i32_f32_e32 v7, v8
	v_cndmask_b32_e64 v4, 0, v4, s[2:3]
	v_mov_b32_e32 v8, 0x7f800000
	v_cmp_nlt_f32_e64 s[2:3], s6, v3
	v_cndmask_b32_e64 v3, v8, v4, s[2:3]
	v_ldexp_f32 v4, v5, v7
	v_cmp_ngt_f32_e64 s[2:3], s5, v2
	v_cndmask_b32_e64 v4, 0, v4, s[2:3]
	v_cmp_nlt_f32_e64 s[2:3], s6, v2
	v_cndmask_b32_e64 v2, v8, v4, s[2:3]
	ds_bpermute_b32 v4, v6, v2
	ds_bpermute_b32 v5, v6, v3
	s_waitcnt lgkmcnt(0)
	v_pk_add_f32 v[4:5], v[2:3], v[4:5]
	ds_bpermute_b32 v6, v9, v4
	ds_bpermute_b32 v7, v9, v5
	s_waitcnt lgkmcnt(0)
	v_pk_add_f32 v[4:5], v[4:5], v[6:7]
	;; [unrolled: 4-line block ×4, first 2 shown]
	ds_bpermute_b32 v8, v14, v6
	ds_bpermute_b32 v9, v14, v7
	s_and_saveexec_b64 s[2:3], vcc
	s_cbranch_execz .LBB416_16
; %bb.5:
	v_mov_b32_e32 v5, s9
	v_add_co_u32_e32 v4, vcc, s8, v0
	v_addc_co_u32_e32 v5, vcc, v5, v1, vcc
	s_waitcnt lgkmcnt(0)
	v_pk_add_f32 v[0:1], v[6:7], v[8:9]
	s_and_saveexec_b64 s[2:3], s[0:1]
	s_cbranch_execz .LBB416_10
; %bb.6:
	v_cmp_neq_f32_e32 vcc, 0, v0
	s_and_saveexec_b64 s[4:5], vcc
	s_xor_b64 s[4:5], exec, s[4:5]
	s_cbranch_execz .LBB416_8
; %bb.7:
	v_div_scale_f32 v6, s[6:7], v0, v0, v2
	v_rcp_f32_e32 v7, v6
	v_div_scale_f32 v8, vcc, v2, v0, v2
	v_fma_f32 v9, -v6, v7, 1.0
	v_fmac_f32_e32 v7, v9, v7
	v_mul_f32_e32 v9, v8, v7
	v_fma_f32 v11, -v6, v9, v8
	v_fmac_f32_e32 v9, v11, v7
	v_fma_f32 v6, -v6, v9, v8
	v_div_fmas_f32 v6, v6, v7, v9
	v_div_fixup_f32 v0, v6, v0, v2
	v_cvt_f16_f32_e32 v0, v0
	global_store_short v[4:5], v0, off
.LBB416_8:
	s_andn2_saveexec_b64 s[4:5], s[4:5]
	s_cbranch_execz .LBB416_10
; %bb.9:
	v_mov_b32_e32 v0, 0x7e00
	global_store_short v[4:5], v0, off
.LBB416_10:
	s_or_b64 exec, exec, s[2:3]
	v_cmp_ne_u32_e32 vcc, 1, v10
	s_and_b64 exec, exec, vcc
	s_cbranch_execz .LBB416_16
; %bb.11:
	s_and_b64 exec, exec, s[0:1]
	s_cbranch_execz .LBB416_16
; %bb.12:
	s_mov_b32 s15, 0
	s_lshl_b64 s[0:1], s[14:15], 1
	v_mov_b32_e32 v0, s1
	v_add_co_u32_e64 v4, s[0:1], s0, v4
	v_cmp_neq_f32_e32 vcc, 0, v1
	v_addc_co_u32_e64 v5, s[0:1], v5, v0, s[0:1]
	s_and_saveexec_b64 s[0:1], vcc
	s_xor_b64 s[0:1], exec, s[0:1]
	s_cbranch_execz .LBB416_14
; %bb.13:
	v_div_scale_f32 v0, s[2:3], v1, v1, v3
	v_rcp_f32_e32 v2, v0
	v_div_scale_f32 v6, vcc, v3, v1, v3
	v_fma_f32 v7, -v0, v2, 1.0
	v_fmac_f32_e32 v2, v7, v2
	v_mul_f32_e32 v7, v6, v2
	v_fma_f32 v8, -v0, v7, v6
	v_fmac_f32_e32 v7, v8, v2
	v_fma_f32 v0, -v0, v7, v6
	v_div_fmas_f32 v0, v0, v2, v7
	v_div_fixup_f32 v0, v0, v1, v3
	v_cvt_f16_f32_e32 v0, v0
	global_store_short v[4:5], v0, off
                                        ; implicit-def: $vgpr4_vgpr5
.LBB416_14:
	s_andn2_saveexec_b64 s[0:1], s[0:1]
	s_cbranch_execz .LBB416_16
; %bb.15:
	v_mov_b32_e32 v0, 0x7e00
	global_store_short v[4:5], v0, off
.LBB416_16:
	s_endpgm
	.section	.rodata,"a",@progbits
	.p2align	6, 0x0
	.amdhsa_kernel _ZN12_GLOBAL__N_120softmax_warp_forwardIN3c104HalfES2_fLi5ELb0ELb0ELi64EEEvPT0_PKT_iiiPKbib
		.amdhsa_group_segment_fixed_size 0
		.amdhsa_private_segment_fixed_size 0
		.amdhsa_kernarg_size 304
		.amdhsa_user_sgpr_count 6
		.amdhsa_user_sgpr_private_segment_buffer 1
		.amdhsa_user_sgpr_dispatch_ptr 0
		.amdhsa_user_sgpr_queue_ptr 0
		.amdhsa_user_sgpr_kernarg_segment_ptr 1
		.amdhsa_user_sgpr_dispatch_id 0
		.amdhsa_user_sgpr_flat_scratch_init 0
		.amdhsa_user_sgpr_kernarg_preload_length 0
		.amdhsa_user_sgpr_kernarg_preload_offset 0
		.amdhsa_user_sgpr_private_segment_size 0
		.amdhsa_uses_dynamic_stack 0
		.amdhsa_system_sgpr_private_segment_wavefront_offset 0
		.amdhsa_system_sgpr_workgroup_id_x 1
		.amdhsa_system_sgpr_workgroup_id_y 0
		.amdhsa_system_sgpr_workgroup_id_z 0
		.amdhsa_system_sgpr_workgroup_info 0
		.amdhsa_system_vgpr_workitem_id 1
		.amdhsa_next_free_vgpr 16
		.amdhsa_next_free_sgpr 16
		.amdhsa_accum_offset 16
		.amdhsa_reserve_vcc 1
		.amdhsa_reserve_flat_scratch 0
		.amdhsa_float_round_mode_32 0
		.amdhsa_float_round_mode_16_64 0
		.amdhsa_float_denorm_mode_32 3
		.amdhsa_float_denorm_mode_16_64 3
		.amdhsa_dx10_clamp 1
		.amdhsa_ieee_mode 1
		.amdhsa_fp16_overflow 0
		.amdhsa_tg_split 0
		.amdhsa_exception_fp_ieee_invalid_op 0
		.amdhsa_exception_fp_denorm_src 0
		.amdhsa_exception_fp_ieee_div_zero 0
		.amdhsa_exception_fp_ieee_overflow 0
		.amdhsa_exception_fp_ieee_underflow 0
		.amdhsa_exception_fp_ieee_inexact 0
		.amdhsa_exception_int_div_zero 0
	.end_amdhsa_kernel
	.section	.text._ZN12_GLOBAL__N_120softmax_warp_forwardIN3c104HalfES2_fLi5ELb0ELb0ELi64EEEvPT0_PKT_iiiPKbib,"axG",@progbits,_ZN12_GLOBAL__N_120softmax_warp_forwardIN3c104HalfES2_fLi5ELb0ELb0ELi64EEEvPT0_PKT_iiiPKbib,comdat
.Lfunc_end416:
	.size	_ZN12_GLOBAL__N_120softmax_warp_forwardIN3c104HalfES2_fLi5ELb0ELb0ELi64EEEvPT0_PKT_iiiPKbib, .Lfunc_end416-_ZN12_GLOBAL__N_120softmax_warp_forwardIN3c104HalfES2_fLi5ELb0ELb0ELi64EEEvPT0_PKT_iiiPKbib
                                        ; -- End function
	.section	.AMDGPU.csdata,"",@progbits
; Kernel info:
; codeLenInByte = 1324
; NumSgprs: 20
; NumVgprs: 16
; NumAgprs: 0
; TotalNumVgprs: 16
; ScratchSize: 0
; MemoryBound: 0
; FloatMode: 240
; IeeeMode: 1
; LDSByteSize: 0 bytes/workgroup (compile time only)
; SGPRBlocks: 2
; VGPRBlocks: 1
; NumSGPRsForWavesPerEU: 20
; NumVGPRsForWavesPerEU: 16
; AccumOffset: 16
; Occupancy: 8
; WaveLimiterHint : 0
; COMPUTE_PGM_RSRC2:SCRATCH_EN: 0
; COMPUTE_PGM_RSRC2:USER_SGPR: 6
; COMPUTE_PGM_RSRC2:TRAP_HANDLER: 0
; COMPUTE_PGM_RSRC2:TGID_X_EN: 1
; COMPUTE_PGM_RSRC2:TGID_Y_EN: 0
; COMPUTE_PGM_RSRC2:TGID_Z_EN: 0
; COMPUTE_PGM_RSRC2:TIDIG_COMP_CNT: 1
; COMPUTE_PGM_RSRC3_GFX90A:ACCUM_OFFSET: 3
; COMPUTE_PGM_RSRC3_GFX90A:TG_SPLIT: 0
	.section	.text._ZN12_GLOBAL__N_120softmax_warp_forwardIN3c104HalfES2_fLi5ELb0ELb0ELi32EEEvPT0_PKT_iiiPKbib,"axG",@progbits,_ZN12_GLOBAL__N_120softmax_warp_forwardIN3c104HalfES2_fLi5ELb0ELb0ELi32EEEvPT0_PKT_iiiPKbib,comdat
	.globl	_ZN12_GLOBAL__N_120softmax_warp_forwardIN3c104HalfES2_fLi5ELb0ELb0ELi32EEEvPT0_PKT_iiiPKbib ; -- Begin function _ZN12_GLOBAL__N_120softmax_warp_forwardIN3c104HalfES2_fLi5ELb0ELb0ELi32EEEvPT0_PKT_iiiPKbib
	.p2align	8
	.type	_ZN12_GLOBAL__N_120softmax_warp_forwardIN3c104HalfES2_fLi5ELb0ELb0ELi32EEEvPT0_PKT_iiiPKbib,@function
_ZN12_GLOBAL__N_120softmax_warp_forwardIN3c104HalfES2_fLi5ELb0ELb0ELi32EEEvPT0_PKT_iiiPKbib: ; @_ZN12_GLOBAL__N_120softmax_warp_forwardIN3c104HalfES2_fLi5ELb0ELb0ELi32EEEvPT0_PKT_iiiPKbib
; %bb.0:
	s_load_dword s0, s[4:5], 0x3c
	s_load_dwordx8 s[8:15], s[4:5], 0x0
	v_bfe_u32 v1, v0, 10, 10
	v_and_b32_e32 v2, 0x3ff, v0
	s_waitcnt lgkmcnt(0)
	s_lshr_b32 s0, s0, 16
	s_mul_i32 s6, s6, s0
	v_add_lshl_u32 v1, s6, v1, 1
	v_sub_u32_e32 v10, s12, v1
	v_mad_u64_u32 v[0:1], s[0:1], v1, s13, v[2:3]
	v_ashrrev_i32_e32 v1, 31, v0
	v_lshlrev_b64 v[0:1], 1, v[0:1]
	v_mov_b32_e32 v3, s11
	v_add_co_u32_e32 v4, vcc, s10, v0
	v_addc_co_u32_e32 v5, vcc, v3, v1, vcc
	v_cmp_gt_i32_e64 s[0:1], s14, v2
	v_cmp_lt_i32_e32 vcc, 0, v10
	s_and_b64 s[4:5], s[0:1], vcc
	v_mov_b32_e32 v3, 0xff800000
	v_mov_b32_e32 v2, 0xff800000
	s_and_saveexec_b64 s[2:3], s[4:5]
	s_cbranch_execz .LBB417_2
; %bb.1:
	global_load_ushort v2, v[4:5], off
	s_waitcnt vmcnt(0)
	v_cvt_f32_f16_e32 v2, v2
.LBB417_2:
	s_or_b64 exec, exec, s[2:3]
	v_cmp_lt_i32_e64 s[2:3], 1, v10
	s_and_b64 s[2:3], s[0:1], s[2:3]
	s_and_saveexec_b64 s[4:5], s[2:3]
	s_cbranch_execz .LBB417_4
; %bb.3:
	s_mov_b32 s15, 0
	s_lshl_b64 s[2:3], s[14:15], 1
	v_mov_b32_e32 v3, s3
	v_add_co_u32_e64 v4, s[2:3], s2, v4
	v_addc_co_u32_e64 v5, s[2:3], v5, v3, s[2:3]
	global_load_ushort v3, v[4:5], off
	s_waitcnt vmcnt(0)
	v_cvt_f32_f16_e32 v3, v3
.LBB417_4:
	s_or_b64 exec, exec, s[4:5]
	v_mbcnt_lo_u32_b32 v4, -1, 0
	v_mbcnt_hi_u32_b32 v4, -1, v4
	v_and_b32_e32 v5, 0x60, v4
	v_add_u32_e32 v5, 32, v5
	v_xor_b32_e32 v6, 16, v4
	v_cmp_lt_i32_e64 s[2:3], v6, v5
	v_cndmask_b32_e64 v6, v4, v6, s[2:3]
	v_lshlrev_b32_e32 v6, 2, v6
	ds_bpermute_b32 v8, v6, v3
	ds_bpermute_b32 v7, v6, v2
	v_xor_b32_e32 v9, 8, v4
	v_cmp_lt_i32_e64 s[2:3], v9, v5
	v_xor_b32_e32 v11, 4, v4
	v_cndmask_b32_e64 v9, v4, v9, s[2:3]
	v_cmp_lt_i32_e64 s[2:3], v11, v5
	v_xor_b32_e32 v12, 2, v4
	v_cndmask_b32_e64 v11, v4, v11, s[2:3]
	v_cmp_lt_i32_e64 s[2:3], v12, v5
	v_cndmask_b32_e64 v12, v4, v12, s[2:3]
	s_waitcnt lgkmcnt(1)
	v_cmp_lt_f32_e64 s[2:3], v3, v8
	v_lshlrev_b32_e32 v9, 2, v9
	v_cndmask_b32_e64 v8, v3, v8, s[2:3]
	s_waitcnt lgkmcnt(0)
	v_cmp_lt_f32_e64 s[2:3], v2, v7
	ds_bpermute_b32 v13, v9, v8
	v_cndmask_b32_e64 v7, v2, v7, s[2:3]
	ds_bpermute_b32 v14, v9, v7
	v_lshlrev_b32_e32 v11, 2, v11
	v_xor_b32_e32 v15, 1, v4
	s_waitcnt lgkmcnt(1)
	v_cmp_lt_f32_e64 s[2:3], v8, v13
	v_cndmask_b32_e64 v8, v8, v13, s[2:3]
	s_waitcnt lgkmcnt(0)
	v_cmp_lt_f32_e64 s[2:3], v7, v14
	ds_bpermute_b32 v13, v11, v8
	v_cndmask_b32_e64 v7, v7, v14, s[2:3]
	ds_bpermute_b32 v14, v11, v7
	v_cmp_lt_i32_e64 s[2:3], v15, v5
	v_cndmask_b32_e64 v4, v4, v15, s[2:3]
	s_waitcnt lgkmcnt(1)
	v_cmp_lt_f32_e64 s[2:3], v8, v13
	v_lshlrev_b32_e32 v12, 2, v12
	v_cndmask_b32_e64 v5, v8, v13, s[2:3]
	s_waitcnt lgkmcnt(0)
	v_cmp_lt_f32_e64 s[2:3], v7, v14
	ds_bpermute_b32 v8, v12, v5
	v_cndmask_b32_e64 v7, v7, v14, s[2:3]
	ds_bpermute_b32 v13, v12, v7
	v_lshlrev_b32_e32 v14, 2, v4
	s_mov_b32 s4, 0x3fb8aa3b
	s_waitcnt lgkmcnt(1)
	v_cmp_lt_f32_e64 s[2:3], v5, v8
	v_cndmask_b32_e64 v4, v5, v8, s[2:3]
	s_waitcnt lgkmcnt(0)
	v_cmp_lt_f32_e64 s[2:3], v7, v13
	ds_bpermute_b32 v5, v14, v4
	v_cndmask_b32_e64 v7, v7, v13, s[2:3]
	ds_bpermute_b32 v8, v14, v7
	s_mov_b32 s5, 0xc2ce8ed0
	s_mov_b32 s6, 0x42b17218
	s_waitcnt lgkmcnt(1)
	v_cmp_lt_f32_e64 s[2:3], v4, v5
	v_cndmask_b32_e64 v5, v4, v5, s[2:3]
	s_waitcnt lgkmcnt(0)
	v_cmp_lt_f32_e64 s[2:3], v7, v8
	v_cndmask_b32_e64 v4, v7, v8, s[2:3]
	v_pk_add_f32 v[2:3], v[2:3], v[4:5] neg_lo:[0,1] neg_hi:[0,1]
	v_mul_f32_e32 v4, 0x3fb8aa3b, v3
	v_fma_f32 v5, v3, s4, -v4
	v_rndne_f32_e32 v7, v4
	v_fmac_f32_e32 v5, 0x32a5705f, v3
	v_sub_f32_e32 v4, v4, v7
	v_add_f32_e32 v4, v4, v5
	v_exp_f32_e32 v4, v4
	v_cvt_i32_f32_e32 v5, v7
	v_cmp_ngt_f32_e64 s[2:3], s5, v3
	v_ldexp_f32 v4, v4, v5
	v_mul_f32_e32 v5, 0x3fb8aa3b, v2
	v_fma_f32 v7, v2, s4, -v5
	v_rndne_f32_e32 v8, v5
	v_fmac_f32_e32 v7, 0x32a5705f, v2
	v_sub_f32_e32 v5, v5, v8
	v_add_f32_e32 v5, v5, v7
	v_exp_f32_e32 v5, v5
	v_cvt_i32_f32_e32 v7, v8
	v_cndmask_b32_e64 v4, 0, v4, s[2:3]
	v_mov_b32_e32 v8, 0x7f800000
	v_cmp_nlt_f32_e64 s[2:3], s6, v3
	v_cndmask_b32_e64 v3, v8, v4, s[2:3]
	v_ldexp_f32 v4, v5, v7
	v_cmp_ngt_f32_e64 s[2:3], s5, v2
	v_cndmask_b32_e64 v4, 0, v4, s[2:3]
	v_cmp_nlt_f32_e64 s[2:3], s6, v2
	v_cndmask_b32_e64 v2, v8, v4, s[2:3]
	ds_bpermute_b32 v4, v6, v2
	ds_bpermute_b32 v5, v6, v3
	s_waitcnt lgkmcnt(0)
	v_pk_add_f32 v[4:5], v[2:3], v[4:5]
	ds_bpermute_b32 v6, v9, v4
	ds_bpermute_b32 v7, v9, v5
	s_waitcnt lgkmcnt(0)
	v_pk_add_f32 v[4:5], v[4:5], v[6:7]
	;; [unrolled: 4-line block ×4, first 2 shown]
	ds_bpermute_b32 v8, v14, v6
	ds_bpermute_b32 v9, v14, v7
	s_and_saveexec_b64 s[2:3], vcc
	s_cbranch_execz .LBB417_16
; %bb.5:
	v_mov_b32_e32 v5, s9
	v_add_co_u32_e32 v4, vcc, s8, v0
	v_addc_co_u32_e32 v5, vcc, v5, v1, vcc
	s_waitcnt lgkmcnt(0)
	v_pk_add_f32 v[0:1], v[6:7], v[8:9]
	s_and_saveexec_b64 s[2:3], s[0:1]
	s_cbranch_execz .LBB417_10
; %bb.6:
	v_cmp_neq_f32_e32 vcc, 0, v0
	s_and_saveexec_b64 s[4:5], vcc
	s_xor_b64 s[4:5], exec, s[4:5]
	s_cbranch_execz .LBB417_8
; %bb.7:
	v_div_scale_f32 v6, s[6:7], v0, v0, v2
	v_rcp_f32_e32 v7, v6
	v_div_scale_f32 v8, vcc, v2, v0, v2
	v_fma_f32 v9, -v6, v7, 1.0
	v_fmac_f32_e32 v7, v9, v7
	v_mul_f32_e32 v9, v8, v7
	v_fma_f32 v11, -v6, v9, v8
	v_fmac_f32_e32 v9, v11, v7
	v_fma_f32 v6, -v6, v9, v8
	v_div_fmas_f32 v6, v6, v7, v9
	v_div_fixup_f32 v0, v6, v0, v2
	v_cvt_f16_f32_e32 v0, v0
	global_store_short v[4:5], v0, off
.LBB417_8:
	s_andn2_saveexec_b64 s[4:5], s[4:5]
	s_cbranch_execz .LBB417_10
; %bb.9:
	v_mov_b32_e32 v0, 0x7e00
	global_store_short v[4:5], v0, off
.LBB417_10:
	s_or_b64 exec, exec, s[2:3]
	v_cmp_ne_u32_e32 vcc, 1, v10
	s_and_b64 exec, exec, vcc
	s_cbranch_execz .LBB417_16
; %bb.11:
	s_and_b64 exec, exec, s[0:1]
	s_cbranch_execz .LBB417_16
; %bb.12:
	s_mov_b32 s15, 0
	s_lshl_b64 s[0:1], s[14:15], 1
	v_mov_b32_e32 v0, s1
	v_add_co_u32_e64 v4, s[0:1], s0, v4
	v_cmp_neq_f32_e32 vcc, 0, v1
	v_addc_co_u32_e64 v5, s[0:1], v5, v0, s[0:1]
	s_and_saveexec_b64 s[0:1], vcc
	s_xor_b64 s[0:1], exec, s[0:1]
	s_cbranch_execz .LBB417_14
; %bb.13:
	v_div_scale_f32 v0, s[2:3], v1, v1, v3
	v_rcp_f32_e32 v2, v0
	v_div_scale_f32 v6, vcc, v3, v1, v3
	v_fma_f32 v7, -v0, v2, 1.0
	v_fmac_f32_e32 v2, v7, v2
	v_mul_f32_e32 v7, v6, v2
	v_fma_f32 v8, -v0, v7, v6
	v_fmac_f32_e32 v7, v8, v2
	v_fma_f32 v0, -v0, v7, v6
	v_div_fmas_f32 v0, v0, v2, v7
	v_div_fixup_f32 v0, v0, v1, v3
	v_cvt_f16_f32_e32 v0, v0
	global_store_short v[4:5], v0, off
                                        ; implicit-def: $vgpr4_vgpr5
.LBB417_14:
	s_andn2_saveexec_b64 s[0:1], s[0:1]
	s_cbranch_execz .LBB417_16
; %bb.15:
	v_mov_b32_e32 v0, 0x7e00
	global_store_short v[4:5], v0, off
.LBB417_16:
	s_endpgm
	.section	.rodata,"a",@progbits
	.p2align	6, 0x0
	.amdhsa_kernel _ZN12_GLOBAL__N_120softmax_warp_forwardIN3c104HalfES2_fLi5ELb0ELb0ELi32EEEvPT0_PKT_iiiPKbib
		.amdhsa_group_segment_fixed_size 0
		.amdhsa_private_segment_fixed_size 0
		.amdhsa_kernarg_size 304
		.amdhsa_user_sgpr_count 6
		.amdhsa_user_sgpr_private_segment_buffer 1
		.amdhsa_user_sgpr_dispatch_ptr 0
		.amdhsa_user_sgpr_queue_ptr 0
		.amdhsa_user_sgpr_kernarg_segment_ptr 1
		.amdhsa_user_sgpr_dispatch_id 0
		.amdhsa_user_sgpr_flat_scratch_init 0
		.amdhsa_user_sgpr_kernarg_preload_length 0
		.amdhsa_user_sgpr_kernarg_preload_offset 0
		.amdhsa_user_sgpr_private_segment_size 0
		.amdhsa_uses_dynamic_stack 0
		.amdhsa_system_sgpr_private_segment_wavefront_offset 0
		.amdhsa_system_sgpr_workgroup_id_x 1
		.amdhsa_system_sgpr_workgroup_id_y 0
		.amdhsa_system_sgpr_workgroup_id_z 0
		.amdhsa_system_sgpr_workgroup_info 0
		.amdhsa_system_vgpr_workitem_id 1
		.amdhsa_next_free_vgpr 16
		.amdhsa_next_free_sgpr 16
		.amdhsa_accum_offset 16
		.amdhsa_reserve_vcc 1
		.amdhsa_reserve_flat_scratch 0
		.amdhsa_float_round_mode_32 0
		.amdhsa_float_round_mode_16_64 0
		.amdhsa_float_denorm_mode_32 3
		.amdhsa_float_denorm_mode_16_64 3
		.amdhsa_dx10_clamp 1
		.amdhsa_ieee_mode 1
		.amdhsa_fp16_overflow 0
		.amdhsa_tg_split 0
		.amdhsa_exception_fp_ieee_invalid_op 0
		.amdhsa_exception_fp_denorm_src 0
		.amdhsa_exception_fp_ieee_div_zero 0
		.amdhsa_exception_fp_ieee_overflow 0
		.amdhsa_exception_fp_ieee_underflow 0
		.amdhsa_exception_fp_ieee_inexact 0
		.amdhsa_exception_int_div_zero 0
	.end_amdhsa_kernel
	.section	.text._ZN12_GLOBAL__N_120softmax_warp_forwardIN3c104HalfES2_fLi5ELb0ELb0ELi32EEEvPT0_PKT_iiiPKbib,"axG",@progbits,_ZN12_GLOBAL__N_120softmax_warp_forwardIN3c104HalfES2_fLi5ELb0ELb0ELi32EEEvPT0_PKT_iiiPKbib,comdat
.Lfunc_end417:
	.size	_ZN12_GLOBAL__N_120softmax_warp_forwardIN3c104HalfES2_fLi5ELb0ELb0ELi32EEEvPT0_PKT_iiiPKbib, .Lfunc_end417-_ZN12_GLOBAL__N_120softmax_warp_forwardIN3c104HalfES2_fLi5ELb0ELb0ELi32EEEvPT0_PKT_iiiPKbib
                                        ; -- End function
	.section	.AMDGPU.csdata,"",@progbits
; Kernel info:
; codeLenInByte = 1324
; NumSgprs: 20
; NumVgprs: 16
; NumAgprs: 0
; TotalNumVgprs: 16
; ScratchSize: 0
; MemoryBound: 0
; FloatMode: 240
; IeeeMode: 1
; LDSByteSize: 0 bytes/workgroup (compile time only)
; SGPRBlocks: 2
; VGPRBlocks: 1
; NumSGPRsForWavesPerEU: 20
; NumVGPRsForWavesPerEU: 16
; AccumOffset: 16
; Occupancy: 8
; WaveLimiterHint : 0
; COMPUTE_PGM_RSRC2:SCRATCH_EN: 0
; COMPUTE_PGM_RSRC2:USER_SGPR: 6
; COMPUTE_PGM_RSRC2:TRAP_HANDLER: 0
; COMPUTE_PGM_RSRC2:TGID_X_EN: 1
; COMPUTE_PGM_RSRC2:TGID_Y_EN: 0
; COMPUTE_PGM_RSRC2:TGID_Z_EN: 0
; COMPUTE_PGM_RSRC2:TIDIG_COMP_CNT: 1
; COMPUTE_PGM_RSRC3_GFX90A:ACCUM_OFFSET: 3
; COMPUTE_PGM_RSRC3_GFX90A:TG_SPLIT: 0
	.section	.text._ZN12_GLOBAL__N_120softmax_warp_forwardIN3c104HalfES2_fLi6ELb0ELb0ELi64EEEvPT0_PKT_iiiPKbib,"axG",@progbits,_ZN12_GLOBAL__N_120softmax_warp_forwardIN3c104HalfES2_fLi6ELb0ELb0ELi64EEEvPT0_PKT_iiiPKbib,comdat
	.globl	_ZN12_GLOBAL__N_120softmax_warp_forwardIN3c104HalfES2_fLi6ELb0ELb0ELi64EEEvPT0_PKT_iiiPKbib ; -- Begin function _ZN12_GLOBAL__N_120softmax_warp_forwardIN3c104HalfES2_fLi6ELb0ELb0ELi64EEEvPT0_PKT_iiiPKbib
	.p2align	8
	.type	_ZN12_GLOBAL__N_120softmax_warp_forwardIN3c104HalfES2_fLi6ELb0ELb0ELi64EEEvPT0_PKT_iiiPKbib,@function
_ZN12_GLOBAL__N_120softmax_warp_forwardIN3c104HalfES2_fLi6ELb0ELb0ELi64EEEvPT0_PKT_iiiPKbib: ; @_ZN12_GLOBAL__N_120softmax_warp_forwardIN3c104HalfES2_fLi6ELb0ELb0ELi64EEEvPT0_PKT_iiiPKbib
; %bb.0:
	s_load_dword s0, s[4:5], 0x3c
	s_load_dwordx8 s[8:15], s[4:5], 0x0
	v_bfe_u32 v1, v0, 10, 10
	v_and_b32_e32 v2, 0x3ff, v0
	s_waitcnt lgkmcnt(0)
	s_lshr_b32 s0, s0, 16
	s_mul_i32 s6, s6, s0
	v_add_lshl_u32 v1, s6, v1, 1
	v_sub_u32_e32 v10, s12, v1
	v_mad_u64_u32 v[0:1], s[0:1], v1, s13, v[2:3]
	v_ashrrev_i32_e32 v1, 31, v0
	v_lshlrev_b64 v[0:1], 1, v[0:1]
	v_mov_b32_e32 v3, s11
	v_add_co_u32_e32 v4, vcc, s10, v0
	v_addc_co_u32_e32 v5, vcc, v3, v1, vcc
	v_cmp_gt_i32_e64 s[0:1], s14, v2
	v_cmp_lt_i32_e32 vcc, 0, v10
	s_and_b64 s[4:5], s[0:1], vcc
	v_mov_b32_e32 v3, 0xff800000
	v_mov_b32_e32 v2, 0xff800000
	s_and_saveexec_b64 s[2:3], s[4:5]
	s_cbranch_execz .LBB418_2
; %bb.1:
	global_load_ushort v2, v[4:5], off
	s_waitcnt vmcnt(0)
	v_cvt_f32_f16_e32 v2, v2
.LBB418_2:
	s_or_b64 exec, exec, s[2:3]
	v_cmp_lt_i32_e64 s[2:3], 1, v10
	s_and_b64 s[2:3], s[0:1], s[2:3]
	s_and_saveexec_b64 s[4:5], s[2:3]
	s_cbranch_execz .LBB418_4
; %bb.3:
	s_mov_b32 s15, 0
	s_lshl_b64 s[2:3], s[14:15], 1
	v_mov_b32_e32 v3, s3
	v_add_co_u32_e64 v4, s[2:3], s2, v4
	v_addc_co_u32_e64 v5, s[2:3], v5, v3, s[2:3]
	global_load_ushort v3, v[4:5], off
	s_waitcnt vmcnt(0)
	v_cvt_f32_f16_e32 v3, v3
.LBB418_4:
	s_or_b64 exec, exec, s[4:5]
	v_mbcnt_lo_u32_b32 v4, -1, 0
	v_mbcnt_hi_u32_b32 v4, -1, v4
	v_and_b32_e32 v5, 64, v4
	v_add_u32_e32 v5, 64, v5
	v_xor_b32_e32 v6, 32, v4
	v_cmp_lt_i32_e64 s[2:3], v6, v5
	v_cndmask_b32_e64 v6, v4, v6, s[2:3]
	v_lshlrev_b32_e32 v6, 2, v6
	ds_bpermute_b32 v7, v6, v3
	ds_bpermute_b32 v8, v6, v2
	v_xor_b32_e32 v9, 16, v4
	v_xor_b32_e32 v13, 8, v4
	;; [unrolled: 1-line block ×3, first 2 shown]
	s_waitcnt lgkmcnt(1)
	v_cmp_lt_f32_e64 s[2:3], v3, v7
	v_cndmask_b32_e64 v7, v3, v7, s[2:3]
	s_waitcnt lgkmcnt(0)
	v_cmp_lt_f32_e64 s[2:3], v2, v8
	v_cndmask_b32_e64 v8, v2, v8, s[2:3]
	v_cmp_lt_i32_e64 s[2:3], v9, v5
	v_cndmask_b32_e64 v9, v4, v9, s[2:3]
	v_lshlrev_b32_e32 v9, 2, v9
	ds_bpermute_b32 v12, v9, v7
	ds_bpermute_b32 v11, v9, v8
	v_cmp_lt_i32_e64 s[2:3], v13, v5
	v_cndmask_b32_e64 v13, v4, v13, s[2:3]
	v_cmp_lt_i32_e64 s[2:3], v14, v5
	v_xor_b32_e32 v15, 2, v4
	v_cndmask_b32_e64 v14, v4, v14, s[2:3]
	v_cmp_lt_i32_e64 s[2:3], v15, v5
	v_cndmask_b32_e64 v15, v4, v15, s[2:3]
	s_waitcnt lgkmcnt(1)
	v_cmp_lt_f32_e64 s[2:3], v7, v12
	v_lshlrev_b32_e32 v13, 2, v13
	v_cndmask_b32_e64 v7, v7, v12, s[2:3]
	s_waitcnt lgkmcnt(0)
	v_cmp_lt_f32_e64 s[2:3], v8, v11
	ds_bpermute_b32 v12, v13, v7
	v_cndmask_b32_e64 v8, v8, v11, s[2:3]
	ds_bpermute_b32 v11, v13, v8
	v_lshlrev_b32_e32 v14, 2, v14
	v_xor_b32_e32 v16, 1, v4
	s_waitcnt lgkmcnt(1)
	v_cmp_lt_f32_e64 s[2:3], v7, v12
	v_cndmask_b32_e64 v7, v7, v12, s[2:3]
	s_waitcnt lgkmcnt(0)
	v_cmp_lt_f32_e64 s[2:3], v8, v11
	ds_bpermute_b32 v12, v14, v7
	v_cndmask_b32_e64 v8, v8, v11, s[2:3]
	ds_bpermute_b32 v11, v14, v8
	v_cmp_lt_i32_e64 s[2:3], v16, v5
	v_cndmask_b32_e64 v4, v4, v16, s[2:3]
	s_waitcnt lgkmcnt(1)
	v_cmp_lt_f32_e64 s[2:3], v7, v12
	v_lshlrev_b32_e32 v15, 2, v15
	v_cndmask_b32_e64 v5, v7, v12, s[2:3]
	s_waitcnt lgkmcnt(0)
	v_cmp_lt_f32_e64 s[2:3], v8, v11
	ds_bpermute_b32 v7, v15, v5
	v_cndmask_b32_e64 v8, v8, v11, s[2:3]
	ds_bpermute_b32 v11, v15, v8
	v_lshlrev_b32_e32 v12, 2, v4
	s_mov_b32 s4, 0x3fb8aa3b
	s_waitcnt lgkmcnt(1)
	v_cmp_lt_f32_e64 s[2:3], v5, v7
	v_cndmask_b32_e64 v4, v5, v7, s[2:3]
	s_waitcnt lgkmcnt(0)
	v_cmp_lt_f32_e64 s[2:3], v8, v11
	ds_bpermute_b32 v5, v12, v4
	v_cndmask_b32_e64 v7, v8, v11, s[2:3]
	ds_bpermute_b32 v8, v12, v7
	s_mov_b32 s5, 0xc2ce8ed0
	s_mov_b32 s6, 0x42b17218
	s_waitcnt lgkmcnt(1)
	v_cmp_lt_f32_e64 s[2:3], v4, v5
	v_cndmask_b32_e64 v5, v4, v5, s[2:3]
	s_waitcnt lgkmcnt(0)
	v_cmp_lt_f32_e64 s[2:3], v7, v8
	v_cndmask_b32_e64 v4, v7, v8, s[2:3]
	v_pk_add_f32 v[2:3], v[2:3], v[4:5] neg_lo:[0,1] neg_hi:[0,1]
	v_mul_f32_e32 v4, 0x3fb8aa3b, v3
	v_fma_f32 v5, v3, s4, -v4
	v_rndne_f32_e32 v7, v4
	v_fmac_f32_e32 v5, 0x32a5705f, v3
	v_sub_f32_e32 v4, v4, v7
	v_add_f32_e32 v4, v4, v5
	v_exp_f32_e32 v4, v4
	v_cvt_i32_f32_e32 v5, v7
	v_cmp_ngt_f32_e64 s[2:3], s5, v3
	v_ldexp_f32 v4, v4, v5
	v_mul_f32_e32 v5, 0x3fb8aa3b, v2
	v_fma_f32 v7, v2, s4, -v5
	v_rndne_f32_e32 v8, v5
	v_fmac_f32_e32 v7, 0x32a5705f, v2
	v_sub_f32_e32 v5, v5, v8
	v_add_f32_e32 v5, v5, v7
	v_exp_f32_e32 v5, v5
	v_cvt_i32_f32_e32 v7, v8
	v_cndmask_b32_e64 v4, 0, v4, s[2:3]
	v_mov_b32_e32 v8, 0x7f800000
	v_cmp_nlt_f32_e64 s[2:3], s6, v3
	v_cndmask_b32_e64 v3, v8, v4, s[2:3]
	v_ldexp_f32 v4, v5, v7
	v_cmp_ngt_f32_e64 s[2:3], s5, v2
	v_cndmask_b32_e64 v4, 0, v4, s[2:3]
	v_cmp_nlt_f32_e64 s[2:3], s6, v2
	v_cndmask_b32_e64 v2, v8, v4, s[2:3]
	ds_bpermute_b32 v4, v6, v2
	ds_bpermute_b32 v5, v6, v3
	s_waitcnt lgkmcnt(0)
	v_pk_add_f32 v[4:5], v[2:3], v[4:5]
	ds_bpermute_b32 v6, v9, v4
	ds_bpermute_b32 v7, v9, v5
	s_waitcnt lgkmcnt(0)
	v_pk_add_f32 v[4:5], v[4:5], v[6:7]
	;; [unrolled: 4-line block ×5, first 2 shown]
	ds_bpermute_b32 v8, v12, v6
	ds_bpermute_b32 v9, v12, v7
	s_and_saveexec_b64 s[2:3], vcc
	s_cbranch_execz .LBB418_16
; %bb.5:
	v_mov_b32_e32 v5, s9
	v_add_co_u32_e32 v4, vcc, s8, v0
	v_addc_co_u32_e32 v5, vcc, v5, v1, vcc
	s_waitcnt lgkmcnt(0)
	v_pk_add_f32 v[0:1], v[6:7], v[8:9]
	s_and_saveexec_b64 s[2:3], s[0:1]
	s_cbranch_execz .LBB418_10
; %bb.6:
	v_cmp_neq_f32_e32 vcc, 0, v0
	s_and_saveexec_b64 s[4:5], vcc
	s_xor_b64 s[4:5], exec, s[4:5]
	s_cbranch_execz .LBB418_8
; %bb.7:
	v_div_scale_f32 v6, s[6:7], v0, v0, v2
	v_rcp_f32_e32 v7, v6
	v_div_scale_f32 v8, vcc, v2, v0, v2
	v_fma_f32 v9, -v6, v7, 1.0
	v_fmac_f32_e32 v7, v9, v7
	v_mul_f32_e32 v9, v8, v7
	v_fma_f32 v11, -v6, v9, v8
	v_fmac_f32_e32 v9, v11, v7
	v_fma_f32 v6, -v6, v9, v8
	v_div_fmas_f32 v6, v6, v7, v9
	v_div_fixup_f32 v0, v6, v0, v2
	v_cvt_f16_f32_e32 v0, v0
	global_store_short v[4:5], v0, off
.LBB418_8:
	s_andn2_saveexec_b64 s[4:5], s[4:5]
	s_cbranch_execz .LBB418_10
; %bb.9:
	v_mov_b32_e32 v0, 0x7e00
	global_store_short v[4:5], v0, off
.LBB418_10:
	s_or_b64 exec, exec, s[2:3]
	v_cmp_ne_u32_e32 vcc, 1, v10
	s_and_b64 exec, exec, vcc
	s_cbranch_execz .LBB418_16
; %bb.11:
	s_and_b64 exec, exec, s[0:1]
	s_cbranch_execz .LBB418_16
; %bb.12:
	s_mov_b32 s15, 0
	s_lshl_b64 s[0:1], s[14:15], 1
	v_mov_b32_e32 v0, s1
	v_add_co_u32_e64 v4, s[0:1], s0, v4
	v_cmp_neq_f32_e32 vcc, 0, v1
	v_addc_co_u32_e64 v5, s[0:1], v5, v0, s[0:1]
	s_and_saveexec_b64 s[0:1], vcc
	s_xor_b64 s[0:1], exec, s[0:1]
	s_cbranch_execz .LBB418_14
; %bb.13:
	v_div_scale_f32 v0, s[2:3], v1, v1, v3
	v_rcp_f32_e32 v2, v0
	v_div_scale_f32 v6, vcc, v3, v1, v3
	v_fma_f32 v7, -v0, v2, 1.0
	v_fmac_f32_e32 v2, v7, v2
	v_mul_f32_e32 v7, v6, v2
	v_fma_f32 v8, -v0, v7, v6
	v_fmac_f32_e32 v7, v8, v2
	v_fma_f32 v0, -v0, v7, v6
	v_div_fmas_f32 v0, v0, v2, v7
	v_div_fixup_f32 v0, v0, v1, v3
	v_cvt_f16_f32_e32 v0, v0
	global_store_short v[4:5], v0, off
                                        ; implicit-def: $vgpr4_vgpr5
.LBB418_14:
	s_andn2_saveexec_b64 s[0:1], s[0:1]
	s_cbranch_execz .LBB418_16
; %bb.15:
	v_mov_b32_e32 v0, 0x7e00
	global_store_short v[4:5], v0, off
.LBB418_16:
	s_endpgm
	.section	.rodata,"a",@progbits
	.p2align	6, 0x0
	.amdhsa_kernel _ZN12_GLOBAL__N_120softmax_warp_forwardIN3c104HalfES2_fLi6ELb0ELb0ELi64EEEvPT0_PKT_iiiPKbib
		.amdhsa_group_segment_fixed_size 0
		.amdhsa_private_segment_fixed_size 0
		.amdhsa_kernarg_size 304
		.amdhsa_user_sgpr_count 6
		.amdhsa_user_sgpr_private_segment_buffer 1
		.amdhsa_user_sgpr_dispatch_ptr 0
		.amdhsa_user_sgpr_queue_ptr 0
		.amdhsa_user_sgpr_kernarg_segment_ptr 1
		.amdhsa_user_sgpr_dispatch_id 0
		.amdhsa_user_sgpr_flat_scratch_init 0
		.amdhsa_user_sgpr_kernarg_preload_length 0
		.amdhsa_user_sgpr_kernarg_preload_offset 0
		.amdhsa_user_sgpr_private_segment_size 0
		.amdhsa_uses_dynamic_stack 0
		.amdhsa_system_sgpr_private_segment_wavefront_offset 0
		.amdhsa_system_sgpr_workgroup_id_x 1
		.amdhsa_system_sgpr_workgroup_id_y 0
		.amdhsa_system_sgpr_workgroup_id_z 0
		.amdhsa_system_sgpr_workgroup_info 0
		.amdhsa_system_vgpr_workitem_id 1
		.amdhsa_next_free_vgpr 17
		.amdhsa_next_free_sgpr 16
		.amdhsa_accum_offset 20
		.amdhsa_reserve_vcc 1
		.amdhsa_reserve_flat_scratch 0
		.amdhsa_float_round_mode_32 0
		.amdhsa_float_round_mode_16_64 0
		.amdhsa_float_denorm_mode_32 3
		.amdhsa_float_denorm_mode_16_64 3
		.amdhsa_dx10_clamp 1
		.amdhsa_ieee_mode 1
		.amdhsa_fp16_overflow 0
		.amdhsa_tg_split 0
		.amdhsa_exception_fp_ieee_invalid_op 0
		.amdhsa_exception_fp_denorm_src 0
		.amdhsa_exception_fp_ieee_div_zero 0
		.amdhsa_exception_fp_ieee_overflow 0
		.amdhsa_exception_fp_ieee_underflow 0
		.amdhsa_exception_fp_ieee_inexact 0
		.amdhsa_exception_int_div_zero 0
	.end_amdhsa_kernel
	.section	.text._ZN12_GLOBAL__N_120softmax_warp_forwardIN3c104HalfES2_fLi6ELb0ELb0ELi64EEEvPT0_PKT_iiiPKbib,"axG",@progbits,_ZN12_GLOBAL__N_120softmax_warp_forwardIN3c104HalfES2_fLi6ELb0ELb0ELi64EEEvPT0_PKT_iiiPKbib,comdat
.Lfunc_end418:
	.size	_ZN12_GLOBAL__N_120softmax_warp_forwardIN3c104HalfES2_fLi6ELb0ELb0ELi64EEEvPT0_PKT_iiiPKbib, .Lfunc_end418-_ZN12_GLOBAL__N_120softmax_warp_forwardIN3c104HalfES2_fLi6ELb0ELb0ELi64EEEvPT0_PKT_iiiPKbib
                                        ; -- End function
	.section	.AMDGPU.csdata,"",@progbits
; Kernel info:
; codeLenInByte = 1428
; NumSgprs: 20
; NumVgprs: 17
; NumAgprs: 0
; TotalNumVgprs: 17
; ScratchSize: 0
; MemoryBound: 0
; FloatMode: 240
; IeeeMode: 1
; LDSByteSize: 0 bytes/workgroup (compile time only)
; SGPRBlocks: 2
; VGPRBlocks: 2
; NumSGPRsForWavesPerEU: 20
; NumVGPRsForWavesPerEU: 17
; AccumOffset: 20
; Occupancy: 8
; WaveLimiterHint : 0
; COMPUTE_PGM_RSRC2:SCRATCH_EN: 0
; COMPUTE_PGM_RSRC2:USER_SGPR: 6
; COMPUTE_PGM_RSRC2:TRAP_HANDLER: 0
; COMPUTE_PGM_RSRC2:TGID_X_EN: 1
; COMPUTE_PGM_RSRC2:TGID_Y_EN: 0
; COMPUTE_PGM_RSRC2:TGID_Z_EN: 0
; COMPUTE_PGM_RSRC2:TIDIG_COMP_CNT: 1
; COMPUTE_PGM_RSRC3_GFX90A:ACCUM_OFFSET: 4
; COMPUTE_PGM_RSRC3_GFX90A:TG_SPLIT: 0
	.section	.text._ZN12_GLOBAL__N_120softmax_warp_forwardIN3c104HalfES2_fLi6ELb0ELb0ELi32EEEvPT0_PKT_iiiPKbib,"axG",@progbits,_ZN12_GLOBAL__N_120softmax_warp_forwardIN3c104HalfES2_fLi6ELb0ELb0ELi32EEEvPT0_PKT_iiiPKbib,comdat
	.globl	_ZN12_GLOBAL__N_120softmax_warp_forwardIN3c104HalfES2_fLi6ELb0ELb0ELi32EEEvPT0_PKT_iiiPKbib ; -- Begin function _ZN12_GLOBAL__N_120softmax_warp_forwardIN3c104HalfES2_fLi6ELb0ELb0ELi32EEEvPT0_PKT_iiiPKbib
	.p2align	8
	.type	_ZN12_GLOBAL__N_120softmax_warp_forwardIN3c104HalfES2_fLi6ELb0ELb0ELi32EEEvPT0_PKT_iiiPKbib,@function
_ZN12_GLOBAL__N_120softmax_warp_forwardIN3c104HalfES2_fLi6ELb0ELb0ELi32EEEvPT0_PKT_iiiPKbib: ; @_ZN12_GLOBAL__N_120softmax_warp_forwardIN3c104HalfES2_fLi6ELb0ELb0ELi32EEEvPT0_PKT_iiiPKbib
; %bb.0:
	s_load_dword s0, s[4:5], 0x3c
	s_load_dwordx8 s[8:15], s[4:5], 0x0
	v_bfe_u32 v1, v0, 10, 10
	v_and_b32_e32 v4, 0x3ff, v0
	s_waitcnt lgkmcnt(0)
	s_lshr_b32 s0, s0, 16
	s_mul_i32 s6, s6, s0
	v_add_lshl_u32 v1, s6, v1, 1
	v_sub_u32_e32 v12, s12, v1
	v_mad_u64_u32 v[0:1], s[0:1], v1, s13, v[4:5]
	v_ashrrev_i32_e32 v1, 31, v0
	v_lshlrev_b64 v[2:3], 1, v[0:1]
	v_mov_b32_e32 v0, s11
	v_add_co_u32_e32 v6, vcc, s10, v2
	v_addc_co_u32_e32 v7, vcc, v0, v3, vcc
	v_cmp_lt_i32_e32 vcc, 0, v12
	v_cmp_gt_i32_e64 s[2:3], s14, v4
	s_and_b64 s[4:5], vcc, s[2:3]
	v_mov_b32_e32 v1, 0xff800000
	v_mov_b32_e32 v0, 0xff800000
	s_and_saveexec_b64 s[0:1], s[4:5]
	s_cbranch_execz .LBB419_2
; %bb.1:
	global_load_ushort v0, v[6:7], off
	s_waitcnt vmcnt(0)
	v_cvt_f32_f16_e32 v0, v0
.LBB419_2:
	s_or_b64 exec, exec, s[0:1]
	v_add_u32_e32 v4, 32, v4
	v_cmp_gt_i32_e64 s[0:1], s14, v4
	s_and_b64 s[6:7], vcc, s[0:1]
	s_and_saveexec_b64 s[4:5], s[6:7]
	s_cbranch_execz .LBB419_4
; %bb.3:
	global_load_ushort v1, v[6:7], off offset:64
	s_waitcnt vmcnt(0)
	v_cvt_f32_f16_e32 v1, v1
.LBB419_4:
	s_or_b64 exec, exec, s[4:5]
	v_cmp_lt_i32_e64 s[4:5], 1, v12
	s_and_b64 s[6:7], s[4:5], s[2:3]
	v_mov_b32_e32 v5, 0xff800000
	v_mov_b32_e32 v4, 0xff800000
	s_and_saveexec_b64 s[10:11], s[6:7]
	s_cbranch_execz .LBB419_6
; %bb.5:
	s_mov_b32 s15, 0
	s_lshl_b64 s[6:7], s[14:15], 1
	v_mov_b32_e32 v4, s7
	v_add_co_u32_e64 v8, s[6:7], s6, v6
	v_addc_co_u32_e64 v9, s[6:7], v7, v4, s[6:7]
	global_load_ushort v4, v[8:9], off
	s_waitcnt vmcnt(0)
	v_cvt_f32_f16_e32 v4, v4
.LBB419_6:
	s_or_b64 exec, exec, s[10:11]
	s_and_b64 s[4:5], s[4:5], s[0:1]
	s_and_saveexec_b64 s[6:7], s[4:5]
	s_cbranch_execz .LBB419_8
; %bb.7:
	s_mov_b32 s15, 0
	s_lshl_b64 s[4:5], s[14:15], 1
	v_mov_b32_e32 v5, s5
	v_add_co_u32_e64 v6, s[4:5], s4, v6
	v_addc_co_u32_e64 v7, s[4:5], v7, v5, s[4:5]
	global_load_ushort v5, v[6:7], off offset:64
	s_waitcnt vmcnt(0)
	v_cvt_f32_f16_e32 v5, v5
.LBB419_8:
	s_or_b64 exec, exec, s[6:7]
	v_mbcnt_lo_u32_b32 v7, -1, 0
	v_mbcnt_hi_u32_b32 v7, -1, v7
	v_and_b32_e32 v8, 0x60, v7
	v_cmp_gt_f32_e64 s[4:5], v0, v1
	v_add_u32_e32 v8, 32, v8
	v_xor_b32_e32 v9, 16, v7
	v_cndmask_b32_e64 v6, v1, v0, s[4:5]
	v_cmp_lt_i32_e64 s[4:5], v9, v8
	v_cndmask_b32_e64 v9, v7, v9, s[4:5]
	v_lshlrev_b32_e32 v10, 2, v9
	ds_bpermute_b32 v9, v10, v6
	v_cmp_gt_f32_e64 s[4:5], v4, v5
	v_cndmask_b32_e64 v11, v5, v4, s[4:5]
	v_xor_b32_e32 v13, 8, v7
	s_mov_b32 s6, 0x3fb8aa3b
	s_waitcnt lgkmcnt(0)
	v_cmp_lt_f32_e64 s[4:5], v6, v9
	v_cndmask_b32_e64 v6, v6, v9, s[4:5]
	v_cmp_lt_i32_e64 s[4:5], v13, v8
	v_cndmask_b32_e64 v13, v7, v13, s[4:5]
	ds_bpermute_b32 v9, v10, v11
	v_lshlrev_b32_e32 v13, 2, v13
	ds_bpermute_b32 v14, v13, v6
	s_mov_b32 s7, 0xc2ce8ed0
	s_mov_b32 s10, 0x42b17218
	s_waitcnt lgkmcnt(1)
	v_cmp_lt_f32_e64 s[4:5], v11, v9
	v_cndmask_b32_e64 v9, v11, v9, s[4:5]
	s_waitcnt lgkmcnt(0)
	v_cmp_lt_f32_e64 s[4:5], v6, v14
	v_cndmask_b32_e64 v6, v6, v14, s[4:5]
	v_xor_b32_e32 v14, 4, v7
	v_cmp_lt_i32_e64 s[4:5], v14, v8
	v_cndmask_b32_e64 v14, v7, v14, s[4:5]
	ds_bpermute_b32 v11, v13, v9
	v_lshlrev_b32_e32 v14, 2, v14
	ds_bpermute_b32 v15, v14, v6
	s_waitcnt lgkmcnt(1)
	v_cmp_lt_f32_e64 s[4:5], v9, v11
	v_cndmask_b32_e64 v9, v9, v11, s[4:5]
	s_waitcnt lgkmcnt(0)
	v_cmp_lt_f32_e64 s[4:5], v6, v15
	v_cndmask_b32_e64 v6, v6, v15, s[4:5]
	v_xor_b32_e32 v15, 2, v7
	v_cmp_lt_i32_e64 s[4:5], v15, v8
	v_cndmask_b32_e64 v15, v7, v15, s[4:5]
	ds_bpermute_b32 v11, v14, v9
	v_lshlrev_b32_e32 v15, 2, v15
	ds_bpermute_b32 v16, v15, v6
	;; [unrolled: 12-line block ×3, first 2 shown]
	s_waitcnt lgkmcnt(1)
	v_cmp_lt_f32_e64 s[4:5], v9, v11
	v_cndmask_b32_e64 v8, v9, v11, s[4:5]
	s_waitcnt lgkmcnt(0)
	v_cmp_lt_f32_e64 s[4:5], v6, v7
	v_cndmask_b32_e64 v6, v6, v7, s[4:5]
	v_pk_add_f32 v[6:7], v[0:1], v[6:7] op_sel_hi:[1,0] neg_lo:[0,1] neg_hi:[0,1]
	v_mul_f32_e32 v0, 0x3fb8aa3b, v7
	v_fma_f32 v1, v7, s6, -v0
	v_rndne_f32_e32 v11, v0
	v_fmac_f32_e32 v1, 0x32a5705f, v7
	v_sub_f32_e32 v0, v0, v11
	ds_bpermute_b32 v9, v16, v8
	v_add_f32_e32 v0, v0, v1
	v_exp_f32_e32 v0, v0
	v_cvt_i32_f32_e32 v1, v11
	s_waitcnt lgkmcnt(0)
	v_cmp_lt_f32_e64 s[4:5], v8, v9
	v_cndmask_b32_e64 v8, v8, v9, s[4:5]
	v_ldexp_f32 v0, v0, v1
	v_mul_f32_e32 v1, 0x3fb8aa3b, v6
	v_fma_f32 v9, v6, s6, -v1
	v_rndne_f32_e32 v11, v1
	v_fmac_f32_e32 v9, 0x32a5705f, v6
	v_sub_f32_e32 v1, v1, v11
	v_add_f32_e32 v1, v1, v9
	v_exp_f32_e32 v1, v1
	v_cvt_i32_f32_e32 v9, v11
	v_cmp_ngt_f32_e64 s[4:5], s7, v7
	v_cndmask_b32_e64 v0, 0, v0, s[4:5]
	v_cmp_nlt_f32_e64 s[4:5], s10, v7
	v_ldexp_f32 v1, v1, v9
	v_pk_add_f32 v[8:9], v[4:5], v[8:9] op_sel_hi:[1,0] neg_lo:[0,1] neg_hi:[0,1]
	v_mul_f32_e32 v4, 0x3fb8aa3b, v9
	v_fma_f32 v5, v9, s6, -v4
	v_rndne_f32_e32 v7, v4
	v_fmac_f32_e32 v5, 0x32a5705f, v9
	v_sub_f32_e32 v4, v4, v7
	v_add_f32_e32 v4, v4, v5
	v_exp_f32_e32 v5, v4
	v_cvt_i32_f32_e32 v7, v7
	v_mov_b32_e32 v11, 0x7f800000
	v_cndmask_b32_e64 v0, v11, v0, s[4:5]
	v_cmp_ngt_f32_e64 s[4:5], s7, v6
	v_cndmask_b32_e64 v1, 0, v1, s[4:5]
	v_cmp_nlt_f32_e64 s[4:5], s10, v6
	v_cndmask_b32_e64 v4, v11, v1, s[4:5]
	v_ldexp_f32 v1, v5, v7
	v_mul_f32_e32 v5, 0x3fb8aa3b, v8
	v_fma_f32 v6, v8, s6, -v5
	v_rndne_f32_e32 v7, v5
	v_fmac_f32_e32 v6, 0x32a5705f, v8
	v_sub_f32_e32 v5, v5, v7
	v_add_f32_e32 v5, v5, v6
	v_exp_f32_e32 v5, v5
	v_cvt_i32_f32_e32 v6, v7
	v_cmp_ngt_f32_e64 s[4:5], s7, v9
	v_cndmask_b32_e64 v1, 0, v1, s[4:5]
	v_cmp_nlt_f32_e64 s[4:5], s10, v9
	v_cndmask_b32_e64 v1, v11, v1, s[4:5]
	v_ldexp_f32 v5, v5, v6
	v_cmp_ngt_f32_e64 s[4:5], s7, v8
	v_cndmask_b32_e64 v5, 0, v5, s[4:5]
	v_cmp_nlt_f32_e64 s[4:5], s10, v8
	v_cndmask_b32_e64 v5, v11, v5, s[4:5]
	v_pk_add_f32 v[6:7], v[4:5], v[0:1]
	ds_bpermute_b32 v8, v10, v6
	ds_bpermute_b32 v9, v10, v7
	s_waitcnt lgkmcnt(0)
	v_pk_add_f32 v[6:7], v[6:7], v[8:9]
	ds_bpermute_b32 v8, v13, v6
	ds_bpermute_b32 v9, v13, v7
	s_waitcnt lgkmcnt(0)
	;; [unrolled: 4-line block ×4, first 2 shown]
	v_pk_add_f32 v[8:9], v[6:7], v[8:9]
	ds_bpermute_b32 v10, v16, v8
	ds_bpermute_b32 v11, v16, v9
	s_and_saveexec_b64 s[4:5], vcc
	s_cbranch_execz .LBB419_22
; %bb.9:
	v_mov_b32_e32 v7, s9
	v_add_co_u32_e32 v6, vcc, s8, v2
	v_addc_co_u32_e32 v7, vcc, v7, v3, vcc
	s_waitcnt lgkmcnt(0)
	v_pk_add_f32 v[2:3], v[8:9], v[10:11]
	s_and_saveexec_b64 s[6:7], s[2:3]
	s_cbranch_execz .LBB419_17
; %bb.10:
	v_cmp_neq_f32_e64 s[4:5], 0, v2
	v_mov_b32_e32 v8, 0x7e00
	s_and_saveexec_b64 s[8:9], s[4:5]
	s_cbranch_execz .LBB419_12
; %bb.11:
	v_div_scale_f32 v8, s[10:11], v2, v2, v4
	v_rcp_f32_e32 v9, v8
	v_div_scale_f32 v10, vcc, v4, v2, v4
	v_fma_f32 v11, -v8, v9, 1.0
	v_fmac_f32_e32 v9, v11, v9
	v_mul_f32_e32 v11, v10, v9
	v_fma_f32 v13, -v8, v11, v10
	v_fmac_f32_e32 v11, v13, v9
	v_fma_f32 v8, -v8, v11, v10
	v_div_fmas_f32 v8, v8, v9, v11
	v_div_fixup_f32 v4, v8, v2, v4
	v_cvt_f16_f32_e32 v8, v4
.LBB419_12:
	s_or_b64 exec, exec, s[8:9]
	global_store_short v[6:7], v8, off
	s_and_b64 exec, exec, s[0:1]
	s_cbranch_execz .LBB419_17
; %bb.13:
	s_and_saveexec_b64 s[8:9], s[4:5]
	s_xor_b64 s[4:5], exec, s[8:9]
	s_cbranch_execz .LBB419_15
; %bb.14:
	v_div_scale_f32 v4, s[8:9], v2, v2, v0
	v_rcp_f32_e32 v8, v4
	v_div_scale_f32 v9, vcc, v0, v2, v0
	v_fma_f32 v10, -v4, v8, 1.0
	v_fmac_f32_e32 v8, v10, v8
	v_mul_f32_e32 v10, v9, v8
	v_fma_f32 v11, -v4, v10, v9
	v_fmac_f32_e32 v10, v11, v8
	v_fma_f32 v4, -v4, v10, v9
	v_div_fmas_f32 v4, v4, v8, v10
	v_div_fixup_f32 v0, v4, v2, v0
	v_cvt_f16_f32_e32 v0, v0
	global_store_short v[6:7], v0, off offset:64
.LBB419_15:
	s_andn2_saveexec_b64 s[4:5], s[4:5]
	s_cbranch_execz .LBB419_17
; %bb.16:
	v_mov_b32_e32 v0, 0x7e00
	global_store_short v[6:7], v0, off offset:64
.LBB419_17:
	s_or_b64 exec, exec, s[6:7]
	v_cmp_ne_u32_e32 vcc, 1, v12
	s_and_b64 exec, exec, vcc
	s_cbranch_execz .LBB419_22
; %bb.18:
	s_and_b64 exec, exec, s[2:3]
	s_cbranch_execz .LBB419_22
; %bb.19:
	s_mov_b32 s15, 0
	s_lshl_b64 s[4:5], s[14:15], 1
	v_mov_b32_e32 v0, s5
	v_add_co_u32_e32 v8, vcc, s4, v6
	v_cmp_neq_f32_e64 s[2:3], 0, v3
	v_addc_co_u32_e32 v9, vcc, v7, v0, vcc
	s_and_saveexec_b64 s[4:5], s[2:3]
	s_xor_b64 s[4:5], exec, s[4:5]
	s_cbranch_execnz .LBB419_23
; %bb.20:
	s_andn2_saveexec_b64 s[4:5], s[4:5]
	s_cbranch_execnz .LBB419_24
.LBB419_21:
	s_or_b64 exec, exec, s[4:5]
	s_and_b64 exec, exec, s[0:1]
	s_cbranch_execnz .LBB419_25
.LBB419_22:
	s_endpgm
.LBB419_23:
	v_div_scale_f32 v0, s[6:7], v3, v3, v5
	v_rcp_f32_e32 v2, v0
	v_div_scale_f32 v4, vcc, v5, v3, v5
	v_fma_f32 v10, -v0, v2, 1.0
	v_fmac_f32_e32 v2, v10, v2
	v_mul_f32_e32 v10, v4, v2
	v_fma_f32 v11, -v0, v10, v4
	v_fmac_f32_e32 v10, v11, v2
	v_fma_f32 v0, -v0, v10, v4
	v_div_fmas_f32 v0, v0, v2, v10
	v_div_fixup_f32 v0, v0, v3, v5
	v_cvt_f16_f32_e32 v0, v0
	global_store_short v[8:9], v0, off
                                        ; implicit-def: $vgpr8_vgpr9
	s_andn2_saveexec_b64 s[4:5], s[4:5]
	s_cbranch_execz .LBB419_21
.LBB419_24:
	v_mov_b32_e32 v0, 0x7e00
	global_store_short v[8:9], v0, off
	s_or_b64 exec, exec, s[4:5]
	s_and_b64 exec, exec, s[0:1]
	s_cbranch_execz .LBB419_22
.LBB419_25:
	s_ashr_i32 s15, s14, 31
	s_lshl_b64 s[0:1], s[14:15], 1
	v_mov_b32_e32 v0, s1
	v_add_co_u32_e32 v4, vcc, s0, v6
	v_addc_co_u32_e32 v5, vcc, v7, v0, vcc
	s_and_saveexec_b64 s[0:1], s[2:3]
	s_xor_b64 s[0:1], exec, s[0:1]
	s_cbranch_execz .LBB419_27
; %bb.26:
	v_div_scale_f32 v0, s[2:3], v3, v3, v1
	v_rcp_f32_e32 v2, v0
	v_div_scale_f32 v6, vcc, v1, v3, v1
	v_fma_f32 v7, -v0, v2, 1.0
	v_fmac_f32_e32 v2, v7, v2
	v_mul_f32_e32 v7, v6, v2
	v_fma_f32 v8, -v0, v7, v6
	v_fmac_f32_e32 v7, v8, v2
	v_fma_f32 v0, -v0, v7, v6
	v_div_fmas_f32 v0, v0, v2, v7
	v_div_fixup_f32 v0, v0, v3, v1
	v_cvt_f16_f32_e32 v0, v0
	global_store_short v[4:5], v0, off offset:64
                                        ; implicit-def: $vgpr4_vgpr5
.LBB419_27:
	s_andn2_saveexec_b64 s[0:1], s[0:1]
	s_cbranch_execz .LBB419_22
; %bb.28:
	v_mov_b32_e32 v0, 0x7e00
	global_store_short v[4:5], v0, off offset:64
	s_endpgm
	.section	.rodata,"a",@progbits
	.p2align	6, 0x0
	.amdhsa_kernel _ZN12_GLOBAL__N_120softmax_warp_forwardIN3c104HalfES2_fLi6ELb0ELb0ELi32EEEvPT0_PKT_iiiPKbib
		.amdhsa_group_segment_fixed_size 0
		.amdhsa_private_segment_fixed_size 0
		.amdhsa_kernarg_size 304
		.amdhsa_user_sgpr_count 6
		.amdhsa_user_sgpr_private_segment_buffer 1
		.amdhsa_user_sgpr_dispatch_ptr 0
		.amdhsa_user_sgpr_queue_ptr 0
		.amdhsa_user_sgpr_kernarg_segment_ptr 1
		.amdhsa_user_sgpr_dispatch_id 0
		.amdhsa_user_sgpr_flat_scratch_init 0
		.amdhsa_user_sgpr_kernarg_preload_length 0
		.amdhsa_user_sgpr_kernarg_preload_offset 0
		.amdhsa_user_sgpr_private_segment_size 0
		.amdhsa_uses_dynamic_stack 0
		.amdhsa_system_sgpr_private_segment_wavefront_offset 0
		.amdhsa_system_sgpr_workgroup_id_x 1
		.amdhsa_system_sgpr_workgroup_id_y 0
		.amdhsa_system_sgpr_workgroup_id_z 0
		.amdhsa_system_sgpr_workgroup_info 0
		.amdhsa_system_vgpr_workitem_id 1
		.amdhsa_next_free_vgpr 17
		.amdhsa_next_free_sgpr 16
		.amdhsa_accum_offset 20
		.amdhsa_reserve_vcc 1
		.amdhsa_reserve_flat_scratch 0
		.amdhsa_float_round_mode_32 0
		.amdhsa_float_round_mode_16_64 0
		.amdhsa_float_denorm_mode_32 3
		.amdhsa_float_denorm_mode_16_64 3
		.amdhsa_dx10_clamp 1
		.amdhsa_ieee_mode 1
		.amdhsa_fp16_overflow 0
		.amdhsa_tg_split 0
		.amdhsa_exception_fp_ieee_invalid_op 0
		.amdhsa_exception_fp_denorm_src 0
		.amdhsa_exception_fp_ieee_div_zero 0
		.amdhsa_exception_fp_ieee_overflow 0
		.amdhsa_exception_fp_ieee_underflow 0
		.amdhsa_exception_fp_ieee_inexact 0
		.amdhsa_exception_int_div_zero 0
	.end_amdhsa_kernel
	.section	.text._ZN12_GLOBAL__N_120softmax_warp_forwardIN3c104HalfES2_fLi6ELb0ELb0ELi32EEEvPT0_PKT_iiiPKbib,"axG",@progbits,_ZN12_GLOBAL__N_120softmax_warp_forwardIN3c104HalfES2_fLi6ELb0ELb0ELi32EEEvPT0_PKT_iiiPKbib,comdat
.Lfunc_end419:
	.size	_ZN12_GLOBAL__N_120softmax_warp_forwardIN3c104HalfES2_fLi6ELb0ELb0ELi32EEEvPT0_PKT_iiiPKbib, .Lfunc_end419-_ZN12_GLOBAL__N_120softmax_warp_forwardIN3c104HalfES2_fLi6ELb0ELb0ELi32EEEvPT0_PKT_iiiPKbib
                                        ; -- End function
	.section	.AMDGPU.csdata,"",@progbits
; Kernel info:
; codeLenInByte = 1948
; NumSgprs: 20
; NumVgprs: 17
; NumAgprs: 0
; TotalNumVgprs: 17
; ScratchSize: 0
; MemoryBound: 0
; FloatMode: 240
; IeeeMode: 1
; LDSByteSize: 0 bytes/workgroup (compile time only)
; SGPRBlocks: 2
; VGPRBlocks: 2
; NumSGPRsForWavesPerEU: 20
; NumVGPRsForWavesPerEU: 17
; AccumOffset: 20
; Occupancy: 8
; WaveLimiterHint : 0
; COMPUTE_PGM_RSRC2:SCRATCH_EN: 0
; COMPUTE_PGM_RSRC2:USER_SGPR: 6
; COMPUTE_PGM_RSRC2:TRAP_HANDLER: 0
; COMPUTE_PGM_RSRC2:TGID_X_EN: 1
; COMPUTE_PGM_RSRC2:TGID_Y_EN: 0
; COMPUTE_PGM_RSRC2:TGID_Z_EN: 0
; COMPUTE_PGM_RSRC2:TIDIG_COMP_CNT: 1
; COMPUTE_PGM_RSRC3_GFX90A:ACCUM_OFFSET: 4
; COMPUTE_PGM_RSRC3_GFX90A:TG_SPLIT: 0
	.section	.text._ZN12_GLOBAL__N_120softmax_warp_forwardIN3c104HalfES2_fLi7ELb0ELb0ELi64EEEvPT0_PKT_iiiPKbib,"axG",@progbits,_ZN12_GLOBAL__N_120softmax_warp_forwardIN3c104HalfES2_fLi7ELb0ELb0ELi64EEEvPT0_PKT_iiiPKbib,comdat
	.globl	_ZN12_GLOBAL__N_120softmax_warp_forwardIN3c104HalfES2_fLi7ELb0ELb0ELi64EEEvPT0_PKT_iiiPKbib ; -- Begin function _ZN12_GLOBAL__N_120softmax_warp_forwardIN3c104HalfES2_fLi7ELb0ELb0ELi64EEEvPT0_PKT_iiiPKbib
	.p2align	8
	.type	_ZN12_GLOBAL__N_120softmax_warp_forwardIN3c104HalfES2_fLi7ELb0ELb0ELi64EEEvPT0_PKT_iiiPKbib,@function
_ZN12_GLOBAL__N_120softmax_warp_forwardIN3c104HalfES2_fLi7ELb0ELb0ELi64EEEvPT0_PKT_iiiPKbib: ; @_ZN12_GLOBAL__N_120softmax_warp_forwardIN3c104HalfES2_fLi7ELb0ELb0ELi64EEEvPT0_PKT_iiiPKbib
; %bb.0:
	s_load_dword s0, s[4:5], 0x3c
	s_load_dwordx8 s[8:15], s[4:5], 0x0
	v_bfe_u32 v1, v0, 10, 10
	v_and_b32_e32 v4, 0x3ff, v0
	v_mov_b32_e32 v3, 0xff800000
	s_waitcnt lgkmcnt(0)
	s_lshr_b32 s0, s0, 16
	s_mul_i32 s6, s6, s0
	v_add_lshl_u32 v1, s6, v1, 1
	v_sub_u32_e32 v12, s12, v1
	v_mad_u64_u32 v[0:1], s[0:1], v1, s13, v[4:5]
	v_ashrrev_i32_e32 v1, 31, v0
	v_lshlrev_b64 v[0:1], 1, v[0:1]
	v_mov_b32_e32 v2, s11
	v_add_co_u32_e32 v6, vcc, s10, v0
	v_addc_co_u32_e32 v7, vcc, v2, v1, vcc
	v_cmp_lt_i32_e32 vcc, 0, v12
	v_cmp_gt_i32_e64 s[2:3], s14, v4
	s_and_b64 s[4:5], vcc, s[2:3]
	v_mov_b32_e32 v2, 0xff800000
	s_and_saveexec_b64 s[0:1], s[4:5]
	s_cbranch_execz .LBB420_2
; %bb.1:
	global_load_ushort v2, v[6:7], off
	s_waitcnt vmcnt(0)
	v_cvt_f32_f16_e32 v2, v2
.LBB420_2:
	s_or_b64 exec, exec, s[0:1]
	v_add_u32_e32 v4, 64, v4
	v_cmp_gt_i32_e64 s[0:1], s14, v4
	s_and_b64 s[6:7], vcc, s[0:1]
	s_and_saveexec_b64 s[4:5], s[6:7]
	s_cbranch_execz .LBB420_4
; %bb.3:
	global_load_ushort v3, v[6:7], off offset:128
	s_waitcnt vmcnt(0)
	v_cvt_f32_f16_e32 v3, v3
.LBB420_4:
	s_or_b64 exec, exec, s[4:5]
	v_cmp_lt_i32_e64 s[4:5], 1, v12
	s_and_b64 s[6:7], s[4:5], s[2:3]
	v_mov_b32_e32 v5, 0xff800000
	v_mov_b32_e32 v4, 0xff800000
	s_and_saveexec_b64 s[10:11], s[6:7]
	s_cbranch_execz .LBB420_6
; %bb.5:
	s_mov_b32 s15, 0
	s_lshl_b64 s[6:7], s[14:15], 1
	v_mov_b32_e32 v4, s7
	v_add_co_u32_e64 v8, s[6:7], s6, v6
	v_addc_co_u32_e64 v9, s[6:7], v7, v4, s[6:7]
	global_load_ushort v4, v[8:9], off
	s_waitcnt vmcnt(0)
	v_cvt_f32_f16_e32 v4, v4
.LBB420_6:
	s_or_b64 exec, exec, s[10:11]
	s_and_b64 s[4:5], s[4:5], s[0:1]
	s_and_saveexec_b64 s[6:7], s[4:5]
	s_cbranch_execz .LBB420_8
; %bb.7:
	s_mov_b32 s15, 0
	s_lshl_b64 s[4:5], s[14:15], 1
	v_mov_b32_e32 v5, s5
	v_add_co_u32_e64 v6, s[4:5], s4, v6
	v_addc_co_u32_e64 v7, s[4:5], v7, v5, s[4:5]
	global_load_ushort v5, v[6:7], off offset:128
	s_waitcnt vmcnt(0)
	v_cvt_f32_f16_e32 v5, v5
.LBB420_8:
	s_or_b64 exec, exec, s[6:7]
	v_mbcnt_lo_u32_b32 v7, -1, 0
	v_mbcnt_hi_u32_b32 v7, -1, v7
	v_and_b32_e32 v8, 64, v7
	v_cmp_gt_f32_e64 s[4:5], v2, v3
	v_add_u32_e32 v8, 64, v8
	v_xor_b32_e32 v9, 32, v7
	v_cndmask_b32_e64 v6, v3, v2, s[4:5]
	v_cmp_lt_i32_e64 s[4:5], v9, v8
	v_cndmask_b32_e64 v9, v7, v9, s[4:5]
	v_lshlrev_b32_e32 v10, 2, v9
	ds_bpermute_b32 v9, v10, v6
	v_cmp_gt_f32_e64 s[4:5], v4, v5
	v_cndmask_b32_e64 v11, v5, v4, s[4:5]
	v_xor_b32_e32 v13, 16, v7
	s_mov_b32 s6, 0x3fb8aa3b
	s_waitcnt lgkmcnt(0)
	v_cmp_lt_f32_e64 s[4:5], v6, v9
	v_cndmask_b32_e64 v6, v6, v9, s[4:5]
	v_cmp_lt_i32_e64 s[4:5], v13, v8
	v_cndmask_b32_e64 v13, v7, v13, s[4:5]
	ds_bpermute_b32 v9, v10, v11
	v_lshlrev_b32_e32 v13, 2, v13
	ds_bpermute_b32 v14, v13, v6
	s_mov_b32 s7, 0xc2ce8ed0
	s_mov_b32 s10, 0x42b17218
	s_waitcnt lgkmcnt(1)
	v_cmp_lt_f32_e64 s[4:5], v11, v9
	v_cndmask_b32_e64 v9, v11, v9, s[4:5]
	s_waitcnt lgkmcnt(0)
	v_cmp_lt_f32_e64 s[4:5], v6, v14
	v_cndmask_b32_e64 v6, v6, v14, s[4:5]
	v_xor_b32_e32 v14, 8, v7
	v_cmp_lt_i32_e64 s[4:5], v14, v8
	v_cndmask_b32_e64 v14, v7, v14, s[4:5]
	ds_bpermute_b32 v11, v13, v9
	v_lshlrev_b32_e32 v14, 2, v14
	ds_bpermute_b32 v15, v14, v6
	s_waitcnt lgkmcnt(1)
	v_cmp_lt_f32_e64 s[4:5], v9, v11
	v_cndmask_b32_e64 v9, v9, v11, s[4:5]
	s_waitcnt lgkmcnt(0)
	v_cmp_lt_f32_e64 s[4:5], v6, v15
	v_cndmask_b32_e64 v6, v6, v15, s[4:5]
	v_xor_b32_e32 v15, 4, v7
	v_cmp_lt_i32_e64 s[4:5], v15, v8
	v_cndmask_b32_e64 v15, v7, v15, s[4:5]
	ds_bpermute_b32 v11, v14, v9
	v_lshlrev_b32_e32 v15, 2, v15
	ds_bpermute_b32 v16, v15, v6
	;; [unrolled: 12-line block ×4, first 2 shown]
	s_waitcnt lgkmcnt(1)
	v_cmp_lt_f32_e64 s[4:5], v9, v11
	v_cndmask_b32_e64 v8, v9, v11, s[4:5]
	s_waitcnt lgkmcnt(0)
	v_cmp_lt_f32_e64 s[4:5], v6, v7
	v_cndmask_b32_e64 v6, v6, v7, s[4:5]
	v_pk_add_f32 v[6:7], v[2:3], v[6:7] op_sel_hi:[1,0] neg_lo:[0,1] neg_hi:[0,1]
	v_mul_f32_e32 v2, 0x3fb8aa3b, v7
	v_fma_f32 v3, v7, s6, -v2
	v_rndne_f32_e32 v11, v2
	v_fmac_f32_e32 v3, 0x32a5705f, v7
	v_sub_f32_e32 v2, v2, v11
	ds_bpermute_b32 v9, v17, v8
	v_add_f32_e32 v2, v2, v3
	v_exp_f32_e32 v2, v2
	v_cvt_i32_f32_e32 v3, v11
	s_waitcnt lgkmcnt(0)
	v_cmp_lt_f32_e64 s[4:5], v8, v9
	v_cndmask_b32_e64 v8, v8, v9, s[4:5]
	v_ldexp_f32 v2, v2, v3
	v_mul_f32_e32 v3, 0x3fb8aa3b, v6
	v_fma_f32 v9, v6, s6, -v3
	v_rndne_f32_e32 v11, v3
	v_fmac_f32_e32 v9, 0x32a5705f, v6
	v_sub_f32_e32 v3, v3, v11
	v_add_f32_e32 v3, v3, v9
	v_exp_f32_e32 v3, v3
	v_cvt_i32_f32_e32 v9, v11
	v_cmp_ngt_f32_e64 s[4:5], s7, v7
	v_cndmask_b32_e64 v2, 0, v2, s[4:5]
	v_cmp_nlt_f32_e64 s[4:5], s10, v7
	v_ldexp_f32 v3, v3, v9
	v_pk_add_f32 v[8:9], v[4:5], v[8:9] op_sel_hi:[1,0] neg_lo:[0,1] neg_hi:[0,1]
	v_mul_f32_e32 v4, 0x3fb8aa3b, v9
	v_fma_f32 v5, v9, s6, -v4
	v_rndne_f32_e32 v7, v4
	v_fmac_f32_e32 v5, 0x32a5705f, v9
	v_sub_f32_e32 v4, v4, v7
	v_add_f32_e32 v4, v4, v5
	v_exp_f32_e32 v5, v4
	v_cvt_i32_f32_e32 v7, v7
	v_mov_b32_e32 v11, 0x7f800000
	v_cndmask_b32_e64 v2, v11, v2, s[4:5]
	v_cmp_ngt_f32_e64 s[4:5], s7, v6
	v_cndmask_b32_e64 v3, 0, v3, s[4:5]
	v_cmp_nlt_f32_e64 s[4:5], s10, v6
	v_cndmask_b32_e64 v4, v11, v3, s[4:5]
	v_ldexp_f32 v3, v5, v7
	v_mul_f32_e32 v5, 0x3fb8aa3b, v8
	v_fma_f32 v6, v8, s6, -v5
	v_rndne_f32_e32 v7, v5
	v_fmac_f32_e32 v6, 0x32a5705f, v8
	v_sub_f32_e32 v5, v5, v7
	v_add_f32_e32 v5, v5, v6
	v_exp_f32_e32 v5, v5
	v_cvt_i32_f32_e32 v6, v7
	v_cmp_ngt_f32_e64 s[4:5], s7, v9
	v_cndmask_b32_e64 v3, 0, v3, s[4:5]
	v_cmp_nlt_f32_e64 s[4:5], s10, v9
	v_cndmask_b32_e64 v3, v11, v3, s[4:5]
	v_ldexp_f32 v5, v5, v6
	v_cmp_ngt_f32_e64 s[4:5], s7, v8
	v_cndmask_b32_e64 v5, 0, v5, s[4:5]
	v_cmp_nlt_f32_e64 s[4:5], s10, v8
	v_cndmask_b32_e64 v5, v11, v5, s[4:5]
	v_pk_add_f32 v[6:7], v[4:5], v[2:3]
	ds_bpermute_b32 v8, v10, v6
	ds_bpermute_b32 v9, v10, v7
	s_waitcnt lgkmcnt(0)
	v_pk_add_f32 v[6:7], v[6:7], v[8:9]
	ds_bpermute_b32 v8, v13, v6
	ds_bpermute_b32 v9, v13, v7
	s_waitcnt lgkmcnt(0)
	;; [unrolled: 4-line block ×5, first 2 shown]
	v_pk_add_f32 v[8:9], v[6:7], v[8:9]
	ds_bpermute_b32 v10, v17, v8
	ds_bpermute_b32 v11, v17, v9
	s_and_saveexec_b64 s[4:5], vcc
	s_cbranch_execz .LBB420_22
; %bb.9:
	v_mov_b32_e32 v7, s9
	v_add_co_u32_e32 v6, vcc, s8, v0
	v_addc_co_u32_e32 v7, vcc, v7, v1, vcc
	s_waitcnt lgkmcnt(0)
	v_pk_add_f32 v[0:1], v[8:9], v[10:11]
	s_and_saveexec_b64 s[6:7], s[2:3]
	s_cbranch_execz .LBB420_17
; %bb.10:
	v_cmp_neq_f32_e64 s[4:5], 0, v0
	v_mov_b32_e32 v8, 0x7e00
	s_and_saveexec_b64 s[8:9], s[4:5]
	s_cbranch_execz .LBB420_12
; %bb.11:
	v_div_scale_f32 v8, s[10:11], v0, v0, v4
	v_rcp_f32_e32 v9, v8
	v_div_scale_f32 v10, vcc, v4, v0, v4
	v_fma_f32 v11, -v8, v9, 1.0
	v_fmac_f32_e32 v9, v11, v9
	v_mul_f32_e32 v11, v10, v9
	v_fma_f32 v13, -v8, v11, v10
	v_fmac_f32_e32 v11, v13, v9
	v_fma_f32 v8, -v8, v11, v10
	v_div_fmas_f32 v8, v8, v9, v11
	v_div_fixup_f32 v4, v8, v0, v4
	v_cvt_f16_f32_e32 v8, v4
.LBB420_12:
	s_or_b64 exec, exec, s[8:9]
	global_store_short v[6:7], v8, off
	s_and_b64 exec, exec, s[0:1]
	s_cbranch_execz .LBB420_17
; %bb.13:
	s_and_saveexec_b64 s[8:9], s[4:5]
	s_xor_b64 s[4:5], exec, s[8:9]
	s_cbranch_execz .LBB420_15
; %bb.14:
	v_div_scale_f32 v4, s[8:9], v0, v0, v2
	v_rcp_f32_e32 v8, v4
	v_div_scale_f32 v9, vcc, v2, v0, v2
	v_fma_f32 v10, -v4, v8, 1.0
	v_fmac_f32_e32 v8, v10, v8
	v_mul_f32_e32 v10, v9, v8
	v_fma_f32 v11, -v4, v10, v9
	v_fmac_f32_e32 v10, v11, v8
	v_fma_f32 v4, -v4, v10, v9
	v_div_fmas_f32 v4, v4, v8, v10
	v_div_fixup_f32 v0, v4, v0, v2
	v_cvt_f16_f32_e32 v0, v0
	global_store_short v[6:7], v0, off offset:128
.LBB420_15:
	s_andn2_saveexec_b64 s[4:5], s[4:5]
	s_cbranch_execz .LBB420_17
; %bb.16:
	v_mov_b32_e32 v0, 0x7e00
	global_store_short v[6:7], v0, off offset:128
.LBB420_17:
	s_or_b64 exec, exec, s[6:7]
	v_cmp_ne_u32_e32 vcc, 1, v12
	s_and_b64 exec, exec, vcc
	s_cbranch_execz .LBB420_22
; %bb.18:
	s_and_b64 exec, exec, s[2:3]
	s_cbranch_execz .LBB420_22
; %bb.19:
	s_mov_b32 s15, 0
	s_lshl_b64 s[4:5], s[14:15], 1
	v_mov_b32_e32 v0, s5
	v_add_co_u32_e32 v8, vcc, s4, v6
	v_cmp_neq_f32_e64 s[2:3], 0, v1
	v_addc_co_u32_e32 v9, vcc, v7, v0, vcc
	s_and_saveexec_b64 s[4:5], s[2:3]
	s_xor_b64 s[4:5], exec, s[4:5]
	s_cbranch_execnz .LBB420_23
; %bb.20:
	s_andn2_saveexec_b64 s[4:5], s[4:5]
	s_cbranch_execnz .LBB420_24
.LBB420_21:
	s_or_b64 exec, exec, s[4:5]
	s_and_b64 exec, exec, s[0:1]
	s_cbranch_execnz .LBB420_25
.LBB420_22:
	s_endpgm
.LBB420_23:
	v_div_scale_f32 v0, s[6:7], v1, v1, v5
	v_rcp_f32_e32 v2, v0
	v_div_scale_f32 v4, vcc, v5, v1, v5
	v_fma_f32 v10, -v0, v2, 1.0
	v_fmac_f32_e32 v2, v10, v2
	v_mul_f32_e32 v10, v4, v2
	v_fma_f32 v11, -v0, v10, v4
	v_fmac_f32_e32 v10, v11, v2
	v_fma_f32 v0, -v0, v10, v4
	v_div_fmas_f32 v0, v0, v2, v10
	v_div_fixup_f32 v0, v0, v1, v5
	v_cvt_f16_f32_e32 v0, v0
	global_store_short v[8:9], v0, off
                                        ; implicit-def: $vgpr8_vgpr9
	s_andn2_saveexec_b64 s[4:5], s[4:5]
	s_cbranch_execz .LBB420_21
.LBB420_24:
	v_mov_b32_e32 v0, 0x7e00
	global_store_short v[8:9], v0, off
	s_or_b64 exec, exec, s[4:5]
	s_and_b64 exec, exec, s[0:1]
	s_cbranch_execz .LBB420_22
.LBB420_25:
	s_ashr_i32 s15, s14, 31
	s_lshl_b64 s[0:1], s[14:15], 1
	v_mov_b32_e32 v0, s1
	v_add_co_u32_e32 v4, vcc, s0, v6
	v_addc_co_u32_e32 v5, vcc, v7, v0, vcc
	s_and_saveexec_b64 s[0:1], s[2:3]
	s_xor_b64 s[0:1], exec, s[0:1]
	s_cbranch_execz .LBB420_27
; %bb.26:
	v_div_scale_f32 v0, s[2:3], v1, v1, v3
	v_rcp_f32_e32 v2, v0
	v_div_scale_f32 v6, vcc, v3, v1, v3
	v_fma_f32 v7, -v0, v2, 1.0
	v_fmac_f32_e32 v2, v7, v2
	v_mul_f32_e32 v7, v6, v2
	v_fma_f32 v8, -v0, v7, v6
	v_fmac_f32_e32 v7, v8, v2
	v_fma_f32 v0, -v0, v7, v6
	v_div_fmas_f32 v0, v0, v2, v7
	v_div_fixup_f32 v0, v0, v1, v3
	v_cvt_f16_f32_e32 v0, v0
	global_store_short v[4:5], v0, off offset:128
                                        ; implicit-def: $vgpr4_vgpr5
.LBB420_27:
	s_andn2_saveexec_b64 s[0:1], s[0:1]
	s_cbranch_execz .LBB420_22
; %bb.28:
	v_mov_b32_e32 v0, 0x7e00
	global_store_short v[4:5], v0, off offset:128
	s_endpgm
	.section	.rodata,"a",@progbits
	.p2align	6, 0x0
	.amdhsa_kernel _ZN12_GLOBAL__N_120softmax_warp_forwardIN3c104HalfES2_fLi7ELb0ELb0ELi64EEEvPT0_PKT_iiiPKbib
		.amdhsa_group_segment_fixed_size 0
		.amdhsa_private_segment_fixed_size 0
		.amdhsa_kernarg_size 304
		.amdhsa_user_sgpr_count 6
		.amdhsa_user_sgpr_private_segment_buffer 1
		.amdhsa_user_sgpr_dispatch_ptr 0
		.amdhsa_user_sgpr_queue_ptr 0
		.amdhsa_user_sgpr_kernarg_segment_ptr 1
		.amdhsa_user_sgpr_dispatch_id 0
		.amdhsa_user_sgpr_flat_scratch_init 0
		.amdhsa_user_sgpr_kernarg_preload_length 0
		.amdhsa_user_sgpr_kernarg_preload_offset 0
		.amdhsa_user_sgpr_private_segment_size 0
		.amdhsa_uses_dynamic_stack 0
		.amdhsa_system_sgpr_private_segment_wavefront_offset 0
		.amdhsa_system_sgpr_workgroup_id_x 1
		.amdhsa_system_sgpr_workgroup_id_y 0
		.amdhsa_system_sgpr_workgroup_id_z 0
		.amdhsa_system_sgpr_workgroup_info 0
		.amdhsa_system_vgpr_workitem_id 1
		.amdhsa_next_free_vgpr 18
		.amdhsa_next_free_sgpr 16
		.amdhsa_accum_offset 20
		.amdhsa_reserve_vcc 1
		.amdhsa_reserve_flat_scratch 0
		.amdhsa_float_round_mode_32 0
		.amdhsa_float_round_mode_16_64 0
		.amdhsa_float_denorm_mode_32 3
		.amdhsa_float_denorm_mode_16_64 3
		.amdhsa_dx10_clamp 1
		.amdhsa_ieee_mode 1
		.amdhsa_fp16_overflow 0
		.amdhsa_tg_split 0
		.amdhsa_exception_fp_ieee_invalid_op 0
		.amdhsa_exception_fp_denorm_src 0
		.amdhsa_exception_fp_ieee_div_zero 0
		.amdhsa_exception_fp_ieee_overflow 0
		.amdhsa_exception_fp_ieee_underflow 0
		.amdhsa_exception_fp_ieee_inexact 0
		.amdhsa_exception_int_div_zero 0
	.end_amdhsa_kernel
	.section	.text._ZN12_GLOBAL__N_120softmax_warp_forwardIN3c104HalfES2_fLi7ELb0ELb0ELi64EEEvPT0_PKT_iiiPKbib,"axG",@progbits,_ZN12_GLOBAL__N_120softmax_warp_forwardIN3c104HalfES2_fLi7ELb0ELb0ELi64EEEvPT0_PKT_iiiPKbib,comdat
.Lfunc_end420:
	.size	_ZN12_GLOBAL__N_120softmax_warp_forwardIN3c104HalfES2_fLi7ELb0ELb0ELi64EEEvPT0_PKT_iiiPKbib, .Lfunc_end420-_ZN12_GLOBAL__N_120softmax_warp_forwardIN3c104HalfES2_fLi7ELb0ELb0ELi64EEEvPT0_PKT_iiiPKbib
                                        ; -- End function
	.section	.AMDGPU.csdata,"",@progbits
; Kernel info:
; codeLenInByte = 2052
; NumSgprs: 20
; NumVgprs: 18
; NumAgprs: 0
; TotalNumVgprs: 18
; ScratchSize: 0
; MemoryBound: 0
; FloatMode: 240
; IeeeMode: 1
; LDSByteSize: 0 bytes/workgroup (compile time only)
; SGPRBlocks: 2
; VGPRBlocks: 2
; NumSGPRsForWavesPerEU: 20
; NumVGPRsForWavesPerEU: 18
; AccumOffset: 20
; Occupancy: 8
; WaveLimiterHint : 0
; COMPUTE_PGM_RSRC2:SCRATCH_EN: 0
; COMPUTE_PGM_RSRC2:USER_SGPR: 6
; COMPUTE_PGM_RSRC2:TRAP_HANDLER: 0
; COMPUTE_PGM_RSRC2:TGID_X_EN: 1
; COMPUTE_PGM_RSRC2:TGID_Y_EN: 0
; COMPUTE_PGM_RSRC2:TGID_Z_EN: 0
; COMPUTE_PGM_RSRC2:TIDIG_COMP_CNT: 1
; COMPUTE_PGM_RSRC3_GFX90A:ACCUM_OFFSET: 4
; COMPUTE_PGM_RSRC3_GFX90A:TG_SPLIT: 0
	.section	.text._ZN12_GLOBAL__N_120softmax_warp_forwardIN3c104HalfES2_fLi7ELb0ELb0ELi32EEEvPT0_PKT_iiiPKbib,"axG",@progbits,_ZN12_GLOBAL__N_120softmax_warp_forwardIN3c104HalfES2_fLi7ELb0ELb0ELi32EEEvPT0_PKT_iiiPKbib,comdat
	.globl	_ZN12_GLOBAL__N_120softmax_warp_forwardIN3c104HalfES2_fLi7ELb0ELb0ELi32EEEvPT0_PKT_iiiPKbib ; -- Begin function _ZN12_GLOBAL__N_120softmax_warp_forwardIN3c104HalfES2_fLi7ELb0ELb0ELi32EEEvPT0_PKT_iiiPKbib
	.p2align	8
	.type	_ZN12_GLOBAL__N_120softmax_warp_forwardIN3c104HalfES2_fLi7ELb0ELb0ELi32EEEvPT0_PKT_iiiPKbib,@function
_ZN12_GLOBAL__N_120softmax_warp_forwardIN3c104HalfES2_fLi7ELb0ELb0ELi32EEEvPT0_PKT_iiiPKbib: ; @_ZN12_GLOBAL__N_120softmax_warp_forwardIN3c104HalfES2_fLi7ELb0ELb0ELi32EEEvPT0_PKT_iiiPKbib
; %bb.0:
	s_load_dword s0, s[4:5], 0x3c
	s_load_dwordx8 s[12:19], s[4:5], 0x0
	v_bfe_u32 v1, v0, 10, 10
	v_and_b32_e32 v6, 0x3ff, v0
	v_mov_b32_e32 v5, 0xff800000
	s_waitcnt lgkmcnt(0)
	s_lshr_b32 s0, s0, 16
	s_mul_i32 s6, s6, s0
	v_add_lshl_u32 v1, s6, v1, 1
	v_sub_u32_e32 v16, s16, v1
	v_mad_u64_u32 v[0:1], s[0:1], v1, s17, v[6:7]
	v_ashrrev_i32_e32 v1, 31, v0
	v_lshlrev_b64 v[2:3], 1, v[0:1]
	v_mov_b32_e32 v0, s15
	v_add_co_u32_e32 v8, vcc, s14, v2
	v_addc_co_u32_e32 v9, vcc, v0, v3, vcc
	v_cmp_lt_i32_e32 vcc, 0, v16
	v_cmp_gt_i32_e64 s[6:7], s18, v6
	s_and_b64 s[2:3], vcc, s[6:7]
	v_mov_b32_e32 v4, 0xff800000
	s_and_saveexec_b64 s[0:1], s[2:3]
	s_cbranch_execz .LBB421_2
; %bb.1:
	global_load_ushort v0, v[8:9], off
	s_waitcnt vmcnt(0)
	v_cvt_f32_f16_e32 v4, v0
.LBB421_2:
	s_or_b64 exec, exec, s[0:1]
	v_add_u32_e32 v0, 32, v6
	v_cmp_gt_i32_e64 s[4:5], s18, v0
	s_and_b64 s[2:3], vcc, s[4:5]
	s_and_saveexec_b64 s[0:1], s[2:3]
	s_cbranch_execz .LBB421_4
; %bb.3:
	global_load_ushort v0, v[8:9], off offset:64
	s_waitcnt vmcnt(0)
	v_cvt_f32_f16_e32 v5, v0
.LBB421_4:
	s_or_b64 exec, exec, s[0:1]
	v_add_u32_e32 v0, 64, v6
	v_cmp_gt_i32_e64 s[2:3], s18, v0
	s_and_b64 s[8:9], vcc, s[2:3]
	v_mov_b32_e32 v1, 0xff800000
	v_mov_b32_e32 v0, 0xff800000
	s_and_saveexec_b64 s[0:1], s[8:9]
	s_cbranch_execz .LBB421_6
; %bb.5:
	global_load_ushort v0, v[8:9], off offset:128
	s_waitcnt vmcnt(0)
	v_cvt_f32_f16_e32 v0, v0
.LBB421_6:
	s_or_b64 exec, exec, s[0:1]
	v_add_u32_e32 v6, 0x60, v6
	v_cmp_gt_i32_e64 s[0:1], s18, v6
	s_and_b64 s[10:11], vcc, s[0:1]
	s_and_saveexec_b64 s[8:9], s[10:11]
	s_cbranch_execz .LBB421_8
; %bb.7:
	global_load_ushort v1, v[8:9], off offset:192
	s_waitcnt vmcnt(0)
	v_cvt_f32_f16_e32 v1, v1
.LBB421_8:
	s_or_b64 exec, exec, s[8:9]
	v_cmp_lt_i32_e64 s[8:9], 1, v16
	s_and_b64 s[10:11], s[8:9], s[6:7]
	v_mov_b32_e32 v7, 0xff800000
	v_mov_b32_e32 v6, 0xff800000
	s_and_saveexec_b64 s[14:15], s[10:11]
	s_cbranch_execz .LBB421_10
; %bb.9:
	s_mov_b32 s19, 0
	s_lshl_b64 s[10:11], s[18:19], 1
	v_mov_b32_e32 v6, s11
	v_add_co_u32_e64 v10, s[10:11], s10, v8
	v_addc_co_u32_e64 v11, s[10:11], v9, v6, s[10:11]
	global_load_ushort v6, v[10:11], off
	s_waitcnt vmcnt(0)
	v_cvt_f32_f16_e32 v6, v6
.LBB421_10:
	s_or_b64 exec, exec, s[14:15]
	s_and_b64 s[10:11], s[8:9], s[4:5]
	s_and_saveexec_b64 s[14:15], s[10:11]
	s_cbranch_execz .LBB421_12
; %bb.11:
	s_mov_b32 s19, 0
	s_lshl_b64 s[10:11], s[18:19], 1
	v_mov_b32_e32 v7, s11
	v_add_co_u32_e64 v10, s[10:11], s10, v8
	v_addc_co_u32_e64 v11, s[10:11], v9, v7, s[10:11]
	global_load_ushort v7, v[10:11], off offset:64
	s_waitcnt vmcnt(0)
	v_cvt_f32_f16_e32 v7, v7
.LBB421_12:
	s_or_b64 exec, exec, s[14:15]
	s_and_b64 s[10:11], s[8:9], s[2:3]
	v_mov_b32_e32 v11, 0xff800000
	v_mov_b32_e32 v10, 0xff800000
	s_and_saveexec_b64 s[14:15], s[10:11]
	s_cbranch_execz .LBB421_14
; %bb.13:
	s_mov_b32 s19, 0
	s_lshl_b64 s[10:11], s[18:19], 1
	v_mov_b32_e32 v10, s11
	v_add_co_u32_e64 v12, s[10:11], s10, v8
	v_addc_co_u32_e64 v13, s[10:11], v9, v10, s[10:11]
	global_load_ushort v10, v[12:13], off offset:128
	s_waitcnt vmcnt(0)
	v_cvt_f32_f16_e32 v10, v10
.LBB421_14:
	s_or_b64 exec, exec, s[14:15]
	s_and_b64 s[8:9], s[8:9], s[0:1]
	s_and_saveexec_b64 s[10:11], s[8:9]
	s_cbranch_execz .LBB421_16
; %bb.15:
	s_mov_b32 s19, 0
	s_lshl_b64 s[8:9], s[18:19], 1
	v_mov_b32_e32 v11, s9
	v_add_co_u32_e64 v8, s[8:9], s8, v8
	v_addc_co_u32_e64 v9, s[8:9], v9, v11, s[8:9]
	global_load_ushort v8, v[8:9], off offset:192
	s_waitcnt vmcnt(0)
	v_cvt_f32_f16_e32 v11, v8
.LBB421_16:
	s_or_b64 exec, exec, s[10:11]
	v_cmp_gt_f32_e64 s[8:9], v4, v5
	v_cndmask_b32_e64 v8, v5, v4, s[8:9]
	v_cmp_gt_f32_e64 s[8:9], v8, v0
	v_mbcnt_lo_u32_b32 v12, -1, 0
	v_cndmask_b32_e64 v8, v0, v8, s[8:9]
	v_mbcnt_hi_u32_b32 v12, -1, v12
	v_cmp_gt_f32_e64 s[8:9], v8, v1
	v_and_b32_e32 v13, 0x60, v12
	v_cndmask_b32_e64 v8, v1, v8, s[8:9]
	v_cmp_gt_f32_e64 s[8:9], v6, v7
	v_add_u32_e32 v13, 32, v13
	v_xor_b32_e32 v14, 16, v12
	v_cndmask_b32_e64 v9, v7, v6, s[8:9]
	v_cmp_lt_i32_e64 s[8:9], v14, v13
	v_cndmask_b32_e64 v14, v12, v14, s[8:9]
	v_lshlrev_b32_e32 v15, 2, v14
	ds_bpermute_b32 v14, v15, v8
	v_cmp_gt_f32_e64 s[8:9], v9, v10
	v_cndmask_b32_e64 v9, v10, v9, s[8:9]
	v_cmp_gt_f32_e64 s[8:9], v9, v11
	v_cndmask_b32_e64 v9, v11, v9, s[8:9]
	s_waitcnt lgkmcnt(0)
	v_cmp_lt_f32_e64 s[8:9], v8, v14
	v_xor_b32_e32 v17, 8, v12
	v_cndmask_b32_e64 v8, v8, v14, s[8:9]
	v_cmp_lt_i32_e64 s[8:9], v17, v13
	v_cndmask_b32_e64 v17, v12, v17, s[8:9]
	ds_bpermute_b32 v14, v15, v9
	v_lshlrev_b32_e32 v17, 2, v17
	ds_bpermute_b32 v18, v17, v8
	s_mov_b32 s10, 0x3fb8aa3b
	s_mov_b32 s11, 0xc2ce8ed0
	s_waitcnt lgkmcnt(1)
	v_cmp_lt_f32_e64 s[8:9], v9, v14
	v_cndmask_b32_e64 v9, v9, v14, s[8:9]
	s_waitcnt lgkmcnt(0)
	v_cmp_lt_f32_e64 s[8:9], v8, v18
	v_cndmask_b32_e64 v8, v8, v18, s[8:9]
	v_xor_b32_e32 v18, 4, v12
	v_cmp_lt_i32_e64 s[8:9], v18, v13
	v_cndmask_b32_e64 v18, v12, v18, s[8:9]
	ds_bpermute_b32 v14, v17, v9
	v_lshlrev_b32_e32 v20, 2, v18
	ds_bpermute_b32 v18, v20, v8
	s_mov_b32 s14, 0x42b17218
	v_mov_b32_e32 v23, 0x7f800000
	s_waitcnt lgkmcnt(1)
	v_cmp_lt_f32_e64 s[8:9], v9, v14
	v_cndmask_b32_e64 v9, v9, v14, s[8:9]
	s_waitcnt lgkmcnt(0)
	v_cmp_lt_f32_e64 s[8:9], v8, v18
	v_cndmask_b32_e64 v8, v8, v18, s[8:9]
	v_xor_b32_e32 v18, 2, v12
	v_cmp_lt_i32_e64 s[8:9], v18, v13
	v_cndmask_b32_e64 v18, v12, v18, s[8:9]
	ds_bpermute_b32 v14, v20, v9
	v_lshlrev_b32_e32 v21, 2, v18
	ds_bpermute_b32 v18, v21, v8
	s_waitcnt lgkmcnt(1)
	v_cmp_lt_f32_e64 s[8:9], v9, v14
	v_cndmask_b32_e64 v9, v9, v14, s[8:9]
	s_waitcnt lgkmcnt(0)
	v_cmp_lt_f32_e64 s[8:9], v8, v18
	v_cndmask_b32_e64 v8, v8, v18, s[8:9]
	v_xor_b32_e32 v18, 1, v12
	v_cmp_lt_i32_e64 s[8:9], v18, v13
	v_cndmask_b32_e64 v12, v12, v18, s[8:9]
	ds_bpermute_b32 v14, v21, v9
	v_lshlrev_b32_e32 v22, 2, v12
	ds_bpermute_b32 v12, v22, v8
	s_waitcnt lgkmcnt(1)
	v_cmp_lt_f32_e64 s[8:9], v9, v14
	v_cndmask_b32_e64 v9, v9, v14, s[8:9]
	s_waitcnt lgkmcnt(0)
	v_cmp_lt_f32_e64 s[8:9], v8, v12
	v_cndmask_b32_e64 v8, v8, v12, s[8:9]
	v_pk_add_f32 v[12:13], v[4:5], v[8:9] op_sel_hi:[1,0] neg_lo:[0,1] neg_hi:[0,1]
	v_mul_f32_e32 v4, 0x3fb8aa3b, v13
	v_fma_f32 v5, v13, s10, -v4
	v_rndne_f32_e32 v18, v4
	v_fmac_f32_e32 v5, 0x32a5705f, v13
	v_sub_f32_e32 v4, v4, v18
	ds_bpermute_b32 v14, v22, v9
	v_add_f32_e32 v4, v4, v5
	v_exp_f32_e32 v4, v4
	v_cvt_i32_f32_e32 v5, v18
	s_waitcnt lgkmcnt(0)
	v_cmp_lt_f32_e64 s[8:9], v9, v14
	v_cndmask_b32_e64 v14, v9, v14, s[8:9]
	v_ldexp_f32 v4, v4, v5
	v_mul_f32_e32 v5, 0x3fb8aa3b, v12
	v_fma_f32 v9, v12, s10, -v5
	v_rndne_f32_e32 v18, v5
	v_fmac_f32_e32 v9, 0x32a5705f, v12
	v_sub_f32_e32 v5, v5, v18
	v_add_f32_e32 v5, v5, v9
	v_cvt_i32_f32_e32 v9, v18
	v_exp_f32_e32 v5, v5
	v_cmp_ngt_f32_e64 s[8:9], s11, v13
	v_cndmask_b32_e64 v4, 0, v4, s[8:9]
	v_pk_add_f32 v[18:19], v[0:1], v[8:9] op_sel_hi:[1,0] neg_lo:[0,1] neg_hi:[0,1]
	v_mul_f32_e32 v0, 0x3fb8aa3b, v19
	v_fma_f32 v1, v19, s10, -v0
	v_rndne_f32_e32 v8, v0
	v_fmac_f32_e32 v1, 0x32a5705f, v19
	v_sub_f32_e32 v0, v0, v8
	v_add_f32_e32 v0, v0, v1
	v_exp_f32_e32 v0, v0
	v_cvt_i32_f32_e32 v1, v8
	v_cmp_nlt_f32_e64 s[8:9], s14, v13
	v_cndmask_b32_e64 v4, v23, v4, s[8:9]
	v_ldexp_f32 v5, v5, v9
	v_cmp_ngt_f32_e64 s[8:9], s11, v12
	v_cndmask_b32_e64 v5, 0, v5, s[8:9]
	v_cmp_nlt_f32_e64 s[8:9], s14, v12
	v_ldexp_f32 v0, v0, v1
	v_mul_f32_e32 v1, 0x3fb8aa3b, v18
	v_cndmask_b32_e64 v8, v23, v5, s[8:9]
	v_fma_f32 v5, v18, s10, -v1
	v_rndne_f32_e32 v9, v1
	v_fmac_f32_e32 v5, 0x32a5705f, v18
	v_sub_f32_e32 v1, v1, v9
	v_add_f32_e32 v1, v1, v5
	v_exp_f32_e32 v1, v1
	v_cvt_i32_f32_e32 v5, v9
	v_pk_add_f32 v[12:13], v[6:7], v[14:15] op_sel_hi:[1,0] neg_lo:[0,1] neg_hi:[0,1]
	v_cmp_ngt_f32_e64 s[8:9], s11, v19
	v_cndmask_b32_e64 v0, 0, v0, s[8:9]
	v_ldexp_f32 v1, v1, v5
	v_mul_f32_e32 v5, 0x3fb8aa3b, v13
	v_fma_f32 v6, v13, s10, -v5
	v_rndne_f32_e32 v7, v5
	v_fmac_f32_e32 v6, 0x32a5705f, v13
	v_sub_f32_e32 v5, v5, v7
	v_add_f32_e32 v5, v5, v6
	v_exp_f32_e32 v5, v5
	v_cvt_i32_f32_e32 v7, v7
	v_cmp_nlt_f32_e64 s[8:9], s14, v19
	v_cndmask_b32_e64 v0, v23, v0, s[8:9]
	v_cmp_ngt_f32_e64 s[8:9], s11, v18
	v_cndmask_b32_e64 v1, 0, v1, s[8:9]
	v_cmp_nlt_f32_e64 s[8:9], s14, v18
	v_cndmask_b32_e64 v6, v23, v1, s[8:9]
	v_ldexp_f32 v1, v5, v7
	v_mul_f32_e32 v5, 0x3fb8aa3b, v12
	v_fma_f32 v7, v12, s10, -v5
	v_rndne_f32_e32 v9, v5
	v_fmac_f32_e32 v7, 0x32a5705f, v12
	v_sub_f32_e32 v5, v5, v9
	v_add_f32_e32 v5, v5, v7
	v_exp_f32_e32 v7, v5
	v_cvt_i32_f32_e32 v9, v9
	v_cmp_ngt_f32_e64 s[8:9], s11, v13
	v_cndmask_b32_e64 v1, 0, v1, s[8:9]
	v_cmp_nlt_f32_e64 s[8:9], s14, v13
	v_pk_add_f32 v[10:11], v[10:11], v[14:15] op_sel_hi:[1,0] neg_lo:[0,1] neg_hi:[0,1]
	v_cndmask_b32_e64 v5, v23, v1, s[8:9]
	v_ldexp_f32 v1, v7, v9
	v_mul_f32_e32 v7, 0x3fb8aa3b, v11
	v_fma_f32 v9, v11, s10, -v7
	v_rndne_f32_e32 v13, v7
	v_fmac_f32_e32 v9, 0x32a5705f, v11
	v_sub_f32_e32 v7, v7, v13
	v_add_f32_e32 v7, v7, v9
	v_exp_f32_e32 v7, v7
	v_cvt_i32_f32_e32 v13, v13
	v_cmp_ngt_f32_e64 s[8:9], s11, v12
	v_cndmask_b32_e64 v1, 0, v1, s[8:9]
	v_cmp_nlt_f32_e64 s[8:9], s14, v12
	v_cndmask_b32_e64 v9, v23, v1, s[8:9]
	v_ldexp_f32 v1, v7, v13
	v_mul_f32_e32 v7, 0x3fb8aa3b, v10
	v_fma_f32 v12, v10, s10, -v7
	v_rndne_f32_e32 v13, v7
	v_fmac_f32_e32 v12, 0x32a5705f, v10
	v_sub_f32_e32 v7, v7, v13
	v_add_f32_e32 v7, v7, v12
	v_exp_f32_e32 v7, v7
	v_cvt_i32_f32_e32 v12, v13
	v_cmp_ngt_f32_e64 s[8:9], s11, v11
	v_cndmask_b32_e64 v1, 0, v1, s[8:9]
	v_cmp_nlt_f32_e64 s[8:9], s14, v11
	v_cndmask_b32_e64 v1, v23, v1, s[8:9]
	v_ldexp_f32 v7, v7, v12
	v_cmp_ngt_f32_e64 s[8:9], s11, v10
	v_cndmask_b32_e64 v7, 0, v7, s[8:9]
	v_cmp_nlt_f32_e64 s[8:9], s14, v10
	v_cndmask_b32_e64 v7, v23, v7, s[8:9]
	v_pk_add_f32 v[10:11], v[8:9], v[4:5]
	v_pk_add_f32 v[10:11], v[10:11], v[6:7]
	;; [unrolled: 1-line block ×3, first 2 shown]
	ds_bpermute_b32 v12, v15, v10
	ds_bpermute_b32 v13, v15, v11
	s_waitcnt lgkmcnt(0)
	v_pk_add_f32 v[10:11], v[10:11], v[12:13]
	ds_bpermute_b32 v12, v17, v10
	ds_bpermute_b32 v13, v17, v11
	s_waitcnt lgkmcnt(0)
	v_pk_add_f32 v[10:11], v[10:11], v[12:13]
	ds_bpermute_b32 v12, v20, v10
	ds_bpermute_b32 v13, v20, v11
	s_waitcnt lgkmcnt(0)
	v_pk_add_f32 v[10:11], v[10:11], v[12:13]
	ds_bpermute_b32 v12, v21, v10
	ds_bpermute_b32 v13, v21, v11
	s_waitcnt lgkmcnt(0)
	v_pk_add_f32 v[12:13], v[10:11], v[12:13]
	ds_bpermute_b32 v14, v22, v12
	ds_bpermute_b32 v15, v22, v13
	s_and_saveexec_b64 s[8:9], vcc
	s_cbranch_execz .LBB421_40
; %bb.17:
	v_mov_b32_e32 v11, s13
	v_add_co_u32_e32 v10, vcc, s12, v2
	v_addc_co_u32_e32 v11, vcc, v11, v3, vcc
	s_waitcnt lgkmcnt(0)
	v_pk_add_f32 v[2:3], v[12:13], v[14:15]
	s_and_saveexec_b64 s[10:11], s[6:7]
	s_cbranch_execz .LBB421_35
; %bb.18:
	v_cmp_neq_f32_e64 s[8:9], 0, v2
	v_mov_b32_e32 v12, 0x7e00
	s_and_saveexec_b64 s[12:13], s[8:9]
	s_cbranch_execz .LBB421_20
; %bb.19:
	v_div_scale_f32 v12, s[14:15], v2, v2, v8
	v_rcp_f32_e32 v13, v12
	v_div_scale_f32 v14, vcc, v8, v2, v8
	v_fma_f32 v15, -v12, v13, 1.0
	v_fmac_f32_e32 v13, v15, v13
	v_mul_f32_e32 v15, v14, v13
	v_fma_f32 v17, -v12, v15, v14
	v_fmac_f32_e32 v15, v17, v13
	v_fma_f32 v12, -v12, v15, v14
	v_div_fmas_f32 v12, v12, v13, v15
	v_div_fixup_f32 v8, v12, v2, v8
	v_cvt_f16_f32_e32 v12, v8
.LBB421_20:
	s_or_b64 exec, exec, s[12:13]
	global_store_short v[10:11], v12, off
	s_and_b64 exec, exec, s[4:5]
	s_cbranch_execz .LBB421_35
; %bb.21:
	s_and_saveexec_b64 s[12:13], s[8:9]
	s_xor_b64 s[12:13], exec, s[12:13]
	s_cbranch_execnz .LBB421_24
; %bb.22:
	s_andn2_saveexec_b64 s[12:13], s[12:13]
	s_cbranch_execnz .LBB421_25
.LBB421_23:
	s_or_b64 exec, exec, s[12:13]
	s_and_b64 exec, exec, s[2:3]
	s_cbranch_execnz .LBB421_26
	s_branch .LBB421_35
.LBB421_24:
	v_div_scale_f32 v8, s[14:15], v2, v2, v4
	v_rcp_f32_e32 v12, v8
	v_div_scale_f32 v13, vcc, v4, v2, v4
	v_fma_f32 v14, -v8, v12, 1.0
	v_fmac_f32_e32 v12, v14, v12
	v_mul_f32_e32 v14, v13, v12
	v_fma_f32 v15, -v8, v14, v13
	v_fmac_f32_e32 v14, v15, v12
	v_fma_f32 v8, -v8, v14, v13
	v_div_fmas_f32 v8, v8, v12, v14
	v_div_fixup_f32 v4, v8, v2, v4
	v_cvt_f16_f32_e32 v4, v4
	global_store_short v[10:11], v4, off offset:64
	s_andn2_saveexec_b64 s[12:13], s[12:13]
	s_cbranch_execz .LBB421_23
.LBB421_25:
	v_mov_b32_e32 v4, 0x7e00
	global_store_short v[10:11], v4, off offset:64
	s_or_b64 exec, exec, s[12:13]
	s_and_b64 exec, exec, s[2:3]
	s_cbranch_execz .LBB421_35
.LBB421_26:
	s_and_saveexec_b64 s[12:13], s[8:9]
	s_xor_b64 s[12:13], exec, s[12:13]
	s_cbranch_execnz .LBB421_29
; %bb.27:
	s_andn2_saveexec_b64 s[12:13], s[12:13]
	s_cbranch_execnz .LBB421_30
.LBB421_28:
	s_or_b64 exec, exec, s[12:13]
	s_and_b64 exec, exec, s[0:1]
	s_cbranch_execnz .LBB421_31
	s_branch .LBB421_35
.LBB421_29:
	v_div_scale_f32 v4, s[14:15], v2, v2, v6
	v_rcp_f32_e32 v8, v4
	v_div_scale_f32 v12, vcc, v6, v2, v6
	v_fma_f32 v13, -v4, v8, 1.0
	v_fmac_f32_e32 v8, v13, v8
	v_mul_f32_e32 v13, v12, v8
	v_fma_f32 v14, -v4, v13, v12
	v_fmac_f32_e32 v13, v14, v8
	v_fma_f32 v4, -v4, v13, v12
	v_div_fmas_f32 v4, v4, v8, v13
	v_div_fixup_f32 v4, v4, v2, v6
	v_cvt_f16_f32_e32 v4, v4
	global_store_short v[10:11], v4, off offset:128
	s_andn2_saveexec_b64 s[12:13], s[12:13]
	s_cbranch_execz .LBB421_28
.LBB421_30:
	v_mov_b32_e32 v4, 0x7e00
	global_store_short v[10:11], v4, off offset:128
	s_or_b64 exec, exec, s[12:13]
	s_and_b64 exec, exec, s[0:1]
	s_cbranch_execz .LBB421_35
.LBB421_31:
	s_and_saveexec_b64 s[12:13], s[8:9]
	s_xor_b64 s[8:9], exec, s[12:13]
	s_cbranch_execz .LBB421_33
; %bb.32:
	v_div_scale_f32 v4, s[12:13], v2, v2, v0
	v_rcp_f32_e32 v6, v4
	v_div_scale_f32 v8, vcc, v0, v2, v0
	v_fma_f32 v12, -v4, v6, 1.0
	v_fmac_f32_e32 v6, v12, v6
	v_mul_f32_e32 v12, v8, v6
	v_fma_f32 v13, -v4, v12, v8
	v_fmac_f32_e32 v12, v13, v6
	v_fma_f32 v4, -v4, v12, v8
	v_div_fmas_f32 v4, v4, v6, v12
	v_div_fixup_f32 v0, v4, v2, v0
	v_cvt_f16_f32_e32 v0, v0
	global_store_short v[10:11], v0, off offset:192
.LBB421_33:
	s_andn2_saveexec_b64 s[8:9], s[8:9]
	s_cbranch_execz .LBB421_35
; %bb.34:
	v_mov_b32_e32 v0, 0x7e00
	global_store_short v[10:11], v0, off offset:192
.LBB421_35:
	s_or_b64 exec, exec, s[10:11]
	v_cmp_ne_u32_e32 vcc, 1, v16
	s_and_b64 exec, exec, vcc
	s_cbranch_execz .LBB421_40
; %bb.36:
	s_and_b64 exec, exec, s[6:7]
	s_cbranch_execz .LBB421_40
; %bb.37:
	s_ashr_i32 s19, s18, 31
	s_lshl_b64 s[8:9], s[18:19], 1
	v_mov_b32_e32 v0, s9
	v_add_co_u32_e32 v10, vcc, s8, v10
	v_cmp_neq_f32_e64 s[6:7], 0, v3
	v_addc_co_u32_e32 v11, vcc, v11, v0, vcc
	s_and_saveexec_b64 s[8:9], s[6:7]
	s_xor_b64 s[8:9], exec, s[8:9]
	s_cbranch_execnz .LBB421_41
; %bb.38:
	s_andn2_saveexec_b64 s[8:9], s[8:9]
	s_cbranch_execnz .LBB421_42
.LBB421_39:
	s_or_b64 exec, exec, s[8:9]
	s_and_b64 exec, exec, s[4:5]
	s_cbranch_execnz .LBB421_43
.LBB421_40:
	s_endpgm
.LBB421_41:
	v_div_scale_f32 v0, s[10:11], v3, v3, v9
	v_rcp_f32_e32 v2, v0
	v_div_scale_f32 v4, vcc, v9, v3, v9
	v_fma_f32 v6, -v0, v2, 1.0
	v_fmac_f32_e32 v2, v6, v2
	v_mul_f32_e32 v6, v4, v2
	v_fma_f32 v8, -v0, v6, v4
	v_fmac_f32_e32 v6, v8, v2
	v_fma_f32 v0, -v0, v6, v4
	v_div_fmas_f32 v0, v0, v2, v6
	v_div_fixup_f32 v0, v0, v3, v9
	v_cvt_f16_f32_e32 v0, v0
	global_store_short v[10:11], v0, off
	s_andn2_saveexec_b64 s[8:9], s[8:9]
	s_cbranch_execz .LBB421_39
.LBB421_42:
	v_mov_b32_e32 v0, 0x7e00
	global_store_short v[10:11], v0, off
	s_or_b64 exec, exec, s[8:9]
	s_and_b64 exec, exec, s[4:5]
	s_cbranch_execz .LBB421_40
.LBB421_43:
	s_and_saveexec_b64 s[4:5], s[6:7]
	s_xor_b64 s[4:5], exec, s[4:5]
	s_cbranch_execnz .LBB421_46
; %bb.44:
	s_andn2_saveexec_b64 s[4:5], s[4:5]
	s_cbranch_execnz .LBB421_47
.LBB421_45:
	s_or_b64 exec, exec, s[4:5]
	s_and_b64 exec, exec, s[2:3]
	s_cbranch_execz .LBB421_40
	s_branch .LBB421_48
.LBB421_46:
	v_div_scale_f32 v0, s[8:9], v3, v3, v5
	v_rcp_f32_e32 v2, v0
	v_div_scale_f32 v4, vcc, v5, v3, v5
	v_fma_f32 v6, -v0, v2, 1.0
	v_fmac_f32_e32 v2, v6, v2
	v_mul_f32_e32 v6, v4, v2
	v_fma_f32 v8, -v0, v6, v4
	v_fmac_f32_e32 v6, v8, v2
	v_fma_f32 v0, -v0, v6, v4
	v_div_fmas_f32 v0, v0, v2, v6
	v_div_fixup_f32 v0, v0, v3, v5
	v_cvt_f16_f32_e32 v0, v0
	global_store_short v[10:11], v0, off offset:64
	s_andn2_saveexec_b64 s[4:5], s[4:5]
	s_cbranch_execz .LBB421_45
.LBB421_47:
	v_mov_b32_e32 v0, 0x7e00
	global_store_short v[10:11], v0, off offset:64
	s_or_b64 exec, exec, s[4:5]
	s_and_b64 exec, exec, s[2:3]
	s_cbranch_execz .LBB421_40
.LBB421_48:
	s_and_saveexec_b64 s[2:3], s[6:7]
	s_xor_b64 s[2:3], exec, s[2:3]
	s_cbranch_execnz .LBB421_51
; %bb.49:
	s_andn2_saveexec_b64 s[2:3], s[2:3]
	s_cbranch_execnz .LBB421_52
.LBB421_50:
	s_or_b64 exec, exec, s[2:3]
	s_and_b64 exec, exec, s[0:1]
	s_cbranch_execz .LBB421_40
	s_branch .LBB421_53
.LBB421_51:
	v_div_scale_f32 v0, s[4:5], v3, v3, v7
	v_rcp_f32_e32 v2, v0
	v_div_scale_f32 v4, vcc, v7, v3, v7
	v_fma_f32 v5, -v0, v2, 1.0
	v_fmac_f32_e32 v2, v5, v2
	v_mul_f32_e32 v5, v4, v2
	v_fma_f32 v6, -v0, v5, v4
	v_fmac_f32_e32 v5, v6, v2
	v_fma_f32 v0, -v0, v5, v4
	v_div_fmas_f32 v0, v0, v2, v5
	v_div_fixup_f32 v0, v0, v3, v7
	v_cvt_f16_f32_e32 v0, v0
	global_store_short v[10:11], v0, off offset:128
	s_andn2_saveexec_b64 s[2:3], s[2:3]
	s_cbranch_execz .LBB421_50
.LBB421_52:
	v_mov_b32_e32 v0, 0x7e00
	global_store_short v[10:11], v0, off offset:128
	s_or_b64 exec, exec, s[2:3]
	s_and_b64 exec, exec, s[0:1]
	s_cbranch_execz .LBB421_40
.LBB421_53:
	s_and_saveexec_b64 s[0:1], s[6:7]
	s_xor_b64 s[0:1], exec, s[0:1]
	s_cbranch_execz .LBB421_55
; %bb.54:
	v_div_scale_f32 v0, s[2:3], v3, v3, v1
	v_rcp_f32_e32 v2, v0
	v_div_scale_f32 v4, vcc, v1, v3, v1
	v_fma_f32 v5, -v0, v2, 1.0
	v_fmac_f32_e32 v2, v5, v2
	v_mul_f32_e32 v5, v4, v2
	v_fma_f32 v6, -v0, v5, v4
	v_fmac_f32_e32 v5, v6, v2
	v_fma_f32 v0, -v0, v5, v4
	v_div_fmas_f32 v0, v0, v2, v5
	v_div_fixup_f32 v0, v0, v3, v1
	v_cvt_f16_f32_e32 v0, v0
	global_store_short v[10:11], v0, off offset:192
                                        ; implicit-def: $vgpr10_vgpr11
.LBB421_55:
	s_andn2_saveexec_b64 s[0:1], s[0:1]
	s_cbranch_execz .LBB421_40
; %bb.56:
	v_mov_b32_e32 v0, 0x7e00
	global_store_short v[10:11], v0, off offset:192
	s_endpgm
	.section	.rodata,"a",@progbits
	.p2align	6, 0x0
	.amdhsa_kernel _ZN12_GLOBAL__N_120softmax_warp_forwardIN3c104HalfES2_fLi7ELb0ELb0ELi32EEEvPT0_PKT_iiiPKbib
		.amdhsa_group_segment_fixed_size 0
		.amdhsa_private_segment_fixed_size 0
		.amdhsa_kernarg_size 304
		.amdhsa_user_sgpr_count 6
		.amdhsa_user_sgpr_private_segment_buffer 1
		.amdhsa_user_sgpr_dispatch_ptr 0
		.amdhsa_user_sgpr_queue_ptr 0
		.amdhsa_user_sgpr_kernarg_segment_ptr 1
		.amdhsa_user_sgpr_dispatch_id 0
		.amdhsa_user_sgpr_flat_scratch_init 0
		.amdhsa_user_sgpr_kernarg_preload_length 0
		.amdhsa_user_sgpr_kernarg_preload_offset 0
		.amdhsa_user_sgpr_private_segment_size 0
		.amdhsa_uses_dynamic_stack 0
		.amdhsa_system_sgpr_private_segment_wavefront_offset 0
		.amdhsa_system_sgpr_workgroup_id_x 1
		.amdhsa_system_sgpr_workgroup_id_y 0
		.amdhsa_system_sgpr_workgroup_id_z 0
		.amdhsa_system_sgpr_workgroup_info 0
		.amdhsa_system_vgpr_workitem_id 1
		.amdhsa_next_free_vgpr 24
		.amdhsa_next_free_sgpr 20
		.amdhsa_accum_offset 24
		.amdhsa_reserve_vcc 1
		.amdhsa_reserve_flat_scratch 0
		.amdhsa_float_round_mode_32 0
		.amdhsa_float_round_mode_16_64 0
		.amdhsa_float_denorm_mode_32 3
		.amdhsa_float_denorm_mode_16_64 3
		.amdhsa_dx10_clamp 1
		.amdhsa_ieee_mode 1
		.amdhsa_fp16_overflow 0
		.amdhsa_tg_split 0
		.amdhsa_exception_fp_ieee_invalid_op 0
		.amdhsa_exception_fp_denorm_src 0
		.amdhsa_exception_fp_ieee_div_zero 0
		.amdhsa_exception_fp_ieee_overflow 0
		.amdhsa_exception_fp_ieee_underflow 0
		.amdhsa_exception_fp_ieee_inexact 0
		.amdhsa_exception_int_div_zero 0
	.end_amdhsa_kernel
	.section	.text._ZN12_GLOBAL__N_120softmax_warp_forwardIN3c104HalfES2_fLi7ELb0ELb0ELi32EEEvPT0_PKT_iiiPKbib,"axG",@progbits,_ZN12_GLOBAL__N_120softmax_warp_forwardIN3c104HalfES2_fLi7ELb0ELb0ELi32EEEvPT0_PKT_iiiPKbib,comdat
.Lfunc_end421:
	.size	_ZN12_GLOBAL__N_120softmax_warp_forwardIN3c104HalfES2_fLi7ELb0ELb0ELi32EEEvPT0_PKT_iiiPKbib, .Lfunc_end421-_ZN12_GLOBAL__N_120softmax_warp_forwardIN3c104HalfES2_fLi7ELb0ELb0ELi32EEEvPT0_PKT_iiiPKbib
                                        ; -- End function
	.section	.AMDGPU.csdata,"",@progbits
; Kernel info:
; codeLenInByte = 3228
; NumSgprs: 24
; NumVgprs: 24
; NumAgprs: 0
; TotalNumVgprs: 24
; ScratchSize: 0
; MemoryBound: 0
; FloatMode: 240
; IeeeMode: 1
; LDSByteSize: 0 bytes/workgroup (compile time only)
; SGPRBlocks: 2
; VGPRBlocks: 2
; NumSGPRsForWavesPerEU: 24
; NumVGPRsForWavesPerEU: 24
; AccumOffset: 24
; Occupancy: 8
; WaveLimiterHint : 0
; COMPUTE_PGM_RSRC2:SCRATCH_EN: 0
; COMPUTE_PGM_RSRC2:USER_SGPR: 6
; COMPUTE_PGM_RSRC2:TRAP_HANDLER: 0
; COMPUTE_PGM_RSRC2:TGID_X_EN: 1
; COMPUTE_PGM_RSRC2:TGID_Y_EN: 0
; COMPUTE_PGM_RSRC2:TGID_Z_EN: 0
; COMPUTE_PGM_RSRC2:TIDIG_COMP_CNT: 1
; COMPUTE_PGM_RSRC3_GFX90A:ACCUM_OFFSET: 5
; COMPUTE_PGM_RSRC3_GFX90A:TG_SPLIT: 0
	.section	.text._ZN12_GLOBAL__N_120softmax_warp_forwardIN3c104HalfES2_fLi8ELb0ELb0ELi64EEEvPT0_PKT_iiiPKbib,"axG",@progbits,_ZN12_GLOBAL__N_120softmax_warp_forwardIN3c104HalfES2_fLi8ELb0ELb0ELi64EEEvPT0_PKT_iiiPKbib,comdat
	.globl	_ZN12_GLOBAL__N_120softmax_warp_forwardIN3c104HalfES2_fLi8ELb0ELb0ELi64EEEvPT0_PKT_iiiPKbib ; -- Begin function _ZN12_GLOBAL__N_120softmax_warp_forwardIN3c104HalfES2_fLi8ELb0ELb0ELi64EEEvPT0_PKT_iiiPKbib
	.p2align	8
	.type	_ZN12_GLOBAL__N_120softmax_warp_forwardIN3c104HalfES2_fLi8ELb0ELb0ELi64EEEvPT0_PKT_iiiPKbib,@function
_ZN12_GLOBAL__N_120softmax_warp_forwardIN3c104HalfES2_fLi8ELb0ELb0ELi64EEEvPT0_PKT_iiiPKbib: ; @_ZN12_GLOBAL__N_120softmax_warp_forwardIN3c104HalfES2_fLi8ELb0ELb0ELi64EEEvPT0_PKT_iiiPKbib
; %bb.0:
	s_load_dword s0, s[4:5], 0x3c
	s_load_dwordx8 s[8:15], s[4:5], 0x0
	v_bfe_u32 v1, v0, 10, 10
	v_and_b32_e32 v4, 0x3ff, v0
	v_mov_b32_e32 v7, 0xff800000
	s_waitcnt lgkmcnt(0)
	s_lshr_b32 s0, s0, 16
	s_mul_i32 s6, s6, s0
	v_add_u32_e32 v1, s6, v1
	v_sub_u32_e32 v5, s12, v1
	v_mad_u64_u32 v[0:1], s[0:1], v1, s13, v[4:5]
	v_ashrrev_i32_e32 v1, 31, v0
	v_lshlrev_b64 v[0:1], 1, v[0:1]
	v_mov_b32_e32 v3, s11
	v_add_co_u32_e32 v2, vcc, s10, v0
	v_addc_co_u32_e32 v3, vcc, v3, v1, vcc
	v_cmp_lt_i32_e64 s[6:7], 0, v5
	v_cmp_gt_i32_e32 vcc, s14, v4
	s_and_b64 s[2:3], s[6:7], vcc
	v_mov_b32_e32 v9, 0xff800000
	s_and_saveexec_b64 s[0:1], s[2:3]
	s_cbranch_execz .LBB422_2
; %bb.1:
	global_load_ushort v6, v[2:3], off
	s_waitcnt vmcnt(0)
	v_cvt_f32_f16_e32 v9, v6
.LBB422_2:
	s_or_b64 exec, exec, s[0:1]
	v_add_u32_e32 v6, 64, v4
	v_cmp_gt_i32_e64 s[4:5], s14, v6
	s_and_b64 s[2:3], s[6:7], s[4:5]
	s_and_saveexec_b64 s[0:1], s[2:3]
	s_cbranch_execz .LBB422_4
; %bb.3:
	global_load_ushort v6, v[2:3], off offset:128
	s_waitcnt vmcnt(0)
	v_cvt_f32_f16_e32 v7, v6
.LBB422_4:
	s_or_b64 exec, exec, s[0:1]
	v_add_u32_e32 v6, 0x80, v4
	v_cmp_gt_i32_e64 s[2:3], s14, v6
	s_and_b64 s[10:11], s[6:7], s[2:3]
	v_mov_b32_e32 v6, 0xff800000
	v_mov_b32_e32 v8, 0xff800000
	s_and_saveexec_b64 s[0:1], s[10:11]
	s_cbranch_execz .LBB422_6
; %bb.5:
	global_load_ushort v8, v[2:3], off offset:256
	s_waitcnt vmcnt(0)
	v_cvt_f32_f16_e32 v8, v8
.LBB422_6:
	s_or_b64 exec, exec, s[0:1]
	v_add_u32_e32 v4, 0xc0, v4
	v_cmp_gt_i32_e64 s[0:1], s14, v4
	s_and_b64 s[10:11], s[6:7], s[0:1]
	s_and_saveexec_b64 s[6:7], s[10:11]
	s_cbranch_execz .LBB422_8
; %bb.7:
	global_load_ushort v2, v[2:3], off offset:384
	s_waitcnt vmcnt(0)
	v_cvt_f32_f16_e32 v6, v2
.LBB422_8:
	s_or_b64 exec, exec, s[6:7]
	v_cmp_gt_f32_e64 s[6:7], v9, v7
	v_cndmask_b32_e64 v2, v7, v9, s[6:7]
	v_mbcnt_lo_u32_b32 v3, -1, 0
	v_cmp_gt_f32_e64 s[6:7], v2, v8
	v_mbcnt_hi_u32_b32 v3, -1, v3
	v_cndmask_b32_e64 v2, v8, v2, s[6:7]
	v_and_b32_e32 v4, 64, v3
	v_cmp_gt_f32_e64 s[6:7], v2, v6
	v_add_u32_e32 v4, 64, v4
	v_xor_b32_e32 v10, 32, v3
	v_cndmask_b32_e64 v2, v6, v2, s[6:7]
	v_cmp_lt_i32_e64 s[6:7], v10, v4
	v_cndmask_b32_e64 v10, v3, v10, s[6:7]
	v_lshlrev_b32_e32 v10, 2, v10
	ds_bpermute_b32 v11, v10, v2
	s_mov_b32 s10, 0x3fb8aa3b
	s_mov_b32 s11, 0xc2ce8ed0
	;; [unrolled: 1-line block ×3, first 2 shown]
	v_mov_b32_e32 v18, 0x7f800000
	s_waitcnt lgkmcnt(0)
	v_cmp_lt_f32_e64 s[6:7], v2, v11
	v_cndmask_b32_e64 v2, v2, v11, s[6:7]
	v_xor_b32_e32 v11, 16, v3
	v_cmp_lt_i32_e64 s[6:7], v11, v4
	v_cndmask_b32_e64 v11, v3, v11, s[6:7]
	v_lshlrev_b32_e32 v11, 2, v11
	ds_bpermute_b32 v12, v11, v2
	s_waitcnt lgkmcnt(0)
	v_cmp_lt_f32_e64 s[6:7], v2, v12
	v_cndmask_b32_e64 v2, v2, v12, s[6:7]
	v_xor_b32_e32 v12, 8, v3
	v_cmp_lt_i32_e64 s[6:7], v12, v4
	v_cndmask_b32_e64 v12, v3, v12, s[6:7]
	v_lshlrev_b32_e32 v12, 2, v12
	ds_bpermute_b32 v13, v12, v2
	;; [unrolled: 8-line block ×5, first 2 shown]
	s_waitcnt lgkmcnt(0)
	v_cmp_lt_f32_e64 s[6:7], v2, v3
	v_cndmask_b32_e64 v2, v2, v3, s[6:7]
	v_sub_f32_e32 v3, v9, v2
	v_mul_f32_e32 v4, 0x3fb8aa3b, v3
	v_fma_f32 v9, v3, s10, -v4
	v_rndne_f32_e32 v16, v4
	v_fmac_f32_e32 v9, 0x32a5705f, v3
	v_sub_f32_e32 v4, v4, v16
	v_add_f32_e32 v4, v4, v9
	v_exp_f32_e32 v4, v4
	v_cvt_i32_f32_e32 v9, v16
	v_sub_f32_e32 v7, v7, v2
	v_cmp_ngt_f32_e64 s[6:7], s11, v3
	v_ldexp_f32 v4, v4, v9
	v_mul_f32_e32 v9, 0x3fb8aa3b, v7
	v_fma_f32 v16, v7, s10, -v9
	v_rndne_f32_e32 v17, v9
	v_fmac_f32_e32 v16, 0x32a5705f, v7
	v_sub_f32_e32 v9, v9, v17
	v_add_f32_e32 v9, v9, v16
	v_exp_f32_e32 v16, v9
	v_cvt_i32_f32_e32 v17, v17
	v_cndmask_b32_e64 v4, 0, v4, s[6:7]
	v_cmp_nlt_f32_e64 s[6:7], s12, v3
	v_cndmask_b32_e64 v9, v18, v4, s[6:7]
	v_sub_f32_e32 v4, v8, v2
	v_mul_f32_e32 v8, 0x3fb8aa3b, v4
	v_ldexp_f32 v3, v16, v17
	v_fma_f32 v16, v4, s10, -v8
	v_rndne_f32_e32 v17, v8
	v_fmac_f32_e32 v16, 0x32a5705f, v4
	v_sub_f32_e32 v8, v8, v17
	v_add_f32_e32 v8, v8, v16
	v_exp_f32_e32 v8, v8
	v_cvt_i32_f32_e32 v16, v17
	v_sub_f32_e32 v2, v6, v2
	v_mul_f32_e32 v6, 0x3fb8aa3b, v2
	v_rndne_f32_e32 v17, v6
	v_ldexp_f32 v8, v8, v16
	v_fma_f32 v16, v2, s10, -v6
	v_fmac_f32_e32 v16, 0x32a5705f, v2
	v_sub_f32_e32 v6, v6, v17
	v_add_f32_e32 v6, v6, v16
	v_cmp_ngt_f32_e64 s[6:7], s11, v7
	v_exp_f32_e32 v6, v6
	v_cvt_i32_f32_e32 v16, v17
	v_cndmask_b32_e64 v3, 0, v3, s[6:7]
	v_cmp_nlt_f32_e64 s[6:7], s12, v7
	v_cndmask_b32_e64 v7, v18, v3, s[6:7]
	v_cmp_ngt_f32_e64 s[6:7], s11, v4
	v_cndmask_b32_e64 v8, 0, v8, s[6:7]
	v_cmp_nlt_f32_e64 s[6:7], s12, v4
	v_cndmask_b32_e64 v4, v18, v8, s[6:7]
	v_ldexp_f32 v6, v6, v16
	v_cmp_ngt_f32_e64 s[6:7], s11, v2
	v_add_f32_e32 v3, v9, v7
	v_cndmask_b32_e64 v6, 0, v6, s[6:7]
	v_cmp_nlt_f32_e64 s[6:7], s12, v2
	v_add_f32_e32 v3, v3, v4
	v_cndmask_b32_e64 v2, v18, v6, s[6:7]
	v_add_f32_e32 v3, v3, v2
	ds_bpermute_b32 v6, v10, v3
	v_cmp_lt_i32_e64 s[6:7], 0, v5
	s_waitcnt lgkmcnt(0)
	v_add_f32_e32 v3, v3, v6
	ds_bpermute_b32 v6, v11, v3
	s_waitcnt lgkmcnt(0)
	v_add_f32_e32 v3, v3, v6
	ds_bpermute_b32 v6, v12, v3
	;; [unrolled: 3-line block ×5, first 2 shown]
	s_and_saveexec_b64 s[10:11], s[6:7]
	s_cbranch_execz .LBB422_22
; %bb.9:
	s_and_b64 exec, exec, vcc
	s_cbranch_execz .LBB422_22
; %bb.10:
	s_waitcnt lgkmcnt(0)
	v_add_f32_e32 v3, v3, v6
	v_cmp_neq_f32_e64 s[6:7], 0, v3
	v_mov_b32_e32 v5, 0x7e00
	s_and_saveexec_b64 s[10:11], s[6:7]
	s_cbranch_execz .LBB422_12
; %bb.11:
	v_div_scale_f32 v5, s[12:13], v3, v3, v9
	v_rcp_f32_e32 v6, v5
	v_div_scale_f32 v8, vcc, v9, v3, v9
	v_fma_f32 v10, -v5, v6, 1.0
	v_fmac_f32_e32 v6, v10, v6
	v_mul_f32_e32 v10, v8, v6
	v_fma_f32 v11, -v5, v10, v8
	v_fmac_f32_e32 v10, v11, v6
	v_fma_f32 v5, -v5, v10, v8
	v_div_fmas_f32 v5, v5, v6, v10
	v_div_fixup_f32 v5, v5, v3, v9
	v_cvt_f16_f32_e32 v5, v5
.LBB422_12:
	s_or_b64 exec, exec, s[10:11]
	v_mov_b32_e32 v6, s9
	v_add_co_u32_e32 v0, vcc, s8, v0
	v_addc_co_u32_e32 v1, vcc, v6, v1, vcc
	global_store_short v[0:1], v5, off
	s_and_b64 exec, exec, s[4:5]
	s_cbranch_execz .LBB422_22
; %bb.13:
	v_mov_b32_e32 v5, 0x7e00
	s_and_saveexec_b64 s[4:5], s[6:7]
	s_cbranch_execz .LBB422_15
; %bb.14:
	v_div_scale_f32 v5, s[8:9], v3, v3, v7
	v_rcp_f32_e32 v6, v5
	v_div_scale_f32 v8, vcc, v7, v3, v7
	v_fma_f32 v9, -v5, v6, 1.0
	v_fmac_f32_e32 v6, v9, v6
	v_mul_f32_e32 v9, v8, v6
	v_fma_f32 v10, -v5, v9, v8
	v_fmac_f32_e32 v9, v10, v6
	v_fma_f32 v5, -v5, v9, v8
	v_div_fmas_f32 v5, v5, v6, v9
	v_div_fixup_f32 v5, v5, v3, v7
	v_cvt_f16_f32_e32 v5, v5
.LBB422_15:
	s_or_b64 exec, exec, s[4:5]
	global_store_short v[0:1], v5, off offset:128
	s_and_b64 exec, exec, s[2:3]
	s_cbranch_execz .LBB422_22
; %bb.16:
	v_mov_b32_e32 v5, 0x7e00
	s_and_saveexec_b64 s[2:3], s[6:7]
	s_cbranch_execz .LBB422_18
; %bb.17:
	v_div_scale_f32 v5, s[4:5], v3, v3, v4
	v_rcp_f32_e32 v6, v5
	v_div_scale_f32 v7, vcc, v4, v3, v4
	v_fma_f32 v8, -v5, v6, 1.0
	v_fmac_f32_e32 v6, v8, v6
	v_mul_f32_e32 v8, v7, v6
	v_fma_f32 v9, -v5, v8, v7
	v_fmac_f32_e32 v8, v9, v6
	v_fma_f32 v5, -v5, v8, v7
	v_div_fmas_f32 v5, v5, v6, v8
	v_div_fixup_f32 v4, v5, v3, v4
	v_cvt_f16_f32_e32 v5, v4
.LBB422_18:
	s_or_b64 exec, exec, s[2:3]
	global_store_short v[0:1], v5, off offset:256
	;; [unrolled: 22-line block ×3, first 2 shown]
.LBB422_22:
	s_endpgm
	.section	.rodata,"a",@progbits
	.p2align	6, 0x0
	.amdhsa_kernel _ZN12_GLOBAL__N_120softmax_warp_forwardIN3c104HalfES2_fLi8ELb0ELb0ELi64EEEvPT0_PKT_iiiPKbib
		.amdhsa_group_segment_fixed_size 0
		.amdhsa_private_segment_fixed_size 0
		.amdhsa_kernarg_size 304
		.amdhsa_user_sgpr_count 6
		.amdhsa_user_sgpr_private_segment_buffer 1
		.amdhsa_user_sgpr_dispatch_ptr 0
		.amdhsa_user_sgpr_queue_ptr 0
		.amdhsa_user_sgpr_kernarg_segment_ptr 1
		.amdhsa_user_sgpr_dispatch_id 0
		.amdhsa_user_sgpr_flat_scratch_init 0
		.amdhsa_user_sgpr_kernarg_preload_length 0
		.amdhsa_user_sgpr_kernarg_preload_offset 0
		.amdhsa_user_sgpr_private_segment_size 0
		.amdhsa_uses_dynamic_stack 0
		.amdhsa_system_sgpr_private_segment_wavefront_offset 0
		.amdhsa_system_sgpr_workgroup_id_x 1
		.amdhsa_system_sgpr_workgroup_id_y 0
		.amdhsa_system_sgpr_workgroup_id_z 0
		.amdhsa_system_sgpr_workgroup_info 0
		.amdhsa_system_vgpr_workitem_id 1
		.amdhsa_next_free_vgpr 19
		.amdhsa_next_free_sgpr 16
		.amdhsa_accum_offset 20
		.amdhsa_reserve_vcc 1
		.amdhsa_reserve_flat_scratch 0
		.amdhsa_float_round_mode_32 0
		.amdhsa_float_round_mode_16_64 0
		.amdhsa_float_denorm_mode_32 3
		.amdhsa_float_denorm_mode_16_64 3
		.amdhsa_dx10_clamp 1
		.amdhsa_ieee_mode 1
		.amdhsa_fp16_overflow 0
		.amdhsa_tg_split 0
		.amdhsa_exception_fp_ieee_invalid_op 0
		.amdhsa_exception_fp_denorm_src 0
		.amdhsa_exception_fp_ieee_div_zero 0
		.amdhsa_exception_fp_ieee_overflow 0
		.amdhsa_exception_fp_ieee_underflow 0
		.amdhsa_exception_fp_ieee_inexact 0
		.amdhsa_exception_int_div_zero 0
	.end_amdhsa_kernel
	.section	.text._ZN12_GLOBAL__N_120softmax_warp_forwardIN3c104HalfES2_fLi8ELb0ELb0ELi64EEEvPT0_PKT_iiiPKbib,"axG",@progbits,_ZN12_GLOBAL__N_120softmax_warp_forwardIN3c104HalfES2_fLi8ELb0ELb0ELi64EEEvPT0_PKT_iiiPKbib,comdat
.Lfunc_end422:
	.size	_ZN12_GLOBAL__N_120softmax_warp_forwardIN3c104HalfES2_fLi8ELb0ELb0ELi64EEEvPT0_PKT_iiiPKbib, .Lfunc_end422-_ZN12_GLOBAL__N_120softmax_warp_forwardIN3c104HalfES2_fLi8ELb0ELb0ELi64EEEvPT0_PKT_iiiPKbib
                                        ; -- End function
	.section	.AMDGPU.csdata,"",@progbits
; Kernel info:
; codeLenInByte = 1664
; NumSgprs: 20
; NumVgprs: 19
; NumAgprs: 0
; TotalNumVgprs: 19
; ScratchSize: 0
; MemoryBound: 0
; FloatMode: 240
; IeeeMode: 1
; LDSByteSize: 0 bytes/workgroup (compile time only)
; SGPRBlocks: 2
; VGPRBlocks: 2
; NumSGPRsForWavesPerEU: 20
; NumVGPRsForWavesPerEU: 19
; AccumOffset: 20
; Occupancy: 8
; WaveLimiterHint : 0
; COMPUTE_PGM_RSRC2:SCRATCH_EN: 0
; COMPUTE_PGM_RSRC2:USER_SGPR: 6
; COMPUTE_PGM_RSRC2:TRAP_HANDLER: 0
; COMPUTE_PGM_RSRC2:TGID_X_EN: 1
; COMPUTE_PGM_RSRC2:TGID_Y_EN: 0
; COMPUTE_PGM_RSRC2:TGID_Z_EN: 0
; COMPUTE_PGM_RSRC2:TIDIG_COMP_CNT: 1
; COMPUTE_PGM_RSRC3_GFX90A:ACCUM_OFFSET: 4
; COMPUTE_PGM_RSRC3_GFX90A:TG_SPLIT: 0
	.section	.text._ZN12_GLOBAL__N_120softmax_warp_forwardIN3c104HalfES2_fLi8ELb0ELb0ELi32EEEvPT0_PKT_iiiPKbib,"axG",@progbits,_ZN12_GLOBAL__N_120softmax_warp_forwardIN3c104HalfES2_fLi8ELb0ELb0ELi32EEEvPT0_PKT_iiiPKbib,comdat
	.globl	_ZN12_GLOBAL__N_120softmax_warp_forwardIN3c104HalfES2_fLi8ELb0ELb0ELi32EEEvPT0_PKT_iiiPKbib ; -- Begin function _ZN12_GLOBAL__N_120softmax_warp_forwardIN3c104HalfES2_fLi8ELb0ELb0ELi32EEEvPT0_PKT_iiiPKbib
	.p2align	8
	.type	_ZN12_GLOBAL__N_120softmax_warp_forwardIN3c104HalfES2_fLi8ELb0ELb0ELi32EEEvPT0_PKT_iiiPKbib,@function
_ZN12_GLOBAL__N_120softmax_warp_forwardIN3c104HalfES2_fLi8ELb0ELb0ELi32EEEvPT0_PKT_iiiPKbib: ; @_ZN12_GLOBAL__N_120softmax_warp_forwardIN3c104HalfES2_fLi8ELb0ELb0ELi32EEEvPT0_PKT_iiiPKbib
; %bb.0:
	s_load_dword s0, s[4:5], 0x3c
	s_load_dwordx8 s[16:23], s[4:5], 0x0
	v_bfe_u32 v1, v0, 10, 10
	v_and_b32_e32 v4, 0x3ff, v0
	v_mov_b32_e32 v8, 0xff800000
	s_waitcnt lgkmcnt(0)
	s_lshr_b32 s0, s0, 16
	s_mul_i32 s6, s6, s0
	v_add_u32_e32 v1, s6, v1
	v_sub_u32_e32 v5, s20, v1
	v_mad_u64_u32 v[0:1], s[0:1], v1, s21, v[4:5]
	v_ashrrev_i32_e32 v1, 31, v0
	v_lshlrev_b64 v[0:1], 1, v[0:1]
	v_mov_b32_e32 v3, s19
	v_add_co_u32_e32 v2, vcc, s18, v0
	v_addc_co_u32_e32 v3, vcc, v3, v1, vcc
	v_cmp_lt_i32_e64 s[14:15], 0, v5
	v_cmp_gt_i32_e32 vcc, s22, v4
	s_and_b64 s[2:3], s[14:15], vcc
	v_mov_b32_e32 v12, 0xff800000
	s_and_saveexec_b64 s[0:1], s[2:3]
	s_cbranch_execz .LBB423_2
; %bb.1:
	global_load_ushort v6, v[2:3], off
	s_waitcnt vmcnt(0)
	v_cvt_f32_f16_e32 v12, v6
.LBB423_2:
	s_or_b64 exec, exec, s[0:1]
	v_add_u32_e32 v6, 32, v4
	v_cmp_gt_i32_e64 s[12:13], s22, v6
	s_and_b64 s[2:3], s[14:15], s[12:13]
	s_and_saveexec_b64 s[0:1], s[2:3]
	s_cbranch_execz .LBB423_4
; %bb.3:
	global_load_ushort v6, v[2:3], off offset:64
	s_waitcnt vmcnt(0)
	v_cvt_f32_f16_e32 v8, v6
.LBB423_4:
	s_or_b64 exec, exec, s[0:1]
	v_add_u32_e32 v6, 64, v4
	v_cmp_gt_i32_e64 s[10:11], s22, v6
	s_and_b64 s[2:3], s[14:15], s[10:11]
	v_mov_b32_e32 v7, 0xff800000
	v_mov_b32_e32 v10, 0xff800000
	s_and_saveexec_b64 s[0:1], s[2:3]
	s_cbranch_execz .LBB423_6
; %bb.5:
	global_load_ushort v6, v[2:3], off offset:128
	s_waitcnt vmcnt(0)
	v_cvt_f32_f16_e32 v10, v6
.LBB423_6:
	s_or_b64 exec, exec, s[0:1]
	v_add_u32_e32 v6, 0x60, v4
	v_cmp_gt_i32_e64 s[8:9], s22, v6
	s_and_b64 s[2:3], s[14:15], s[8:9]
	s_and_saveexec_b64 s[0:1], s[2:3]
	s_cbranch_execz .LBB423_8
; %bb.7:
	global_load_ushort v6, v[2:3], off offset:192
	s_waitcnt vmcnt(0)
	v_cvt_f32_f16_e32 v7, v6
.LBB423_8:
	s_or_b64 exec, exec, s[0:1]
	v_add_u32_e32 v6, 0x80, v4
	v_cmp_gt_i32_e64 s[6:7], s22, v6
	s_and_b64 s[2:3], s[14:15], s[6:7]
	v_mov_b32_e32 v6, 0xff800000
	v_mov_b32_e32 v13, 0xff800000
	s_and_saveexec_b64 s[0:1], s[2:3]
	s_cbranch_execz .LBB423_10
; %bb.9:
	global_load_ushort v9, v[2:3], off offset:256
	s_waitcnt vmcnt(0)
	v_cvt_f32_f16_e32 v13, v9
.LBB423_10:
	;; [unrolled: 24-line block ×3, first 2 shown]
	s_or_b64 exec, exec, s[0:1]
	v_add_u32_e32 v4, 0xe0, v4
	v_cmp_gt_i32_e64 s[0:1], s22, v4
	s_and_b64 s[18:19], s[14:15], s[0:1]
	s_and_saveexec_b64 s[14:15], s[18:19]
	s_cbranch_execz .LBB423_16
; %bb.15:
	global_load_ushort v2, v[2:3], off offset:448
	s_waitcnt vmcnt(0)
	v_cvt_f32_f16_e32 v9, v2
.LBB423_16:
	s_or_b64 exec, exec, s[14:15]
	v_cmp_gt_f32_e64 s[14:15], v12, v8
	v_cndmask_b32_e64 v2, v8, v12, s[14:15]
	v_cmp_gt_f32_e64 s[14:15], v2, v10
	v_cndmask_b32_e64 v2, v10, v2, s[14:15]
	;; [unrolled: 2-line block ×5, first 2 shown]
	v_mbcnt_lo_u32_b32 v3, -1, 0
	v_cmp_gt_f32_e64 s[14:15], v2, v11
	v_mbcnt_hi_u32_b32 v3, -1, v3
	v_cndmask_b32_e64 v2, v11, v2, s[14:15]
	v_and_b32_e32 v4, 0x60, v3
	v_cmp_gt_f32_e64 s[14:15], v2, v9
	v_add_u32_e32 v4, 32, v4
	v_xor_b32_e32 v14, 16, v3
	v_cndmask_b32_e64 v2, v9, v2, s[14:15]
	v_cmp_lt_i32_e64 s[14:15], v14, v4
	v_cndmask_b32_e64 v14, v3, v14, s[14:15]
	v_lshlrev_b32_e32 v15, 2, v14
	ds_bpermute_b32 v14, v15, v2
	s_mov_b32 s18, 0x3fb8aa3b
	s_mov_b32 s19, 0xc2ce8ed0
	;; [unrolled: 1-line block ×3, first 2 shown]
	v_mov_b32_e32 v21, 0x7f800000
	s_waitcnt lgkmcnt(0)
	v_cmp_lt_f32_e64 s[14:15], v2, v14
	v_cndmask_b32_e64 v2, v2, v14, s[14:15]
	v_xor_b32_e32 v14, 8, v3
	v_cmp_lt_i32_e64 s[14:15], v14, v4
	v_cndmask_b32_e64 v14, v3, v14, s[14:15]
	v_lshlrev_b32_e32 v16, 2, v14
	ds_bpermute_b32 v14, v16, v2
	s_waitcnt lgkmcnt(0)
	v_cmp_lt_f32_e64 s[14:15], v2, v14
	v_cndmask_b32_e64 v2, v2, v14, s[14:15]
	v_xor_b32_e32 v14, 4, v3
	v_cmp_lt_i32_e64 s[14:15], v14, v4
	v_cndmask_b32_e64 v14, v3, v14, s[14:15]
	v_lshlrev_b32_e32 v17, 2, v14
	ds_bpermute_b32 v14, v17, v2
	;; [unrolled: 8-line block ×4, first 2 shown]
	s_waitcnt lgkmcnt(0)
	v_cmp_lt_f32_e64 s[14:15], v2, v3
	v_cndmask_b32_e64 v2, v2, v3, s[14:15]
	v_sub_f32_e32 v3, v12, v2
	v_mul_f32_e32 v4, 0x3fb8aa3b, v3
	v_fma_f32 v12, v3, s18, -v4
	v_rndne_f32_e32 v14, v4
	v_fmac_f32_e32 v12, 0x32a5705f, v3
	v_sub_f32_e32 v4, v4, v14
	v_add_f32_e32 v4, v4, v12
	v_exp_f32_e32 v4, v4
	v_cvt_i32_f32_e32 v12, v14
	v_sub_f32_e32 v8, v8, v2
	v_cmp_ngt_f32_e64 s[14:15], s19, v3
	v_sub_f32_e32 v7, v7, v2
	v_ldexp_f32 v4, v4, v12
	v_mul_f32_e32 v12, 0x3fb8aa3b, v8
	v_fma_f32 v14, v8, s18, -v12
	v_rndne_f32_e32 v20, v12
	v_fmac_f32_e32 v14, 0x32a5705f, v8
	v_sub_f32_e32 v12, v12, v20
	v_add_f32_e32 v12, v12, v14
	v_exp_f32_e32 v12, v12
	v_cvt_i32_f32_e32 v20, v20
	v_cndmask_b32_e64 v4, 0, v4, s[14:15]
	v_cmp_nlt_f32_e64 s[14:15], s20, v3
	v_cndmask_b32_e64 v14, v21, v4, s[14:15]
	v_sub_f32_e32 v4, v10, v2
	v_mul_f32_e32 v10, 0x3fb8aa3b, v4
	v_ldexp_f32 v3, v12, v20
	v_fma_f32 v12, v4, s18, -v10
	v_rndne_f32_e32 v20, v10
	v_fmac_f32_e32 v12, 0x32a5705f, v4
	v_sub_f32_e32 v10, v10, v20
	v_add_f32_e32 v10, v10, v12
	v_exp_f32_e32 v10, v10
	v_cvt_i32_f32_e32 v20, v20
	v_cmp_ngt_f32_e64 s[14:15], s19, v8
	v_cndmask_b32_e64 v3, 0, v3, s[14:15]
	v_cmp_nlt_f32_e64 s[14:15], s20, v8
	v_ldexp_f32 v8, v10, v20
	v_mul_f32_e32 v10, 0x3fb8aa3b, v7
	v_fma_f32 v20, v7, s18, -v10
	v_rndne_f32_e32 v22, v10
	v_fmac_f32_e32 v20, 0x32a5705f, v7
	v_sub_f32_e32 v10, v10, v22
	v_add_f32_e32 v10, v10, v20
	v_exp_f32_e32 v20, v10
	v_cvt_i32_f32_e32 v22, v22
	v_cndmask_b32_e64 v12, v21, v3, s[14:15]
	v_cmp_ngt_f32_e64 s[14:15], s19, v4
	v_cndmask_b32_e64 v8, 0, v8, s[14:15]
	v_cmp_nlt_f32_e64 s[14:15], s20, v4
	v_sub_f32_e32 v13, v13, v2
	v_cndmask_b32_e64 v10, v21, v8, s[14:15]
	v_mul_f32_e32 v8, 0x3fb8aa3b, v13
	v_ldexp_f32 v4, v20, v22
	v_fma_f32 v20, v13, s18, -v8
	v_rndne_f32_e32 v22, v8
	v_fmac_f32_e32 v20, 0x32a5705f, v13
	v_sub_f32_e32 v8, v8, v22
	v_add_f32_e32 v8, v8, v20
	v_exp_f32_e32 v20, v8
	v_cvt_i32_f32_e32 v22, v22
	v_cmp_ngt_f32_e64 s[14:15], s19, v7
	v_sub_f32_e32 v6, v6, v2
	v_cndmask_b32_e64 v4, 0, v4, s[14:15]
	v_cmp_nlt_f32_e64 s[14:15], s20, v7
	v_mul_f32_e32 v7, 0x3fb8aa3b, v6
	v_cndmask_b32_e64 v8, v21, v4, s[14:15]
	v_ldexp_f32 v4, v20, v22
	v_fma_f32 v20, v6, s18, -v7
	v_rndne_f32_e32 v22, v7
	v_fmac_f32_e32 v20, 0x32a5705f, v6
	v_sub_f32_e32 v7, v7, v22
	v_add_f32_e32 v7, v7, v20
	v_exp_f32_e32 v20, v7
	v_cvt_i32_f32_e32 v22, v22
	v_cmp_ngt_f32_e64 s[14:15], s19, v13
	v_sub_f32_e32 v11, v11, v2
	v_cndmask_b32_e64 v4, 0, v4, s[14:15]
	v_cmp_nlt_f32_e64 s[14:15], s20, v13
	v_mul_f32_e32 v13, 0x3fb8aa3b, v11
	v_cndmask_b32_e64 v7, v21, v4, s[14:15]
	;; [unrolled: 14-line block ×3, first 2 shown]
	v_ldexp_f32 v4, v13, v20
	v_fma_f32 v13, v2, s18, -v9
	v_rndne_f32_e32 v20, v9
	v_fmac_f32_e32 v13, 0x32a5705f, v2
	v_sub_f32_e32 v9, v9, v20
	v_add_f32_e32 v9, v9, v13
	v_exp_f32_e32 v9, v9
	v_cvt_i32_f32_e32 v13, v20
	v_add_f32_e32 v3, v14, v12
	v_add_f32_e32 v3, v3, v10
	v_cmp_ngt_f32_e64 s[14:15], s19, v11
	v_add_f32_e32 v3, v3, v8
	v_cndmask_b32_e64 v4, 0, v4, s[14:15]
	v_cmp_nlt_f32_e64 s[14:15], s20, v11
	v_add_f32_e32 v3, v3, v7
	v_cndmask_b32_e64 v4, v21, v4, s[14:15]
	v_ldexp_f32 v9, v9, v13
	v_cmp_ngt_f32_e64 s[14:15], s19, v2
	v_add_f32_e32 v3, v3, v6
	v_cndmask_b32_e64 v9, 0, v9, s[14:15]
	v_cmp_nlt_f32_e64 s[14:15], s20, v2
	v_add_f32_e32 v3, v3, v4
	v_cndmask_b32_e64 v2, v21, v9, s[14:15]
	v_add_f32_e32 v3, v3, v2
	ds_bpermute_b32 v9, v15, v3
	v_cmp_lt_i32_e64 s[14:15], 0, v5
	s_waitcnt lgkmcnt(0)
	v_add_f32_e32 v3, v3, v9
	ds_bpermute_b32 v9, v16, v3
	s_waitcnt lgkmcnt(0)
	v_add_f32_e32 v3, v3, v9
	ds_bpermute_b32 v9, v17, v3
	;; [unrolled: 3-line block ×4, first 2 shown]
	s_and_saveexec_b64 s[18:19], s[14:15]
	s_cbranch_execz .LBB423_42
; %bb.17:
	s_and_b64 exec, exec, vcc
	s_cbranch_execz .LBB423_42
; %bb.18:
	s_waitcnt lgkmcnt(0)
	v_add_f32_e32 v3, v3, v9
	v_cmp_neq_f32_e64 s[14:15], 0, v3
	v_mov_b32_e32 v5, 0x7e00
	s_and_saveexec_b64 s[18:19], s[14:15]
	s_cbranch_execz .LBB423_20
; %bb.19:
	v_div_scale_f32 v5, s[20:21], v3, v3, v14
	v_rcp_f32_e32 v9, v5
	v_div_scale_f32 v11, vcc, v14, v3, v14
	v_fma_f32 v13, -v5, v9, 1.0
	v_fmac_f32_e32 v9, v13, v9
	v_mul_f32_e32 v13, v11, v9
	v_fma_f32 v15, -v5, v13, v11
	v_fmac_f32_e32 v13, v15, v9
	v_fma_f32 v5, -v5, v13, v11
	v_div_fmas_f32 v5, v5, v9, v13
	v_div_fixup_f32 v5, v5, v3, v14
	v_cvt_f16_f32_e32 v5, v5
.LBB423_20:
	s_or_b64 exec, exec, s[18:19]
	v_mov_b32_e32 v9, s17
	v_add_co_u32_e32 v0, vcc, s16, v0
	v_addc_co_u32_e32 v1, vcc, v9, v1, vcc
	global_store_short v[0:1], v5, off
	s_and_b64 exec, exec, s[12:13]
	s_cbranch_execz .LBB423_42
; %bb.21:
	v_mov_b32_e32 v5, 0x7e00
	s_and_saveexec_b64 s[12:13], s[14:15]
	s_cbranch_execz .LBB423_23
; %bb.22:
	v_div_scale_f32 v5, s[16:17], v3, v3, v12
	v_rcp_f32_e32 v9, v5
	v_div_scale_f32 v11, vcc, v12, v3, v12
	v_fma_f32 v13, -v5, v9, 1.0
	v_fmac_f32_e32 v9, v13, v9
	v_mul_f32_e32 v13, v11, v9
	v_fma_f32 v14, -v5, v13, v11
	v_fmac_f32_e32 v13, v14, v9
	v_fma_f32 v5, -v5, v13, v11
	v_div_fmas_f32 v5, v5, v9, v13
	v_div_fixup_f32 v5, v5, v3, v12
	v_cvt_f16_f32_e32 v5, v5
.LBB423_23:
	s_or_b64 exec, exec, s[12:13]
	global_store_short v[0:1], v5, off offset:64
	s_and_b64 exec, exec, s[10:11]
	s_cbranch_execz .LBB423_42
; %bb.24:
	v_mov_b32_e32 v5, 0x7e00
	s_and_saveexec_b64 s[10:11], s[14:15]
	s_cbranch_execz .LBB423_26
; %bb.25:
	v_div_scale_f32 v5, s[12:13], v3, v3, v10
	v_rcp_f32_e32 v9, v5
	v_div_scale_f32 v11, vcc, v10, v3, v10
	v_fma_f32 v12, -v5, v9, 1.0
	v_fmac_f32_e32 v9, v12, v9
	v_mul_f32_e32 v12, v11, v9
	v_fma_f32 v13, -v5, v12, v11
	v_fmac_f32_e32 v12, v13, v9
	v_fma_f32 v5, -v5, v12, v11
	v_div_fmas_f32 v5, v5, v9, v12
	v_div_fixup_f32 v5, v5, v3, v10
	v_cvt_f16_f32_e32 v5, v5
.LBB423_26:
	s_or_b64 exec, exec, s[10:11]
	global_store_short v[0:1], v5, off offset:128
	;; [unrolled: 22-line block ×7, first 2 shown]
.LBB423_42:
	s_endpgm
	.section	.rodata,"a",@progbits
	.p2align	6, 0x0
	.amdhsa_kernel _ZN12_GLOBAL__N_120softmax_warp_forwardIN3c104HalfES2_fLi8ELb0ELb0ELi32EEEvPT0_PKT_iiiPKbib
		.amdhsa_group_segment_fixed_size 0
		.amdhsa_private_segment_fixed_size 0
		.amdhsa_kernarg_size 304
		.amdhsa_user_sgpr_count 6
		.amdhsa_user_sgpr_private_segment_buffer 1
		.amdhsa_user_sgpr_dispatch_ptr 0
		.amdhsa_user_sgpr_queue_ptr 0
		.amdhsa_user_sgpr_kernarg_segment_ptr 1
		.amdhsa_user_sgpr_dispatch_id 0
		.amdhsa_user_sgpr_flat_scratch_init 0
		.amdhsa_user_sgpr_kernarg_preload_length 0
		.amdhsa_user_sgpr_kernarg_preload_offset 0
		.amdhsa_user_sgpr_private_segment_size 0
		.amdhsa_uses_dynamic_stack 0
		.amdhsa_system_sgpr_private_segment_wavefront_offset 0
		.amdhsa_system_sgpr_workgroup_id_x 1
		.amdhsa_system_sgpr_workgroup_id_y 0
		.amdhsa_system_sgpr_workgroup_id_z 0
		.amdhsa_system_sgpr_workgroup_info 0
		.amdhsa_system_vgpr_workitem_id 1
		.amdhsa_next_free_vgpr 23
		.amdhsa_next_free_sgpr 24
		.amdhsa_accum_offset 24
		.amdhsa_reserve_vcc 1
		.amdhsa_reserve_flat_scratch 0
		.amdhsa_float_round_mode_32 0
		.amdhsa_float_round_mode_16_64 0
		.amdhsa_float_denorm_mode_32 3
		.amdhsa_float_denorm_mode_16_64 3
		.amdhsa_dx10_clamp 1
		.amdhsa_ieee_mode 1
		.amdhsa_fp16_overflow 0
		.amdhsa_tg_split 0
		.amdhsa_exception_fp_ieee_invalid_op 0
		.amdhsa_exception_fp_denorm_src 0
		.amdhsa_exception_fp_ieee_div_zero 0
		.amdhsa_exception_fp_ieee_overflow 0
		.amdhsa_exception_fp_ieee_underflow 0
		.amdhsa_exception_fp_ieee_inexact 0
		.amdhsa_exception_int_div_zero 0
	.end_amdhsa_kernel
	.section	.text._ZN12_GLOBAL__N_120softmax_warp_forwardIN3c104HalfES2_fLi8ELb0ELb0ELi32EEEvPT0_PKT_iiiPKbib,"axG",@progbits,_ZN12_GLOBAL__N_120softmax_warp_forwardIN3c104HalfES2_fLi8ELb0ELb0ELi32EEEvPT0_PKT_iiiPKbib,comdat
.Lfunc_end423:
	.size	_ZN12_GLOBAL__N_120softmax_warp_forwardIN3c104HalfES2_fLi8ELb0ELb0ELi32EEEvPT0_PKT_iiiPKbib, .Lfunc_end423-_ZN12_GLOBAL__N_120softmax_warp_forwardIN3c104HalfES2_fLi8ELb0ELb0ELi32EEEvPT0_PKT_iiiPKbib
                                        ; -- End function
	.section	.AMDGPU.csdata,"",@progbits
; Kernel info:
; codeLenInByte = 2700
; NumSgprs: 28
; NumVgprs: 23
; NumAgprs: 0
; TotalNumVgprs: 23
; ScratchSize: 0
; MemoryBound: 0
; FloatMode: 240
; IeeeMode: 1
; LDSByteSize: 0 bytes/workgroup (compile time only)
; SGPRBlocks: 3
; VGPRBlocks: 2
; NumSGPRsForWavesPerEU: 28
; NumVGPRsForWavesPerEU: 23
; AccumOffset: 24
; Occupancy: 8
; WaveLimiterHint : 0
; COMPUTE_PGM_RSRC2:SCRATCH_EN: 0
; COMPUTE_PGM_RSRC2:USER_SGPR: 6
; COMPUTE_PGM_RSRC2:TRAP_HANDLER: 0
; COMPUTE_PGM_RSRC2:TGID_X_EN: 1
; COMPUTE_PGM_RSRC2:TGID_Y_EN: 0
; COMPUTE_PGM_RSRC2:TGID_Z_EN: 0
; COMPUTE_PGM_RSRC2:TIDIG_COMP_CNT: 1
; COMPUTE_PGM_RSRC3_GFX90A:ACCUM_OFFSET: 5
; COMPUTE_PGM_RSRC3_GFX90A:TG_SPLIT: 0
	.section	.text._ZN12_GLOBAL__N_120softmax_warp_forwardIN3c104HalfES2_fLi9ELb0ELb0ELi64EEEvPT0_PKT_iiiPKbib,"axG",@progbits,_ZN12_GLOBAL__N_120softmax_warp_forwardIN3c104HalfES2_fLi9ELb0ELb0ELi64EEEvPT0_PKT_iiiPKbib,comdat
	.globl	_ZN12_GLOBAL__N_120softmax_warp_forwardIN3c104HalfES2_fLi9ELb0ELb0ELi64EEEvPT0_PKT_iiiPKbib ; -- Begin function _ZN12_GLOBAL__N_120softmax_warp_forwardIN3c104HalfES2_fLi9ELb0ELb0ELi64EEEvPT0_PKT_iiiPKbib
	.p2align	8
	.type	_ZN12_GLOBAL__N_120softmax_warp_forwardIN3c104HalfES2_fLi9ELb0ELb0ELi64EEEvPT0_PKT_iiiPKbib,@function
_ZN12_GLOBAL__N_120softmax_warp_forwardIN3c104HalfES2_fLi9ELb0ELb0ELi64EEEvPT0_PKT_iiiPKbib: ; @_ZN12_GLOBAL__N_120softmax_warp_forwardIN3c104HalfES2_fLi9ELb0ELb0ELi64EEEvPT0_PKT_iiiPKbib
; %bb.0:
	s_load_dword s0, s[4:5], 0x3c
	s_load_dwordx8 s[16:23], s[4:5], 0x0
	v_bfe_u32 v1, v0, 10, 10
	v_and_b32_e32 v4, 0x3ff, v0
	v_mov_b32_e32 v8, 0xff800000
	s_waitcnt lgkmcnt(0)
	s_lshr_b32 s0, s0, 16
	s_mul_i32 s6, s6, s0
	v_add_u32_e32 v1, s6, v1
	v_sub_u32_e32 v5, s20, v1
	v_mad_u64_u32 v[0:1], s[0:1], v1, s21, v[4:5]
	v_ashrrev_i32_e32 v1, 31, v0
	v_lshlrev_b64 v[0:1], 1, v[0:1]
	v_mov_b32_e32 v3, s19
	v_add_co_u32_e32 v2, vcc, s18, v0
	v_addc_co_u32_e32 v3, vcc, v3, v1, vcc
	v_cmp_lt_i32_e64 s[14:15], 0, v5
	v_cmp_gt_i32_e32 vcc, s22, v4
	s_and_b64 s[2:3], s[14:15], vcc
	v_mov_b32_e32 v13, 0xff800000
	s_and_saveexec_b64 s[0:1], s[2:3]
	s_cbranch_execz .LBB424_2
; %bb.1:
	global_load_ushort v6, v[2:3], off
	s_waitcnt vmcnt(0)
	v_cvt_f32_f16_e32 v13, v6
.LBB424_2:
	s_or_b64 exec, exec, s[0:1]
	v_add_u32_e32 v6, 64, v4
	v_cmp_gt_i32_e64 s[12:13], s22, v6
	s_and_b64 s[2:3], s[14:15], s[12:13]
	s_and_saveexec_b64 s[0:1], s[2:3]
	s_cbranch_execz .LBB424_4
; %bb.3:
	global_load_ushort v6, v[2:3], off offset:128
	s_waitcnt vmcnt(0)
	v_cvt_f32_f16_e32 v8, v6
.LBB424_4:
	s_or_b64 exec, exec, s[0:1]
	v_add_u32_e32 v6, 0x80, v4
	v_cmp_gt_i32_e64 s[10:11], s22, v6
	s_and_b64 s[2:3], s[14:15], s[10:11]
	v_mov_b32_e32 v7, 0xff800000
	v_mov_b32_e32 v10, 0xff800000
	s_and_saveexec_b64 s[0:1], s[2:3]
	s_cbranch_execz .LBB424_6
; %bb.5:
	global_load_ushort v6, v[2:3], off offset:256
	s_waitcnt vmcnt(0)
	v_cvt_f32_f16_e32 v10, v6
.LBB424_6:
	s_or_b64 exec, exec, s[0:1]
	v_add_u32_e32 v6, 0xc0, v4
	v_cmp_gt_i32_e64 s[8:9], s22, v6
	s_and_b64 s[2:3], s[14:15], s[8:9]
	s_and_saveexec_b64 s[0:1], s[2:3]
	s_cbranch_execz .LBB424_8
; %bb.7:
	global_load_ushort v6, v[2:3], off offset:384
	s_waitcnt vmcnt(0)
	v_cvt_f32_f16_e32 v7, v6
.LBB424_8:
	s_or_b64 exec, exec, s[0:1]
	v_add_u32_e32 v6, 0x100, v4
	v_cmp_gt_i32_e64 s[6:7], s22, v6
	s_and_b64 s[2:3], s[14:15], s[6:7]
	v_mov_b32_e32 v6, 0xff800000
	v_mov_b32_e32 v12, 0xff800000
	s_and_saveexec_b64 s[0:1], s[2:3]
	s_cbranch_execz .LBB424_10
; %bb.9:
	global_load_ushort v9, v[2:3], off offset:512
	s_waitcnt vmcnt(0)
	v_cvt_f32_f16_e32 v12, v9
.LBB424_10:
	;; [unrolled: 24-line block ×3, first 2 shown]
	s_or_b64 exec, exec, s[0:1]
	v_add_u32_e32 v4, 0x1c0, v4
	v_cmp_gt_i32_e64 s[0:1], s22, v4
	s_and_b64 s[18:19], s[14:15], s[0:1]
	s_and_saveexec_b64 s[14:15], s[18:19]
	s_cbranch_execz .LBB424_16
; %bb.15:
	global_load_ushort v2, v[2:3], off offset:896
	s_waitcnt vmcnt(0)
	v_cvt_f32_f16_e32 v9, v2
.LBB424_16:
	s_or_b64 exec, exec, s[14:15]
	v_cmp_gt_f32_e64 s[14:15], v13, v8
	v_cndmask_b32_e64 v2, v8, v13, s[14:15]
	v_cmp_gt_f32_e64 s[14:15], v2, v10
	v_cndmask_b32_e64 v2, v10, v2, s[14:15]
	;; [unrolled: 2-line block ×5, first 2 shown]
	v_mbcnt_lo_u32_b32 v3, -1, 0
	v_cmp_gt_f32_e64 s[14:15], v2, v11
	v_mbcnt_hi_u32_b32 v3, -1, v3
	v_cndmask_b32_e64 v2, v11, v2, s[14:15]
	v_and_b32_e32 v4, 64, v3
	v_cmp_gt_f32_e64 s[14:15], v2, v9
	v_add_u32_e32 v4, 64, v4
	v_xor_b32_e32 v14, 32, v3
	v_cndmask_b32_e64 v2, v9, v2, s[14:15]
	v_cmp_lt_i32_e64 s[14:15], v14, v4
	v_cndmask_b32_e64 v14, v3, v14, s[14:15]
	v_lshlrev_b32_e32 v15, 2, v14
	ds_bpermute_b32 v14, v15, v2
	s_mov_b32 s18, 0x3fb8aa3b
	s_mov_b32 s19, 0xc2ce8ed0
	;; [unrolled: 1-line block ×3, first 2 shown]
	v_mov_b32_e32 v22, 0x7f800000
	s_waitcnt lgkmcnt(0)
	v_cmp_lt_f32_e64 s[14:15], v2, v14
	v_cndmask_b32_e64 v2, v2, v14, s[14:15]
	v_xor_b32_e32 v14, 16, v3
	v_cmp_lt_i32_e64 s[14:15], v14, v4
	v_cndmask_b32_e64 v14, v3, v14, s[14:15]
	v_lshlrev_b32_e32 v16, 2, v14
	ds_bpermute_b32 v14, v16, v2
	s_waitcnt lgkmcnt(0)
	v_cmp_lt_f32_e64 s[14:15], v2, v14
	v_cndmask_b32_e64 v2, v2, v14, s[14:15]
	v_xor_b32_e32 v14, 8, v3
	v_cmp_lt_i32_e64 s[14:15], v14, v4
	v_cndmask_b32_e64 v14, v3, v14, s[14:15]
	v_lshlrev_b32_e32 v17, 2, v14
	ds_bpermute_b32 v14, v17, v2
	;; [unrolled: 8-line block ×5, first 2 shown]
	s_waitcnt lgkmcnt(0)
	v_cmp_lt_f32_e64 s[14:15], v2, v3
	v_cndmask_b32_e64 v2, v2, v3, s[14:15]
	v_sub_f32_e32 v3, v13, v2
	v_mul_f32_e32 v4, 0x3fb8aa3b, v3
	v_fma_f32 v13, v3, s18, -v4
	v_rndne_f32_e32 v14, v4
	v_fmac_f32_e32 v13, 0x32a5705f, v3
	v_sub_f32_e32 v4, v4, v14
	v_add_f32_e32 v4, v4, v13
	v_exp_f32_e32 v4, v4
	v_cvt_i32_f32_e32 v13, v14
	v_sub_f32_e32 v8, v8, v2
	v_cmp_ngt_f32_e64 s[14:15], s19, v3
	v_sub_f32_e32 v7, v7, v2
	v_ldexp_f32 v4, v4, v13
	v_mul_f32_e32 v13, 0x3fb8aa3b, v8
	v_fma_f32 v14, v8, s18, -v13
	v_rndne_f32_e32 v21, v13
	v_fmac_f32_e32 v14, 0x32a5705f, v8
	v_sub_f32_e32 v13, v13, v21
	v_add_f32_e32 v13, v13, v14
	v_exp_f32_e32 v13, v13
	v_cvt_i32_f32_e32 v21, v21
	v_cndmask_b32_e64 v4, 0, v4, s[14:15]
	v_cmp_nlt_f32_e64 s[14:15], s20, v3
	v_cndmask_b32_e64 v14, v22, v4, s[14:15]
	v_sub_f32_e32 v4, v10, v2
	v_mul_f32_e32 v10, 0x3fb8aa3b, v4
	v_ldexp_f32 v3, v13, v21
	v_fma_f32 v13, v4, s18, -v10
	v_rndne_f32_e32 v21, v10
	v_fmac_f32_e32 v13, 0x32a5705f, v4
	v_sub_f32_e32 v10, v10, v21
	v_add_f32_e32 v10, v10, v13
	v_exp_f32_e32 v10, v10
	v_cvt_i32_f32_e32 v21, v21
	v_cmp_ngt_f32_e64 s[14:15], s19, v8
	v_cndmask_b32_e64 v3, 0, v3, s[14:15]
	v_cmp_nlt_f32_e64 s[14:15], s20, v8
	v_ldexp_f32 v8, v10, v21
	v_mul_f32_e32 v10, 0x3fb8aa3b, v7
	v_fma_f32 v21, v7, s18, -v10
	v_rndne_f32_e32 v23, v10
	v_fmac_f32_e32 v21, 0x32a5705f, v7
	v_sub_f32_e32 v10, v10, v23
	v_add_f32_e32 v10, v10, v21
	v_exp_f32_e32 v21, v10
	v_cvt_i32_f32_e32 v23, v23
	v_cndmask_b32_e64 v13, v22, v3, s[14:15]
	v_cmp_ngt_f32_e64 s[14:15], s19, v4
	v_cndmask_b32_e64 v8, 0, v8, s[14:15]
	v_cmp_nlt_f32_e64 s[14:15], s20, v4
	v_sub_f32_e32 v12, v12, v2
	v_cndmask_b32_e64 v10, v22, v8, s[14:15]
	v_mul_f32_e32 v8, 0x3fb8aa3b, v12
	v_ldexp_f32 v4, v21, v23
	v_fma_f32 v21, v12, s18, -v8
	v_rndne_f32_e32 v23, v8
	v_fmac_f32_e32 v21, 0x32a5705f, v12
	v_sub_f32_e32 v8, v8, v23
	v_add_f32_e32 v8, v8, v21
	v_exp_f32_e32 v21, v8
	v_cvt_i32_f32_e32 v23, v23
	v_cmp_ngt_f32_e64 s[14:15], s19, v7
	v_sub_f32_e32 v6, v6, v2
	v_cndmask_b32_e64 v4, 0, v4, s[14:15]
	v_cmp_nlt_f32_e64 s[14:15], s20, v7
	v_mul_f32_e32 v7, 0x3fb8aa3b, v6
	v_cndmask_b32_e64 v8, v22, v4, s[14:15]
	v_ldexp_f32 v4, v21, v23
	v_fma_f32 v21, v6, s18, -v7
	v_rndne_f32_e32 v23, v7
	v_fmac_f32_e32 v21, 0x32a5705f, v6
	v_sub_f32_e32 v7, v7, v23
	v_add_f32_e32 v7, v7, v21
	v_exp_f32_e32 v21, v7
	v_cvt_i32_f32_e32 v23, v23
	v_cmp_ngt_f32_e64 s[14:15], s19, v12
	v_sub_f32_e32 v11, v11, v2
	v_cndmask_b32_e64 v4, 0, v4, s[14:15]
	v_cmp_nlt_f32_e64 s[14:15], s20, v12
	v_mul_f32_e32 v12, 0x3fb8aa3b, v11
	v_cndmask_b32_e64 v7, v22, v4, s[14:15]
	;; [unrolled: 14-line block ×3, first 2 shown]
	v_ldexp_f32 v4, v12, v21
	v_fma_f32 v12, v2, s18, -v9
	v_rndne_f32_e32 v21, v9
	v_fmac_f32_e32 v12, 0x32a5705f, v2
	v_sub_f32_e32 v9, v9, v21
	v_add_f32_e32 v9, v9, v12
	v_exp_f32_e32 v9, v9
	v_cvt_i32_f32_e32 v12, v21
	v_add_f32_e32 v3, v14, v13
	v_add_f32_e32 v3, v3, v10
	v_cmp_ngt_f32_e64 s[14:15], s19, v11
	v_add_f32_e32 v3, v3, v8
	v_cndmask_b32_e64 v4, 0, v4, s[14:15]
	v_cmp_nlt_f32_e64 s[14:15], s20, v11
	v_add_f32_e32 v3, v3, v7
	v_cndmask_b32_e64 v4, v22, v4, s[14:15]
	v_ldexp_f32 v9, v9, v12
	v_cmp_ngt_f32_e64 s[14:15], s19, v2
	v_add_f32_e32 v3, v3, v6
	v_cndmask_b32_e64 v9, 0, v9, s[14:15]
	v_cmp_nlt_f32_e64 s[14:15], s20, v2
	v_add_f32_e32 v3, v3, v4
	v_cndmask_b32_e64 v2, v22, v9, s[14:15]
	v_add_f32_e32 v3, v3, v2
	ds_bpermute_b32 v9, v15, v3
	v_cmp_lt_i32_e64 s[14:15], 0, v5
	s_waitcnt lgkmcnt(0)
	v_add_f32_e32 v3, v3, v9
	ds_bpermute_b32 v9, v16, v3
	s_waitcnt lgkmcnt(0)
	v_add_f32_e32 v3, v3, v9
	ds_bpermute_b32 v9, v17, v3
	;; [unrolled: 3-line block ×5, first 2 shown]
	s_and_saveexec_b64 s[18:19], s[14:15]
	s_cbranch_execz .LBB424_42
; %bb.17:
	s_and_b64 exec, exec, vcc
	s_cbranch_execz .LBB424_42
; %bb.18:
	s_waitcnt lgkmcnt(0)
	v_add_f32_e32 v3, v3, v9
	v_cmp_neq_f32_e64 s[14:15], 0, v3
	v_mov_b32_e32 v5, 0x7e00
	s_and_saveexec_b64 s[18:19], s[14:15]
	s_cbranch_execz .LBB424_20
; %bb.19:
	v_div_scale_f32 v5, s[20:21], v3, v3, v14
	v_rcp_f32_e32 v9, v5
	v_div_scale_f32 v11, vcc, v14, v3, v14
	v_fma_f32 v12, -v5, v9, 1.0
	v_fmac_f32_e32 v9, v12, v9
	v_mul_f32_e32 v12, v11, v9
	v_fma_f32 v15, -v5, v12, v11
	v_fmac_f32_e32 v12, v15, v9
	v_fma_f32 v5, -v5, v12, v11
	v_div_fmas_f32 v5, v5, v9, v12
	v_div_fixup_f32 v5, v5, v3, v14
	v_cvt_f16_f32_e32 v5, v5
.LBB424_20:
	s_or_b64 exec, exec, s[18:19]
	v_mov_b32_e32 v9, s17
	v_add_co_u32_e32 v0, vcc, s16, v0
	v_addc_co_u32_e32 v1, vcc, v9, v1, vcc
	global_store_short v[0:1], v5, off
	s_and_b64 exec, exec, s[12:13]
	s_cbranch_execz .LBB424_42
; %bb.21:
	v_mov_b32_e32 v5, 0x7e00
	s_and_saveexec_b64 s[12:13], s[14:15]
	s_cbranch_execz .LBB424_23
; %bb.22:
	v_div_scale_f32 v5, s[16:17], v3, v3, v13
	v_rcp_f32_e32 v9, v5
	v_div_scale_f32 v11, vcc, v13, v3, v13
	v_fma_f32 v12, -v5, v9, 1.0
	v_fmac_f32_e32 v9, v12, v9
	v_mul_f32_e32 v12, v11, v9
	v_fma_f32 v14, -v5, v12, v11
	v_fmac_f32_e32 v12, v14, v9
	v_fma_f32 v5, -v5, v12, v11
	v_div_fmas_f32 v5, v5, v9, v12
	v_div_fixup_f32 v5, v5, v3, v13
	v_cvt_f16_f32_e32 v5, v5
.LBB424_23:
	s_or_b64 exec, exec, s[12:13]
	global_store_short v[0:1], v5, off offset:128
	s_and_b64 exec, exec, s[10:11]
	s_cbranch_execz .LBB424_42
; %bb.24:
	v_mov_b32_e32 v5, 0x7e00
	s_and_saveexec_b64 s[10:11], s[14:15]
	s_cbranch_execz .LBB424_26
; %bb.25:
	v_div_scale_f32 v5, s[12:13], v3, v3, v10
	v_rcp_f32_e32 v9, v5
	v_div_scale_f32 v11, vcc, v10, v3, v10
	v_fma_f32 v12, -v5, v9, 1.0
	v_fmac_f32_e32 v9, v12, v9
	v_mul_f32_e32 v12, v11, v9
	v_fma_f32 v13, -v5, v12, v11
	v_fmac_f32_e32 v12, v13, v9
	v_fma_f32 v5, -v5, v12, v11
	v_div_fmas_f32 v5, v5, v9, v12
	v_div_fixup_f32 v5, v5, v3, v10
	v_cvt_f16_f32_e32 v5, v5
.LBB424_26:
	s_or_b64 exec, exec, s[10:11]
	global_store_short v[0:1], v5, off offset:256
	;; [unrolled: 22-line block ×7, first 2 shown]
.LBB424_42:
	s_endpgm
	.section	.rodata,"a",@progbits
	.p2align	6, 0x0
	.amdhsa_kernel _ZN12_GLOBAL__N_120softmax_warp_forwardIN3c104HalfES2_fLi9ELb0ELb0ELi64EEEvPT0_PKT_iiiPKbib
		.amdhsa_group_segment_fixed_size 0
		.amdhsa_private_segment_fixed_size 0
		.amdhsa_kernarg_size 304
		.amdhsa_user_sgpr_count 6
		.amdhsa_user_sgpr_private_segment_buffer 1
		.amdhsa_user_sgpr_dispatch_ptr 0
		.amdhsa_user_sgpr_queue_ptr 0
		.amdhsa_user_sgpr_kernarg_segment_ptr 1
		.amdhsa_user_sgpr_dispatch_id 0
		.amdhsa_user_sgpr_flat_scratch_init 0
		.amdhsa_user_sgpr_kernarg_preload_length 0
		.amdhsa_user_sgpr_kernarg_preload_offset 0
		.amdhsa_user_sgpr_private_segment_size 0
		.amdhsa_uses_dynamic_stack 0
		.amdhsa_system_sgpr_private_segment_wavefront_offset 0
		.amdhsa_system_sgpr_workgroup_id_x 1
		.amdhsa_system_sgpr_workgroup_id_y 0
		.amdhsa_system_sgpr_workgroup_id_z 0
		.amdhsa_system_sgpr_workgroup_info 0
		.amdhsa_system_vgpr_workitem_id 1
		.amdhsa_next_free_vgpr 24
		.amdhsa_next_free_sgpr 24
		.amdhsa_accum_offset 24
		.amdhsa_reserve_vcc 1
		.amdhsa_reserve_flat_scratch 0
		.amdhsa_float_round_mode_32 0
		.amdhsa_float_round_mode_16_64 0
		.amdhsa_float_denorm_mode_32 3
		.amdhsa_float_denorm_mode_16_64 3
		.amdhsa_dx10_clamp 1
		.amdhsa_ieee_mode 1
		.amdhsa_fp16_overflow 0
		.amdhsa_tg_split 0
		.amdhsa_exception_fp_ieee_invalid_op 0
		.amdhsa_exception_fp_denorm_src 0
		.amdhsa_exception_fp_ieee_div_zero 0
		.amdhsa_exception_fp_ieee_overflow 0
		.amdhsa_exception_fp_ieee_underflow 0
		.amdhsa_exception_fp_ieee_inexact 0
		.amdhsa_exception_int_div_zero 0
	.end_amdhsa_kernel
	.section	.text._ZN12_GLOBAL__N_120softmax_warp_forwardIN3c104HalfES2_fLi9ELb0ELb0ELi64EEEvPT0_PKT_iiiPKbib,"axG",@progbits,_ZN12_GLOBAL__N_120softmax_warp_forwardIN3c104HalfES2_fLi9ELb0ELb0ELi64EEEvPT0_PKT_iiiPKbib,comdat
.Lfunc_end424:
	.size	_ZN12_GLOBAL__N_120softmax_warp_forwardIN3c104HalfES2_fLi9ELb0ELb0ELi64EEEvPT0_PKT_iiiPKbib, .Lfunc_end424-_ZN12_GLOBAL__N_120softmax_warp_forwardIN3c104HalfES2_fLi9ELb0ELb0ELi64EEEvPT0_PKT_iiiPKbib
                                        ; -- End function
	.section	.AMDGPU.csdata,"",@progbits
; Kernel info:
; codeLenInByte = 2768
; NumSgprs: 28
; NumVgprs: 24
; NumAgprs: 0
; TotalNumVgprs: 24
; ScratchSize: 0
; MemoryBound: 0
; FloatMode: 240
; IeeeMode: 1
; LDSByteSize: 0 bytes/workgroup (compile time only)
; SGPRBlocks: 3
; VGPRBlocks: 2
; NumSGPRsForWavesPerEU: 28
; NumVGPRsForWavesPerEU: 24
; AccumOffset: 24
; Occupancy: 8
; WaveLimiterHint : 0
; COMPUTE_PGM_RSRC2:SCRATCH_EN: 0
; COMPUTE_PGM_RSRC2:USER_SGPR: 6
; COMPUTE_PGM_RSRC2:TRAP_HANDLER: 0
; COMPUTE_PGM_RSRC2:TGID_X_EN: 1
; COMPUTE_PGM_RSRC2:TGID_Y_EN: 0
; COMPUTE_PGM_RSRC2:TGID_Z_EN: 0
; COMPUTE_PGM_RSRC2:TIDIG_COMP_CNT: 1
; COMPUTE_PGM_RSRC3_GFX90A:ACCUM_OFFSET: 5
; COMPUTE_PGM_RSRC3_GFX90A:TG_SPLIT: 0
	.section	.text._ZN12_GLOBAL__N_120softmax_warp_forwardIN3c104HalfES2_fLi9ELb0ELb0ELi32EEEvPT0_PKT_iiiPKbib,"axG",@progbits,_ZN12_GLOBAL__N_120softmax_warp_forwardIN3c104HalfES2_fLi9ELb0ELb0ELi32EEEvPT0_PKT_iiiPKbib,comdat
	.globl	_ZN12_GLOBAL__N_120softmax_warp_forwardIN3c104HalfES2_fLi9ELb0ELb0ELi32EEEvPT0_PKT_iiiPKbib ; -- Begin function _ZN12_GLOBAL__N_120softmax_warp_forwardIN3c104HalfES2_fLi9ELb0ELb0ELi32EEEvPT0_PKT_iiiPKbib
	.p2align	8
	.type	_ZN12_GLOBAL__N_120softmax_warp_forwardIN3c104HalfES2_fLi9ELb0ELb0ELi32EEEvPT0_PKT_iiiPKbib,@function
_ZN12_GLOBAL__N_120softmax_warp_forwardIN3c104HalfES2_fLi9ELb0ELb0ELi32EEEvPT0_PKT_iiiPKbib: ; @_ZN12_GLOBAL__N_120softmax_warp_forwardIN3c104HalfES2_fLi9ELb0ELb0ELi32EEEvPT0_PKT_iiiPKbib
; %bb.0:
	s_load_dword s0, s[4:5], 0x3c
	s_load_dwordx8 s[36:43], s[4:5], 0x0
	v_bfe_u32 v1, v0, 10, 10
	v_and_b32_e32 v4, 0x3ff, v0
	v_mov_b32_e32 v12, 0xff800000
	s_waitcnt lgkmcnt(0)
	s_lshr_b32 s0, s0, 16
	s_mul_i32 s6, s6, s0
	v_add_u32_e32 v1, s6, v1
	v_sub_u32_e32 v5, s40, v1
	v_mad_u64_u32 v[0:1], s[0:1], v1, s41, v[4:5]
	v_ashrrev_i32_e32 v1, 31, v0
	v_lshlrev_b64 v[0:1], 1, v[0:1]
	v_mov_b32_e32 v3, s39
	v_add_co_u32_e32 v2, vcc, s38, v0
	v_addc_co_u32_e32 v3, vcc, v3, v1, vcc
	v_cmp_lt_i32_e64 s[30:31], 0, v5
	v_cmp_gt_i32_e32 vcc, s42, v4
	s_and_b64 s[2:3], s[30:31], vcc
	v_mov_b32_e32 v17, 0xff800000
	s_and_saveexec_b64 s[0:1], s[2:3]
	s_cbranch_execz .LBB425_2
; %bb.1:
	global_load_ushort v6, v[2:3], off
	s_waitcnt vmcnt(0)
	v_cvt_f32_f16_e32 v17, v6
.LBB425_2:
	s_or_b64 exec, exec, s[0:1]
	v_add_u32_e32 v6, 32, v4
	v_cmp_gt_i32_e64 s[28:29], s42, v6
	s_and_b64 s[2:3], s[30:31], s[28:29]
	s_and_saveexec_b64 s[0:1], s[2:3]
	s_cbranch_execz .LBB425_4
; %bb.3:
	global_load_ushort v6, v[2:3], off offset:64
	s_waitcnt vmcnt(0)
	v_cvt_f32_f16_e32 v12, v6
.LBB425_4:
	s_or_b64 exec, exec, s[0:1]
	v_add_u32_e32 v6, 64, v4
	v_cmp_gt_i32_e64 s[26:27], s42, v6
	s_and_b64 s[2:3], s[30:31], s[26:27]
	v_mov_b32_e32 v11, 0xff800000
	v_mov_b32_e32 v15, 0xff800000
	s_and_saveexec_b64 s[0:1], s[2:3]
	s_cbranch_execz .LBB425_6
; %bb.5:
	global_load_ushort v6, v[2:3], off offset:128
	s_waitcnt vmcnt(0)
	v_cvt_f32_f16_e32 v15, v6
.LBB425_6:
	s_or_b64 exec, exec, s[0:1]
	v_add_u32_e32 v6, 0x60, v4
	v_cmp_gt_i32_e64 s[24:25], s42, v6
	s_and_b64 s[2:3], s[30:31], s[24:25]
	s_and_saveexec_b64 s[0:1], s[2:3]
	s_cbranch_execz .LBB425_8
; %bb.7:
	global_load_ushort v6, v[2:3], off offset:192
	s_waitcnt vmcnt(0)
	v_cvt_f32_f16_e32 v11, v6
.LBB425_8:
	s_or_b64 exec, exec, s[0:1]
	v_add_u32_e32 v6, 0x80, v4
	v_cmp_gt_i32_e64 s[22:23], s42, v6
	s_and_b64 s[2:3], s[30:31], s[22:23]
	v_mov_b32_e32 v10, 0xff800000
	v_mov_b32_e32 v14, 0xff800000
	s_and_saveexec_b64 s[0:1], s[2:3]
	s_cbranch_execz .LBB425_10
; %bb.9:
	global_load_ushort v6, v[2:3], off offset:256
	s_waitcnt vmcnt(0)
	v_cvt_f32_f16_e32 v14, v6
.LBB425_10:
	;; [unrolled: 24-line block ×7, first 2 shown]
	s_or_b64 exec, exec, s[0:1]
	v_add_u32_e32 v4, 0x1e0, v4
	v_cmp_gt_i32_e64 s[0:1], s42, v4
	s_and_b64 s[34:35], s[30:31], s[0:1]
	s_and_saveexec_b64 s[30:31], s[34:35]
	s_cbranch_execz .LBB425_32
; %bb.31:
	global_load_ushort v2, v[2:3], off offset:960
	s_waitcnt vmcnt(0)
	v_cvt_f32_f16_e32 v16, v2
.LBB425_32:
	s_or_b64 exec, exec, s[30:31]
	v_cmp_gt_f32_e64 s[30:31], v17, v12
	v_cndmask_b32_e64 v2, v12, v17, s[30:31]
	v_cmp_gt_f32_e64 s[30:31], v2, v15
	v_cndmask_b32_e64 v2, v15, v2, s[30:31]
	;; [unrolled: 2-line block ×13, first 2 shown]
	v_mbcnt_lo_u32_b32 v3, -1, 0
	v_cmp_gt_f32_e64 s[30:31], v2, v19
	v_mbcnt_hi_u32_b32 v4, -1, v3
	v_cndmask_b32_e64 v2, v19, v2, s[30:31]
	v_and_b32_e32 v3, 0x60, v4
	v_cmp_gt_f32_e64 s[30:31], v2, v16
	v_add_u32_e32 v18, 32, v3
	v_xor_b32_e32 v3, 16, v4
	v_cndmask_b32_e64 v2, v16, v2, s[30:31]
	v_cmp_lt_i32_e64 s[30:31], v3, v18
	v_cndmask_b32_e64 v3, v4, v3, s[30:31]
	v_lshlrev_b32_e32 v3, 2, v3
	ds_bpermute_b32 v23, v3, v2
	s_mov_b32 s34, 0x3fb8aa3b
	s_mov_b32 s33, 0xc2ce8ed0
	;; [unrolled: 1-line block ×3, first 2 shown]
	v_mov_b32_e32 v29, 0x7f800000
	s_waitcnt lgkmcnt(0)
	v_cmp_lt_f32_e64 s[30:31], v2, v23
	v_cndmask_b32_e64 v2, v2, v23, s[30:31]
	v_xor_b32_e32 v23, 8, v4
	v_cmp_lt_i32_e64 s[30:31], v23, v18
	v_cndmask_b32_e64 v23, v4, v23, s[30:31]
	v_lshlrev_b32_e32 v24, 2, v23
	ds_bpermute_b32 v23, v24, v2
	s_waitcnt lgkmcnt(0)
	v_cmp_lt_f32_e64 s[30:31], v2, v23
	v_cndmask_b32_e64 v2, v2, v23, s[30:31]
	v_xor_b32_e32 v23, 4, v4
	v_cmp_lt_i32_e64 s[30:31], v23, v18
	v_cndmask_b32_e64 v23, v4, v23, s[30:31]
	v_lshlrev_b32_e32 v25, 2, v23
	ds_bpermute_b32 v23, v25, v2
	;; [unrolled: 8-line block ×4, first 2 shown]
	s_waitcnt lgkmcnt(0)
	v_cmp_lt_f32_e64 s[30:31], v2, v4
	v_cndmask_b32_e64 v2, v2, v4, s[30:31]
	v_sub_f32_e32 v4, v17, v2
	v_mul_f32_e32 v17, 0x3fb8aa3b, v4
	v_fma_f32 v18, v4, s34, -v17
	v_rndne_f32_e32 v23, v17
	v_fmac_f32_e32 v18, 0x32a5705f, v4
	v_sub_f32_e32 v17, v17, v23
	v_add_f32_e32 v17, v17, v18
	v_exp_f32_e32 v17, v17
	v_cvt_i32_f32_e32 v18, v23
	v_sub_f32_e32 v12, v12, v2
	v_cmp_ngt_f32_e64 s[30:31], s33, v4
	v_sub_f32_e32 v15, v15, v2
	v_ldexp_f32 v17, v17, v18
	v_mul_f32_e32 v18, 0x3fb8aa3b, v12
	v_fma_f32 v23, v12, s34, -v18
	v_rndne_f32_e32 v27, v18
	v_fmac_f32_e32 v23, 0x32a5705f, v12
	v_sub_f32_e32 v18, v18, v27
	v_add_f32_e32 v18, v18, v23
	v_exp_f32_e32 v18, v18
	v_cvt_i32_f32_e32 v23, v27
	v_cndmask_b32_e64 v17, 0, v17, s[30:31]
	v_cmp_nlt_f32_e64 s[30:31], s35, v4
	v_cndmask_b32_e64 v27, v29, v17, s[30:31]
	v_mul_f32_e32 v17, 0x3fb8aa3b, v15
	v_ldexp_f32 v4, v18, v23
	v_fma_f32 v18, v15, s34, -v17
	v_rndne_f32_e32 v23, v17
	v_fmac_f32_e32 v18, 0x32a5705f, v15
	v_sub_f32_e32 v17, v17, v23
	v_add_f32_e32 v17, v17, v18
	v_exp_f32_e32 v17, v17
	v_cvt_i32_f32_e32 v18, v23
	v_cmp_ngt_f32_e64 s[30:31], s33, v12
	v_sub_f32_e32 v11, v11, v2
	v_cndmask_b32_e64 v4, 0, v4, s[30:31]
	v_cmp_nlt_f32_e64 s[30:31], s35, v12
	v_ldexp_f32 v12, v17, v18
	v_mul_f32_e32 v17, 0x3fb8aa3b, v11
	v_fma_f32 v18, v11, s34, -v17
	v_rndne_f32_e32 v30, v17
	v_fmac_f32_e32 v18, 0x32a5705f, v11
	v_sub_f32_e32 v17, v17, v30
	v_add_f32_e32 v17, v17, v18
	v_exp_f32_e32 v17, v17
	v_cvt_i32_f32_e32 v30, v30
	v_cndmask_b32_e64 v23, v29, v4, s[30:31]
	v_cmp_ngt_f32_e64 s[30:31], s33, v15
	v_sub_f32_e32 v14, v14, v2
	v_cndmask_b32_e64 v12, 0, v12, s[30:31]
	v_cmp_nlt_f32_e64 s[30:31], s35, v15
	v_mul_f32_e32 v15, 0x3fb8aa3b, v14
	v_cndmask_b32_e64 v18, v29, v12, s[30:31]
	v_ldexp_f32 v12, v17, v30
	v_fma_f32 v17, v14, s34, -v15
	v_rndne_f32_e32 v30, v15
	v_fmac_f32_e32 v17, 0x32a5705f, v14
	v_sub_f32_e32 v15, v15, v30
	v_add_f32_e32 v15, v15, v17
	v_exp_f32_e32 v15, v15
	v_cvt_i32_f32_e32 v30, v30
	v_cmp_ngt_f32_e64 s[30:31], s33, v11
	v_cndmask_b32_e64 v12, 0, v12, s[30:31]
	v_cmp_nlt_f32_e64 s[30:31], s35, v11
	v_sub_f32_e32 v10, v10, v2
	v_cndmask_b32_e64 v17, v29, v12, s[30:31]
	v_mul_f32_e32 v12, 0x3fb8aa3b, v10
	v_ldexp_f32 v11, v15, v30
	v_fma_f32 v15, v10, s34, -v12
	v_rndne_f32_e32 v30, v12
	v_fmac_f32_e32 v15, 0x32a5705f, v10
	v_sub_f32_e32 v12, v12, v30
	v_add_f32_e32 v12, v12, v15
	v_exp_f32_e32 v12, v12
	v_cvt_i32_f32_e32 v30, v30
	v_cmp_ngt_f32_e64 s[30:31], s33, v14
	v_cndmask_b32_e64 v11, 0, v11, s[30:31]
	v_cmp_nlt_f32_e64 s[30:31], s35, v14
	v_cndmask_b32_e64 v15, v29, v11, s[30:31]
	v_ldexp_f32 v11, v12, v30
	v_sub_f32_e32 v12, v13, v2
	v_mul_f32_e32 v13, 0x3fb8aa3b, v12
	v_fma_f32 v14, v12, s34, -v13
	v_rndne_f32_e32 v30, v13
	v_fmac_f32_e32 v14, 0x32a5705f, v12
	v_sub_f32_e32 v13, v13, v30
	v_add_f32_e32 v13, v13, v14
	v_exp_f32_e32 v13, v13
	v_cvt_i32_f32_e32 v30, v30
	v_cmp_ngt_f32_e64 s[30:31], s33, v10
	v_cndmask_b32_e64 v11, 0, v11, s[30:31]
	v_cmp_nlt_f32_e64 s[30:31], s35, v10
	v_sub_f32_e32 v9, v9, v2
	v_cndmask_b32_e64 v14, v29, v11, s[30:31]
	v_mul_f32_e32 v11, 0x3fb8aa3b, v9
	v_ldexp_f32 v10, v13, v30
	v_fma_f32 v13, v9, s34, -v11
	v_rndne_f32_e32 v30, v11
	v_fmac_f32_e32 v13, 0x32a5705f, v9
	v_sub_f32_e32 v11, v11, v30
	v_add_f32_e32 v11, v11, v13
	v_exp_f32_e32 v11, v11
	v_cvt_i32_f32_e32 v30, v30
	v_cmp_ngt_f32_e64 s[30:31], s33, v12
	v_cndmask_b32_e64 v10, 0, v10, s[30:31]
	v_cmp_nlt_f32_e64 s[30:31], s35, v12
	v_cndmask_b32_e64 v13, v29, v10, s[30:31]
	v_ldexp_f32 v10, v11, v30
	v_sub_f32_e32 v11, v22, v2
	v_mul_f32_e32 v12, 0x3fb8aa3b, v11
	v_fma_f32 v22, v11, s34, -v12
	v_rndne_f32_e32 v30, v12
	v_fmac_f32_e32 v22, 0x32a5705f, v11
	v_sub_f32_e32 v12, v12, v30
	v_add_f32_e32 v12, v12, v22
	v_exp_f32_e32 v22, v12
	v_cvt_i32_f32_e32 v30, v30
	v_cmp_ngt_f32_e64 s[30:31], s33, v9
	v_cndmask_b32_e64 v10, 0, v10, s[30:31]
	v_cmp_nlt_f32_e64 s[30:31], s35, v9
	v_sub_f32_e32 v8, v8, v2
	v_cndmask_b32_e64 v12, v29, v10, s[30:31]
	v_mul_f32_e32 v10, 0x3fb8aa3b, v8
	v_ldexp_f32 v9, v22, v30
	v_fma_f32 v22, v8, s34, -v10
	v_rndne_f32_e32 v30, v10
	v_fmac_f32_e32 v22, 0x32a5705f, v8
	v_sub_f32_e32 v10, v10, v30
	v_add_f32_e32 v10, v10, v22
	v_exp_f32_e32 v10, v10
	v_cvt_i32_f32_e32 v22, v30
	v_cmp_ngt_f32_e64 s[30:31], s33, v11
	v_cndmask_b32_e64 v9, 0, v9, s[30:31]
	v_cmp_nlt_f32_e64 s[30:31], s35, v11
	v_sub_f32_e32 v21, v21, v2
	v_cndmask_b32_e64 v11, v29, v9, s[30:31]
	v_ldexp_f32 v9, v10, v22
	v_mul_f32_e32 v10, 0x3fb8aa3b, v21
	v_fma_f32 v22, v21, s34, -v10
	v_rndne_f32_e32 v30, v10
	v_fmac_f32_e32 v22, 0x32a5705f, v21
	v_sub_f32_e32 v10, v10, v30
	v_add_f32_e32 v10, v10, v22
	v_exp_f32_e32 v22, v10
	v_cvt_i32_f32_e32 v30, v30
	v_cmp_ngt_f32_e64 s[30:31], s33, v8
	v_cndmask_b32_e64 v9, 0, v9, s[30:31]
	v_cmp_nlt_f32_e64 s[30:31], s35, v8
	v_sub_f32_e32 v7, v7, v2
	v_cndmask_b32_e64 v10, v29, v9, s[30:31]
	v_mul_f32_e32 v9, 0x3fb8aa3b, v7
	v_ldexp_f32 v8, v22, v30
	v_fma_f32 v22, v7, s34, -v9
	v_rndne_f32_e32 v30, v9
	v_fmac_f32_e32 v22, 0x32a5705f, v7
	v_sub_f32_e32 v9, v9, v30
	v_add_f32_e32 v9, v9, v22
	v_exp_f32_e32 v22, v9
	v_cvt_i32_f32_e32 v30, v30
	v_cmp_ngt_f32_e64 s[30:31], s33, v21
	v_sub_f32_e32 v20, v20, v2
	v_cndmask_b32_e64 v8, 0, v8, s[30:31]
	v_cmp_nlt_f32_e64 s[30:31], s35, v21
	v_mul_f32_e32 v21, 0x3fb8aa3b, v20
	v_cndmask_b32_e64 v9, v29, v8, s[30:31]
	v_ldexp_f32 v8, v22, v30
	v_fma_f32 v22, v20, s34, -v21
	v_rndne_f32_e32 v30, v21
	v_fmac_f32_e32 v22, 0x32a5705f, v20
	v_sub_f32_e32 v21, v21, v30
	v_add_f32_e32 v21, v21, v22
	v_exp_f32_e32 v21, v21
	v_cvt_i32_f32_e32 v22, v30
	v_cmp_ngt_f32_e64 s[30:31], s33, v7
	v_sub_f32_e32 v6, v6, v2
	v_cndmask_b32_e64 v8, 0, v8, s[30:31]
	v_cmp_nlt_f32_e64 s[30:31], s35, v7
	v_ldexp_f32 v7, v21, v22
	v_mul_f32_e32 v21, 0x3fb8aa3b, v6
	v_fma_f32 v22, v6, s34, -v21
	v_rndne_f32_e32 v30, v21
	v_fmac_f32_e32 v22, 0x32a5705f, v6
	v_sub_f32_e32 v21, v21, v30
	v_add_f32_e32 v21, v21, v22
	v_add_f32_e32 v4, v27, v23
	v_exp_f32_e32 v21, v21
	v_cvt_i32_f32_e32 v22, v30
	v_add_f32_e32 v4, v4, v18
	v_add_f32_e32 v4, v4, v17
	;; [unrolled: 1-line block ×3, first 2 shown]
	v_cndmask_b32_e64 v8, v29, v8, s[30:31]
	v_cmp_ngt_f32_e64 s[30:31], s33, v20
	v_sub_f32_e32 v19, v19, v2
	v_add_f32_e32 v4, v4, v14
	v_cndmask_b32_e64 v7, 0, v7, s[30:31]
	v_cmp_nlt_f32_e64 s[30:31], s35, v20
	v_ldexp_f32 v20, v21, v22
	v_mul_f32_e32 v21, 0x3fb8aa3b, v19
	v_add_f32_e32 v4, v4, v13
	v_fma_f32 v22, v19, s34, -v21
	v_rndne_f32_e32 v30, v21
	v_add_f32_e32 v4, v4, v12
	v_fmac_f32_e32 v22, 0x32a5705f, v19
	v_sub_f32_e32 v21, v21, v30
	v_add_f32_e32 v4, v4, v11
	v_add_f32_e32 v21, v21, v22
	;; [unrolled: 1-line block ×3, first 2 shown]
	v_exp_f32_e32 v21, v21
	v_cvt_i32_f32_e32 v22, v30
	v_add_f32_e32 v4, v4, v9
	v_cndmask_b32_e64 v7, v29, v7, s[30:31]
	v_cmp_ngt_f32_e64 s[30:31], s33, v6
	v_add_f32_e32 v4, v4, v8
	v_cndmask_b32_e64 v20, 0, v20, s[30:31]
	v_cmp_nlt_f32_e64 s[30:31], s35, v6
	v_sub_f32_e32 v2, v16, v2
	v_add_f32_e32 v4, v4, v7
	v_cndmask_b32_e64 v6, v29, v20, s[30:31]
	v_mul_f32_e32 v16, 0x3fb8aa3b, v2
	v_add_f32_e32 v20, v4, v6
	v_ldexp_f32 v4, v21, v22
	v_fma_f32 v21, v2, s34, -v16
	v_rndne_f32_e32 v22, v16
	v_fmac_f32_e32 v21, 0x32a5705f, v2
	v_sub_f32_e32 v16, v16, v22
	v_add_f32_e32 v16, v16, v21
	v_exp_f32_e32 v16, v16
	v_cvt_i32_f32_e32 v21, v22
	v_cmp_ngt_f32_e64 s[30:31], s33, v19
	v_cndmask_b32_e64 v4, 0, v4, s[30:31]
	v_cmp_nlt_f32_e64 s[30:31], s35, v19
	v_cndmask_b32_e64 v4, v29, v4, s[30:31]
	v_ldexp_f32 v16, v16, v21
	v_cmp_ngt_f32_e64 s[30:31], s33, v2
	v_cndmask_b32_e64 v16, 0, v16, s[30:31]
	v_cmp_nlt_f32_e64 s[30:31], s35, v2
	v_add_f32_e32 v19, v20, v4
	v_cndmask_b32_e64 v2, v29, v16, s[30:31]
	v_add_f32_e32 v16, v19, v2
	ds_bpermute_b32 v3, v3, v16
	v_cmp_lt_i32_e64 s[30:31], 0, v5
	s_waitcnt lgkmcnt(0)
	v_add_f32_e32 v3, v16, v3
	ds_bpermute_b32 v16, v24, v3
	s_waitcnt lgkmcnt(0)
	v_add_f32_e32 v3, v3, v16
	ds_bpermute_b32 v16, v25, v3
	;; [unrolled: 3-line block ×4, first 2 shown]
	s_and_saveexec_b64 s[34:35], s[30:31]
	s_cbranch_execz .LBB425_82
; %bb.33:
	s_and_b64 exec, exec, vcc
	s_cbranch_execz .LBB425_82
; %bb.34:
	s_waitcnt lgkmcnt(0)
	v_add_f32_e32 v3, v3, v16
	v_cmp_neq_f32_e64 s[30:31], 0, v3
	v_mov_b32_e32 v5, 0x7e00
	s_and_saveexec_b64 s[34:35], s[30:31]
	s_cbranch_execz .LBB425_36
; %bb.35:
	v_div_scale_f32 v5, s[38:39], v3, v3, v27
	v_rcp_f32_e32 v16, v5
	v_div_scale_f32 v19, vcc, v27, v3, v27
	v_fma_f32 v20, -v5, v16, 1.0
	v_fmac_f32_e32 v16, v20, v16
	v_mul_f32_e32 v20, v19, v16
	v_fma_f32 v21, -v5, v20, v19
	v_fmac_f32_e32 v20, v21, v16
	v_fma_f32 v5, -v5, v20, v19
	v_div_fmas_f32 v5, v5, v16, v20
	v_div_fixup_f32 v5, v5, v3, v27
	v_cvt_f16_f32_e32 v5, v5
.LBB425_36:
	s_or_b64 exec, exec, s[34:35]
	v_mov_b32_e32 v16, s37
	v_add_co_u32_e32 v0, vcc, s36, v0
	v_addc_co_u32_e32 v1, vcc, v16, v1, vcc
	global_store_short v[0:1], v5, off
	s_and_b64 exec, exec, s[28:29]
	s_cbranch_execz .LBB425_82
; %bb.37:
	v_mov_b32_e32 v5, 0x7e00
	s_and_saveexec_b64 s[28:29], s[30:31]
	s_cbranch_execz .LBB425_39
; %bb.38:
	v_div_scale_f32 v5, s[34:35], v3, v3, v23
	v_rcp_f32_e32 v16, v5
	v_div_scale_f32 v19, vcc, v23, v3, v23
	v_fma_f32 v20, -v5, v16, 1.0
	v_fmac_f32_e32 v16, v20, v16
	v_mul_f32_e32 v20, v19, v16
	v_fma_f32 v21, -v5, v20, v19
	v_fmac_f32_e32 v20, v21, v16
	v_fma_f32 v5, -v5, v20, v19
	v_div_fmas_f32 v5, v5, v16, v20
	v_div_fixup_f32 v5, v5, v3, v23
	v_cvt_f16_f32_e32 v5, v5
.LBB425_39:
	s_or_b64 exec, exec, s[28:29]
	global_store_short v[0:1], v5, off offset:64
	s_and_b64 exec, exec, s[26:27]
	s_cbranch_execz .LBB425_82
; %bb.40:
	v_mov_b32_e32 v5, 0x7e00
	s_and_saveexec_b64 s[26:27], s[30:31]
	s_cbranch_execz .LBB425_42
; %bb.41:
	v_div_scale_f32 v5, s[28:29], v3, v3, v18
	v_rcp_f32_e32 v16, v5
	v_div_scale_f32 v19, vcc, v18, v3, v18
	v_fma_f32 v20, -v5, v16, 1.0
	v_fmac_f32_e32 v16, v20, v16
	v_mul_f32_e32 v20, v19, v16
	v_fma_f32 v21, -v5, v20, v19
	v_fmac_f32_e32 v20, v21, v16
	v_fma_f32 v5, -v5, v20, v19
	v_div_fmas_f32 v5, v5, v16, v20
	v_div_fixup_f32 v5, v5, v3, v18
	v_cvt_f16_f32_e32 v5, v5
.LBB425_42:
	s_or_b64 exec, exec, s[26:27]
	global_store_short v[0:1], v5, off offset:128
	;; [unrolled: 22-line block ×15, first 2 shown]
.LBB425_82:
	s_endpgm
	.section	.rodata,"a",@progbits
	.p2align	6, 0x0
	.amdhsa_kernel _ZN12_GLOBAL__N_120softmax_warp_forwardIN3c104HalfES2_fLi9ELb0ELb0ELi32EEEvPT0_PKT_iiiPKbib
		.amdhsa_group_segment_fixed_size 0
		.amdhsa_private_segment_fixed_size 0
		.amdhsa_kernarg_size 304
		.amdhsa_user_sgpr_count 6
		.amdhsa_user_sgpr_private_segment_buffer 1
		.amdhsa_user_sgpr_dispatch_ptr 0
		.amdhsa_user_sgpr_queue_ptr 0
		.amdhsa_user_sgpr_kernarg_segment_ptr 1
		.amdhsa_user_sgpr_dispatch_id 0
		.amdhsa_user_sgpr_flat_scratch_init 0
		.amdhsa_user_sgpr_kernarg_preload_length 0
		.amdhsa_user_sgpr_kernarg_preload_offset 0
		.amdhsa_user_sgpr_private_segment_size 0
		.amdhsa_uses_dynamic_stack 0
		.amdhsa_system_sgpr_private_segment_wavefront_offset 0
		.amdhsa_system_sgpr_workgroup_id_x 1
		.amdhsa_system_sgpr_workgroup_id_y 0
		.amdhsa_system_sgpr_workgroup_id_z 0
		.amdhsa_system_sgpr_workgroup_info 0
		.amdhsa_system_vgpr_workitem_id 1
		.amdhsa_next_free_vgpr 31
		.amdhsa_next_free_sgpr 44
		.amdhsa_accum_offset 32
		.amdhsa_reserve_vcc 1
		.amdhsa_reserve_flat_scratch 0
		.amdhsa_float_round_mode_32 0
		.amdhsa_float_round_mode_16_64 0
		.amdhsa_float_denorm_mode_32 3
		.amdhsa_float_denorm_mode_16_64 3
		.amdhsa_dx10_clamp 1
		.amdhsa_ieee_mode 1
		.amdhsa_fp16_overflow 0
		.amdhsa_tg_split 0
		.amdhsa_exception_fp_ieee_invalid_op 0
		.amdhsa_exception_fp_denorm_src 0
		.amdhsa_exception_fp_ieee_div_zero 0
		.amdhsa_exception_fp_ieee_overflow 0
		.amdhsa_exception_fp_ieee_underflow 0
		.amdhsa_exception_fp_ieee_inexact 0
		.amdhsa_exception_int_div_zero 0
	.end_amdhsa_kernel
	.section	.text._ZN12_GLOBAL__N_120softmax_warp_forwardIN3c104HalfES2_fLi9ELb0ELb0ELi32EEEvPT0_PKT_iiiPKbib,"axG",@progbits,_ZN12_GLOBAL__N_120softmax_warp_forwardIN3c104HalfES2_fLi9ELb0ELb0ELi32EEEvPT0_PKT_iiiPKbib,comdat
.Lfunc_end425:
	.size	_ZN12_GLOBAL__N_120softmax_warp_forwardIN3c104HalfES2_fLi9ELb0ELb0ELi32EEEvPT0_PKT_iiiPKbib, .Lfunc_end425-_ZN12_GLOBAL__N_120softmax_warp_forwardIN3c104HalfES2_fLi9ELb0ELb0ELi32EEEvPT0_PKT_iiiPKbib
                                        ; -- End function
	.section	.AMDGPU.csdata,"",@progbits
; Kernel info:
; codeLenInByte = 4908
; NumSgprs: 48
; NumVgprs: 31
; NumAgprs: 0
; TotalNumVgprs: 31
; ScratchSize: 0
; MemoryBound: 0
; FloatMode: 240
; IeeeMode: 1
; LDSByteSize: 0 bytes/workgroup (compile time only)
; SGPRBlocks: 5
; VGPRBlocks: 3
; NumSGPRsForWavesPerEU: 48
; NumVGPRsForWavesPerEU: 31
; AccumOffset: 32
; Occupancy: 8
; WaveLimiterHint : 0
; COMPUTE_PGM_RSRC2:SCRATCH_EN: 0
; COMPUTE_PGM_RSRC2:USER_SGPR: 6
; COMPUTE_PGM_RSRC2:TRAP_HANDLER: 0
; COMPUTE_PGM_RSRC2:TGID_X_EN: 1
; COMPUTE_PGM_RSRC2:TGID_Y_EN: 0
; COMPUTE_PGM_RSRC2:TGID_Z_EN: 0
; COMPUTE_PGM_RSRC2:TIDIG_COMP_CNT: 1
; COMPUTE_PGM_RSRC3_GFX90A:ACCUM_OFFSET: 7
; COMPUTE_PGM_RSRC3_GFX90A:TG_SPLIT: 0
	.section	.text._ZN12_GLOBAL__N_120softmax_warp_forwardIN3c104HalfES2_fLi10ELb0ELb0ELi64EEEvPT0_PKT_iiiPKbib,"axG",@progbits,_ZN12_GLOBAL__N_120softmax_warp_forwardIN3c104HalfES2_fLi10ELb0ELb0ELi64EEEvPT0_PKT_iiiPKbib,comdat
	.globl	_ZN12_GLOBAL__N_120softmax_warp_forwardIN3c104HalfES2_fLi10ELb0ELb0ELi64EEEvPT0_PKT_iiiPKbib ; -- Begin function _ZN12_GLOBAL__N_120softmax_warp_forwardIN3c104HalfES2_fLi10ELb0ELb0ELi64EEEvPT0_PKT_iiiPKbib
	.p2align	8
	.type	_ZN12_GLOBAL__N_120softmax_warp_forwardIN3c104HalfES2_fLi10ELb0ELb0ELi64EEEvPT0_PKT_iiiPKbib,@function
_ZN12_GLOBAL__N_120softmax_warp_forwardIN3c104HalfES2_fLi10ELb0ELb0ELi64EEEvPT0_PKT_iiiPKbib: ; @_ZN12_GLOBAL__N_120softmax_warp_forwardIN3c104HalfES2_fLi10ELb0ELb0ELi64EEEvPT0_PKT_iiiPKbib
; %bb.0:
	s_load_dword s0, s[4:5], 0x3c
	s_load_dwordx8 s[36:43], s[4:5], 0x0
	v_bfe_u32 v1, v0, 10, 10
	v_and_b32_e32 v4, 0x3ff, v0
	v_mov_b32_e32 v12, 0xff800000
	s_waitcnt lgkmcnt(0)
	s_lshr_b32 s0, s0, 16
	s_mul_i32 s6, s6, s0
	v_add_u32_e32 v1, s6, v1
	v_sub_u32_e32 v5, s40, v1
	v_mad_u64_u32 v[0:1], s[0:1], v1, s41, v[4:5]
	v_ashrrev_i32_e32 v1, 31, v0
	v_lshlrev_b64 v[0:1], 1, v[0:1]
	v_mov_b32_e32 v3, s39
	v_add_co_u32_e32 v2, vcc, s38, v0
	v_addc_co_u32_e32 v3, vcc, v3, v1, vcc
	v_cmp_lt_i32_e64 s[30:31], 0, v5
	v_cmp_gt_i32_e32 vcc, s42, v4
	s_and_b64 s[2:3], s[30:31], vcc
	v_mov_b32_e32 v17, 0xff800000
	s_and_saveexec_b64 s[0:1], s[2:3]
	s_cbranch_execz .LBB426_2
; %bb.1:
	global_load_ushort v6, v[2:3], off
	s_waitcnt vmcnt(0)
	v_cvt_f32_f16_e32 v17, v6
.LBB426_2:
	s_or_b64 exec, exec, s[0:1]
	v_add_u32_e32 v6, 64, v4
	v_cmp_gt_i32_e64 s[28:29], s42, v6
	s_and_b64 s[2:3], s[30:31], s[28:29]
	s_and_saveexec_b64 s[0:1], s[2:3]
	s_cbranch_execz .LBB426_4
; %bb.3:
	global_load_ushort v6, v[2:3], off offset:128
	s_waitcnt vmcnt(0)
	v_cvt_f32_f16_e32 v12, v6
.LBB426_4:
	s_or_b64 exec, exec, s[0:1]
	v_add_u32_e32 v6, 0x80, v4
	v_cmp_gt_i32_e64 s[26:27], s42, v6
	s_and_b64 s[2:3], s[30:31], s[26:27]
	v_mov_b32_e32 v11, 0xff800000
	v_mov_b32_e32 v15, 0xff800000
	s_and_saveexec_b64 s[0:1], s[2:3]
	s_cbranch_execz .LBB426_6
; %bb.5:
	global_load_ushort v6, v[2:3], off offset:256
	s_waitcnt vmcnt(0)
	v_cvt_f32_f16_e32 v15, v6
.LBB426_6:
	s_or_b64 exec, exec, s[0:1]
	v_add_u32_e32 v6, 0xc0, v4
	v_cmp_gt_i32_e64 s[24:25], s42, v6
	s_and_b64 s[2:3], s[30:31], s[24:25]
	s_and_saveexec_b64 s[0:1], s[2:3]
	s_cbranch_execz .LBB426_8
; %bb.7:
	global_load_ushort v6, v[2:3], off offset:384
	s_waitcnt vmcnt(0)
	v_cvt_f32_f16_e32 v11, v6
.LBB426_8:
	s_or_b64 exec, exec, s[0:1]
	v_add_u32_e32 v6, 0x100, v4
	v_cmp_gt_i32_e64 s[22:23], s42, v6
	s_and_b64 s[2:3], s[30:31], s[22:23]
	v_mov_b32_e32 v10, 0xff800000
	v_mov_b32_e32 v14, 0xff800000
	s_and_saveexec_b64 s[0:1], s[2:3]
	s_cbranch_execz .LBB426_10
; %bb.9:
	global_load_ushort v6, v[2:3], off offset:512
	s_waitcnt vmcnt(0)
	v_cvt_f32_f16_e32 v14, v6
.LBB426_10:
	;; [unrolled: 24-line block ×7, first 2 shown]
	s_or_b64 exec, exec, s[0:1]
	v_add_u32_e32 v4, 0x3c0, v4
	v_cmp_gt_i32_e64 s[0:1], s42, v4
	s_and_b64 s[34:35], s[30:31], s[0:1]
	s_and_saveexec_b64 s[30:31], s[34:35]
	s_cbranch_execz .LBB426_32
; %bb.31:
	global_load_ushort v2, v[2:3], off offset:1920
	s_waitcnt vmcnt(0)
	v_cvt_f32_f16_e32 v16, v2
.LBB426_32:
	s_or_b64 exec, exec, s[30:31]
	v_cmp_gt_f32_e64 s[30:31], v17, v12
	v_cndmask_b32_e64 v2, v12, v17, s[30:31]
	v_cmp_gt_f32_e64 s[30:31], v2, v15
	v_cndmask_b32_e64 v2, v15, v2, s[30:31]
	;; [unrolled: 2-line block ×13, first 2 shown]
	v_mbcnt_lo_u32_b32 v3, -1, 0
	v_cmp_gt_f32_e64 s[30:31], v2, v18
	v_mbcnt_hi_u32_b32 v4, -1, v3
	v_cndmask_b32_e64 v2, v18, v2, s[30:31]
	v_and_b32_e32 v3, 64, v4
	v_cmp_gt_f32_e64 s[30:31], v2, v16
	v_add_u32_e32 v19, 64, v3
	v_xor_b32_e32 v3, 32, v4
	v_cndmask_b32_e64 v2, v16, v2, s[30:31]
	v_cmp_lt_i32_e64 s[30:31], v3, v19
	v_cndmask_b32_e64 v3, v4, v3, s[30:31]
	v_lshlrev_b32_e32 v3, 2, v3
	ds_bpermute_b32 v23, v3, v2
	s_mov_b32 s34, 0x3fb8aa3b
	s_mov_b32 s33, 0xc2ce8ed0
	;; [unrolled: 1-line block ×3, first 2 shown]
	v_mov_b32_e32 v30, 0x7f800000
	s_waitcnt lgkmcnt(0)
	v_cmp_lt_f32_e64 s[30:31], v2, v23
	v_cndmask_b32_e64 v2, v2, v23, s[30:31]
	v_xor_b32_e32 v23, 16, v4
	v_cmp_lt_i32_e64 s[30:31], v23, v19
	v_cndmask_b32_e64 v23, v4, v23, s[30:31]
	v_lshlrev_b32_e32 v24, 2, v23
	ds_bpermute_b32 v23, v24, v2
	s_waitcnt lgkmcnt(0)
	v_cmp_lt_f32_e64 s[30:31], v2, v23
	v_cndmask_b32_e64 v2, v2, v23, s[30:31]
	v_xor_b32_e32 v23, 8, v4
	v_cmp_lt_i32_e64 s[30:31], v23, v19
	v_cndmask_b32_e64 v23, v4, v23, s[30:31]
	v_lshlrev_b32_e32 v25, 2, v23
	ds_bpermute_b32 v23, v25, v2
	;; [unrolled: 8-line block ×5, first 2 shown]
	s_waitcnt lgkmcnt(0)
	v_cmp_lt_f32_e64 s[30:31], v2, v4
	v_cndmask_b32_e64 v2, v2, v4, s[30:31]
	v_sub_f32_e32 v4, v17, v2
	v_mul_f32_e32 v17, 0x3fb8aa3b, v4
	v_fma_f32 v19, v4, s34, -v17
	v_rndne_f32_e32 v23, v17
	v_fmac_f32_e32 v19, 0x32a5705f, v4
	v_sub_f32_e32 v17, v17, v23
	v_add_f32_e32 v17, v17, v19
	v_exp_f32_e32 v17, v17
	v_cvt_i32_f32_e32 v19, v23
	v_sub_f32_e32 v12, v12, v2
	v_cmp_ngt_f32_e64 s[30:31], s33, v4
	v_sub_f32_e32 v15, v15, v2
	v_ldexp_f32 v17, v17, v19
	v_mul_f32_e32 v19, 0x3fb8aa3b, v12
	v_fma_f32 v23, v12, s34, -v19
	v_rndne_f32_e32 v28, v19
	v_fmac_f32_e32 v23, 0x32a5705f, v12
	v_sub_f32_e32 v19, v19, v28
	v_add_f32_e32 v19, v19, v23
	v_exp_f32_e32 v19, v19
	v_cvt_i32_f32_e32 v23, v28
	v_cndmask_b32_e64 v17, 0, v17, s[30:31]
	v_cmp_nlt_f32_e64 s[30:31], s35, v4
	v_cndmask_b32_e64 v28, v30, v17, s[30:31]
	v_mul_f32_e32 v17, 0x3fb8aa3b, v15
	v_ldexp_f32 v4, v19, v23
	v_fma_f32 v19, v15, s34, -v17
	v_rndne_f32_e32 v23, v17
	v_fmac_f32_e32 v19, 0x32a5705f, v15
	v_sub_f32_e32 v17, v17, v23
	v_add_f32_e32 v17, v17, v19
	v_exp_f32_e32 v17, v17
	v_cvt_i32_f32_e32 v19, v23
	v_cmp_ngt_f32_e64 s[30:31], s33, v12
	v_sub_f32_e32 v11, v11, v2
	v_cndmask_b32_e64 v4, 0, v4, s[30:31]
	v_cmp_nlt_f32_e64 s[30:31], s35, v12
	v_ldexp_f32 v12, v17, v19
	v_mul_f32_e32 v17, 0x3fb8aa3b, v11
	v_fma_f32 v19, v11, s34, -v17
	v_rndne_f32_e32 v31, v17
	v_fmac_f32_e32 v19, 0x32a5705f, v11
	v_sub_f32_e32 v17, v17, v31
	v_add_f32_e32 v17, v17, v19
	v_exp_f32_e32 v17, v17
	v_cvt_i32_f32_e32 v31, v31
	v_cndmask_b32_e64 v23, v30, v4, s[30:31]
	v_cmp_ngt_f32_e64 s[30:31], s33, v15
	v_sub_f32_e32 v14, v14, v2
	v_cndmask_b32_e64 v12, 0, v12, s[30:31]
	v_cmp_nlt_f32_e64 s[30:31], s35, v15
	v_mul_f32_e32 v15, 0x3fb8aa3b, v14
	v_cndmask_b32_e64 v19, v30, v12, s[30:31]
	v_ldexp_f32 v12, v17, v31
	v_fma_f32 v17, v14, s34, -v15
	v_rndne_f32_e32 v31, v15
	v_fmac_f32_e32 v17, 0x32a5705f, v14
	v_sub_f32_e32 v15, v15, v31
	v_add_f32_e32 v15, v15, v17
	v_exp_f32_e32 v15, v15
	v_cvt_i32_f32_e32 v31, v31
	v_cmp_ngt_f32_e64 s[30:31], s33, v11
	v_cndmask_b32_e64 v12, 0, v12, s[30:31]
	v_cmp_nlt_f32_e64 s[30:31], s35, v11
	v_sub_f32_e32 v10, v10, v2
	v_cndmask_b32_e64 v17, v30, v12, s[30:31]
	v_mul_f32_e32 v12, 0x3fb8aa3b, v10
	v_ldexp_f32 v11, v15, v31
	v_fma_f32 v15, v10, s34, -v12
	v_rndne_f32_e32 v31, v12
	v_fmac_f32_e32 v15, 0x32a5705f, v10
	v_sub_f32_e32 v12, v12, v31
	v_add_f32_e32 v12, v12, v15
	v_exp_f32_e32 v12, v12
	v_cvt_i32_f32_e32 v31, v31
	v_cmp_ngt_f32_e64 s[30:31], s33, v14
	v_cndmask_b32_e64 v11, 0, v11, s[30:31]
	v_cmp_nlt_f32_e64 s[30:31], s35, v14
	v_cndmask_b32_e64 v15, v30, v11, s[30:31]
	v_ldexp_f32 v11, v12, v31
	v_sub_f32_e32 v12, v13, v2
	v_mul_f32_e32 v13, 0x3fb8aa3b, v12
	v_fma_f32 v14, v12, s34, -v13
	v_rndne_f32_e32 v31, v13
	v_fmac_f32_e32 v14, 0x32a5705f, v12
	v_sub_f32_e32 v13, v13, v31
	v_add_f32_e32 v13, v13, v14
	v_exp_f32_e32 v13, v13
	v_cvt_i32_f32_e32 v31, v31
	v_cmp_ngt_f32_e64 s[30:31], s33, v10
	v_cndmask_b32_e64 v11, 0, v11, s[30:31]
	v_cmp_nlt_f32_e64 s[30:31], s35, v10
	v_sub_f32_e32 v9, v9, v2
	v_cndmask_b32_e64 v14, v30, v11, s[30:31]
	v_mul_f32_e32 v11, 0x3fb8aa3b, v9
	v_ldexp_f32 v10, v13, v31
	v_fma_f32 v13, v9, s34, -v11
	v_rndne_f32_e32 v31, v11
	v_fmac_f32_e32 v13, 0x32a5705f, v9
	v_sub_f32_e32 v11, v11, v31
	v_add_f32_e32 v11, v11, v13
	v_exp_f32_e32 v11, v11
	v_cvt_i32_f32_e32 v31, v31
	v_cmp_ngt_f32_e64 s[30:31], s33, v12
	v_cndmask_b32_e64 v10, 0, v10, s[30:31]
	v_cmp_nlt_f32_e64 s[30:31], s35, v12
	v_cndmask_b32_e64 v13, v30, v10, s[30:31]
	v_ldexp_f32 v10, v11, v31
	v_sub_f32_e32 v11, v22, v2
	v_mul_f32_e32 v12, 0x3fb8aa3b, v11
	v_fma_f32 v22, v11, s34, -v12
	v_rndne_f32_e32 v31, v12
	v_fmac_f32_e32 v22, 0x32a5705f, v11
	v_sub_f32_e32 v12, v12, v31
	v_add_f32_e32 v12, v12, v22
	v_exp_f32_e32 v22, v12
	v_cvt_i32_f32_e32 v31, v31
	v_cmp_ngt_f32_e64 s[30:31], s33, v9
	v_cndmask_b32_e64 v10, 0, v10, s[30:31]
	v_cmp_nlt_f32_e64 s[30:31], s35, v9
	v_sub_f32_e32 v8, v8, v2
	v_cndmask_b32_e64 v12, v30, v10, s[30:31]
	v_mul_f32_e32 v10, 0x3fb8aa3b, v8
	v_ldexp_f32 v9, v22, v31
	v_fma_f32 v22, v8, s34, -v10
	v_rndne_f32_e32 v31, v10
	v_fmac_f32_e32 v22, 0x32a5705f, v8
	v_sub_f32_e32 v10, v10, v31
	v_add_f32_e32 v10, v10, v22
	v_exp_f32_e32 v10, v10
	v_cvt_i32_f32_e32 v22, v31
	v_cmp_ngt_f32_e64 s[30:31], s33, v11
	v_cndmask_b32_e64 v9, 0, v9, s[30:31]
	v_cmp_nlt_f32_e64 s[30:31], s35, v11
	v_sub_f32_e32 v21, v21, v2
	v_cndmask_b32_e64 v11, v30, v9, s[30:31]
	v_ldexp_f32 v9, v10, v22
	v_mul_f32_e32 v10, 0x3fb8aa3b, v21
	v_fma_f32 v22, v21, s34, -v10
	v_rndne_f32_e32 v31, v10
	v_fmac_f32_e32 v22, 0x32a5705f, v21
	v_sub_f32_e32 v10, v10, v31
	v_add_f32_e32 v10, v10, v22
	v_exp_f32_e32 v22, v10
	v_cvt_i32_f32_e32 v31, v31
	v_cmp_ngt_f32_e64 s[30:31], s33, v8
	v_cndmask_b32_e64 v9, 0, v9, s[30:31]
	v_cmp_nlt_f32_e64 s[30:31], s35, v8
	v_sub_f32_e32 v7, v7, v2
	v_cndmask_b32_e64 v10, v30, v9, s[30:31]
	v_mul_f32_e32 v9, 0x3fb8aa3b, v7
	v_ldexp_f32 v8, v22, v31
	v_fma_f32 v22, v7, s34, -v9
	v_rndne_f32_e32 v31, v9
	v_fmac_f32_e32 v22, 0x32a5705f, v7
	v_sub_f32_e32 v9, v9, v31
	v_add_f32_e32 v9, v9, v22
	v_exp_f32_e32 v22, v9
	v_cvt_i32_f32_e32 v31, v31
	v_cmp_ngt_f32_e64 s[30:31], s33, v21
	v_sub_f32_e32 v20, v20, v2
	v_cndmask_b32_e64 v8, 0, v8, s[30:31]
	v_cmp_nlt_f32_e64 s[30:31], s35, v21
	v_mul_f32_e32 v21, 0x3fb8aa3b, v20
	v_cndmask_b32_e64 v9, v30, v8, s[30:31]
	v_ldexp_f32 v8, v22, v31
	v_fma_f32 v22, v20, s34, -v21
	v_rndne_f32_e32 v31, v21
	v_fmac_f32_e32 v22, 0x32a5705f, v20
	v_sub_f32_e32 v21, v21, v31
	v_add_f32_e32 v21, v21, v22
	v_exp_f32_e32 v21, v21
	v_cvt_i32_f32_e32 v22, v31
	v_cmp_ngt_f32_e64 s[30:31], s33, v7
	v_sub_f32_e32 v6, v6, v2
	v_cndmask_b32_e64 v8, 0, v8, s[30:31]
	v_cmp_nlt_f32_e64 s[30:31], s35, v7
	v_ldexp_f32 v7, v21, v22
	v_mul_f32_e32 v21, 0x3fb8aa3b, v6
	v_fma_f32 v22, v6, s34, -v21
	v_rndne_f32_e32 v31, v21
	v_fmac_f32_e32 v22, 0x32a5705f, v6
	v_sub_f32_e32 v21, v21, v31
	v_add_f32_e32 v21, v21, v22
	v_add_f32_e32 v4, v28, v23
	v_exp_f32_e32 v21, v21
	v_cvt_i32_f32_e32 v22, v31
	v_add_f32_e32 v4, v4, v19
	v_add_f32_e32 v4, v4, v17
	;; [unrolled: 1-line block ×3, first 2 shown]
	v_cndmask_b32_e64 v8, v30, v8, s[30:31]
	v_cmp_ngt_f32_e64 s[30:31], s33, v20
	v_sub_f32_e32 v18, v18, v2
	v_add_f32_e32 v4, v4, v14
	v_cndmask_b32_e64 v7, 0, v7, s[30:31]
	v_cmp_nlt_f32_e64 s[30:31], s35, v20
	v_ldexp_f32 v20, v21, v22
	v_mul_f32_e32 v21, 0x3fb8aa3b, v18
	v_add_f32_e32 v4, v4, v13
	v_fma_f32 v22, v18, s34, -v21
	v_rndne_f32_e32 v31, v21
	v_add_f32_e32 v4, v4, v12
	v_fmac_f32_e32 v22, 0x32a5705f, v18
	v_sub_f32_e32 v21, v21, v31
	v_add_f32_e32 v4, v4, v11
	v_add_f32_e32 v21, v21, v22
	;; [unrolled: 1-line block ×3, first 2 shown]
	v_exp_f32_e32 v21, v21
	v_cvt_i32_f32_e32 v22, v31
	v_add_f32_e32 v4, v4, v9
	v_cndmask_b32_e64 v7, v30, v7, s[30:31]
	v_cmp_ngt_f32_e64 s[30:31], s33, v6
	v_add_f32_e32 v4, v4, v8
	v_cndmask_b32_e64 v20, 0, v20, s[30:31]
	v_cmp_nlt_f32_e64 s[30:31], s35, v6
	v_sub_f32_e32 v2, v16, v2
	v_add_f32_e32 v4, v4, v7
	v_cndmask_b32_e64 v6, v30, v20, s[30:31]
	v_mul_f32_e32 v16, 0x3fb8aa3b, v2
	v_add_f32_e32 v20, v4, v6
	v_ldexp_f32 v4, v21, v22
	v_fma_f32 v21, v2, s34, -v16
	v_rndne_f32_e32 v22, v16
	v_fmac_f32_e32 v21, 0x32a5705f, v2
	v_sub_f32_e32 v16, v16, v22
	v_add_f32_e32 v16, v16, v21
	v_exp_f32_e32 v16, v16
	v_cvt_i32_f32_e32 v21, v22
	v_cmp_ngt_f32_e64 s[30:31], s33, v18
	v_cndmask_b32_e64 v4, 0, v4, s[30:31]
	v_cmp_nlt_f32_e64 s[30:31], s35, v18
	v_cndmask_b32_e64 v4, v30, v4, s[30:31]
	v_ldexp_f32 v16, v16, v21
	v_cmp_ngt_f32_e64 s[30:31], s33, v2
	v_cndmask_b32_e64 v16, 0, v16, s[30:31]
	v_cmp_nlt_f32_e64 s[30:31], s35, v2
	v_add_f32_e32 v18, v20, v4
	v_cndmask_b32_e64 v2, v30, v16, s[30:31]
	v_add_f32_e32 v16, v18, v2
	ds_bpermute_b32 v3, v3, v16
	v_cmp_lt_i32_e64 s[30:31], 0, v5
	s_waitcnt lgkmcnt(0)
	v_add_f32_e32 v3, v16, v3
	ds_bpermute_b32 v16, v24, v3
	s_waitcnt lgkmcnt(0)
	v_add_f32_e32 v3, v3, v16
	ds_bpermute_b32 v16, v25, v3
	;; [unrolled: 3-line block ×5, first 2 shown]
	s_and_saveexec_b64 s[34:35], s[30:31]
	s_cbranch_execz .LBB426_82
; %bb.33:
	s_and_b64 exec, exec, vcc
	s_cbranch_execz .LBB426_82
; %bb.34:
	s_waitcnt lgkmcnt(0)
	v_add_f32_e32 v3, v3, v16
	v_cmp_neq_f32_e64 s[30:31], 0, v3
	v_mov_b32_e32 v5, 0x7e00
	s_and_saveexec_b64 s[34:35], s[30:31]
	s_cbranch_execz .LBB426_36
; %bb.35:
	v_div_scale_f32 v5, s[38:39], v3, v3, v28
	v_rcp_f32_e32 v16, v5
	v_div_scale_f32 v18, vcc, v28, v3, v28
	v_fma_f32 v20, -v5, v16, 1.0
	v_fmac_f32_e32 v16, v20, v16
	v_mul_f32_e32 v20, v18, v16
	v_fma_f32 v21, -v5, v20, v18
	v_fmac_f32_e32 v20, v21, v16
	v_fma_f32 v5, -v5, v20, v18
	v_div_fmas_f32 v5, v5, v16, v20
	v_div_fixup_f32 v5, v5, v3, v28
	v_cvt_f16_f32_e32 v5, v5
.LBB426_36:
	s_or_b64 exec, exec, s[34:35]
	v_mov_b32_e32 v16, s37
	v_add_co_u32_e32 v0, vcc, s36, v0
	v_addc_co_u32_e32 v1, vcc, v16, v1, vcc
	global_store_short v[0:1], v5, off
	s_and_b64 exec, exec, s[28:29]
	s_cbranch_execz .LBB426_82
; %bb.37:
	v_mov_b32_e32 v5, 0x7e00
	s_and_saveexec_b64 s[28:29], s[30:31]
	s_cbranch_execz .LBB426_39
; %bb.38:
	v_div_scale_f32 v5, s[34:35], v3, v3, v23
	v_rcp_f32_e32 v16, v5
	v_div_scale_f32 v18, vcc, v23, v3, v23
	v_fma_f32 v20, -v5, v16, 1.0
	v_fmac_f32_e32 v16, v20, v16
	v_mul_f32_e32 v20, v18, v16
	v_fma_f32 v21, -v5, v20, v18
	v_fmac_f32_e32 v20, v21, v16
	v_fma_f32 v5, -v5, v20, v18
	v_div_fmas_f32 v5, v5, v16, v20
	v_div_fixup_f32 v5, v5, v3, v23
	v_cvt_f16_f32_e32 v5, v5
.LBB426_39:
	s_or_b64 exec, exec, s[28:29]
	global_store_short v[0:1], v5, off offset:128
	s_and_b64 exec, exec, s[26:27]
	s_cbranch_execz .LBB426_82
; %bb.40:
	v_mov_b32_e32 v5, 0x7e00
	s_and_saveexec_b64 s[26:27], s[30:31]
	s_cbranch_execz .LBB426_42
; %bb.41:
	v_div_scale_f32 v5, s[28:29], v3, v3, v19
	v_rcp_f32_e32 v16, v5
	v_div_scale_f32 v18, vcc, v19, v3, v19
	v_fma_f32 v20, -v5, v16, 1.0
	v_fmac_f32_e32 v16, v20, v16
	v_mul_f32_e32 v20, v18, v16
	v_fma_f32 v21, -v5, v20, v18
	v_fmac_f32_e32 v20, v21, v16
	v_fma_f32 v5, -v5, v20, v18
	v_div_fmas_f32 v5, v5, v16, v20
	v_div_fixup_f32 v5, v5, v3, v19
	v_cvt_f16_f32_e32 v5, v5
.LBB426_42:
	s_or_b64 exec, exec, s[26:27]
	global_store_short v[0:1], v5, off offset:256
	;; [unrolled: 22-line block ×15, first 2 shown]
.LBB426_82:
	s_endpgm
	.section	.rodata,"a",@progbits
	.p2align	6, 0x0
	.amdhsa_kernel _ZN12_GLOBAL__N_120softmax_warp_forwardIN3c104HalfES2_fLi10ELb0ELb0ELi64EEEvPT0_PKT_iiiPKbib
		.amdhsa_group_segment_fixed_size 0
		.amdhsa_private_segment_fixed_size 0
		.amdhsa_kernarg_size 304
		.amdhsa_user_sgpr_count 6
		.amdhsa_user_sgpr_private_segment_buffer 1
		.amdhsa_user_sgpr_dispatch_ptr 0
		.amdhsa_user_sgpr_queue_ptr 0
		.amdhsa_user_sgpr_kernarg_segment_ptr 1
		.amdhsa_user_sgpr_dispatch_id 0
		.amdhsa_user_sgpr_flat_scratch_init 0
		.amdhsa_user_sgpr_kernarg_preload_length 0
		.amdhsa_user_sgpr_kernarg_preload_offset 0
		.amdhsa_user_sgpr_private_segment_size 0
		.amdhsa_uses_dynamic_stack 0
		.amdhsa_system_sgpr_private_segment_wavefront_offset 0
		.amdhsa_system_sgpr_workgroup_id_x 1
		.amdhsa_system_sgpr_workgroup_id_y 0
		.amdhsa_system_sgpr_workgroup_id_z 0
		.amdhsa_system_sgpr_workgroup_info 0
		.amdhsa_system_vgpr_workitem_id 1
		.amdhsa_next_free_vgpr 32
		.amdhsa_next_free_sgpr 44
		.amdhsa_accum_offset 32
		.amdhsa_reserve_vcc 1
		.amdhsa_reserve_flat_scratch 0
		.amdhsa_float_round_mode_32 0
		.amdhsa_float_round_mode_16_64 0
		.amdhsa_float_denorm_mode_32 3
		.amdhsa_float_denorm_mode_16_64 3
		.amdhsa_dx10_clamp 1
		.amdhsa_ieee_mode 1
		.amdhsa_fp16_overflow 0
		.amdhsa_tg_split 0
		.amdhsa_exception_fp_ieee_invalid_op 0
		.amdhsa_exception_fp_denorm_src 0
		.amdhsa_exception_fp_ieee_div_zero 0
		.amdhsa_exception_fp_ieee_overflow 0
		.amdhsa_exception_fp_ieee_underflow 0
		.amdhsa_exception_fp_ieee_inexact 0
		.amdhsa_exception_int_div_zero 0
	.end_amdhsa_kernel
	.section	.text._ZN12_GLOBAL__N_120softmax_warp_forwardIN3c104HalfES2_fLi10ELb0ELb0ELi64EEEvPT0_PKT_iiiPKbib,"axG",@progbits,_ZN12_GLOBAL__N_120softmax_warp_forwardIN3c104HalfES2_fLi10ELb0ELb0ELi64EEEvPT0_PKT_iiiPKbib,comdat
.Lfunc_end426:
	.size	_ZN12_GLOBAL__N_120softmax_warp_forwardIN3c104HalfES2_fLi10ELb0ELb0ELi64EEEvPT0_PKT_iiiPKbib, .Lfunc_end426-_ZN12_GLOBAL__N_120softmax_warp_forwardIN3c104HalfES2_fLi10ELb0ELb0ELi64EEEvPT0_PKT_iiiPKbib
                                        ; -- End function
	.section	.AMDGPU.csdata,"",@progbits
; Kernel info:
; codeLenInByte = 4976
; NumSgprs: 48
; NumVgprs: 32
; NumAgprs: 0
; TotalNumVgprs: 32
; ScratchSize: 0
; MemoryBound: 0
; FloatMode: 240
; IeeeMode: 1
; LDSByteSize: 0 bytes/workgroup (compile time only)
; SGPRBlocks: 5
; VGPRBlocks: 3
; NumSGPRsForWavesPerEU: 48
; NumVGPRsForWavesPerEU: 32
; AccumOffset: 32
; Occupancy: 8
; WaveLimiterHint : 0
; COMPUTE_PGM_RSRC2:SCRATCH_EN: 0
; COMPUTE_PGM_RSRC2:USER_SGPR: 6
; COMPUTE_PGM_RSRC2:TRAP_HANDLER: 0
; COMPUTE_PGM_RSRC2:TGID_X_EN: 1
; COMPUTE_PGM_RSRC2:TGID_Y_EN: 0
; COMPUTE_PGM_RSRC2:TGID_Z_EN: 0
; COMPUTE_PGM_RSRC2:TIDIG_COMP_CNT: 1
; COMPUTE_PGM_RSRC3_GFX90A:ACCUM_OFFSET: 7
; COMPUTE_PGM_RSRC3_GFX90A:TG_SPLIT: 0
	.section	.text._ZN12_GLOBAL__N_120softmax_warp_forwardIN3c104HalfES2_fLi10ELb0ELb0ELi32EEEvPT0_PKT_iiiPKbib,"axG",@progbits,_ZN12_GLOBAL__N_120softmax_warp_forwardIN3c104HalfES2_fLi10ELb0ELb0ELi32EEEvPT0_PKT_iiiPKbib,comdat
	.globl	_ZN12_GLOBAL__N_120softmax_warp_forwardIN3c104HalfES2_fLi10ELb0ELb0ELi32EEEvPT0_PKT_iiiPKbib ; -- Begin function _ZN12_GLOBAL__N_120softmax_warp_forwardIN3c104HalfES2_fLi10ELb0ELb0ELi32EEEvPT0_PKT_iiiPKbib
	.p2align	8
	.type	_ZN12_GLOBAL__N_120softmax_warp_forwardIN3c104HalfES2_fLi10ELb0ELb0ELi32EEEvPT0_PKT_iiiPKbib,@function
_ZN12_GLOBAL__N_120softmax_warp_forwardIN3c104HalfES2_fLi10ELb0ELb0ELi32EEEvPT0_PKT_iiiPKbib: ; @_ZN12_GLOBAL__N_120softmax_warp_forwardIN3c104HalfES2_fLi10ELb0ELb0ELi32EEEvPT0_PKT_iiiPKbib
; %bb.0:
	s_load_dword s0, s[4:5], 0x3c
	s_load_dwordx8 s[68:75], s[4:5], 0x0
	v_bfe_u32 v1, v0, 10, 10
	v_and_b32_e32 v4, 0x3ff, v0
	v_mov_b32_e32 v27, 0xff800000
	s_waitcnt lgkmcnt(0)
	s_lshr_b32 s0, s0, 16
	s_mul_i32 s6, s6, s0
	v_add_u32_e32 v1, s6, v1
	v_sub_u32_e32 v5, s72, v1
	v_mad_u64_u32 v[0:1], s[0:1], v1, s73, v[4:5]
	v_ashrrev_i32_e32 v1, 31, v0
	v_lshlrev_b64 v[0:1], 1, v[0:1]
	v_mov_b32_e32 v3, s71
	v_add_co_u32_e32 v2, vcc, s70, v0
	v_addc_co_u32_e32 v3, vcc, v3, v1, vcc
	v_cmp_lt_i32_e64 s[64:65], 0, v5
	v_cmp_gt_i32_e32 vcc, s74, v4
	s_and_b64 s[2:3], s[64:65], vcc
	v_mov_b32_e32 v36, 0xff800000
	s_and_saveexec_b64 s[0:1], s[2:3]
	s_cbranch_execz .LBB427_2
; %bb.1:
	global_load_ushort v6, v[2:3], off
	s_waitcnt vmcnt(0)
	v_cvt_f32_f16_e32 v36, v6
.LBB427_2:
	s_or_b64 exec, exec, s[0:1]
	v_add_u32_e32 v6, 32, v4
	v_cmp_gt_i32_e64 s[62:63], s74, v6
	s_and_b64 s[2:3], s[64:65], s[62:63]
	s_and_saveexec_b64 s[0:1], s[2:3]
	s_cbranch_execz .LBB427_4
; %bb.3:
	global_load_ushort v6, v[2:3], off offset:64
	s_waitcnt vmcnt(0)
	v_cvt_f32_f16_e32 v27, v6
.LBB427_4:
	s_or_b64 exec, exec, s[0:1]
	v_add_u32_e32 v6, 64, v4
	v_cmp_gt_i32_e64 s[60:61], s74, v6
	s_and_b64 s[2:3], s[64:65], s[60:61]
	v_mov_b32_e32 v25, 0xff800000
	v_mov_b32_e32 v32, 0xff800000
	s_and_saveexec_b64 s[0:1], s[2:3]
	s_cbranch_execz .LBB427_6
; %bb.5:
	global_load_ushort v6, v[2:3], off offset:128
	s_waitcnt vmcnt(0)
	v_cvt_f32_f16_e32 v32, v6
.LBB427_6:
	s_or_b64 exec, exec, s[0:1]
	v_add_u32_e32 v6, 0x60, v4
	v_cmp_gt_i32_e64 s[58:59], s74, v6
	s_and_b64 s[2:3], s[64:65], s[58:59]
	s_and_saveexec_b64 s[0:1], s[2:3]
	s_cbranch_execz .LBB427_8
; %bb.7:
	global_load_ushort v6, v[2:3], off offset:192
	s_waitcnt vmcnt(0)
	v_cvt_f32_f16_e32 v25, v6
.LBB427_8:
	s_or_b64 exec, exec, s[0:1]
	v_add_u32_e32 v6, 0x80, v4
	v_cmp_gt_i32_e64 s[56:57], s74, v6
	s_and_b64 s[2:3], s[64:65], s[56:57]
	v_mov_b32_e32 v23, 0xff800000
	v_mov_b32_e32 v30, 0xff800000
	s_and_saveexec_b64 s[0:1], s[2:3]
	s_cbranch_execz .LBB427_10
; %bb.9:
	global_load_ushort v6, v[2:3], off offset:256
	s_waitcnt vmcnt(0)
	v_cvt_f32_f16_e32 v30, v6
.LBB427_10:
	s_or_b64 exec, exec, s[0:1]
	v_add_u32_e32 v6, 0xa0, v4
	v_cmp_gt_i32_e64 s[54:55], s74, v6
	s_and_b64 s[2:3], s[64:65], s[54:55]
	s_and_saveexec_b64 s[0:1], s[2:3]
	s_cbranch_execz .LBB427_12
; %bb.11:
	global_load_ushort v6, v[2:3], off offset:320
	s_waitcnt vmcnt(0)
	v_cvt_f32_f16_e32 v23, v6
.LBB427_12:
	s_or_b64 exec, exec, s[0:1]
	v_add_u32_e32 v6, 0xc0, v4
	v_cmp_gt_i32_e64 s[52:53], s74, v6
	s_and_b64 s[2:3], s[64:65], s[52:53]
	v_mov_b32_e32 v21, 0xff800000
	v_mov_b32_e32 v29, 0xff800000
	s_and_saveexec_b64 s[0:1], s[2:3]
	s_cbranch_execz .LBB427_14
; %bb.13:
	global_load_ushort v6, v[2:3], off offset:384
	s_waitcnt vmcnt(0)
	v_cvt_f32_f16_e32 v29, v6
.LBB427_14:
	s_or_b64 exec, exec, s[0:1]
	v_add_u32_e32 v6, 0xe0, v4
	v_cmp_gt_i32_e64 s[50:51], s74, v6
	s_and_b64 s[2:3], s[64:65], s[50:51]
	s_and_saveexec_b64 s[0:1], s[2:3]
	s_cbranch_execz .LBB427_16
; %bb.15:
	global_load_ushort v6, v[2:3], off offset:448
	s_waitcnt vmcnt(0)
	v_cvt_f32_f16_e32 v21, v6
.LBB427_16:
	s_or_b64 exec, exec, s[0:1]
	v_add_u32_e32 v6, 0x100, v4
	v_cmp_gt_i32_e64 s[48:49], s74, v6
	s_and_b64 s[2:3], s[64:65], s[48:49]
	v_mov_b32_e32 v19, 0xff800000
	v_mov_b32_e32 v28, 0xff800000
	s_and_saveexec_b64 s[0:1], s[2:3]
	s_cbranch_execz .LBB427_18
; %bb.17:
	global_load_ushort v6, v[2:3], off offset:512
	s_waitcnt vmcnt(0)
	v_cvt_f32_f16_e32 v28, v6
.LBB427_18:
	s_or_b64 exec, exec, s[0:1]
	v_add_u32_e32 v6, 0x120, v4
	v_cmp_gt_i32_e64 s[46:47], s74, v6
	s_and_b64 s[2:3], s[64:65], s[46:47]
	s_and_saveexec_b64 s[0:1], s[2:3]
	s_cbranch_execz .LBB427_20
; %bb.19:
	global_load_ushort v6, v[2:3], off offset:576
	s_waitcnt vmcnt(0)
	v_cvt_f32_f16_e32 v19, v6
.LBB427_20:
	s_or_b64 exec, exec, s[0:1]
	v_add_u32_e32 v6, 0x140, v4
	v_cmp_gt_i32_e64 s[44:45], s74, v6
	s_and_b64 s[2:3], s[64:65], s[44:45]
	v_mov_b32_e32 v17, 0xff800000
	v_mov_b32_e32 v26, 0xff800000
	s_and_saveexec_b64 s[0:1], s[2:3]
	s_cbranch_execz .LBB427_22
; %bb.21:
	global_load_ushort v6, v[2:3], off offset:640
	s_waitcnt vmcnt(0)
	v_cvt_f32_f16_e32 v26, v6
.LBB427_22:
	s_or_b64 exec, exec, s[0:1]
	v_add_u32_e32 v6, 0x160, v4
	v_cmp_gt_i32_e64 s[42:43], s74, v6
	s_and_b64 s[2:3], s[64:65], s[42:43]
	s_and_saveexec_b64 s[0:1], s[2:3]
	s_cbranch_execz .LBB427_24
; %bb.23:
	global_load_ushort v6, v[2:3], off offset:704
	s_waitcnt vmcnt(0)
	v_cvt_f32_f16_e32 v17, v6
.LBB427_24:
	s_or_b64 exec, exec, s[0:1]
	v_add_u32_e32 v6, 0x180, v4
	v_cmp_gt_i32_e64 s[40:41], s74, v6
	s_and_b64 s[2:3], s[64:65], s[40:41]
	v_mov_b32_e32 v15, 0xff800000
	v_mov_b32_e32 v24, 0xff800000
	s_and_saveexec_b64 s[0:1], s[2:3]
	s_cbranch_execz .LBB427_26
; %bb.25:
	global_load_ushort v6, v[2:3], off offset:768
	s_waitcnt vmcnt(0)
	v_cvt_f32_f16_e32 v24, v6
.LBB427_26:
	s_or_b64 exec, exec, s[0:1]
	v_add_u32_e32 v6, 0x1a0, v4
	v_cmp_gt_i32_e64 s[38:39], s74, v6
	s_and_b64 s[2:3], s[64:65], s[38:39]
	s_and_saveexec_b64 s[0:1], s[2:3]
	s_cbranch_execz .LBB427_28
; %bb.27:
	global_load_ushort v6, v[2:3], off offset:832
	s_waitcnt vmcnt(0)
	v_cvt_f32_f16_e32 v15, v6
.LBB427_28:
	s_or_b64 exec, exec, s[0:1]
	v_add_u32_e32 v6, 0x1c0, v4
	v_cmp_gt_i32_e64 s[36:37], s74, v6
	s_and_b64 s[2:3], s[64:65], s[36:37]
	v_mov_b32_e32 v13, 0xff800000
	v_mov_b32_e32 v22, 0xff800000
	s_and_saveexec_b64 s[0:1], s[2:3]
	s_cbranch_execz .LBB427_30
; %bb.29:
	global_load_ushort v6, v[2:3], off offset:896
	s_waitcnt vmcnt(0)
	v_cvt_f32_f16_e32 v22, v6
.LBB427_30:
	s_or_b64 exec, exec, s[0:1]
	v_add_u32_e32 v6, 0x1e0, v4
	v_cmp_gt_i32_e64 s[34:35], s74, v6
	s_and_b64 s[2:3], s[64:65], s[34:35]
	s_and_saveexec_b64 s[0:1], s[2:3]
	s_cbranch_execz .LBB427_32
; %bb.31:
	global_load_ushort v6, v[2:3], off offset:960
	s_waitcnt vmcnt(0)
	v_cvt_f32_f16_e32 v13, v6
.LBB427_32:
	s_or_b64 exec, exec, s[0:1]
	v_add_u32_e32 v6, 0x200, v4
	v_cmp_gt_i32_e64 s[30:31], s74, v6
	s_and_b64 s[2:3], s[64:65], s[30:31]
	v_mov_b32_e32 v12, 0xff800000
	v_mov_b32_e32 v20, 0xff800000
	s_and_saveexec_b64 s[0:1], s[2:3]
	s_cbranch_execz .LBB427_34
; %bb.33:
	global_load_ushort v6, v[2:3], off offset:1024
	s_waitcnt vmcnt(0)
	v_cvt_f32_f16_e32 v20, v6
.LBB427_34:
	s_or_b64 exec, exec, s[0:1]
	v_add_u32_e32 v6, 0x220, v4
	v_cmp_gt_i32_e64 s[28:29], s74, v6
	s_and_b64 s[2:3], s[64:65], s[28:29]
	s_and_saveexec_b64 s[0:1], s[2:3]
	s_cbranch_execz .LBB427_36
; %bb.35:
	global_load_ushort v6, v[2:3], off offset:1088
	s_waitcnt vmcnt(0)
	v_cvt_f32_f16_e32 v12, v6
.LBB427_36:
	s_or_b64 exec, exec, s[0:1]
	v_add_u32_e32 v6, 0x240, v4
	v_cmp_gt_i32_e64 s[26:27], s74, v6
	s_and_b64 s[2:3], s[64:65], s[26:27]
	v_mov_b32_e32 v11, 0xff800000
	v_mov_b32_e32 v18, 0xff800000
	s_and_saveexec_b64 s[0:1], s[2:3]
	s_cbranch_execz .LBB427_38
; %bb.37:
	global_load_ushort v6, v[2:3], off offset:1152
	s_waitcnt vmcnt(0)
	v_cvt_f32_f16_e32 v18, v6
.LBB427_38:
	s_or_b64 exec, exec, s[0:1]
	v_add_u32_e32 v6, 0x260, v4
	v_cmp_gt_i32_e64 s[24:25], s74, v6
	s_and_b64 s[2:3], s[64:65], s[24:25]
	s_and_saveexec_b64 s[0:1], s[2:3]
	s_cbranch_execz .LBB427_40
; %bb.39:
	global_load_ushort v6, v[2:3], off offset:1216
	s_waitcnt vmcnt(0)
	v_cvt_f32_f16_e32 v11, v6
.LBB427_40:
	s_or_b64 exec, exec, s[0:1]
	v_add_u32_e32 v6, 0x280, v4
	v_cmp_gt_i32_e64 s[22:23], s74, v6
	s_and_b64 s[2:3], s[64:65], s[22:23]
	v_mov_b32_e32 v10, 0xff800000
	v_mov_b32_e32 v16, 0xff800000
	s_and_saveexec_b64 s[0:1], s[2:3]
	s_cbranch_execz .LBB427_42
; %bb.41:
	global_load_ushort v6, v[2:3], off offset:1280
	s_waitcnt vmcnt(0)
	v_cvt_f32_f16_e32 v16, v6
.LBB427_42:
	s_or_b64 exec, exec, s[0:1]
	v_add_u32_e32 v6, 0x2a0, v4
	v_cmp_gt_i32_e64 s[20:21], s74, v6
	s_and_b64 s[2:3], s[64:65], s[20:21]
	s_and_saveexec_b64 s[0:1], s[2:3]
	s_cbranch_execz .LBB427_44
; %bb.43:
	global_load_ushort v6, v[2:3], off offset:1344
	s_waitcnt vmcnt(0)
	v_cvt_f32_f16_e32 v10, v6
.LBB427_44:
	s_or_b64 exec, exec, s[0:1]
	v_add_u32_e32 v6, 0x2c0, v4
	v_cmp_gt_i32_e64 s[18:19], s74, v6
	s_and_b64 s[2:3], s[64:65], s[18:19]
	v_mov_b32_e32 v9, 0xff800000
	v_mov_b32_e32 v14, 0xff800000
	s_and_saveexec_b64 s[0:1], s[2:3]
	s_cbranch_execz .LBB427_46
; %bb.45:
	global_load_ushort v6, v[2:3], off offset:1408
	s_waitcnt vmcnt(0)
	v_cvt_f32_f16_e32 v14, v6
.LBB427_46:
	s_or_b64 exec, exec, s[0:1]
	v_add_u32_e32 v6, 0x2e0, v4
	v_cmp_gt_i32_e64 s[16:17], s74, v6
	s_and_b64 s[2:3], s[64:65], s[16:17]
	s_and_saveexec_b64 s[0:1], s[2:3]
	s_cbranch_execz .LBB427_48
; %bb.47:
	global_load_ushort v6, v[2:3], off offset:1472
	s_waitcnt vmcnt(0)
	v_cvt_f32_f16_e32 v9, v6
.LBB427_48:
	s_or_b64 exec, exec, s[0:1]
	v_add_u32_e32 v6, 0x300, v4
	v_cmp_gt_i32_e64 s[14:15], s74, v6
	s_and_b64 s[2:3], s[64:65], s[14:15]
	v_mov_b32_e32 v8, 0xff800000
	v_mov_b32_e32 v37, 0xff800000
	s_and_saveexec_b64 s[0:1], s[2:3]
	s_cbranch_execz .LBB427_50
; %bb.49:
	global_load_ushort v6, v[2:3], off offset:1536
	s_waitcnt vmcnt(0)
	v_cvt_f32_f16_e32 v37, v6
.LBB427_50:
	s_or_b64 exec, exec, s[0:1]
	v_add_u32_e32 v6, 0x320, v4
	v_cmp_gt_i32_e64 s[12:13], s74, v6
	s_and_b64 s[2:3], s[64:65], s[12:13]
	s_and_saveexec_b64 s[0:1], s[2:3]
	s_cbranch_execz .LBB427_52
; %bb.51:
	global_load_ushort v6, v[2:3], off offset:1600
	s_waitcnt vmcnt(0)
	v_cvt_f32_f16_e32 v8, v6
.LBB427_52:
	s_or_b64 exec, exec, s[0:1]
	v_add_u32_e32 v6, 0x340, v4
	v_cmp_gt_i32_e64 s[10:11], s74, v6
	s_and_b64 s[2:3], s[64:65], s[10:11]
	v_mov_b32_e32 v7, 0xff800000
	v_mov_b32_e32 v35, 0xff800000
	s_and_saveexec_b64 s[0:1], s[2:3]
	s_cbranch_execz .LBB427_54
; %bb.53:
	global_load_ushort v6, v[2:3], off offset:1664
	s_waitcnt vmcnt(0)
	v_cvt_f32_f16_e32 v35, v6
.LBB427_54:
	s_or_b64 exec, exec, s[0:1]
	v_add_u32_e32 v6, 0x360, v4
	v_cmp_gt_i32_e64 s[8:9], s74, v6
	s_and_b64 s[2:3], s[64:65], s[8:9]
	s_and_saveexec_b64 s[0:1], s[2:3]
	s_cbranch_execz .LBB427_56
; %bb.55:
	global_load_ushort v6, v[2:3], off offset:1728
	s_waitcnt vmcnt(0)
	v_cvt_f32_f16_e32 v7, v6
.LBB427_56:
	s_or_b64 exec, exec, s[0:1]
	v_add_u32_e32 v6, 0x380, v4
	v_cmp_gt_i32_e64 s[6:7], s74, v6
	s_and_b64 s[2:3], s[64:65], s[6:7]
	v_mov_b32_e32 v6, 0xff800000
	v_mov_b32_e32 v34, 0xff800000
	s_and_saveexec_b64 s[0:1], s[2:3]
	s_cbranch_execz .LBB427_58
; %bb.57:
	global_load_ushort v31, v[2:3], off offset:1792
	s_waitcnt vmcnt(0)
	v_cvt_f32_f16_e32 v34, v31
.LBB427_58:
	s_or_b64 exec, exec, s[0:1]
	v_add_u32_e32 v31, 0x3a0, v4
	v_cmp_gt_i32_e64 s[4:5], s74, v31
	s_and_b64 s[2:3], s[64:65], s[4:5]
	s_and_saveexec_b64 s[0:1], s[2:3]
	s_cbranch_execz .LBB427_60
; %bb.59:
	global_load_ushort v6, v[2:3], off offset:1856
	s_waitcnt vmcnt(0)
	v_cvt_f32_f16_e32 v6, v6
.LBB427_60:
	s_or_b64 exec, exec, s[0:1]
	v_add_u32_e32 v31, 0x3c0, v4
	v_cmp_gt_i32_e64 s[2:3], s74, v31
	s_and_b64 s[66:67], s[64:65], s[2:3]
	v_mov_b32_e32 v31, 0xff800000
	v_mov_b32_e32 v33, 0xff800000
	s_and_saveexec_b64 s[0:1], s[66:67]
	s_cbranch_execz .LBB427_62
; %bb.61:
	global_load_ushort v33, v[2:3], off offset:1920
	s_waitcnt vmcnt(0)
	v_cvt_f32_f16_e32 v33, v33
.LBB427_62:
	s_or_b64 exec, exec, s[0:1]
	v_add_u32_e32 v4, 0x3e0, v4
	v_cmp_gt_i32_e64 s[0:1], s74, v4
	s_and_b64 s[66:67], s[64:65], s[0:1]
	s_and_saveexec_b64 s[64:65], s[66:67]
	s_cbranch_execz .LBB427_64
; %bb.63:
	global_load_ushort v2, v[2:3], off offset:1984
	s_waitcnt vmcnt(0)
	v_cvt_f32_f16_e32 v31, v2
.LBB427_64:
	s_or_b64 exec, exec, s[64:65]
	v_cmp_gt_f32_e64 s[64:65], v36, v27
	v_cndmask_b32_e64 v2, v27, v36, s[64:65]
	v_cmp_gt_f32_e64 s[64:65], v2, v32
	v_cndmask_b32_e64 v2, v32, v2, s[64:65]
	;; [unrolled: 2-line block ×29, first 2 shown]
	v_mbcnt_lo_u32_b32 v3, -1, 0
	v_cmp_gt_f32_e64 s[64:65], v2, v33
	v_mbcnt_hi_u32_b32 v4, -1, v3
	v_cndmask_b32_e64 v2, v33, v2, s[64:65]
	v_and_b32_e32 v3, 0x60, v4
	v_cmp_gt_f32_e64 s[64:65], v2, v31
	v_add_u32_e32 v38, 32, v3
	v_xor_b32_e32 v3, 16, v4
	v_cndmask_b32_e64 v2, v31, v2, s[64:65]
	v_cmp_lt_i32_e64 s[64:65], v3, v38
	v_cndmask_b32_e64 v3, v4, v3, s[64:65]
	v_lshlrev_b32_e32 v3, 2, v3
	ds_bpermute_b32 v39, v3, v2
	s_mov_b32 s66, 0x3fb8aa3b
	s_mov_b32 s33, 0xc2ce8ed0
	;; [unrolled: 1-line block ×3, first 2 shown]
	v_mov_b32_e32 v45, 0x7f800000
	s_waitcnt lgkmcnt(0)
	v_cmp_lt_f32_e64 s[64:65], v2, v39
	v_cndmask_b32_e64 v2, v2, v39, s[64:65]
	v_xor_b32_e32 v39, 8, v4
	v_cmp_lt_i32_e64 s[64:65], v39, v38
	v_cndmask_b32_e64 v39, v4, v39, s[64:65]
	v_lshlrev_b32_e32 v40, 2, v39
	ds_bpermute_b32 v39, v40, v2
	s_waitcnt lgkmcnt(0)
	v_cmp_lt_f32_e64 s[64:65], v2, v39
	v_cndmask_b32_e64 v2, v2, v39, s[64:65]
	v_xor_b32_e32 v39, 4, v4
	v_cmp_lt_i32_e64 s[64:65], v39, v38
	v_cndmask_b32_e64 v39, v4, v39, s[64:65]
	v_lshlrev_b32_e32 v41, 2, v39
	ds_bpermute_b32 v39, v41, v2
	;; [unrolled: 8-line block ×4, first 2 shown]
	s_waitcnt lgkmcnt(0)
	v_cmp_lt_f32_e64 s[64:65], v2, v4
	v_cndmask_b32_e64 v2, v2, v4, s[64:65]
	v_sub_f32_e32 v4, v36, v2
	v_mul_f32_e32 v36, 0x3fb8aa3b, v4
	v_fma_f32 v38, v4, s66, -v36
	v_rndne_f32_e32 v39, v36
	v_fmac_f32_e32 v38, 0x32a5705f, v4
	v_sub_f32_e32 v36, v36, v39
	v_add_f32_e32 v36, v36, v38
	v_exp_f32_e32 v36, v36
	v_cvt_i32_f32_e32 v38, v39
	v_sub_f32_e32 v27, v27, v2
	v_cmp_ngt_f32_e64 s[64:65], s33, v4
	v_sub_f32_e32 v32, v32, v2
	v_ldexp_f32 v36, v36, v38
	v_mul_f32_e32 v38, 0x3fb8aa3b, v27
	v_fma_f32 v39, v27, s66, -v38
	v_rndne_f32_e32 v43, v38
	v_fmac_f32_e32 v39, 0x32a5705f, v27
	v_sub_f32_e32 v38, v38, v43
	v_add_f32_e32 v38, v38, v39
	v_exp_f32_e32 v38, v38
	v_cvt_i32_f32_e32 v39, v43
	v_cndmask_b32_e64 v36, 0, v36, s[64:65]
	v_cmp_nlt_f32_e64 s[64:65], s67, v4
	v_cndmask_b32_e64 v43, v45, v36, s[64:65]
	v_mul_f32_e32 v36, 0x3fb8aa3b, v32
	v_ldexp_f32 v4, v38, v39
	v_fma_f32 v38, v32, s66, -v36
	v_rndne_f32_e32 v39, v36
	v_fmac_f32_e32 v38, 0x32a5705f, v32
	v_sub_f32_e32 v36, v36, v39
	v_add_f32_e32 v36, v36, v38
	v_exp_f32_e32 v36, v36
	v_cvt_i32_f32_e32 v38, v39
	v_cmp_ngt_f32_e64 s[64:65], s33, v27
	v_sub_f32_e32 v25, v25, v2
	v_cndmask_b32_e64 v4, 0, v4, s[64:65]
	v_cmp_nlt_f32_e64 s[64:65], s67, v27
	v_ldexp_f32 v27, v36, v38
	v_mul_f32_e32 v36, 0x3fb8aa3b, v25
	v_fma_f32 v38, v25, s66, -v36
	v_rndne_f32_e32 v46, v36
	v_fmac_f32_e32 v38, 0x32a5705f, v25
	v_sub_f32_e32 v36, v36, v46
	v_add_f32_e32 v36, v36, v38
	v_exp_f32_e32 v36, v36
	v_cvt_i32_f32_e32 v46, v46
	v_cndmask_b32_e64 v39, v45, v4, s[64:65]
	v_cmp_ngt_f32_e64 s[64:65], s33, v32
	v_sub_f32_e32 v30, v30, v2
	v_cndmask_b32_e64 v27, 0, v27, s[64:65]
	v_cmp_nlt_f32_e64 s[64:65], s67, v32
	v_mul_f32_e32 v32, 0x3fb8aa3b, v30
	v_cndmask_b32_e64 v38, v45, v27, s[64:65]
	v_ldexp_f32 v27, v36, v46
	v_fma_f32 v36, v30, s66, -v32
	v_rndne_f32_e32 v46, v32
	v_fmac_f32_e32 v36, 0x32a5705f, v30
	v_sub_f32_e32 v32, v32, v46
	v_add_f32_e32 v32, v32, v36
	v_exp_f32_e32 v32, v32
	v_cvt_i32_f32_e32 v46, v46
	v_cmp_ngt_f32_e64 s[64:65], s33, v25
	v_cndmask_b32_e64 v27, 0, v27, s[64:65]
	v_cmp_nlt_f32_e64 s[64:65], s67, v25
	v_sub_f32_e32 v23, v23, v2
	v_cndmask_b32_e64 v36, v45, v27, s[64:65]
	v_mul_f32_e32 v27, 0x3fb8aa3b, v23
	v_ldexp_f32 v25, v32, v46
	v_fma_f32 v32, v23, s66, -v27
	v_rndne_f32_e32 v46, v27
	v_fmac_f32_e32 v32, 0x32a5705f, v23
	v_sub_f32_e32 v27, v27, v46
	v_add_f32_e32 v27, v27, v32
	v_exp_f32_e32 v27, v27
	v_cvt_i32_f32_e32 v46, v46
	v_cmp_ngt_f32_e64 s[64:65], s33, v30
	v_cndmask_b32_e64 v25, 0, v25, s[64:65]
	v_cmp_nlt_f32_e64 s[64:65], s67, v30
	v_cndmask_b32_e64 v32, v45, v25, s[64:65]
	v_ldexp_f32 v25, v27, v46
	v_sub_f32_e32 v27, v29, v2
	v_mul_f32_e32 v29, 0x3fb8aa3b, v27
	v_fma_f32 v30, v27, s66, -v29
	v_rndne_f32_e32 v46, v29
	v_fmac_f32_e32 v30, 0x32a5705f, v27
	v_sub_f32_e32 v29, v29, v46
	v_add_f32_e32 v29, v29, v30
	v_exp_f32_e32 v29, v29
	v_cvt_i32_f32_e32 v46, v46
	v_cmp_ngt_f32_e64 s[64:65], s33, v23
	v_cndmask_b32_e64 v25, 0, v25, s[64:65]
	v_cmp_nlt_f32_e64 s[64:65], s67, v23
	v_sub_f32_e32 v21, v21, v2
	v_cndmask_b32_e64 v30, v45, v25, s[64:65]
	v_mul_f32_e32 v25, 0x3fb8aa3b, v21
	v_ldexp_f32 v23, v29, v46
	v_fma_f32 v29, v21, s66, -v25
	v_rndne_f32_e32 v46, v25
	v_fmac_f32_e32 v29, 0x32a5705f, v21
	v_sub_f32_e32 v25, v25, v46
	v_add_f32_e32 v25, v25, v29
	v_exp_f32_e32 v25, v25
	v_cvt_i32_f32_e32 v46, v46
	v_cmp_ngt_f32_e64 s[64:65], s33, v27
	v_cndmask_b32_e64 v23, 0, v23, s[64:65]
	v_cmp_nlt_f32_e64 s[64:65], s67, v27
	v_cndmask_b32_e64 v29, v45, v23, s[64:65]
	v_ldexp_f32 v23, v25, v46
	v_sub_f32_e32 v25, v28, v2
	v_mul_f32_e32 v27, 0x3fb8aa3b, v25
	;; [unrolled: 28-line block ×10, first 2 shown]
	v_fma_f32 v37, v11, s66, -v12
	v_rndne_f32_e32 v46, v12
	v_fmac_f32_e32 v37, 0x32a5705f, v11
	v_sub_f32_e32 v12, v12, v46
	v_add_f32_e32 v12, v12, v37
	v_exp_f32_e32 v37, v12
	v_cvt_i32_f32_e32 v46, v46
	v_cmp_ngt_f32_e64 s[64:65], s33, v9
	v_cndmask_b32_e64 v10, 0, v10, s[64:65]
	v_cmp_nlt_f32_e64 s[64:65], s67, v9
	v_sub_f32_e32 v8, v8, v2
	v_cndmask_b32_e64 v12, v45, v10, s[64:65]
	v_mul_f32_e32 v10, 0x3fb8aa3b, v8
	v_ldexp_f32 v9, v37, v46
	v_fma_f32 v37, v8, s66, -v10
	v_rndne_f32_e32 v46, v10
	v_fmac_f32_e32 v37, 0x32a5705f, v8
	v_sub_f32_e32 v10, v10, v46
	v_add_f32_e32 v10, v10, v37
	v_exp_f32_e32 v10, v10
	v_cvt_i32_f32_e32 v37, v46
	v_cmp_ngt_f32_e64 s[64:65], s33, v11
	v_cndmask_b32_e64 v9, 0, v9, s[64:65]
	v_cmp_nlt_f32_e64 s[64:65], s67, v11
	v_sub_f32_e32 v35, v35, v2
	v_cndmask_b32_e64 v11, v45, v9, s[64:65]
	v_ldexp_f32 v9, v10, v37
	v_mul_f32_e32 v10, 0x3fb8aa3b, v35
	v_fma_f32 v37, v35, s66, -v10
	v_rndne_f32_e32 v46, v10
	v_fmac_f32_e32 v37, 0x32a5705f, v35
	v_sub_f32_e32 v10, v10, v46
	v_add_f32_e32 v10, v10, v37
	v_exp_f32_e32 v37, v10
	v_cvt_i32_f32_e32 v46, v46
	v_cmp_ngt_f32_e64 s[64:65], s33, v8
	v_cndmask_b32_e64 v9, 0, v9, s[64:65]
	v_cmp_nlt_f32_e64 s[64:65], s67, v8
	v_sub_f32_e32 v7, v7, v2
	v_cndmask_b32_e64 v10, v45, v9, s[64:65]
	v_mul_f32_e32 v9, 0x3fb8aa3b, v7
	v_ldexp_f32 v8, v37, v46
	v_fma_f32 v37, v7, s66, -v9
	v_rndne_f32_e32 v46, v9
	v_fmac_f32_e32 v37, 0x32a5705f, v7
	v_sub_f32_e32 v9, v9, v46
	v_add_f32_e32 v4, v43, v39
	v_add_f32_e32 v9, v9, v37
	;; [unrolled: 1-line block ×3, first 2 shown]
	v_exp_f32_e32 v37, v9
	v_cvt_i32_f32_e32 v46, v46
	v_add_f32_e32 v4, v4, v36
	v_add_f32_e32 v4, v4, v32
	v_cmp_ngt_f32_e64 s[64:65], s33, v35
	v_sub_f32_e32 v34, v34, v2
	v_add_f32_e32 v4, v4, v30
	v_cndmask_b32_e64 v8, 0, v8, s[64:65]
	v_cmp_nlt_f32_e64 s[64:65], s67, v35
	v_mul_f32_e32 v35, 0x3fb8aa3b, v34
	v_add_f32_e32 v4, v4, v29
	v_cndmask_b32_e64 v9, v45, v8, s[64:65]
	v_ldexp_f32 v8, v37, v46
	v_fma_f32 v37, v34, s66, -v35
	v_rndne_f32_e32 v46, v35
	v_add_f32_e32 v4, v4, v28
	v_fmac_f32_e32 v37, 0x32a5705f, v34
	v_sub_f32_e32 v35, v35, v46
	v_add_f32_e32 v4, v4, v27
	v_add_f32_e32 v35, v35, v37
	;; [unrolled: 1-line block ×3, first 2 shown]
	v_exp_f32_e32 v35, v35
	v_cvt_i32_f32_e32 v37, v46
	v_add_f32_e32 v4, v4, v25
	v_add_f32_e32 v4, v4, v24
	;; [unrolled: 1-line block ×3, first 2 shown]
	v_cmp_ngt_f32_e64 s[64:65], s33, v7
	v_sub_f32_e32 v6, v6, v2
	v_add_f32_e32 v4, v4, v22
	v_cndmask_b32_e64 v8, 0, v8, s[64:65]
	v_cmp_nlt_f32_e64 s[64:65], s67, v7
	v_ldexp_f32 v7, v35, v37
	v_mul_f32_e32 v35, 0x3fb8aa3b, v6
	v_add_f32_e32 v4, v4, v21
	v_fma_f32 v37, v6, s66, -v35
	v_rndne_f32_e32 v46, v35
	v_add_f32_e32 v4, v4, v20
	v_fmac_f32_e32 v37, 0x32a5705f, v6
	v_sub_f32_e32 v35, v35, v46
	v_add_f32_e32 v4, v4, v19
	v_add_f32_e32 v35, v35, v37
	;; [unrolled: 1-line block ×3, first 2 shown]
	v_exp_f32_e32 v35, v35
	v_cvt_i32_f32_e32 v37, v46
	v_add_f32_e32 v4, v4, v17
	v_add_f32_e32 v4, v4, v16
	;; [unrolled: 1-line block ×3, first 2 shown]
	v_cndmask_b32_e64 v8, v45, v8, s[64:65]
	v_cmp_ngt_f32_e64 s[64:65], s33, v34
	v_sub_f32_e32 v33, v33, v2
	v_add_f32_e32 v4, v4, v14
	v_cndmask_b32_e64 v7, 0, v7, s[64:65]
	v_cmp_nlt_f32_e64 s[64:65], s67, v34
	v_ldexp_f32 v34, v35, v37
	v_mul_f32_e32 v35, 0x3fb8aa3b, v33
	v_add_f32_e32 v4, v4, v13
	v_fma_f32 v37, v33, s66, -v35
	v_rndne_f32_e32 v46, v35
	v_add_f32_e32 v4, v4, v12
	v_fmac_f32_e32 v37, 0x32a5705f, v33
	v_sub_f32_e32 v35, v35, v46
	v_add_f32_e32 v4, v4, v11
	v_add_f32_e32 v35, v35, v37
	;; [unrolled: 1-line block ×3, first 2 shown]
	v_exp_f32_e32 v35, v35
	v_cvt_i32_f32_e32 v37, v46
	v_add_f32_e32 v4, v4, v9
	v_cndmask_b32_e64 v7, v45, v7, s[64:65]
	v_cmp_ngt_f32_e64 s[64:65], s33, v6
	v_add_f32_e32 v4, v4, v8
	v_cndmask_b32_e64 v34, 0, v34, s[64:65]
	v_cmp_nlt_f32_e64 s[64:65], s67, v6
	v_sub_f32_e32 v2, v31, v2
	v_add_f32_e32 v4, v4, v7
	v_cndmask_b32_e64 v6, v45, v34, s[64:65]
	v_mul_f32_e32 v31, 0x3fb8aa3b, v2
	v_add_f32_e32 v34, v4, v6
	v_ldexp_f32 v4, v35, v37
	v_fma_f32 v35, v2, s66, -v31
	v_rndne_f32_e32 v37, v31
	v_fmac_f32_e32 v35, 0x32a5705f, v2
	v_sub_f32_e32 v31, v31, v37
	v_add_f32_e32 v31, v31, v35
	v_exp_f32_e32 v31, v31
	v_cvt_i32_f32_e32 v35, v37
	v_cmp_ngt_f32_e64 s[64:65], s33, v33
	v_cndmask_b32_e64 v4, 0, v4, s[64:65]
	v_cmp_nlt_f32_e64 s[64:65], s67, v33
	v_cndmask_b32_e64 v4, v45, v4, s[64:65]
	v_ldexp_f32 v31, v31, v35
	v_cmp_ngt_f32_e64 s[64:65], s33, v2
	v_cndmask_b32_e64 v31, 0, v31, s[64:65]
	v_cmp_nlt_f32_e64 s[64:65], s67, v2
	v_add_f32_e32 v33, v34, v4
	v_cndmask_b32_e64 v2, v45, v31, s[64:65]
	v_add_f32_e32 v31, v33, v2
	ds_bpermute_b32 v3, v3, v31
	v_cmp_lt_i32_e64 s[64:65], 0, v5
	s_waitcnt lgkmcnt(0)
	v_add_f32_e32 v3, v31, v3
	ds_bpermute_b32 v31, v40, v3
	s_waitcnt lgkmcnt(0)
	v_add_f32_e32 v3, v3, v31
	ds_bpermute_b32 v31, v41, v3
	;; [unrolled: 3-line block ×4, first 2 shown]
	s_and_saveexec_b64 s[66:67], s[64:65]
	s_cbranch_execz .LBB427_162
; %bb.65:
	s_and_b64 exec, exec, vcc
	s_cbranch_execz .LBB427_162
; %bb.66:
	s_waitcnt lgkmcnt(0)
	v_add_f32_e32 v3, v3, v31
	v_cmp_neq_f32_e64 s[64:65], 0, v3
	v_mov_b32_e32 v5, 0x7e00
	s_and_saveexec_b64 s[66:67], s[64:65]
	s_cbranch_execz .LBB427_68
; %bb.67:
	v_div_scale_f32 v5, s[70:71], v3, v3, v43
	v_rcp_f32_e32 v31, v5
	v_div_scale_f32 v33, vcc, v43, v3, v43
	v_fma_f32 v34, -v5, v31, 1.0
	v_fmac_f32_e32 v31, v34, v31
	v_mul_f32_e32 v34, v33, v31
	v_fma_f32 v35, -v5, v34, v33
	v_fmac_f32_e32 v34, v35, v31
	v_fma_f32 v5, -v5, v34, v33
	v_div_fmas_f32 v5, v5, v31, v34
	v_div_fixup_f32 v5, v5, v3, v43
	v_cvt_f16_f32_e32 v5, v5
.LBB427_68:
	s_or_b64 exec, exec, s[66:67]
	v_mov_b32_e32 v31, s69
	v_add_co_u32_e32 v0, vcc, s68, v0
	v_addc_co_u32_e32 v1, vcc, v31, v1, vcc
	global_store_short v[0:1], v5, off
	s_and_b64 exec, exec, s[62:63]
	s_cbranch_execz .LBB427_162
; %bb.69:
	v_mov_b32_e32 v5, 0x7e00
	s_and_saveexec_b64 s[62:63], s[64:65]
	s_cbranch_execz .LBB427_71
; %bb.70:
	v_div_scale_f32 v5, s[66:67], v3, v3, v39
	v_rcp_f32_e32 v31, v5
	v_div_scale_f32 v33, vcc, v39, v3, v39
	v_fma_f32 v34, -v5, v31, 1.0
	v_fmac_f32_e32 v31, v34, v31
	v_mul_f32_e32 v34, v33, v31
	v_fma_f32 v35, -v5, v34, v33
	v_fmac_f32_e32 v34, v35, v31
	v_fma_f32 v5, -v5, v34, v33
	v_div_fmas_f32 v5, v5, v31, v34
	v_div_fixup_f32 v5, v5, v3, v39
	v_cvt_f16_f32_e32 v5, v5
.LBB427_71:
	s_or_b64 exec, exec, s[62:63]
	global_store_short v[0:1], v5, off offset:64
	s_and_b64 exec, exec, s[60:61]
	s_cbranch_execz .LBB427_162
; %bb.72:
	v_mov_b32_e32 v5, 0x7e00
	s_and_saveexec_b64 s[60:61], s[64:65]
	s_cbranch_execz .LBB427_74
; %bb.73:
	v_div_scale_f32 v5, s[62:63], v3, v3, v38
	v_rcp_f32_e32 v31, v5
	v_div_scale_f32 v33, vcc, v38, v3, v38
	v_fma_f32 v34, -v5, v31, 1.0
	v_fmac_f32_e32 v31, v34, v31
	v_mul_f32_e32 v34, v33, v31
	v_fma_f32 v35, -v5, v34, v33
	v_fmac_f32_e32 v34, v35, v31
	v_fma_f32 v5, -v5, v34, v33
	v_div_fmas_f32 v5, v5, v31, v34
	v_div_fixup_f32 v5, v5, v3, v38
	v_cvt_f16_f32_e32 v5, v5
.LBB427_74:
	s_or_b64 exec, exec, s[60:61]
	global_store_short v[0:1], v5, off offset:128
	;; [unrolled: 22-line block ×31, first 2 shown]
.LBB427_162:
	s_endpgm
	.section	.rodata,"a",@progbits
	.p2align	6, 0x0
	.amdhsa_kernel _ZN12_GLOBAL__N_120softmax_warp_forwardIN3c104HalfES2_fLi10ELb0ELb0ELi32EEEvPT0_PKT_iiiPKbib
		.amdhsa_group_segment_fixed_size 0
		.amdhsa_private_segment_fixed_size 0
		.amdhsa_kernarg_size 304
		.amdhsa_user_sgpr_count 6
		.amdhsa_user_sgpr_private_segment_buffer 1
		.amdhsa_user_sgpr_dispatch_ptr 0
		.amdhsa_user_sgpr_queue_ptr 0
		.amdhsa_user_sgpr_kernarg_segment_ptr 1
		.amdhsa_user_sgpr_dispatch_id 0
		.amdhsa_user_sgpr_flat_scratch_init 0
		.amdhsa_user_sgpr_kernarg_preload_length 0
		.amdhsa_user_sgpr_kernarg_preload_offset 0
		.amdhsa_user_sgpr_private_segment_size 0
		.amdhsa_uses_dynamic_stack 0
		.amdhsa_system_sgpr_private_segment_wavefront_offset 0
		.amdhsa_system_sgpr_workgroup_id_x 1
		.amdhsa_system_sgpr_workgroup_id_y 0
		.amdhsa_system_sgpr_workgroup_id_z 0
		.amdhsa_system_sgpr_workgroup_info 0
		.amdhsa_system_vgpr_workitem_id 1
		.amdhsa_next_free_vgpr 47
		.amdhsa_next_free_sgpr 76
		.amdhsa_accum_offset 48
		.amdhsa_reserve_vcc 1
		.amdhsa_reserve_flat_scratch 0
		.amdhsa_float_round_mode_32 0
		.amdhsa_float_round_mode_16_64 0
		.amdhsa_float_denorm_mode_32 3
		.amdhsa_float_denorm_mode_16_64 3
		.amdhsa_dx10_clamp 1
		.amdhsa_ieee_mode 1
		.amdhsa_fp16_overflow 0
		.amdhsa_tg_split 0
		.amdhsa_exception_fp_ieee_invalid_op 0
		.amdhsa_exception_fp_denorm_src 0
		.amdhsa_exception_fp_ieee_div_zero 0
		.amdhsa_exception_fp_ieee_overflow 0
		.amdhsa_exception_fp_ieee_underflow 0
		.amdhsa_exception_fp_ieee_inexact 0
		.amdhsa_exception_int_div_zero 0
	.end_amdhsa_kernel
	.section	.text._ZN12_GLOBAL__N_120softmax_warp_forwardIN3c104HalfES2_fLi10ELb0ELb0ELi32EEEvPT0_PKT_iiiPKbib,"axG",@progbits,_ZN12_GLOBAL__N_120softmax_warp_forwardIN3c104HalfES2_fLi10ELb0ELb0ELi32EEEvPT0_PKT_iiiPKbib,comdat
.Lfunc_end427:
	.size	_ZN12_GLOBAL__N_120softmax_warp_forwardIN3c104HalfES2_fLi10ELb0ELb0ELi32EEEvPT0_PKT_iiiPKbib, .Lfunc_end427-_ZN12_GLOBAL__N_120softmax_warp_forwardIN3c104HalfES2_fLi10ELb0ELb0ELi32EEEvPT0_PKT_iiiPKbib
                                        ; -- End function
	.section	.AMDGPU.csdata,"",@progbits
; Kernel info:
; codeLenInByte = 9324
; NumSgprs: 80
; NumVgprs: 47
; NumAgprs: 0
; TotalNumVgprs: 47
; ScratchSize: 0
; MemoryBound: 0
; FloatMode: 240
; IeeeMode: 1
; LDSByteSize: 0 bytes/workgroup (compile time only)
; SGPRBlocks: 9
; VGPRBlocks: 5
; NumSGPRsForWavesPerEU: 80
; NumVGPRsForWavesPerEU: 47
; AccumOffset: 48
; Occupancy: 8
; WaveLimiterHint : 0
; COMPUTE_PGM_RSRC2:SCRATCH_EN: 0
; COMPUTE_PGM_RSRC2:USER_SGPR: 6
; COMPUTE_PGM_RSRC2:TRAP_HANDLER: 0
; COMPUTE_PGM_RSRC2:TGID_X_EN: 1
; COMPUTE_PGM_RSRC2:TGID_Y_EN: 0
; COMPUTE_PGM_RSRC2:TGID_Z_EN: 0
; COMPUTE_PGM_RSRC2:TIDIG_COMP_CNT: 1
; COMPUTE_PGM_RSRC3_GFX90A:ACCUM_OFFSET: 11
; COMPUTE_PGM_RSRC3_GFX90A:TG_SPLIT: 0
	.section	.text._ZN12_GLOBAL__N_120softmax_warp_forwardIN3c104HalfES2_fLi11ELb0ELb0ELi64EEEvPT0_PKT_iiiPKbib,"axG",@progbits,_ZN12_GLOBAL__N_120softmax_warp_forwardIN3c104HalfES2_fLi11ELb0ELb0ELi64EEEvPT0_PKT_iiiPKbib,comdat
	.globl	_ZN12_GLOBAL__N_120softmax_warp_forwardIN3c104HalfES2_fLi11ELb0ELb0ELi64EEEvPT0_PKT_iiiPKbib ; -- Begin function _ZN12_GLOBAL__N_120softmax_warp_forwardIN3c104HalfES2_fLi11ELb0ELb0ELi64EEEvPT0_PKT_iiiPKbib
	.p2align	8
	.type	_ZN12_GLOBAL__N_120softmax_warp_forwardIN3c104HalfES2_fLi11ELb0ELb0ELi64EEEvPT0_PKT_iiiPKbib,@function
_ZN12_GLOBAL__N_120softmax_warp_forwardIN3c104HalfES2_fLi11ELb0ELb0ELi64EEEvPT0_PKT_iiiPKbib: ; @_ZN12_GLOBAL__N_120softmax_warp_forwardIN3c104HalfES2_fLi11ELb0ELb0ELi64EEEvPT0_PKT_iiiPKbib
; %bb.0:
	s_load_dword s0, s[4:5], 0x3c
	s_load_dwordx8 s[68:75], s[4:5], 0x0
	v_bfe_u32 v1, v0, 10, 10
	v_and_b32_e32 v4, 0x3ff, v0
	v_mov_b32_e32 v27, 0xff800000
	s_waitcnt lgkmcnt(0)
	s_lshr_b32 s0, s0, 16
	s_mul_i32 s6, s6, s0
	v_add_u32_e32 v1, s6, v1
	v_sub_u32_e32 v5, s72, v1
	v_mad_u64_u32 v[0:1], s[0:1], v1, s73, v[4:5]
	v_ashrrev_i32_e32 v1, 31, v0
	v_lshlrev_b64 v[0:1], 1, v[0:1]
	v_mov_b32_e32 v3, s71
	v_add_co_u32_e32 v2, vcc, s70, v0
	v_addc_co_u32_e32 v3, vcc, v3, v1, vcc
	v_cmp_lt_i32_e64 s[64:65], 0, v5
	v_cmp_gt_i32_e32 vcc, s74, v4
	s_and_b64 s[2:3], s[64:65], vcc
	v_mov_b32_e32 v37, 0xff800000
	s_and_saveexec_b64 s[0:1], s[2:3]
	s_cbranch_execz .LBB428_2
; %bb.1:
	global_load_ushort v6, v[2:3], off
	s_waitcnt vmcnt(0)
	v_cvt_f32_f16_e32 v37, v6
.LBB428_2:
	s_or_b64 exec, exec, s[0:1]
	v_add_u32_e32 v6, 64, v4
	v_cmp_gt_i32_e64 s[62:63], s74, v6
	s_and_b64 s[2:3], s[64:65], s[62:63]
	s_and_saveexec_b64 s[0:1], s[2:3]
	s_cbranch_execz .LBB428_4
; %bb.3:
	global_load_ushort v6, v[2:3], off offset:128
	s_waitcnt vmcnt(0)
	v_cvt_f32_f16_e32 v27, v6
.LBB428_4:
	s_or_b64 exec, exec, s[0:1]
	v_add_u32_e32 v6, 0x80, v4
	v_cmp_gt_i32_e64 s[60:61], s74, v6
	s_and_b64 s[2:3], s[64:65], s[60:61]
	v_mov_b32_e32 v25, 0xff800000
	v_mov_b32_e32 v32, 0xff800000
	s_and_saveexec_b64 s[0:1], s[2:3]
	s_cbranch_execz .LBB428_6
; %bb.5:
	global_load_ushort v6, v[2:3], off offset:256
	s_waitcnt vmcnt(0)
	v_cvt_f32_f16_e32 v32, v6
.LBB428_6:
	s_or_b64 exec, exec, s[0:1]
	v_add_u32_e32 v6, 0xc0, v4
	v_cmp_gt_i32_e64 s[58:59], s74, v6
	s_and_b64 s[2:3], s[64:65], s[58:59]
	s_and_saveexec_b64 s[0:1], s[2:3]
	s_cbranch_execz .LBB428_8
; %bb.7:
	global_load_ushort v6, v[2:3], off offset:384
	s_waitcnt vmcnt(0)
	v_cvt_f32_f16_e32 v25, v6
.LBB428_8:
	s_or_b64 exec, exec, s[0:1]
	v_add_u32_e32 v6, 0x100, v4
	v_cmp_gt_i32_e64 s[56:57], s74, v6
	s_and_b64 s[2:3], s[64:65], s[56:57]
	v_mov_b32_e32 v23, 0xff800000
	v_mov_b32_e32 v31, 0xff800000
	s_and_saveexec_b64 s[0:1], s[2:3]
	s_cbranch_execz .LBB428_10
; %bb.9:
	global_load_ushort v6, v[2:3], off offset:512
	s_waitcnt vmcnt(0)
	v_cvt_f32_f16_e32 v31, v6
.LBB428_10:
	;; [unrolled: 24-line block ×7, first 2 shown]
	s_or_b64 exec, exec, s[0:1]
	v_add_u32_e32 v6, 0x3c0, v4
	v_cmp_gt_i32_e64 s[34:35], s74, v6
	s_and_b64 s[2:3], s[64:65], s[34:35]
	s_and_saveexec_b64 s[0:1], s[2:3]
	s_cbranch_execz .LBB428_32
; %bb.31:
	global_load_ushort v6, v[2:3], off offset:1920
	s_waitcnt vmcnt(0)
	v_cvt_f32_f16_e32 v13, v6
.LBB428_32:
	s_or_b64 exec, exec, s[0:1]
	v_or_b32_e32 v6, 0x400, v4
	v_cmp_gt_i32_e64 s[30:31], s74, v6
	s_and_b64 s[2:3], s[64:65], s[30:31]
	v_mov_b32_e32 v12, 0xff800000
	v_mov_b32_e32 v20, 0xff800000
	s_and_saveexec_b64 s[0:1], s[2:3]
	s_cbranch_execz .LBB428_34
; %bb.33:
	global_load_ushort v6, v[2:3], off offset:2048
	s_waitcnt vmcnt(0)
	v_cvt_f32_f16_e32 v20, v6
.LBB428_34:
	s_or_b64 exec, exec, s[0:1]
	v_add_u32_e32 v6, 0x440, v4
	v_cmp_gt_i32_e64 s[28:29], s74, v6
	s_and_b64 s[2:3], s[64:65], s[28:29]
	s_and_saveexec_b64 s[0:1], s[2:3]
	s_cbranch_execz .LBB428_36
; %bb.35:
	global_load_ushort v6, v[2:3], off offset:2176
	s_waitcnt vmcnt(0)
	v_cvt_f32_f16_e32 v12, v6
.LBB428_36:
	s_or_b64 exec, exec, s[0:1]
	v_add_u32_e32 v6, 0x480, v4
	v_cmp_gt_i32_e64 s[26:27], s74, v6
	s_and_b64 s[2:3], s[64:65], s[26:27]
	v_mov_b32_e32 v11, 0xff800000
	v_mov_b32_e32 v18, 0xff800000
	s_and_saveexec_b64 s[0:1], s[2:3]
	s_cbranch_execz .LBB428_38
; %bb.37:
	global_load_ushort v6, v[2:3], off offset:2304
	s_waitcnt vmcnt(0)
	v_cvt_f32_f16_e32 v18, v6
.LBB428_38:
	s_or_b64 exec, exec, s[0:1]
	v_add_u32_e32 v6, 0x4c0, v4
	v_cmp_gt_i32_e64 s[24:25], s74, v6
	s_and_b64 s[2:3], s[64:65], s[24:25]
	s_and_saveexec_b64 s[0:1], s[2:3]
	s_cbranch_execz .LBB428_40
; %bb.39:
	global_load_ushort v6, v[2:3], off offset:2432
	s_waitcnt vmcnt(0)
	v_cvt_f32_f16_e32 v11, v6
.LBB428_40:
	s_or_b64 exec, exec, s[0:1]
	v_add_u32_e32 v6, 0x500, v4
	v_cmp_gt_i32_e64 s[22:23], s74, v6
	s_and_b64 s[2:3], s[64:65], s[22:23]
	v_mov_b32_e32 v10, 0xff800000
	v_mov_b32_e32 v16, 0xff800000
	s_and_saveexec_b64 s[0:1], s[2:3]
	s_cbranch_execz .LBB428_42
; %bb.41:
	global_load_ushort v6, v[2:3], off offset:2560
	s_waitcnt vmcnt(0)
	v_cvt_f32_f16_e32 v16, v6
.LBB428_42:
	s_or_b64 exec, exec, s[0:1]
	v_add_u32_e32 v6, 0x540, v4
	v_cmp_gt_i32_e64 s[20:21], s74, v6
	s_and_b64 s[2:3], s[64:65], s[20:21]
	s_and_saveexec_b64 s[0:1], s[2:3]
	s_cbranch_execz .LBB428_44
; %bb.43:
	global_load_ushort v6, v[2:3], off offset:2688
	s_waitcnt vmcnt(0)
	v_cvt_f32_f16_e32 v10, v6
.LBB428_44:
	s_or_b64 exec, exec, s[0:1]
	v_add_u32_e32 v6, 0x580, v4
	v_cmp_gt_i32_e64 s[18:19], s74, v6
	s_and_b64 s[2:3], s[64:65], s[18:19]
	v_mov_b32_e32 v9, 0xff800000
	v_mov_b32_e32 v14, 0xff800000
	s_and_saveexec_b64 s[0:1], s[2:3]
	s_cbranch_execz .LBB428_46
; %bb.45:
	global_load_ushort v6, v[2:3], off offset:2816
	s_waitcnt vmcnt(0)
	v_cvt_f32_f16_e32 v14, v6
.LBB428_46:
	s_or_b64 exec, exec, s[0:1]
	v_add_u32_e32 v6, 0x5c0, v4
	v_cmp_gt_i32_e64 s[16:17], s74, v6
	s_and_b64 s[2:3], s[64:65], s[16:17]
	s_and_saveexec_b64 s[0:1], s[2:3]
	s_cbranch_execz .LBB428_48
; %bb.47:
	global_load_ushort v6, v[2:3], off offset:2944
	s_waitcnt vmcnt(0)
	v_cvt_f32_f16_e32 v9, v6
.LBB428_48:
	s_or_b64 exec, exec, s[0:1]
	v_add_u32_e32 v6, 0x600, v4
	v_cmp_gt_i32_e64 s[14:15], s74, v6
	s_and_b64 s[2:3], s[64:65], s[14:15]
	v_mov_b32_e32 v8, 0xff800000
	v_mov_b32_e32 v36, 0xff800000
	s_and_saveexec_b64 s[0:1], s[2:3]
	s_cbranch_execz .LBB428_50
; %bb.49:
	global_load_ushort v6, v[2:3], off offset:3072
	s_waitcnt vmcnt(0)
	v_cvt_f32_f16_e32 v36, v6
.LBB428_50:
	s_or_b64 exec, exec, s[0:1]
	v_add_u32_e32 v6, 0x640, v4
	v_cmp_gt_i32_e64 s[12:13], s74, v6
	s_and_b64 s[2:3], s[64:65], s[12:13]
	s_and_saveexec_b64 s[0:1], s[2:3]
	s_cbranch_execz .LBB428_52
; %bb.51:
	global_load_ushort v6, v[2:3], off offset:3200
	s_waitcnt vmcnt(0)
	v_cvt_f32_f16_e32 v8, v6
.LBB428_52:
	s_or_b64 exec, exec, s[0:1]
	v_add_u32_e32 v6, 0x680, v4
	v_cmp_gt_i32_e64 s[10:11], s74, v6
	s_and_b64 s[2:3], s[64:65], s[10:11]
	v_mov_b32_e32 v7, 0xff800000
	v_mov_b32_e32 v35, 0xff800000
	s_and_saveexec_b64 s[0:1], s[2:3]
	s_cbranch_execz .LBB428_54
; %bb.53:
	global_load_ushort v6, v[2:3], off offset:3328
	s_waitcnt vmcnt(0)
	v_cvt_f32_f16_e32 v35, v6
.LBB428_54:
	s_or_b64 exec, exec, s[0:1]
	v_add_u32_e32 v6, 0x6c0, v4
	v_cmp_gt_i32_e64 s[8:9], s74, v6
	s_and_b64 s[2:3], s[64:65], s[8:9]
	s_and_saveexec_b64 s[0:1], s[2:3]
	s_cbranch_execz .LBB428_56
; %bb.55:
	global_load_ushort v6, v[2:3], off offset:3456
	s_waitcnt vmcnt(0)
	v_cvt_f32_f16_e32 v7, v6
.LBB428_56:
	s_or_b64 exec, exec, s[0:1]
	v_add_u32_e32 v6, 0x700, v4
	v_cmp_gt_i32_e64 s[6:7], s74, v6
	s_and_b64 s[2:3], s[64:65], s[6:7]
	v_mov_b32_e32 v6, 0xff800000
	v_mov_b32_e32 v34, 0xff800000
	s_and_saveexec_b64 s[0:1], s[2:3]
	s_cbranch_execz .LBB428_58
; %bb.57:
	global_load_ushort v30, v[2:3], off offset:3584
	s_waitcnt vmcnt(0)
	v_cvt_f32_f16_e32 v34, v30
.LBB428_58:
	s_or_b64 exec, exec, s[0:1]
	v_add_u32_e32 v30, 0x740, v4
	v_cmp_gt_i32_e64 s[4:5], s74, v30
	s_and_b64 s[2:3], s[64:65], s[4:5]
	s_and_saveexec_b64 s[0:1], s[2:3]
	s_cbranch_execz .LBB428_60
; %bb.59:
	global_load_ushort v6, v[2:3], off offset:3712
	s_waitcnt vmcnt(0)
	v_cvt_f32_f16_e32 v6, v6
.LBB428_60:
	s_or_b64 exec, exec, s[0:1]
	v_add_u32_e32 v30, 0x780, v4
	v_cmp_gt_i32_e64 s[2:3], s74, v30
	s_and_b64 s[66:67], s[64:65], s[2:3]
	v_mov_b32_e32 v30, 0xff800000
	v_mov_b32_e32 v33, 0xff800000
	s_and_saveexec_b64 s[0:1], s[66:67]
	s_cbranch_execz .LBB428_62
; %bb.61:
	global_load_ushort v33, v[2:3], off offset:3840
	s_waitcnt vmcnt(0)
	v_cvt_f32_f16_e32 v33, v33
.LBB428_62:
	s_or_b64 exec, exec, s[0:1]
	v_add_u32_e32 v4, 0x7c0, v4
	v_cmp_gt_i32_e64 s[0:1], s74, v4
	s_and_b64 s[66:67], s[64:65], s[0:1]
	s_and_saveexec_b64 s[64:65], s[66:67]
	s_cbranch_execz .LBB428_64
; %bb.63:
	global_load_ushort v2, v[2:3], off offset:3968
	s_waitcnt vmcnt(0)
	v_cvt_f32_f16_e32 v30, v2
.LBB428_64:
	s_or_b64 exec, exec, s[64:65]
	v_cmp_gt_f32_e64 s[64:65], v37, v27
	v_cndmask_b32_e64 v2, v27, v37, s[64:65]
	v_cmp_gt_f32_e64 s[64:65], v2, v32
	v_cndmask_b32_e64 v2, v32, v2, s[64:65]
	;; [unrolled: 2-line block ×29, first 2 shown]
	v_mbcnt_lo_u32_b32 v3, -1, 0
	v_cmp_gt_f32_e64 s[64:65], v2, v33
	v_mbcnt_hi_u32_b32 v4, -1, v3
	v_cndmask_b32_e64 v2, v33, v2, s[64:65]
	v_and_b32_e32 v3, 64, v4
	v_cmp_gt_f32_e64 s[64:65], v2, v30
	v_add_u32_e32 v38, 64, v3
	v_xor_b32_e32 v3, 32, v4
	v_cndmask_b32_e64 v2, v30, v2, s[64:65]
	v_cmp_lt_i32_e64 s[64:65], v3, v38
	v_cndmask_b32_e64 v3, v4, v3, s[64:65]
	v_lshlrev_b32_e32 v3, 2, v3
	ds_bpermute_b32 v39, v3, v2
	s_mov_b32 s66, 0x3fb8aa3b
	s_mov_b32 s33, 0xc2ce8ed0
	;; [unrolled: 1-line block ×3, first 2 shown]
	v_mov_b32_e32 v46, 0x7f800000
	s_waitcnt lgkmcnt(0)
	v_cmp_lt_f32_e64 s[64:65], v2, v39
	v_cndmask_b32_e64 v2, v2, v39, s[64:65]
	v_xor_b32_e32 v39, 16, v4
	v_cmp_lt_i32_e64 s[64:65], v39, v38
	v_cndmask_b32_e64 v39, v4, v39, s[64:65]
	v_lshlrev_b32_e32 v40, 2, v39
	ds_bpermute_b32 v39, v40, v2
	s_waitcnt lgkmcnt(0)
	v_cmp_lt_f32_e64 s[64:65], v2, v39
	v_cndmask_b32_e64 v2, v2, v39, s[64:65]
	v_xor_b32_e32 v39, 8, v4
	v_cmp_lt_i32_e64 s[64:65], v39, v38
	v_cndmask_b32_e64 v39, v4, v39, s[64:65]
	v_lshlrev_b32_e32 v41, 2, v39
	ds_bpermute_b32 v39, v41, v2
	;; [unrolled: 8-line block ×5, first 2 shown]
	s_waitcnt lgkmcnt(0)
	v_cmp_lt_f32_e64 s[64:65], v2, v4
	v_cndmask_b32_e64 v2, v2, v4, s[64:65]
	v_sub_f32_e32 v4, v37, v2
	v_mul_f32_e32 v37, 0x3fb8aa3b, v4
	v_fma_f32 v38, v4, s66, -v37
	v_rndne_f32_e32 v39, v37
	v_fmac_f32_e32 v38, 0x32a5705f, v4
	v_sub_f32_e32 v37, v37, v39
	v_add_f32_e32 v37, v37, v38
	v_exp_f32_e32 v37, v37
	v_cvt_i32_f32_e32 v38, v39
	v_sub_f32_e32 v27, v27, v2
	v_cmp_ngt_f32_e64 s[64:65], s33, v4
	v_sub_f32_e32 v32, v32, v2
	v_ldexp_f32 v37, v37, v38
	v_mul_f32_e32 v38, 0x3fb8aa3b, v27
	v_fma_f32 v39, v27, s66, -v38
	v_rndne_f32_e32 v44, v38
	v_fmac_f32_e32 v39, 0x32a5705f, v27
	v_sub_f32_e32 v38, v38, v44
	v_add_f32_e32 v38, v38, v39
	v_exp_f32_e32 v38, v38
	v_cvt_i32_f32_e32 v39, v44
	v_cndmask_b32_e64 v37, 0, v37, s[64:65]
	v_cmp_nlt_f32_e64 s[64:65], s67, v4
	v_cndmask_b32_e64 v44, v46, v37, s[64:65]
	v_mul_f32_e32 v37, 0x3fb8aa3b, v32
	v_ldexp_f32 v4, v38, v39
	v_fma_f32 v38, v32, s66, -v37
	v_rndne_f32_e32 v39, v37
	v_fmac_f32_e32 v38, 0x32a5705f, v32
	v_sub_f32_e32 v37, v37, v39
	v_add_f32_e32 v37, v37, v38
	v_exp_f32_e32 v37, v37
	v_cvt_i32_f32_e32 v38, v39
	v_cmp_ngt_f32_e64 s[64:65], s33, v27
	v_sub_f32_e32 v25, v25, v2
	v_cndmask_b32_e64 v4, 0, v4, s[64:65]
	v_cmp_nlt_f32_e64 s[64:65], s67, v27
	v_ldexp_f32 v27, v37, v38
	v_mul_f32_e32 v37, 0x3fb8aa3b, v25
	v_fma_f32 v38, v25, s66, -v37
	v_rndne_f32_e32 v47, v37
	v_fmac_f32_e32 v38, 0x32a5705f, v25
	v_sub_f32_e32 v37, v37, v47
	v_add_f32_e32 v37, v37, v38
	v_exp_f32_e32 v37, v37
	v_cvt_i32_f32_e32 v47, v47
	v_cndmask_b32_e64 v39, v46, v4, s[64:65]
	v_cmp_ngt_f32_e64 s[64:65], s33, v32
	v_sub_f32_e32 v31, v31, v2
	v_cndmask_b32_e64 v27, 0, v27, s[64:65]
	v_cmp_nlt_f32_e64 s[64:65], s67, v32
	v_mul_f32_e32 v32, 0x3fb8aa3b, v31
	v_cndmask_b32_e64 v38, v46, v27, s[64:65]
	v_ldexp_f32 v27, v37, v47
	v_fma_f32 v37, v31, s66, -v32
	v_rndne_f32_e32 v47, v32
	v_fmac_f32_e32 v37, 0x32a5705f, v31
	v_sub_f32_e32 v32, v32, v47
	v_add_f32_e32 v32, v32, v37
	v_exp_f32_e32 v32, v32
	v_cvt_i32_f32_e32 v47, v47
	v_cmp_ngt_f32_e64 s[64:65], s33, v25
	v_cndmask_b32_e64 v27, 0, v27, s[64:65]
	v_cmp_nlt_f32_e64 s[64:65], s67, v25
	v_sub_f32_e32 v23, v23, v2
	v_cndmask_b32_e64 v37, v46, v27, s[64:65]
	v_mul_f32_e32 v27, 0x3fb8aa3b, v23
	v_ldexp_f32 v25, v32, v47
	v_fma_f32 v32, v23, s66, -v27
	v_rndne_f32_e32 v47, v27
	v_fmac_f32_e32 v32, 0x32a5705f, v23
	v_sub_f32_e32 v27, v27, v47
	v_add_f32_e32 v27, v27, v32
	v_exp_f32_e32 v27, v27
	v_cvt_i32_f32_e32 v47, v47
	v_cmp_ngt_f32_e64 s[64:65], s33, v31
	v_cndmask_b32_e64 v25, 0, v25, s[64:65]
	v_cmp_nlt_f32_e64 s[64:65], s67, v31
	v_cndmask_b32_e64 v32, v46, v25, s[64:65]
	v_ldexp_f32 v25, v27, v47
	v_sub_f32_e32 v27, v29, v2
	v_mul_f32_e32 v29, 0x3fb8aa3b, v27
	v_fma_f32 v31, v27, s66, -v29
	v_rndne_f32_e32 v47, v29
	v_fmac_f32_e32 v31, 0x32a5705f, v27
	v_sub_f32_e32 v29, v29, v47
	v_add_f32_e32 v29, v29, v31
	v_exp_f32_e32 v29, v29
	v_cvt_i32_f32_e32 v47, v47
	v_cmp_ngt_f32_e64 s[64:65], s33, v23
	v_cndmask_b32_e64 v25, 0, v25, s[64:65]
	v_cmp_nlt_f32_e64 s[64:65], s67, v23
	v_sub_f32_e32 v21, v21, v2
	v_cndmask_b32_e64 v31, v46, v25, s[64:65]
	v_mul_f32_e32 v25, 0x3fb8aa3b, v21
	v_ldexp_f32 v23, v29, v47
	v_fma_f32 v29, v21, s66, -v25
	v_rndne_f32_e32 v47, v25
	v_fmac_f32_e32 v29, 0x32a5705f, v21
	v_sub_f32_e32 v25, v25, v47
	v_add_f32_e32 v25, v25, v29
	v_exp_f32_e32 v25, v25
	v_cvt_i32_f32_e32 v47, v47
	v_cmp_ngt_f32_e64 s[64:65], s33, v27
	v_cndmask_b32_e64 v23, 0, v23, s[64:65]
	v_cmp_nlt_f32_e64 s[64:65], s67, v27
	v_cndmask_b32_e64 v29, v46, v23, s[64:65]
	v_ldexp_f32 v23, v25, v47
	v_sub_f32_e32 v25, v28, v2
	v_mul_f32_e32 v27, 0x3fb8aa3b, v25
	;; [unrolled: 28-line block ×10, first 2 shown]
	v_fma_f32 v36, v11, s66, -v12
	v_rndne_f32_e32 v47, v12
	v_fmac_f32_e32 v36, 0x32a5705f, v11
	v_sub_f32_e32 v12, v12, v47
	v_add_f32_e32 v12, v12, v36
	v_exp_f32_e32 v36, v12
	v_cvt_i32_f32_e32 v47, v47
	v_cmp_ngt_f32_e64 s[64:65], s33, v9
	v_cndmask_b32_e64 v10, 0, v10, s[64:65]
	v_cmp_nlt_f32_e64 s[64:65], s67, v9
	v_sub_f32_e32 v8, v8, v2
	v_cndmask_b32_e64 v12, v46, v10, s[64:65]
	v_mul_f32_e32 v10, 0x3fb8aa3b, v8
	v_ldexp_f32 v9, v36, v47
	v_fma_f32 v36, v8, s66, -v10
	v_rndne_f32_e32 v47, v10
	v_fmac_f32_e32 v36, 0x32a5705f, v8
	v_sub_f32_e32 v10, v10, v47
	v_add_f32_e32 v10, v10, v36
	v_exp_f32_e32 v10, v10
	v_cvt_i32_f32_e32 v36, v47
	v_cmp_ngt_f32_e64 s[64:65], s33, v11
	v_cndmask_b32_e64 v9, 0, v9, s[64:65]
	v_cmp_nlt_f32_e64 s[64:65], s67, v11
	v_sub_f32_e32 v35, v35, v2
	v_cndmask_b32_e64 v11, v46, v9, s[64:65]
	v_ldexp_f32 v9, v10, v36
	v_mul_f32_e32 v10, 0x3fb8aa3b, v35
	v_fma_f32 v36, v35, s66, -v10
	v_rndne_f32_e32 v47, v10
	v_fmac_f32_e32 v36, 0x32a5705f, v35
	v_sub_f32_e32 v10, v10, v47
	v_add_f32_e32 v10, v10, v36
	v_exp_f32_e32 v36, v10
	v_cvt_i32_f32_e32 v47, v47
	v_cmp_ngt_f32_e64 s[64:65], s33, v8
	v_cndmask_b32_e64 v9, 0, v9, s[64:65]
	v_cmp_nlt_f32_e64 s[64:65], s67, v8
	v_sub_f32_e32 v7, v7, v2
	v_cndmask_b32_e64 v10, v46, v9, s[64:65]
	v_mul_f32_e32 v9, 0x3fb8aa3b, v7
	v_ldexp_f32 v8, v36, v47
	v_fma_f32 v36, v7, s66, -v9
	v_rndne_f32_e32 v47, v9
	v_fmac_f32_e32 v36, 0x32a5705f, v7
	v_sub_f32_e32 v9, v9, v47
	v_add_f32_e32 v4, v44, v39
	v_add_f32_e32 v9, v9, v36
	;; [unrolled: 1-line block ×3, first 2 shown]
	v_exp_f32_e32 v36, v9
	v_cvt_i32_f32_e32 v47, v47
	v_add_f32_e32 v4, v4, v37
	v_add_f32_e32 v4, v4, v32
	v_cmp_ngt_f32_e64 s[64:65], s33, v35
	v_sub_f32_e32 v34, v34, v2
	v_add_f32_e32 v4, v4, v31
	v_cndmask_b32_e64 v8, 0, v8, s[64:65]
	v_cmp_nlt_f32_e64 s[64:65], s67, v35
	v_mul_f32_e32 v35, 0x3fb8aa3b, v34
	v_add_f32_e32 v4, v4, v29
	v_cndmask_b32_e64 v9, v46, v8, s[64:65]
	v_ldexp_f32 v8, v36, v47
	v_fma_f32 v36, v34, s66, -v35
	v_rndne_f32_e32 v47, v35
	v_add_f32_e32 v4, v4, v28
	v_fmac_f32_e32 v36, 0x32a5705f, v34
	v_sub_f32_e32 v35, v35, v47
	v_add_f32_e32 v4, v4, v27
	v_add_f32_e32 v35, v35, v36
	;; [unrolled: 1-line block ×3, first 2 shown]
	v_exp_f32_e32 v35, v35
	v_cvt_i32_f32_e32 v36, v47
	v_add_f32_e32 v4, v4, v25
	v_add_f32_e32 v4, v4, v24
	;; [unrolled: 1-line block ×3, first 2 shown]
	v_cmp_ngt_f32_e64 s[64:65], s33, v7
	v_sub_f32_e32 v6, v6, v2
	v_add_f32_e32 v4, v4, v22
	v_cndmask_b32_e64 v8, 0, v8, s[64:65]
	v_cmp_nlt_f32_e64 s[64:65], s67, v7
	v_ldexp_f32 v7, v35, v36
	v_mul_f32_e32 v35, 0x3fb8aa3b, v6
	v_add_f32_e32 v4, v4, v21
	v_fma_f32 v36, v6, s66, -v35
	v_rndne_f32_e32 v47, v35
	v_add_f32_e32 v4, v4, v20
	v_fmac_f32_e32 v36, 0x32a5705f, v6
	v_sub_f32_e32 v35, v35, v47
	v_add_f32_e32 v4, v4, v19
	v_add_f32_e32 v35, v35, v36
	;; [unrolled: 1-line block ×3, first 2 shown]
	v_exp_f32_e32 v35, v35
	v_cvt_i32_f32_e32 v36, v47
	v_add_f32_e32 v4, v4, v17
	v_add_f32_e32 v4, v4, v16
	;; [unrolled: 1-line block ×3, first 2 shown]
	v_cndmask_b32_e64 v8, v46, v8, s[64:65]
	v_cmp_ngt_f32_e64 s[64:65], s33, v34
	v_sub_f32_e32 v33, v33, v2
	v_add_f32_e32 v4, v4, v14
	v_cndmask_b32_e64 v7, 0, v7, s[64:65]
	v_cmp_nlt_f32_e64 s[64:65], s67, v34
	v_ldexp_f32 v34, v35, v36
	v_mul_f32_e32 v35, 0x3fb8aa3b, v33
	v_add_f32_e32 v4, v4, v13
	v_fma_f32 v36, v33, s66, -v35
	v_rndne_f32_e32 v47, v35
	v_add_f32_e32 v4, v4, v12
	v_fmac_f32_e32 v36, 0x32a5705f, v33
	v_sub_f32_e32 v35, v35, v47
	v_add_f32_e32 v4, v4, v11
	v_add_f32_e32 v35, v35, v36
	;; [unrolled: 1-line block ×3, first 2 shown]
	v_exp_f32_e32 v35, v35
	v_cvt_i32_f32_e32 v36, v47
	v_add_f32_e32 v4, v4, v9
	v_cndmask_b32_e64 v7, v46, v7, s[64:65]
	v_cmp_ngt_f32_e64 s[64:65], s33, v6
	v_add_f32_e32 v4, v4, v8
	v_cndmask_b32_e64 v34, 0, v34, s[64:65]
	v_cmp_nlt_f32_e64 s[64:65], s67, v6
	v_sub_f32_e32 v2, v30, v2
	v_add_f32_e32 v4, v4, v7
	v_cndmask_b32_e64 v6, v46, v34, s[64:65]
	v_mul_f32_e32 v30, 0x3fb8aa3b, v2
	v_add_f32_e32 v34, v4, v6
	v_ldexp_f32 v4, v35, v36
	v_fma_f32 v35, v2, s66, -v30
	v_rndne_f32_e32 v36, v30
	v_fmac_f32_e32 v35, 0x32a5705f, v2
	v_sub_f32_e32 v30, v30, v36
	v_add_f32_e32 v30, v30, v35
	v_exp_f32_e32 v30, v30
	v_cvt_i32_f32_e32 v35, v36
	v_cmp_ngt_f32_e64 s[64:65], s33, v33
	v_cndmask_b32_e64 v4, 0, v4, s[64:65]
	v_cmp_nlt_f32_e64 s[64:65], s67, v33
	v_cndmask_b32_e64 v4, v46, v4, s[64:65]
	v_ldexp_f32 v30, v30, v35
	v_cmp_ngt_f32_e64 s[64:65], s33, v2
	v_cndmask_b32_e64 v30, 0, v30, s[64:65]
	v_cmp_nlt_f32_e64 s[64:65], s67, v2
	v_add_f32_e32 v33, v34, v4
	v_cndmask_b32_e64 v2, v46, v30, s[64:65]
	v_add_f32_e32 v30, v33, v2
	ds_bpermute_b32 v3, v3, v30
	v_cmp_lt_i32_e64 s[64:65], 0, v5
	s_waitcnt lgkmcnt(0)
	v_add_f32_e32 v3, v30, v3
	ds_bpermute_b32 v30, v40, v3
	s_waitcnt lgkmcnt(0)
	v_add_f32_e32 v3, v3, v30
	ds_bpermute_b32 v30, v41, v3
	;; [unrolled: 3-line block ×5, first 2 shown]
	s_and_saveexec_b64 s[66:67], s[64:65]
	s_cbranch_execz .LBB428_162
; %bb.65:
	s_and_b64 exec, exec, vcc
	s_cbranch_execz .LBB428_162
; %bb.66:
	s_waitcnt lgkmcnt(0)
	v_add_f32_e32 v3, v3, v30
	v_cmp_neq_f32_e64 s[64:65], 0, v3
	v_mov_b32_e32 v5, 0x7e00
	s_and_saveexec_b64 s[66:67], s[64:65]
	s_cbranch_execz .LBB428_68
; %bb.67:
	v_div_scale_f32 v5, s[70:71], v3, v3, v44
	v_rcp_f32_e32 v30, v5
	v_div_scale_f32 v33, vcc, v44, v3, v44
	v_fma_f32 v34, -v5, v30, 1.0
	v_fmac_f32_e32 v30, v34, v30
	v_mul_f32_e32 v34, v33, v30
	v_fma_f32 v35, -v5, v34, v33
	v_fmac_f32_e32 v34, v35, v30
	v_fma_f32 v5, -v5, v34, v33
	v_div_fmas_f32 v5, v5, v30, v34
	v_div_fixup_f32 v5, v5, v3, v44
	v_cvt_f16_f32_e32 v5, v5
.LBB428_68:
	s_or_b64 exec, exec, s[66:67]
	v_mov_b32_e32 v30, s69
	v_add_co_u32_e32 v0, vcc, s68, v0
	v_addc_co_u32_e32 v1, vcc, v30, v1, vcc
	global_store_short v[0:1], v5, off
	s_and_b64 exec, exec, s[62:63]
	s_cbranch_execz .LBB428_162
; %bb.69:
	v_mov_b32_e32 v5, 0x7e00
	s_and_saveexec_b64 s[62:63], s[64:65]
	s_cbranch_execz .LBB428_71
; %bb.70:
	v_div_scale_f32 v5, s[66:67], v3, v3, v39
	v_rcp_f32_e32 v30, v5
	v_div_scale_f32 v33, vcc, v39, v3, v39
	v_fma_f32 v34, -v5, v30, 1.0
	v_fmac_f32_e32 v30, v34, v30
	v_mul_f32_e32 v34, v33, v30
	v_fma_f32 v35, -v5, v34, v33
	v_fmac_f32_e32 v34, v35, v30
	v_fma_f32 v5, -v5, v34, v33
	v_div_fmas_f32 v5, v5, v30, v34
	v_div_fixup_f32 v5, v5, v3, v39
	v_cvt_f16_f32_e32 v5, v5
.LBB428_71:
	s_or_b64 exec, exec, s[62:63]
	global_store_short v[0:1], v5, off offset:128
	s_and_b64 exec, exec, s[60:61]
	s_cbranch_execz .LBB428_162
; %bb.72:
	v_mov_b32_e32 v5, 0x7e00
	s_and_saveexec_b64 s[60:61], s[64:65]
	s_cbranch_execz .LBB428_74
; %bb.73:
	v_div_scale_f32 v5, s[62:63], v3, v3, v38
	v_rcp_f32_e32 v30, v5
	v_div_scale_f32 v33, vcc, v38, v3, v38
	v_fma_f32 v34, -v5, v30, 1.0
	v_fmac_f32_e32 v30, v34, v30
	v_mul_f32_e32 v34, v33, v30
	v_fma_f32 v35, -v5, v34, v33
	v_fmac_f32_e32 v34, v35, v30
	v_fma_f32 v5, -v5, v34, v33
	v_div_fmas_f32 v5, v5, v30, v34
	v_div_fixup_f32 v5, v5, v3, v38
	v_cvt_f16_f32_e32 v5, v5
.LBB428_74:
	s_or_b64 exec, exec, s[60:61]
	global_store_short v[0:1], v5, off offset:256
	;; [unrolled: 22-line block ×31, first 2 shown]
.LBB428_162:
	s_endpgm
	.section	.rodata,"a",@progbits
	.p2align	6, 0x0
	.amdhsa_kernel _ZN12_GLOBAL__N_120softmax_warp_forwardIN3c104HalfES2_fLi11ELb0ELb0ELi64EEEvPT0_PKT_iiiPKbib
		.amdhsa_group_segment_fixed_size 0
		.amdhsa_private_segment_fixed_size 0
		.amdhsa_kernarg_size 304
		.amdhsa_user_sgpr_count 6
		.amdhsa_user_sgpr_private_segment_buffer 1
		.amdhsa_user_sgpr_dispatch_ptr 0
		.amdhsa_user_sgpr_queue_ptr 0
		.amdhsa_user_sgpr_kernarg_segment_ptr 1
		.amdhsa_user_sgpr_dispatch_id 0
		.amdhsa_user_sgpr_flat_scratch_init 0
		.amdhsa_user_sgpr_kernarg_preload_length 0
		.amdhsa_user_sgpr_kernarg_preload_offset 0
		.amdhsa_user_sgpr_private_segment_size 0
		.amdhsa_uses_dynamic_stack 0
		.amdhsa_system_sgpr_private_segment_wavefront_offset 0
		.amdhsa_system_sgpr_workgroup_id_x 1
		.amdhsa_system_sgpr_workgroup_id_y 0
		.amdhsa_system_sgpr_workgroup_id_z 0
		.amdhsa_system_sgpr_workgroup_info 0
		.amdhsa_system_vgpr_workitem_id 1
		.amdhsa_next_free_vgpr 48
		.amdhsa_next_free_sgpr 76
		.amdhsa_accum_offset 48
		.amdhsa_reserve_vcc 1
		.amdhsa_reserve_flat_scratch 0
		.amdhsa_float_round_mode_32 0
		.amdhsa_float_round_mode_16_64 0
		.amdhsa_float_denorm_mode_32 3
		.amdhsa_float_denorm_mode_16_64 3
		.amdhsa_dx10_clamp 1
		.amdhsa_ieee_mode 1
		.amdhsa_fp16_overflow 0
		.amdhsa_tg_split 0
		.amdhsa_exception_fp_ieee_invalid_op 0
		.amdhsa_exception_fp_denorm_src 0
		.amdhsa_exception_fp_ieee_div_zero 0
		.amdhsa_exception_fp_ieee_overflow 0
		.amdhsa_exception_fp_ieee_underflow 0
		.amdhsa_exception_fp_ieee_inexact 0
		.amdhsa_exception_int_div_zero 0
	.end_amdhsa_kernel
	.section	.text._ZN12_GLOBAL__N_120softmax_warp_forwardIN3c104HalfES2_fLi11ELb0ELb0ELi64EEEvPT0_PKT_iiiPKbib,"axG",@progbits,_ZN12_GLOBAL__N_120softmax_warp_forwardIN3c104HalfES2_fLi11ELb0ELb0ELi64EEEvPT0_PKT_iiiPKbib,comdat
.Lfunc_end428:
	.size	_ZN12_GLOBAL__N_120softmax_warp_forwardIN3c104HalfES2_fLi11ELb0ELb0ELi64EEEvPT0_PKT_iiiPKbib, .Lfunc_end428-_ZN12_GLOBAL__N_120softmax_warp_forwardIN3c104HalfES2_fLi11ELb0ELb0ELi64EEEvPT0_PKT_iiiPKbib
                                        ; -- End function
	.section	.AMDGPU.csdata,"",@progbits
; Kernel info:
; codeLenInByte = 9392
; NumSgprs: 80
; NumVgprs: 48
; NumAgprs: 0
; TotalNumVgprs: 48
; ScratchSize: 0
; MemoryBound: 0
; FloatMode: 240
; IeeeMode: 1
; LDSByteSize: 0 bytes/workgroup (compile time only)
; SGPRBlocks: 9
; VGPRBlocks: 5
; NumSGPRsForWavesPerEU: 80
; NumVGPRsForWavesPerEU: 48
; AccumOffset: 48
; Occupancy: 8
; WaveLimiterHint : 0
; COMPUTE_PGM_RSRC2:SCRATCH_EN: 0
; COMPUTE_PGM_RSRC2:USER_SGPR: 6
; COMPUTE_PGM_RSRC2:TRAP_HANDLER: 0
; COMPUTE_PGM_RSRC2:TGID_X_EN: 1
; COMPUTE_PGM_RSRC2:TGID_Y_EN: 0
; COMPUTE_PGM_RSRC2:TGID_Z_EN: 0
; COMPUTE_PGM_RSRC2:TIDIG_COMP_CNT: 1
; COMPUTE_PGM_RSRC3_GFX90A:ACCUM_OFFSET: 11
; COMPUTE_PGM_RSRC3_GFX90A:TG_SPLIT: 0
	.section	.text._ZN12_GLOBAL__N_120softmax_warp_forwardIN3c104HalfES2_fLi11ELb0ELb0ELi32EEEvPT0_PKT_iiiPKbib,"axG",@progbits,_ZN12_GLOBAL__N_120softmax_warp_forwardIN3c104HalfES2_fLi11ELb0ELb0ELi32EEEvPT0_PKT_iiiPKbib,comdat
	.globl	_ZN12_GLOBAL__N_120softmax_warp_forwardIN3c104HalfES2_fLi11ELb0ELb0ELi32EEEvPT0_PKT_iiiPKbib ; -- Begin function _ZN12_GLOBAL__N_120softmax_warp_forwardIN3c104HalfES2_fLi11ELb0ELb0ELi32EEEvPT0_PKT_iiiPKbib
	.p2align	8
	.type	_ZN12_GLOBAL__N_120softmax_warp_forwardIN3c104HalfES2_fLi11ELb0ELb0ELi32EEEvPT0_PKT_iiiPKbib,@function
_ZN12_GLOBAL__N_120softmax_warp_forwardIN3c104HalfES2_fLi11ELb0ELb0ELi32EEEvPT0_PKT_iiiPKbib: ; @_ZN12_GLOBAL__N_120softmax_warp_forwardIN3c104HalfES2_fLi11ELb0ELb0ELi32EEEvPT0_PKT_iiiPKbib
; %bb.0:
	s_load_dword s0, s[4:5], 0x3c
	s_load_dwordx8 s[36:43], s[4:5], 0x0
	v_bfe_u32 v1, v0, 10, 10
	v_and_b32_e32 v4, 0x3ff, v0
	v_mov_b32_e32 v62, 0xff800000
	s_waitcnt lgkmcnt(0)
	s_lshr_b32 s0, s0, 16
	s_mul_i32 s6, s6, s0
	v_add_u32_e32 v1, s6, v1
	v_sub_u32_e32 v5, s40, v1
	v_mad_u64_u32 v[0:1], s[0:1], v1, s41, v[4:5]
	v_ashrrev_i32_e32 v1, 31, v0
	v_lshlrev_b64 v[0:1], 1, v[0:1]
	v_mov_b32_e32 v3, s39
	v_add_co_u32_e32 v2, vcc, s38, v0
	v_addc_co_u32_e32 v3, vcc, v3, v1, vcc
	v_cmp_lt_i32_e32 vcc, 0, v5
	v_cmp_gt_i32_e64 s[34:35], s42, v4
	s_and_b64 s[2:3], vcc, s[34:35]
	v_mov_b32_e32 v64, 0xff800000
	s_and_saveexec_b64 s[0:1], s[2:3]
	s_cbranch_execz .LBB429_2
; %bb.1:
	global_load_ushort v6, v[2:3], off
	s_waitcnt vmcnt(0)
	v_cvt_f32_f16_e32 v64, v6
.LBB429_2:
	s_or_b64 exec, exec, s[0:1]
	v_add_u32_e32 v6, 32, v4
	v_cmp_gt_i32_e64 s[30:31], s42, v6
	s_and_b64 s[2:3], vcc, s[30:31]
	s_and_saveexec_b64 s[0:1], s[2:3]
	s_cbranch_execz .LBB429_4
; %bb.3:
	global_load_ushort v6, v[2:3], off offset:64
	s_waitcnt vmcnt(0)
	v_cvt_f32_f16_e32 v62, v6
.LBB429_4:
	s_or_b64 exec, exec, s[0:1]
	v_add_u32_e32 v6, 64, v4
	v_cmp_gt_i32_e64 s[28:29], s42, v6
	s_and_b64 s[2:3], vcc, s[28:29]
	v_mov_b32_e32 v60, 0xff800000
	v_mov_b32_e32 v63, 0xff800000
	s_and_saveexec_b64 s[0:1], s[2:3]
	s_cbranch_execz .LBB429_6
; %bb.5:
	global_load_ushort v6, v[2:3], off offset:128
	s_waitcnt vmcnt(0)
	v_cvt_f32_f16_e32 v63, v6
.LBB429_6:
	s_or_b64 exec, exec, s[0:1]
	v_add_u32_e32 v6, 0x60, v4
	v_cmp_gt_i32_e64 s[26:27], s42, v6
	s_and_b64 s[2:3], vcc, s[26:27]
	s_and_saveexec_b64 s[0:1], s[2:3]
	s_cbranch_execz .LBB429_8
; %bb.7:
	global_load_ushort v6, v[2:3], off offset:192
	s_waitcnt vmcnt(0)
	v_cvt_f32_f16_e32 v60, v6
.LBB429_8:
	s_or_b64 exec, exec, s[0:1]
	v_add_u32_e32 v6, 0x80, v4
	v_cmp_gt_i32_e64 s[24:25], s42, v6
	s_and_b64 s[2:3], vcc, s[24:25]
	v_mov_b32_e32 v58, 0xff800000
	v_mov_b32_e32 v61, 0xff800000
	s_and_saveexec_b64 s[0:1], s[2:3]
	s_cbranch_execz .LBB429_10
; %bb.9:
	global_load_ushort v6, v[2:3], off offset:256
	s_waitcnt vmcnt(0)
	v_cvt_f32_f16_e32 v61, v6
.LBB429_10:
	;; [unrolled: 24-line block ×15, first 2 shown]
	s_or_b64 exec, exec, s[38:39]
	v_add_u32_e32 v6, 0x3e0, v4
	v_cmp_gt_i32_e64 s[66:67], s42, v6
	s_and_b64 s[40:41], vcc, s[66:67]
	s_and_saveexec_b64 s[38:39], s[40:41]
	s_cbranch_execz .LBB429_64
; %bb.63:
	global_load_ushort v6, v[2:3], off offset:1984
	s_waitcnt vmcnt(0)
	v_cvt_f32_f16_e32 v11, v6
.LBB429_64:
	s_or_b64 exec, exec, s[38:39]
	v_or_b32_e32 v6, 0x400, v4
	v_cmp_gt_i32_e64 s[64:65], s42, v6
	s_and_b64 s[40:41], vcc, s[64:65]
	v_mov_b32_e32 v9, 0xff800000
	v_mov_b32_e32 v12, 0xff800000
	s_and_saveexec_b64 s[38:39], s[40:41]
	s_cbranch_execz .LBB429_66
; %bb.65:
	global_load_ushort v6, v[2:3], off offset:2048
	s_waitcnt vmcnt(0)
	v_cvt_f32_f16_e32 v12, v6
.LBB429_66:
	s_or_b64 exec, exec, s[38:39]
	v_add_u32_e32 v6, 0x420, v4
	v_cmp_gt_i32_e64 s[62:63], s42, v6
	s_and_b64 s[40:41], vcc, s[62:63]
	s_and_saveexec_b64 s[38:39], s[40:41]
	s_cbranch_execz .LBB429_68
; %bb.67:
	global_load_ushort v6, v[2:3], off offset:2112
	s_waitcnt vmcnt(0)
	v_cvt_f32_f16_e32 v9, v6
.LBB429_68:
	s_or_b64 exec, exec, s[38:39]
	v_add_u32_e32 v6, 0x440, v4
	v_cmp_gt_i32_e64 s[60:61], s42, v6
	s_and_b64 s[40:41], vcc, s[60:61]
	v_mov_b32_e32 v7, 0xff800000
	v_mov_b32_e32 v10, 0xff800000
	s_and_saveexec_b64 s[38:39], s[40:41]
	s_cbranch_execz .LBB429_70
; %bb.69:
	global_load_ushort v6, v[2:3], off offset:2176
	s_waitcnt vmcnt(0)
	v_cvt_f32_f16_e32 v10, v6
.LBB429_70:
	s_or_b64 exec, exec, s[38:39]
	v_add_u32_e32 v6, 0x460, v4
	v_cmp_gt_i32_e64 s[58:59], s42, v6
	s_and_b64 s[40:41], vcc, s[58:59]
	s_and_saveexec_b64 s[38:39], s[40:41]
	s_cbranch_execz .LBB429_72
; %bb.71:
	global_load_ushort v6, v[2:3], off offset:2240
	s_waitcnt vmcnt(0)
	v_cvt_f32_f16_e32 v7, v6
.LBB429_72:
	s_or_b64 exec, exec, s[38:39]
	v_add_u32_e32 v6, 0x480, v4
	;; [unrolled: 24-line block ×5, first 2 shown]
	v_cmp_gt_i32_e64 s[44:45], s42, v15
	s_and_b64 s[40:41], vcc, s[44:45]
	v_mov_b32_e32 v15, 0xff800000
	v_mov_b32_e32 v74, 0xff800000
	s_and_saveexec_b64 s[38:39], s[40:41]
	s_cbranch_execz .LBB429_86
; %bb.85:
	global_load_ushort v16, v[2:3], off offset:2688
	s_waitcnt vmcnt(0)
	v_cvt_f32_f16_e32 v74, v16
.LBB429_86:
	s_or_b64 exec, exec, s[38:39]
	v_add_u32_e32 v16, 0x560, v4
	v_cmp_gt_i32_e64 s[38:39], s42, v16
                                        ; implicit-def: $vgpr78 : SGPR spill to VGPR lane
	v_writelane_b32 v78, s38, 0
	s_and_b64 s[40:41], vcc, s[38:39]
	v_writelane_b32 v78, s39, 1
	s_and_saveexec_b64 s[38:39], s[40:41]
	s_cbranch_execz .LBB429_88
; %bb.87:
	global_load_ushort v15, v[2:3], off offset:2752
	s_waitcnt vmcnt(0)
	v_cvt_f32_f16_e32 v15, v15
.LBB429_88:
	s_or_b64 exec, exec, s[38:39]
	v_add_u32_e32 v16, 0x580, v4
	v_cmp_gt_i32_e64 s[38:39], s42, v16
	v_writelane_b32 v78, s38, 2
	s_and_b64 s[40:41], vcc, s[38:39]
	v_mov_b32_e32 v17, 0xff800000
	v_mov_b32_e32 v16, 0xff800000
	v_writelane_b32 v78, s39, 3
	s_and_saveexec_b64 s[38:39], s[40:41]
	s_cbranch_execz .LBB429_90
; %bb.89:
	global_load_ushort v16, v[2:3], off offset:2816
	s_waitcnt vmcnt(0)
	v_cvt_f32_f16_e32 v16, v16
.LBB429_90:
	s_or_b64 exec, exec, s[38:39]
	v_add_u32_e32 v18, 0x5a0, v4
	v_cmp_gt_i32_e64 s[38:39], s42, v18
	v_writelane_b32 v78, s38, 4
	s_and_b64 s[40:41], vcc, s[38:39]
	v_writelane_b32 v78, s39, 5
	s_and_saveexec_b64 s[38:39], s[40:41]
	s_cbranch_execz .LBB429_92
; %bb.91:
	global_load_ushort v17, v[2:3], off offset:2880
	s_waitcnt vmcnt(0)
	v_cvt_f32_f16_e32 v17, v17
.LBB429_92:
	s_or_b64 exec, exec, s[38:39]
	v_add_u32_e32 v18, 0x5c0, v4
	v_cmp_gt_i32_e64 s[38:39], s42, v18
	v_writelane_b32 v78, s38, 6
	s_and_b64 s[40:41], vcc, s[38:39]
	v_mov_b32_e32 v19, 0xff800000
	v_mov_b32_e32 v18, 0xff800000
	v_writelane_b32 v78, s39, 7
	s_and_saveexec_b64 s[38:39], s[40:41]
	s_cbranch_execz .LBB429_94
; %bb.93:
	global_load_ushort v18, v[2:3], off offset:2944
	s_waitcnt vmcnt(0)
	v_cvt_f32_f16_e32 v18, v18
.LBB429_94:
	s_or_b64 exec, exec, s[38:39]
	v_add_u32_e32 v20, 0x5e0, v4
	v_cmp_gt_i32_e64 s[38:39], s42, v20
	;; [unrolled: 28-line block ×10, first 2 shown]
	s_and_b64 s[40:41], vcc, s[42:43]
	s_and_saveexec_b64 s[38:39], s[40:41]
	s_cbranch_execz .LBB429_128
; %bb.127:
	global_load_ushort v2, v[2:3], off offset:4032
	s_waitcnt vmcnt(0)
	v_cvt_f32_f16_e32 v72, v2
.LBB429_128:
	s_or_b64 exec, exec, s[38:39]
	v_cmp_gt_f32_e32 vcc, v64, v62
	v_cndmask_b32_e32 v2, v62, v64, vcc
	v_cmp_gt_f32_e32 vcc, v2, v63
	v_cndmask_b32_e32 v2, v63, v2, vcc
	;; [unrolled: 2-line block ×61, first 2 shown]
	v_mbcnt_lo_u32_b32 v3, -1, 0
	v_cmp_gt_f32_e32 vcc, v2, v52
	v_mbcnt_hi_u32_b32 v3, -1, v3
	v_cndmask_b32_e32 v2, v52, v2, vcc
	v_and_b32_e32 v4, 0x60, v3
	v_cmp_gt_f32_e32 vcc, v2, v72
	v_add_u32_e32 v4, 32, v4
	v_xor_b32_e32 v65, 16, v3
	v_cndmask_b32_e32 v2, v72, v2, vcc
	v_cmp_lt_i32_e32 vcc, v65, v4
	v_cndmask_b32_e32 v65, v3, v65, vcc
	v_lshlrev_b32_e32 v65, 2, v65
	ds_bpermute_b32 v66, v65, v2
	s_mov_b32 s39, 0x3fb8aa3b
	s_mov_b32 s38, 0xc2ce8ed0
	;; [unrolled: 1-line block ×3, first 2 shown]
	v_mov_b32_e32 v71, 0x7f800000
	s_waitcnt lgkmcnt(0)
	v_cmp_lt_f32_e32 vcc, v2, v66
	v_cndmask_b32_e32 v2, v2, v66, vcc
	v_xor_b32_e32 v66, 8, v3
	v_cmp_lt_i32_e32 vcc, v66, v4
	v_cndmask_b32_e32 v66, v3, v66, vcc
	v_lshlrev_b32_e32 v67, 2, v66
	ds_bpermute_b32 v66, v67, v2
	s_waitcnt lgkmcnt(0)
	v_cmp_lt_f32_e32 vcc, v2, v66
	v_cndmask_b32_e32 v2, v2, v66, vcc
	v_xor_b32_e32 v66, 4, v3
	v_cmp_lt_i32_e32 vcc, v66, v4
	v_cndmask_b32_e32 v66, v3, v66, vcc
	v_lshlrev_b32_e32 v68, 2, v66
	ds_bpermute_b32 v66, v68, v2
	;; [unrolled: 8-line block ×4, first 2 shown]
	s_waitcnt lgkmcnt(0)
	v_cmp_lt_f32_e32 vcc, v2, v3
	v_cndmask_b32_e32 v73, v2, v3, vcc
	v_sub_f32_e32 v2, v64, v73
	v_mul_f32_e32 v3, 0x3fb8aa3b, v2
	v_fma_f32 v4, v2, s39, -v3
	v_rndne_f32_e32 v64, v3
	v_fmac_f32_e32 v4, 0x32a5705f, v2
	v_sub_f32_e32 v3, v3, v64
	v_add_f32_e32 v3, v3, v4
	v_exp_f32_e32 v3, v3
	v_cvt_i32_f32_e32 v4, v64
	v_cmp_ngt_f32_e32 vcc, s38, v2
	v_sub_f32_e32 v15, v15, v73
	v_sub_f32_e32 v16, v16, v73
	v_ldexp_f32 v3, v3, v4
	v_cndmask_b32_e32 v3, 0, v3, vcc
	v_cmp_nlt_f32_e32 vcc, s33, v2
	v_sub_f32_e32 v2, v62, v73
	v_cndmask_b32_e32 v66, v71, v3, vcc
	v_mul_f32_e32 v3, 0x3fb8aa3b, v2
	v_fma_f32 v4, v2, s39, -v3
	v_rndne_f32_e32 v62, v3
	v_fmac_f32_e32 v4, 0x32a5705f, v2
	v_sub_f32_e32 v3, v3, v62
	v_add_f32_e32 v3, v3, v4
	v_exp_f32_e32 v3, v3
	v_cvt_i32_f32_e32 v4, v62
	v_cmp_ngt_f32_e32 vcc, s38, v2
	v_sub_f32_e32 v17, v17, v73
	v_sub_f32_e32 v18, v18, v73
	v_ldexp_f32 v3, v3, v4
	v_cndmask_b32_e32 v3, 0, v3, vcc
	v_cmp_nlt_f32_e32 vcc, s33, v2
	v_cndmask_b32_e32 v64, v71, v3, vcc
	v_sub_f32_e32 v3, v63, v73
	v_mul_f32_e32 v4, 0x3fb8aa3b, v3
	v_fma_f32 v62, v3, s39, -v4
	v_rndne_f32_e32 v63, v4
	v_fmac_f32_e32 v62, 0x32a5705f, v3
	v_sub_f32_e32 v4, v4, v63
	v_add_f32_e32 v4, v4, v62
	v_exp_f32_e32 v4, v4
	v_cvt_i32_f32_e32 v62, v63
	v_cmp_ngt_f32_e32 vcc, s38, v3
	v_add_f32_e32 v2, v66, v64
	v_sub_f32_e32 v19, v19, v73
	v_ldexp_f32 v4, v4, v62
	v_cndmask_b32_e32 v4, 0, v4, vcc
	v_cmp_nlt_f32_e32 vcc, s33, v3
	v_sub_f32_e32 v3, v60, v73
	v_cndmask_b32_e32 v63, v71, v4, vcc
	v_mul_f32_e32 v4, 0x3fb8aa3b, v3
	v_fma_f32 v60, v3, s39, -v4
	v_rndne_f32_e32 v62, v4
	v_fmac_f32_e32 v60, 0x32a5705f, v3
	v_sub_f32_e32 v4, v4, v62
	v_add_f32_e32 v4, v4, v60
	v_exp_f32_e32 v4, v4
	v_cvt_i32_f32_e32 v60, v62
	v_cmp_ngt_f32_e32 vcc, s38, v3
	v_add_f32_e32 v2, v2, v63
	v_sub_f32_e32 v20, v20, v73
	v_ldexp_f32 v4, v4, v60
	v_cndmask_b32_e32 v4, 0, v4, vcc
	v_cmp_nlt_f32_e32 vcc, s33, v3
	v_sub_f32_e32 v3, v61, v73
	v_cndmask_b32_e32 v62, v71, v4, vcc
	;; [unrolled: 16-line block ×17, first 2 shown]
	v_mul_f32_e32 v4, 0x3fb8aa3b, v3
	v_fma_f32 v43, v3, s39, -v4
	v_rndne_f32_e32 v45, v4
	v_fmac_f32_e32 v43, 0x32a5705f, v3
	v_sub_f32_e32 v4, v4, v45
	v_add_f32_e32 v4, v4, v43
	v_exp_f32_e32 v4, v4
	v_cvt_i32_f32_e32 v43, v45
	v_cmp_ngt_f32_e32 vcc, s38, v3
	v_add_f32_e32 v2, v2, v46
	v_ldexp_f32 v4, v4, v43
	v_cndmask_b32_e32 v4, 0, v4, vcc
	v_cmp_nlt_f32_e32 vcc, s33, v3
	v_sub_f32_e32 v3, v44, v73
	v_cndmask_b32_e32 v45, v71, v4, vcc
	v_mul_f32_e32 v4, 0x3fb8aa3b, v3
	v_fma_f32 v43, v3, s39, -v4
	v_rndne_f32_e32 v44, v4
	v_fmac_f32_e32 v43, 0x32a5705f, v3
	v_sub_f32_e32 v4, v4, v44
	v_add_f32_e32 v4, v4, v43
	v_exp_f32_e32 v4, v4
	v_cvt_i32_f32_e32 v43, v44
	v_cmp_ngt_f32_e32 vcc, s38, v3
	v_add_f32_e32 v2, v2, v45
	v_ldexp_f32 v4, v4, v43
	v_cndmask_b32_e32 v4, 0, v4, vcc
	v_cmp_nlt_f32_e32 vcc, s33, v3
	v_sub_f32_e32 v3, v41, v73
	v_cndmask_b32_e32 v44, v71, v4, vcc
	;; [unrolled: 15-line block ×20, first 2 shown]
	v_mul_f32_e32 v4, 0x3fb8aa3b, v3
	v_fma_f32 v75, v3, s39, -v4
	v_rndne_f32_e32 v77, v4
	v_fmac_f32_e32 v75, 0x32a5705f, v3
	v_sub_f32_e32 v4, v4, v77
	v_add_f32_e32 v4, v4, v75
	v_exp_f32_e32 v4, v4
	v_cvt_i32_f32_e32 v75, v77
	v_cmp_ngt_f32_e32 vcc, s38, v3
	v_add_f32_e32 v2, v2, v6
	v_ldexp_f32 v4, v4, v75
	v_cndmask_b32_e32 v4, 0, v4, vcc
	v_cmp_nlt_f32_e32 vcc, s33, v3
	v_sub_f32_e32 v3, v76, v73
	v_mul_f32_e32 v75, 0x3fb8aa3b, v3
	v_fma_f32 v76, v3, s39, -v75
	v_rndne_f32_e32 v77, v75
	v_fmac_f32_e32 v76, 0x32a5705f, v3
	v_sub_f32_e32 v75, v75, v77
	v_add_f32_e32 v75, v75, v76
	v_exp_f32_e32 v75, v75
	v_cvt_i32_f32_e32 v76, v77
	v_cndmask_b32_e32 v4, v71, v4, vcc
	v_cmp_ngt_f32_e32 vcc, s38, v3
	v_add_f32_e32 v2, v2, v4
	v_ldexp_f32 v75, v75, v76
	v_cndmask_b32_e32 v75, 0, v75, vcc
	v_cmp_nlt_f32_e32 vcc, s33, v3
	v_cndmask_b32_e32 v3, v71, v75, vcc
	v_add_f32_e32 v75, v2, v3
	v_sub_f32_e32 v2, v14, v73
	v_mul_f32_e32 v14, 0x3fb8aa3b, v2
	v_fma_f32 v76, v2, s39, -v14
	v_rndne_f32_e32 v77, v14
	v_fmac_f32_e32 v76, 0x32a5705f, v2
	v_sub_f32_e32 v14, v14, v77
	v_add_f32_e32 v14, v14, v76
	v_exp_f32_e32 v14, v14
	v_cvt_i32_f32_e32 v76, v77
	v_cmp_ngt_f32_e32 vcc, s38, v2
	v_ldexp_f32 v14, v14, v76
	v_cndmask_b32_e32 v14, 0, v14, vcc
	v_cmp_nlt_f32_e32 vcc, s33, v2
	v_cndmask_b32_e32 v2, v71, v14, vcc
	v_sub_f32_e32 v14, v74, v73
	v_mul_f32_e32 v74, 0x3fb8aa3b, v14
	v_fma_f32 v76, v14, s39, -v74
	v_rndne_f32_e32 v77, v74
	v_fmac_f32_e32 v76, 0x32a5705f, v14
	v_sub_f32_e32 v74, v74, v77
	v_add_f32_e32 v74, v74, v76
	v_exp_f32_e32 v74, v74
	v_cvt_i32_f32_e32 v76, v77
	v_cmp_ngt_f32_e32 vcc, s38, v14
	v_add_f32_e32 v75, v75, v2
	v_mul_f32_e32 v73, 0x3fb8aa3b, v72
	v_ldexp_f32 v74, v74, v76
	v_cndmask_b32_e32 v74, 0, v74, vcc
	v_cmp_nlt_f32_e32 vcc, s33, v14
	v_cndmask_b32_e32 v14, v71, v74, vcc
	v_add_f32_e32 v74, v75, v14
	v_mul_f32_e32 v75, 0x3fb8aa3b, v15
	v_fma_f32 v76, v15, s39, -v75
	v_rndne_f32_e32 v77, v75
	v_fmac_f32_e32 v76, 0x32a5705f, v15
	v_sub_f32_e32 v75, v75, v77
	v_add_f32_e32 v75, v75, v76
	v_exp_f32_e32 v75, v75
	v_cvt_i32_f32_e32 v76, v77
	v_cmp_ngt_f32_e32 vcc, s38, v15
	v_ldexp_f32 v75, v75, v76
	v_cndmask_b32_e32 v75, 0, v75, vcc
	v_cmp_nlt_f32_e32 vcc, s33, v15
	v_cndmask_b32_e32 v15, v71, v75, vcc
	v_mul_f32_e32 v75, 0x3fb8aa3b, v16
	v_fma_f32 v76, v16, s39, -v75
	v_rndne_f32_e32 v77, v75
	v_fmac_f32_e32 v76, 0x32a5705f, v16
	v_sub_f32_e32 v75, v75, v77
	v_add_f32_e32 v75, v75, v76
	v_exp_f32_e32 v75, v75
	v_cvt_i32_f32_e32 v76, v77
	v_cmp_ngt_f32_e32 vcc, s38, v16
	v_add_f32_e32 v74, v74, v15
	v_ldexp_f32 v75, v75, v76
	v_cndmask_b32_e32 v75, 0, v75, vcc
	v_cmp_nlt_f32_e32 vcc, s33, v16
	v_cndmask_b32_e32 v16, v71, v75, vcc
	v_mul_f32_e32 v75, 0x3fb8aa3b, v17
	v_fma_f32 v76, v17, s39, -v75
	v_rndne_f32_e32 v77, v75
	v_fmac_f32_e32 v76, 0x32a5705f, v17
	v_sub_f32_e32 v75, v75, v77
	v_add_f32_e32 v75, v75, v76
	v_exp_f32_e32 v75, v75
	v_cvt_i32_f32_e32 v76, v77
	v_cmp_ngt_f32_e32 vcc, s38, v17
	v_add_f32_e32 v74, v74, v16
	;; [unrolled: 14-line block ×19, first 2 shown]
	v_ldexp_f32 v75, v75, v76
	v_cndmask_b32_e32 v75, 0, v75, vcc
	v_cmp_nlt_f32_e32 vcc, s33, v52
	v_cndmask_b32_e32 v52, v71, v75, vcc
	v_fma_f32 v75, v72, s39, -v73
	v_rndne_f32_e32 v76, v73
	v_fmac_f32_e32 v75, 0x32a5705f, v72
	v_sub_f32_e32 v73, v73, v76
	v_add_f32_e32 v73, v73, v75
	v_exp_f32_e32 v73, v73
	v_cvt_i32_f32_e32 v75, v76
	v_cmp_ngt_f32_e32 vcc, s38, v72
	v_add_f32_e32 v74, v74, v52
	v_ldexp_f32 v73, v73, v75
	v_cndmask_b32_e32 v73, 0, v73, vcc
	v_cmp_nlt_f32_e32 vcc, s33, v72
	v_cndmask_b32_e32 v71, v71, v73, vcc
	v_add_f32_e32 v72, v74, v71
	ds_bpermute_b32 v65, v65, v72
	v_cmp_lt_i32_e32 vcc, 0, v5
	s_waitcnt lgkmcnt(0)
	v_add_f32_e32 v65, v72, v65
	ds_bpermute_b32 v67, v67, v65
	s_waitcnt lgkmcnt(0)
	v_add_f32_e32 v65, v65, v67
	ds_bpermute_b32 v67, v68, v65
	;; [unrolled: 3-line block ×4, first 2 shown]
	s_and_saveexec_b64 s[38:39], vcc
	s_cbranch_execz .LBB429_322
; %bb.129:
	s_and_b64 exec, exec, s[34:35]
	s_cbranch_execz .LBB429_322
; %bb.130:
	s_waitcnt lgkmcnt(0)
	v_add_f32_e32 v5, v65, v67
	v_cmp_neq_f32_e64 s[40:41], 0, v5
	v_mov_b32_e32 v65, 0x7e00
	s_and_saveexec_b64 s[34:35], s[40:41]
	s_cbranch_execz .LBB429_132
; %bb.131:
	v_div_scale_f32 v65, s[38:39], v5, v5, v66
	v_rcp_f32_e32 v67, v65
	v_div_scale_f32 v68, vcc, v66, v5, v66
	v_fma_f32 v69, -v65, v67, 1.0
	v_fmac_f32_e32 v67, v69, v67
	v_mul_f32_e32 v69, v68, v67
	v_fma_f32 v70, -v65, v69, v68
	v_fmac_f32_e32 v69, v70, v67
	v_fma_f32 v65, -v65, v69, v68
	v_div_fmas_f32 v65, v65, v67, v69
	v_div_fixup_f32 v65, v65, v5, v66
	v_cvt_f16_f32_e32 v65, v65
.LBB429_132:
	s_or_b64 exec, exec, s[34:35]
	v_mov_b32_e32 v66, s37
	v_add_co_u32_e32 v0, vcc, s36, v0
	v_addc_co_u32_e32 v1, vcc, v66, v1, vcc
	global_store_short v[0:1], v65, off
	s_and_b64 exec, exec, s[30:31]
	s_cbranch_execz .LBB429_322
; %bb.133:
	v_mov_b32_e32 v65, 0x7e00
	s_and_saveexec_b64 s[30:31], s[40:41]
	s_cbranch_execz .LBB429_135
; %bb.134:
	v_div_scale_f32 v65, s[34:35], v5, v5, v64
	v_rcp_f32_e32 v66, v65
	v_div_scale_f32 v67, vcc, v64, v5, v64
	v_fma_f32 v68, -v65, v66, 1.0
	v_fmac_f32_e32 v66, v68, v66
	v_mul_f32_e32 v68, v67, v66
	v_fma_f32 v69, -v65, v68, v67
	v_fmac_f32_e32 v68, v69, v66
	v_fma_f32 v65, -v65, v68, v67
	v_div_fmas_f32 v65, v65, v66, v68
	v_div_fixup_f32 v64, v65, v5, v64
	v_cvt_f16_f32_e32 v65, v64
.LBB429_135:
	s_or_b64 exec, exec, s[30:31]
	global_store_short v[0:1], v65, off offset:64
	s_and_b64 exec, exec, s[28:29]
	s_cbranch_execz .LBB429_322
; %bb.136:
	v_mov_b32_e32 v64, 0x7e00
	s_and_saveexec_b64 s[28:29], s[40:41]
	s_cbranch_execz .LBB429_138
; %bb.137:
	v_div_scale_f32 v64, s[30:31], v5, v5, v63
	v_rcp_f32_e32 v65, v64
	v_div_scale_f32 v66, vcc, v63, v5, v63
	v_fma_f32 v67, -v64, v65, 1.0
	v_fmac_f32_e32 v65, v67, v65
	v_mul_f32_e32 v67, v66, v65
	v_fma_f32 v68, -v64, v67, v66
	v_fmac_f32_e32 v67, v68, v65
	v_fma_f32 v64, -v64, v67, v66
	v_div_fmas_f32 v64, v64, v65, v67
	v_div_fixup_f32 v63, v64, v5, v63
	v_cvt_f16_f32_e32 v64, v63
.LBB429_138:
	s_or_b64 exec, exec, s[28:29]
	global_store_short v[0:1], v64, off offset:128
	;; [unrolled: 22-line block ×41, first 2 shown]
	s_and_b64 exec, exec, s[44:45]
	s_cbranch_execz .LBB429_322
; %bb.256:
	v_mov_b32_e32 v2, 0x7e00
	s_and_saveexec_b64 s[0:1], s[40:41]
	s_cbranch_execz .LBB429_258
; %bb.257:
	v_div_scale_f32 v2, s[2:3], v5, v5, v14
	v_rcp_f32_e32 v3, v2
	v_div_scale_f32 v4, vcc, v14, v5, v14
	v_fma_f32 v6, -v2, v3, 1.0
	v_fmac_f32_e32 v3, v6, v3
	v_mul_f32_e32 v6, v4, v3
	v_fma_f32 v7, -v2, v6, v4
	v_fmac_f32_e32 v6, v7, v3
	v_fma_f32 v2, -v2, v6, v4
	v_div_fmas_f32 v2, v2, v3, v6
	v_div_fixup_f32 v2, v2, v5, v14
	v_cvt_f16_f32_e32 v2, v2
.LBB429_258:
	s_or_b64 exec, exec, s[0:1]
	v_readlane_b32 s0, v78, 0
	v_readlane_b32 s1, v78, 1
	global_store_short v[0:1], v2, off offset:2688
	s_and_b64 exec, exec, s[0:1]
	s_cbranch_execz .LBB429_322
; %bb.259:
	v_mov_b32_e32 v2, 0x7e00
	s_and_saveexec_b64 s[0:1], s[40:41]
	s_cbranch_execz .LBB429_261
; %bb.260:
	v_div_scale_f32 v2, s[2:3], v5, v5, v15
	v_rcp_f32_e32 v3, v2
	v_div_scale_f32 v4, vcc, v15, v5, v15
	v_fma_f32 v6, -v2, v3, 1.0
	v_fmac_f32_e32 v3, v6, v3
	v_mul_f32_e32 v6, v4, v3
	v_fma_f32 v7, -v2, v6, v4
	v_fmac_f32_e32 v6, v7, v3
	v_fma_f32 v2, -v2, v6, v4
	v_div_fmas_f32 v2, v2, v3, v6
	v_div_fixup_f32 v2, v2, v5, v15
	v_cvt_f16_f32_e32 v2, v2
.LBB429_261:
	s_or_b64 exec, exec, s[0:1]
	v_readlane_b32 s0, v78, 2
	v_readlane_b32 s1, v78, 3
	global_store_short v[0:1], v2, off offset:2752
	;; [unrolled: 24-line block ×20, first 2 shown]
	s_and_b64 exec, exec, s[0:1]
	s_cbranch_execz .LBB429_322
; %bb.316:
	v_mov_b32_e32 v2, 0x7e00
	s_and_saveexec_b64 s[0:1], s[40:41]
	s_cbranch_execz .LBB429_318
; %bb.317:
	v_div_scale_f32 v2, s[2:3], v5, v5, v52
	v_rcp_f32_e32 v3, v2
	v_div_scale_f32 v4, vcc, v52, v5, v52
	v_fma_f32 v6, -v2, v3, 1.0
	v_fmac_f32_e32 v3, v6, v3
	v_mul_f32_e32 v6, v4, v3
	v_fma_f32 v7, -v2, v6, v4
	v_fmac_f32_e32 v6, v7, v3
	v_fma_f32 v2, -v2, v6, v4
	v_div_fmas_f32 v2, v2, v3, v6
	v_div_fixup_f32 v2, v2, v5, v52
	v_cvt_f16_f32_e32 v2, v2
.LBB429_318:
	s_or_b64 exec, exec, s[0:1]
	global_store_short v[0:1], v2, off offset:3968
	s_and_b64 exec, exec, s[42:43]
	s_cbranch_execz .LBB429_322
; %bb.319:
	v_mov_b32_e32 v2, 0x7e00
	s_and_saveexec_b64 s[0:1], s[40:41]
	s_cbranch_execz .LBB429_321
; %bb.320:
	v_div_scale_f32 v2, s[2:3], v5, v5, v71
	v_rcp_f32_e32 v3, v2
	v_div_scale_f32 v4, vcc, v71, v5, v71
	v_fma_f32 v6, -v2, v3, 1.0
	v_fmac_f32_e32 v3, v6, v3
	v_mul_f32_e32 v6, v4, v3
	v_fma_f32 v7, -v2, v6, v4
	v_fmac_f32_e32 v6, v7, v3
	v_fma_f32 v2, -v2, v6, v4
	v_div_fmas_f32 v2, v2, v3, v6
	v_div_fixup_f32 v2, v2, v5, v71
	v_cvt_f16_f32_e32 v2, v2
.LBB429_321:
	s_or_b64 exec, exec, s[0:1]
	global_store_short v[0:1], v2, off offset:4032
.LBB429_322:
	s_endpgm
	.section	.rodata,"a",@progbits
	.p2align	6, 0x0
	.amdhsa_kernel _ZN12_GLOBAL__N_120softmax_warp_forwardIN3c104HalfES2_fLi11ELb0ELb0ELi32EEEvPT0_PKT_iiiPKbib
		.amdhsa_group_segment_fixed_size 0
		.amdhsa_private_segment_fixed_size 0
		.amdhsa_kernarg_size 304
		.amdhsa_user_sgpr_count 6
		.amdhsa_user_sgpr_private_segment_buffer 1
		.amdhsa_user_sgpr_dispatch_ptr 0
		.amdhsa_user_sgpr_queue_ptr 0
		.amdhsa_user_sgpr_kernarg_segment_ptr 1
		.amdhsa_user_sgpr_dispatch_id 0
		.amdhsa_user_sgpr_flat_scratch_init 0
		.amdhsa_user_sgpr_kernarg_preload_length 0
		.amdhsa_user_sgpr_kernarg_preload_offset 0
		.amdhsa_user_sgpr_private_segment_size 0
		.amdhsa_uses_dynamic_stack 0
		.amdhsa_system_sgpr_private_segment_wavefront_offset 0
		.amdhsa_system_sgpr_workgroup_id_x 1
		.amdhsa_system_sgpr_workgroup_id_y 0
		.amdhsa_system_sgpr_workgroup_id_z 0
		.amdhsa_system_sgpr_workgroup_info 0
		.amdhsa_system_vgpr_workitem_id 1
		.amdhsa_next_free_vgpr 79
		.amdhsa_next_free_sgpr 96
		.amdhsa_accum_offset 80
		.amdhsa_reserve_vcc 1
		.amdhsa_reserve_flat_scratch 0
		.amdhsa_float_round_mode_32 0
		.amdhsa_float_round_mode_16_64 0
		.amdhsa_float_denorm_mode_32 3
		.amdhsa_float_denorm_mode_16_64 3
		.amdhsa_dx10_clamp 1
		.amdhsa_ieee_mode 1
		.amdhsa_fp16_overflow 0
		.amdhsa_tg_split 0
		.amdhsa_exception_fp_ieee_invalid_op 0
		.amdhsa_exception_fp_denorm_src 0
		.amdhsa_exception_fp_ieee_div_zero 0
		.amdhsa_exception_fp_ieee_overflow 0
		.amdhsa_exception_fp_ieee_underflow 0
		.amdhsa_exception_fp_ieee_inexact 0
		.amdhsa_exception_int_div_zero 0
	.end_amdhsa_kernel
	.section	.text._ZN12_GLOBAL__N_120softmax_warp_forwardIN3c104HalfES2_fLi11ELb0ELb0ELi32EEEvPT0_PKT_iiiPKbib,"axG",@progbits,_ZN12_GLOBAL__N_120softmax_warp_forwardIN3c104HalfES2_fLi11ELb0ELb0ELi32EEEvPT0_PKT_iiiPKbib,comdat
.Lfunc_end429:
	.size	_ZN12_GLOBAL__N_120softmax_warp_forwardIN3c104HalfES2_fLi11ELb0ELb0ELi32EEEvPT0_PKT_iiiPKbib, .Lfunc_end429-_ZN12_GLOBAL__N_120softmax_warp_forwardIN3c104HalfES2_fLi11ELb0ELb0ELi32EEEvPT0_PKT_iiiPKbib
                                        ; -- End function
	.section	.AMDGPU.csdata,"",@progbits
; Kernel info:
; codeLenInByte = 17184
; NumSgprs: 100
; NumVgprs: 79
; NumAgprs: 0
; TotalNumVgprs: 79
; ScratchSize: 0
; MemoryBound: 0
; FloatMode: 240
; IeeeMode: 1
; LDSByteSize: 0 bytes/workgroup (compile time only)
; SGPRBlocks: 12
; VGPRBlocks: 9
; NumSGPRsForWavesPerEU: 100
; NumVGPRsForWavesPerEU: 79
; AccumOffset: 80
; Occupancy: 6
; WaveLimiterHint : 0
; COMPUTE_PGM_RSRC2:SCRATCH_EN: 0
; COMPUTE_PGM_RSRC2:USER_SGPR: 6
; COMPUTE_PGM_RSRC2:TRAP_HANDLER: 0
; COMPUTE_PGM_RSRC2:TGID_X_EN: 1
; COMPUTE_PGM_RSRC2:TGID_Y_EN: 0
; COMPUTE_PGM_RSRC2:TGID_Z_EN: 0
; COMPUTE_PGM_RSRC2:TIDIG_COMP_CNT: 1
; COMPUTE_PGM_RSRC3_GFX90A:ACCUM_OFFSET: 19
; COMPUTE_PGM_RSRC3_GFX90A:TG_SPLIT: 0
	.section	.text._ZN2at6native12_GLOBAL__N_123cunn_SoftMaxForwardGmemILi8EN3c104HalfEfS4_NS1_29SoftMaxForwardWithMulEpilogueElEEvPT2_PKT0_T4_,"axG",@progbits,_ZN2at6native12_GLOBAL__N_123cunn_SoftMaxForwardGmemILi8EN3c104HalfEfS4_NS1_29SoftMaxForwardWithMulEpilogueElEEvPT2_PKT0_T4_,comdat
	.globl	_ZN2at6native12_GLOBAL__N_123cunn_SoftMaxForwardGmemILi8EN3c104HalfEfS4_NS1_29SoftMaxForwardWithMulEpilogueElEEvPT2_PKT0_T4_ ; -- Begin function _ZN2at6native12_GLOBAL__N_123cunn_SoftMaxForwardGmemILi8EN3c104HalfEfS4_NS1_29SoftMaxForwardWithMulEpilogueElEEvPT2_PKT0_T4_
	.p2align	8
	.type	_ZN2at6native12_GLOBAL__N_123cunn_SoftMaxForwardGmemILi8EN3c104HalfEfS4_NS1_29SoftMaxForwardWithMulEpilogueElEEvPT2_PKT0_T4_,@function
_ZN2at6native12_GLOBAL__N_123cunn_SoftMaxForwardGmemILi8EN3c104HalfEfS4_NS1_29SoftMaxForwardWithMulEpilogueElEEvPT2_PKT0_T4_: ; @_ZN2at6native12_GLOBAL__N_123cunn_SoftMaxForwardGmemILi8EN3c104HalfEfS4_NS1_29SoftMaxForwardWithMulEpilogueElEEvPT2_PKT0_T4_
; %bb.0:
	s_load_dwordx2 s[10:11], s[4:5], 0x10
	s_load_dwordx4 s[12:15], s[4:5], 0x0
	v_mov_b32_e32 v1, 0
	v_lshlrev_b32_e32 v2, 3, v0
	v_mov_b32_e32 v3, v1
	s_waitcnt lgkmcnt(0)
	s_mul_i32 s0, s6, s11
	s_mul_hi_u32 s1, s6, s10
	s_add_i32 s17, s1, s0
	s_mul_i32 s16, s6, s10
	s_mov_b32 s18, 0
	v_cmp_gt_i64_e64 s[0:1], s[10:11], v[2:3]
	v_mov_b32_e32 v3, 0xff7fffff
	v_lshlrev_b32_e32 v2, 4, v0
	s_and_saveexec_b64 s[2:3], s[0:1]
	s_cbranch_execz .LBB430_4
; %bb.1:
	s_load_dword s8, s[4:5], 0x24
	s_lshl_b64 s[6:7], s[16:17], 1
	v_mov_b32_e32 v8, s18
	v_mov_b32_e32 v9, s18
	v_pk_mov_b32 v[6:7], v[0:1], v[0:1] op_sel:[0,1]
	s_waitcnt lgkmcnt(0)
	s_and_b32 s8, s8, 0xffff
	s_add_u32 s6, s14, s6
	s_addc_u32 s7, s15, s7
	v_mov_b32_e32 v3, s7
	v_add_co_u32_e32 v4, vcc, s6, v2
	v_addc_co_u32_e32 v3, vcc, 0, v3, vcc
	v_add_co_u32_e32 v4, vcc, 14, v4
	v_addc_co_u32_e32 v5, vcc, 0, v3, vcc
	s_lshl_b32 s9, s8, 4
	s_mov_b64 s[6:7], 0
	v_mov_b32_e32 v3, 0xff7fffff
.LBB430_2:                              ; =>This Inner Loop Header: Depth=1
	global_load_dwordx4 v[10:13], v[4:5], off offset:-14
	v_add_co_u32_e32 v6, vcc, s8, v6
	v_addc_co_u32_e32 v7, vcc, v7, v8, vcc
	v_add_co_u32_e32 v4, vcc, s9, v4
	v_addc_co_u32_e32 v5, vcc, v5, v9, vcc
	v_lshlrev_b64 v[14:15], 3, v[6:7]
	v_cmp_le_i64_e32 vcc, s[10:11], v[14:15]
	s_or_b64 s[6:7], vcc, s[6:7]
	s_waitcnt vmcnt(0)
	v_cvt_f32_f16_e32 v14, v10
	v_cvt_f32_f16_sdwa v10, v10 dst_sel:DWORD dst_unused:UNUSED_PAD src0_sel:WORD_1
	v_cvt_f32_f16_e32 v15, v11
	v_cvt_f32_f16_sdwa v11, v11 dst_sel:DWORD dst_unused:UNUSED_PAD src0_sel:WORD_1
	;; [unrolled: 2-line block ×4, first 2 shown]
	v_max3_f32 v3, v3, v14, v10
	v_max3_f32 v3, v3, v15, v11
	v_max3_f32 v3, v3, v16, v12
	v_max3_f32 v3, v3, v17, v13
	s_andn2_b64 exec, exec, s[6:7]
	s_cbranch_execnz .LBB430_2
; %bb.3:
	s_or_b64 exec, exec, s[6:7]
.LBB430_4:
	s_or_b64 exec, exec, s[2:3]
	v_mbcnt_lo_u32_b32 v4, -1, 0
	v_mbcnt_hi_u32_b32 v5, -1, v4
	v_and_b32_e32 v6, 63, v5
	v_cmp_gt_u32_e32 vcc, 32, v6
	v_cndmask_b32_e64 v4, 0, 1, vcc
	v_lshlrev_b32_e32 v4, 5, v4
	v_add_lshl_u32 v8, v4, v5, 2
	ds_bpermute_b32 v4, v8, v3
	v_cmp_gt_u32_e32 vcc, 48, v6
	v_cndmask_b32_e64 v7, 0, 1, vcc
	v_lshrrev_b32_e32 v14, 4, v0
	s_waitcnt lgkmcnt(0)
	v_cmp_lt_f32_e32 vcc, v3, v4
	v_cndmask_b32_e32 v3, v3, v4, vcc
	v_lshlrev_b32_e32 v4, 4, v7
	v_add_lshl_u32 v9, v4, v5, 2
	ds_bpermute_b32 v4, v9, v3
	s_barrier
	s_waitcnt lgkmcnt(0)
	v_cmp_lt_f32_e32 vcc, v3, v4
	v_cndmask_b32_e32 v3, v3, v4, vcc
	v_cmp_gt_u32_e32 vcc, 56, v6
	v_cndmask_b32_e64 v4, 0, 1, vcc
	v_lshlrev_b32_e32 v4, 3, v4
	v_add_lshl_u32 v10, v4, v5, 2
	ds_bpermute_b32 v4, v10, v3
	s_waitcnt lgkmcnt(0)
	v_cmp_lt_f32_e32 vcc, v3, v4
	v_cndmask_b32_e32 v3, v3, v4, vcc
	v_cmp_gt_u32_e32 vcc, 60, v6
	v_cndmask_b32_e64 v4, 0, 1, vcc
	v_lshlrev_b32_e32 v4, 2, v4
	v_add_lshl_u32 v11, v4, v5, 2
	ds_bpermute_b32 v4, v11, v3
	;; [unrolled: 8-line block ×3, first 2 shown]
	v_and_b32_e32 v4, 63, v0
	s_waitcnt lgkmcnt(0)
	v_cmp_lt_f32_e32 vcc, v3, v7
	v_cndmask_b32_e32 v3, v3, v7, vcc
	v_cmp_ne_u32_e32 vcc, 63, v6
	v_addc_co_u32_e32 v5, vcc, 0, v5, vcc
	v_lshlrev_b32_e32 v13, 2, v5
	ds_bpermute_b32 v5, v13, v3
	v_cmp_eq_u32_e32 vcc, 0, v4
	s_and_saveexec_b64 s[6:7], vcc
	s_cbranch_execz .LBB430_6
; %bb.5:
	s_waitcnt lgkmcnt(0)
	v_cmp_lt_f32_e64 s[2:3], v3, v5
	v_add_u32_e32 v6, 0, v14
	v_cndmask_b32_e64 v3, v3, v5, s[2:3]
	ds_write_b32 v6, v3
.LBB430_6:
	s_or_b64 exec, exec, s[6:7]
	s_waitcnt lgkmcnt(0)
	s_barrier
	s_load_dword s22, s[4:5], 0x24
	v_mov_b32_e32 v3, 0xff7fffff
	v_lshl_add_u32 v15, v4, 2, 0
	s_waitcnt lgkmcnt(0)
	s_bfe_u32 s2, s22, 0xa0006
	v_cmp_gt_u32_e64 s[2:3], s2, v0
	s_and_saveexec_b64 s[4:5], s[2:3]
	s_cbranch_execnz .LBB430_24
; %bb.7:
	s_or_b64 exec, exec, s[4:5]
	v_cmp_gt_u32_e64 s[4:5], 64, v0
	s_and_saveexec_b64 s[8:9], s[4:5]
	s_cbranch_execnz .LBB430_25
.LBB430_8:
	s_or_b64 exec, exec, s[8:9]
	v_cmp_eq_u32_e64 s[6:7], 0, v0
	s_and_saveexec_b64 s[8:9], s[6:7]
	s_cbranch_execz .LBB430_10
.LBB430_9:
	v_mov_b32_e32 v4, 0
	s_waitcnt lgkmcnt(0)
	ds_write_b32 v4, v3
.LBB430_10:
	s_or_b64 exec, exec, s[8:9]
	v_mov_b32_e32 v16, 0
	s_waitcnt lgkmcnt(0)
	s_barrier
	ds_read_b32 v3, v16
	s_mov_b32 s25, 0
	s_and_saveexec_b64 s[18:19], s[0:1]
	s_cbranch_execz .LBB430_14
; %bb.11:
	s_and_b32 s23, s22, 0xffff
	s_lshl_b64 s[8:9], s[16:17], 1
	s_add_u32 s8, s14, s8
	s_addc_u32 s9, s15, s9
	v_mov_b32_e32 v4, s9
	v_add_co_u32_e64 v5, s[8:9], s8, v2
	v_addc_co_u32_e64 v6, s[8:9], 0, v4, s[8:9]
	v_add_co_u32_e64 v4, s[8:9], 14, v5
	v_addc_co_u32_e64 v5, s[8:9], 0, v6, s[8:9]
	s_lshl_b32 s24, s23, 4
	s_mov_b64 s[20:21], 0
	v_mov_b32_e32 v16, 0
	v_mov_b32_e32 v17, s25
	;; [unrolled: 1-line block ×3, first 2 shown]
	v_pk_mov_b32 v[6:7], v[0:1], v[0:1] op_sel:[0,1]
.LBB430_12:                             ; =>This Inner Loop Header: Depth=1
	global_load_dwordx4 v[20:23], v[4:5], off offset:-14
	v_add_co_u32_e64 v6, s[8:9], s23, v6
	v_addc_co_u32_e64 v7, s[8:9], v7, v17, s[8:9]
	v_add_co_u32_e64 v4, s[8:9], s24, v4
	v_addc_co_u32_e64 v5, s[8:9], v5, v18, s[8:9]
	v_lshlrev_b64 v[24:25], 3, v[6:7]
	v_cmp_le_i64_e64 s[8:9], s[10:11], v[24:25]
	s_or_b64 s[20:21], s[8:9], s[20:21]
	s_waitcnt vmcnt(0)
	v_cvt_f32_f16_e32 v19, v20
	v_cvt_f32_f16_sdwa v20, v20 dst_sel:DWORD dst_unused:UNUSED_PAD src0_sel:WORD_1
	v_cvt_f32_f16_e32 v24, v21
	v_cvt_f32_f16_sdwa v21, v21 dst_sel:DWORD dst_unused:UNUSED_PAD src0_sel:WORD_1
	v_cvt_f32_f16_e32 v25, v22
	s_waitcnt lgkmcnt(0)
	v_sub_f32_e32 v19, v19, v3
	v_cvt_f32_f16_sdwa v22, v22 dst_sel:DWORD dst_unused:UNUSED_PAD src0_sel:WORD_1
	v_sub_f32_e32 v20, v20, v3
	v_mul_f32_e32 v19, 0x3fb8aa3b, v19
	v_cvt_f32_f16_e32 v26, v23
	v_sub_f32_e32 v24, v24, v3
	v_mul_f32_e32 v20, 0x3fb8aa3b, v20
	v_exp_f32_e32 v19, v19
	v_cvt_f32_f16_sdwa v23, v23 dst_sel:DWORD dst_unused:UNUSED_PAD src0_sel:WORD_1
	v_sub_f32_e32 v21, v21, v3
	v_mul_f32_e32 v24, 0x3fb8aa3b, v24
	v_exp_f32_e32 v20, v20
	v_sub_f32_e32 v25, v25, v3
	v_mul_f32_e32 v21, 0x3fb8aa3b, v21
	v_exp_f32_e32 v24, v24
	v_sub_f32_e32 v22, v22, v3
	v_mul_f32_e32 v25, 0x3fb8aa3b, v25
	v_exp_f32_e32 v21, v21
	v_sub_f32_e32 v26, v26, v3
	v_mul_f32_e32 v22, 0x3fb8aa3b, v22
	v_exp_f32_e32 v25, v25
	v_add_f32_e32 v16, v16, v19
	v_sub_f32_e32 v23, v23, v3
	v_mul_f32_e32 v26, 0x3fb8aa3b, v26
	v_exp_f32_e32 v22, v22
	v_add_f32_e32 v16, v16, v20
	v_mul_f32_e32 v23, 0x3fb8aa3b, v23
	v_exp_f32_e32 v26, v26
	v_add_f32_e32 v16, v16, v24
	v_exp_f32_e32 v23, v23
	v_add_f32_e32 v16, v16, v21
	v_add_f32_e32 v16, v16, v25
	;; [unrolled: 1-line block ×5, first 2 shown]
	s_andn2_b64 exec, exec, s[20:21]
	s_cbranch_execnz .LBB430_12
; %bb.13:
	s_or_b64 exec, exec, s[20:21]
.LBB430_14:
	s_or_b64 exec, exec, s[18:19]
	ds_bpermute_b32 v4, v8, v16
	s_waitcnt lgkmcnt(0)
	s_barrier
	v_add_f32_e32 v4, v16, v4
	ds_bpermute_b32 v5, v9, v4
	s_waitcnt lgkmcnt(0)
	v_add_f32_e32 v4, v4, v5
	ds_bpermute_b32 v5, v10, v4
	s_waitcnt lgkmcnt(0)
	;; [unrolled: 3-line block ×4, first 2 shown]
	v_add_f32_e32 v4, v4, v5
	ds_bpermute_b32 v5, v13, v4
	s_and_saveexec_b64 s[8:9], vcc
	s_cbranch_execz .LBB430_16
; %bb.15:
	v_add_u32_e32 v6, 0, v14
	s_waitcnt lgkmcnt(0)
	v_add_f32_e32 v4, v4, v5
	ds_write_b32 v6, v4
.LBB430_16:
	s_or_b64 exec, exec, s[8:9]
	v_mov_b32_e32 v4, 0
	s_waitcnt lgkmcnt(0)
	s_barrier
	s_and_saveexec_b64 s[8:9], s[2:3]
	s_cbranch_execnz .LBB430_26
; %bb.17:
	s_or_b64 exec, exec, s[8:9]
	s_and_saveexec_b64 s[2:3], s[4:5]
	s_cbranch_execnz .LBB430_27
.LBB430_18:
	s_or_b64 exec, exec, s[2:3]
	s_and_saveexec_b64 s[2:3], s[6:7]
	s_cbranch_execz .LBB430_20
.LBB430_19:
	s_waitcnt lgkmcnt(0)
	v_div_scale_f32 v5, s[4:5], v4, v4, 1.0
	v_rcp_f32_e32 v6, v5
	v_div_scale_f32 v7, vcc, 1.0, v4, 1.0
	v_fma_f32 v8, -v5, v6, 1.0
	v_fmac_f32_e32 v6, v8, v6
	v_mul_f32_e32 v8, v7, v6
	v_fma_f32 v9, -v5, v8, v7
	v_fmac_f32_e32 v8, v9, v6
	v_fma_f32 v5, -v5, v8, v7
	v_div_fmas_f32 v5, v5, v6, v8
	v_div_fixup_f32 v4, v5, v4, 1.0
	v_mov_b32_e32 v5, 0
	ds_write_b32 v5, v4
.LBB430_20:
	s_or_b64 exec, exec, s[2:3]
	s_waitcnt lgkmcnt(0)
	s_barrier
	s_and_saveexec_b64 s[2:3], s[0:1]
	s_cbranch_execz .LBB430_23
; %bb.21:
	v_mov_b32_e32 v4, 0
	s_lshl_b64 s[0:1], s[16:17], 1
	ds_read_b32 v4, v4
	s_add_u32 s2, s14, s0
	s_addc_u32 s3, s15, s1
	s_add_u32 s4, s12, s0
	s_mov_b32 s8, 0
	s_addc_u32 s5, s13, s1
	s_and_b32 s6, s22, 0xffff
	s_lshl_b32 s7, s6, 4
	s_mov_b64 s[0:1], 0
	v_mov_b32_e32 v5, s8
.LBB430_22:                             ; =>This Inner Loop Header: Depth=1
	v_mov_b32_e32 v7, s3
	v_add_co_u32_e32 v6, vcc, s2, v2
	v_addc_co_u32_e32 v7, vcc, 0, v7, vcc
	global_load_dwordx4 v[6:9], v[6:7], off
	v_add_co_u32_e32 v0, vcc, s6, v0
	v_addc_co_u32_e32 v1, vcc, v1, v5, vcc
	v_mov_b32_e32 v11, s5
	v_add_co_u32_e32 v10, vcc, s4, v2
	v_addc_co_u32_e32 v11, vcc, 0, v11, vcc
	v_lshlrev_b64 v[12:13], 3, v[0:1]
	v_cmp_le_i64_e32 vcc, s[10:11], v[12:13]
	s_add_u32 s2, s2, s7
	s_addc_u32 s3, s3, 0
	s_add_u32 s4, s4, s7
	s_addc_u32 s5, s5, 0
	s_or_b64 s[0:1], vcc, s[0:1]
	s_waitcnt vmcnt(0)
	v_cvt_f32_f16_e32 v12, v6
	v_cvt_f32_f16_e32 v13, v7
	;; [unrolled: 1-line block ×4, first 2 shown]
	v_cvt_f32_f16_sdwa v6, v6 dst_sel:DWORD dst_unused:UNUSED_PAD src0_sel:WORD_1
	v_cvt_f32_f16_sdwa v7, v7 dst_sel:DWORD dst_unused:UNUSED_PAD src0_sel:WORD_1
	;; [unrolled: 1-line block ×4, first 2 shown]
	v_sub_f32_e32 v12, v12, v3
	v_sub_f32_e32 v13, v13, v3
	;; [unrolled: 1-line block ×8, first 2 shown]
	v_mul_f32_e32 v12, 0x3fb8aa3b, v12
	v_mul_f32_e32 v13, 0x3fb8aa3b, v13
	;; [unrolled: 1-line block ×8, first 2 shown]
	v_exp_f32_e32 v12, v12
	v_exp_f32_e32 v13, v13
	;; [unrolled: 1-line block ×8, first 2 shown]
	s_waitcnt lgkmcnt(0)
	v_fma_mixlo_f16 v6, v4, v12, 0
	v_fma_mixlo_f16 v7, v4, v13, 0
	;; [unrolled: 1-line block ×4, first 2 shown]
	v_fma_mixhi_f16 v9, v4, v19, 0
	v_fma_mixhi_f16 v8, v4, v18, 0
	;; [unrolled: 1-line block ×4, first 2 shown]
	global_store_dwordx4 v[10:11], v[6:9], off
	s_andn2_b64 exec, exec, s[0:1]
	s_cbranch_execnz .LBB430_22
.LBB430_23:
	s_endpgm
.LBB430_24:
	ds_read_b32 v3, v15
	s_or_b64 exec, exec, s[4:5]
	v_cmp_gt_u32_e64 s[4:5], 64, v0
	s_and_saveexec_b64 s[8:9], s[4:5]
	s_cbranch_execz .LBB430_8
.LBB430_25:
	s_waitcnt lgkmcnt(0)
	ds_bpermute_b32 v4, v8, v3
	s_waitcnt lgkmcnt(0)
	v_cmp_lt_f32_e64 s[6:7], v3, v4
	v_cndmask_b32_e64 v3, v3, v4, s[6:7]
	ds_bpermute_b32 v4, v9, v3
	s_waitcnt lgkmcnt(0)
	v_cmp_lt_f32_e64 s[6:7], v3, v4
	v_cndmask_b32_e64 v3, v3, v4, s[6:7]
	;; [unrolled: 4-line block ×6, first 2 shown]
	s_or_b64 exec, exec, s[8:9]
	v_cmp_eq_u32_e64 s[6:7], 0, v0
	s_and_saveexec_b64 s[8:9], s[6:7]
	s_cbranch_execnz .LBB430_9
	s_branch .LBB430_10
.LBB430_26:
	ds_read_b32 v4, v15
	s_or_b64 exec, exec, s[8:9]
	s_and_saveexec_b64 s[2:3], s[4:5]
	s_cbranch_execz .LBB430_18
.LBB430_27:
	s_waitcnt lgkmcnt(0)
	ds_bpermute_b32 v5, v8, v4
	s_waitcnt lgkmcnt(0)
	v_add_f32_e32 v4, v4, v5
	ds_bpermute_b32 v5, v9, v4
	s_waitcnt lgkmcnt(0)
	v_add_f32_e32 v4, v4, v5
	;; [unrolled: 3-line block ×6, first 2 shown]
	s_or_b64 exec, exec, s[2:3]
	s_and_saveexec_b64 s[2:3], s[6:7]
	s_cbranch_execnz .LBB430_19
	s_branch .LBB430_20
	.section	.rodata,"a",@progbits
	.p2align	6, 0x0
	.amdhsa_kernel _ZN2at6native12_GLOBAL__N_123cunn_SoftMaxForwardGmemILi8EN3c104HalfEfS4_NS1_29SoftMaxForwardWithMulEpilogueElEEvPT2_PKT0_T4_
		.amdhsa_group_segment_fixed_size 0
		.amdhsa_private_segment_fixed_size 0
		.amdhsa_kernarg_size 280
		.amdhsa_user_sgpr_count 6
		.amdhsa_user_sgpr_private_segment_buffer 1
		.amdhsa_user_sgpr_dispatch_ptr 0
		.amdhsa_user_sgpr_queue_ptr 0
		.amdhsa_user_sgpr_kernarg_segment_ptr 1
		.amdhsa_user_sgpr_dispatch_id 0
		.amdhsa_user_sgpr_flat_scratch_init 0
		.amdhsa_user_sgpr_kernarg_preload_length 0
		.amdhsa_user_sgpr_kernarg_preload_offset 0
		.amdhsa_user_sgpr_private_segment_size 0
		.amdhsa_uses_dynamic_stack 0
		.amdhsa_system_sgpr_private_segment_wavefront_offset 0
		.amdhsa_system_sgpr_workgroup_id_x 1
		.amdhsa_system_sgpr_workgroup_id_y 0
		.amdhsa_system_sgpr_workgroup_id_z 0
		.amdhsa_system_sgpr_workgroup_info 0
		.amdhsa_system_vgpr_workitem_id 0
		.amdhsa_next_free_vgpr 27
		.amdhsa_next_free_sgpr 26
		.amdhsa_accum_offset 28
		.amdhsa_reserve_vcc 1
		.amdhsa_reserve_flat_scratch 0
		.amdhsa_float_round_mode_32 0
		.amdhsa_float_round_mode_16_64 0
		.amdhsa_float_denorm_mode_32 3
		.amdhsa_float_denorm_mode_16_64 3
		.amdhsa_dx10_clamp 1
		.amdhsa_ieee_mode 1
		.amdhsa_fp16_overflow 0
		.amdhsa_tg_split 0
		.amdhsa_exception_fp_ieee_invalid_op 0
		.amdhsa_exception_fp_denorm_src 0
		.amdhsa_exception_fp_ieee_div_zero 0
		.amdhsa_exception_fp_ieee_overflow 0
		.amdhsa_exception_fp_ieee_underflow 0
		.amdhsa_exception_fp_ieee_inexact 0
		.amdhsa_exception_int_div_zero 0
	.end_amdhsa_kernel
	.section	.text._ZN2at6native12_GLOBAL__N_123cunn_SoftMaxForwardGmemILi8EN3c104HalfEfS4_NS1_29SoftMaxForwardWithMulEpilogueElEEvPT2_PKT0_T4_,"axG",@progbits,_ZN2at6native12_GLOBAL__N_123cunn_SoftMaxForwardGmemILi8EN3c104HalfEfS4_NS1_29SoftMaxForwardWithMulEpilogueElEEvPT2_PKT0_T4_,comdat
.Lfunc_end430:
	.size	_ZN2at6native12_GLOBAL__N_123cunn_SoftMaxForwardGmemILi8EN3c104HalfEfS4_NS1_29SoftMaxForwardWithMulEpilogueElEEvPT2_PKT0_T4_, .Lfunc_end430-_ZN2at6native12_GLOBAL__N_123cunn_SoftMaxForwardGmemILi8EN3c104HalfEfS4_NS1_29SoftMaxForwardWithMulEpilogueElEEvPT2_PKT0_T4_
                                        ; -- End function
	.section	.AMDGPU.csdata,"",@progbits
; Kernel info:
; codeLenInByte = 2184
; NumSgprs: 30
; NumVgprs: 27
; NumAgprs: 0
; TotalNumVgprs: 27
; ScratchSize: 0
; MemoryBound: 0
; FloatMode: 240
; IeeeMode: 1
; LDSByteSize: 0 bytes/workgroup (compile time only)
; SGPRBlocks: 3
; VGPRBlocks: 3
; NumSGPRsForWavesPerEU: 30
; NumVGPRsForWavesPerEU: 27
; AccumOffset: 28
; Occupancy: 8
; WaveLimiterHint : 0
; COMPUTE_PGM_RSRC2:SCRATCH_EN: 0
; COMPUTE_PGM_RSRC2:USER_SGPR: 6
; COMPUTE_PGM_RSRC2:TRAP_HANDLER: 0
; COMPUTE_PGM_RSRC2:TGID_X_EN: 1
; COMPUTE_PGM_RSRC2:TGID_Y_EN: 0
; COMPUTE_PGM_RSRC2:TGID_Z_EN: 0
; COMPUTE_PGM_RSRC2:TIDIG_COMP_CNT: 0
; COMPUTE_PGM_RSRC3_GFX90A:ACCUM_OFFSET: 6
; COMPUTE_PGM_RSRC3_GFX90A:TG_SPLIT: 0
	.section	.text._ZN2at6native12_GLOBAL__N_123cunn_SoftMaxForwardFastILi8EN3c104HalfEfS4_NS1_29SoftMaxForwardWithMulEpilogueEEEvPT2_PKT0_i,"axG",@progbits,_ZN2at6native12_GLOBAL__N_123cunn_SoftMaxForwardFastILi8EN3c104HalfEfS4_NS1_29SoftMaxForwardWithMulEpilogueEEEvPT2_PKT0_i,comdat
	.globl	_ZN2at6native12_GLOBAL__N_123cunn_SoftMaxForwardFastILi8EN3c104HalfEfS4_NS1_29SoftMaxForwardWithMulEpilogueEEEvPT2_PKT0_i ; -- Begin function _ZN2at6native12_GLOBAL__N_123cunn_SoftMaxForwardFastILi8EN3c104HalfEfS4_NS1_29SoftMaxForwardWithMulEpilogueEEEvPT2_PKT0_i
	.p2align	8
	.type	_ZN2at6native12_GLOBAL__N_123cunn_SoftMaxForwardFastILi8EN3c104HalfEfS4_NS1_29SoftMaxForwardWithMulEpilogueEEEvPT2_PKT0_i,@function
_ZN2at6native12_GLOBAL__N_123cunn_SoftMaxForwardFastILi8EN3c104HalfEfS4_NS1_29SoftMaxForwardWithMulEpilogueEEEvPT2_PKT0_i: ; @_ZN2at6native12_GLOBAL__N_123cunn_SoftMaxForwardFastILi8EN3c104HalfEfS4_NS1_29SoftMaxForwardWithMulEpilogueEEEvPT2_PKT0_i
; %bb.0:
	s_load_dword s24, s[4:5], 0x10
	s_load_dwordx4 s[12:15], s[4:5], 0x0
	s_mov_b32 s11, 0
	s_waitcnt lgkmcnt(0)
	s_ashr_i32 s0, s24, 31
	s_mul_hi_u32 s1, s24, s6
	s_mul_i32 s0, s0, s6
	s_add_i32 s1, s1, s0
	s_mul_i32 s0, s24, s6
	s_lshl_b64 s[16:17], s[0:1], 1
	s_add_u32 s14, s14, s16
	s_addc_u32 s15, s15, s17
	s_bfe_u32 s10, s14, 0x30001
	s_cmp_lg_u32 s10, 0
	s_cselect_b64 s[18:19], -1, 0
	s_and_b64 vcc, exec, s[18:19]
	v_cmp_le_u32_e64 s[0:1], s10, v0
	s_cbranch_vccz .LBB431_25
; %bb.1:
	s_lshl_b64 s[2:3], s[10:11], 1
	s_sub_u32 s8, s14, s2
	s_subb_u32 s9, s15, s3
	s_add_i32 s7, s10, s24
	v_cmp_gt_i32_e32 vcc, s7, v0
	s_and_b64 s[2:3], s[0:1], vcc
	v_mov_b32_e32 v4, 0xff7fffff
	s_and_saveexec_b64 s[0:1], s[2:3]
	s_cbranch_execz .LBB431_3
; %bb.2:
	v_lshlrev_b32_e32 v1, 1, v0
	global_load_ushort v1, v1, s[8:9]
	s_waitcnt vmcnt(0)
	v_cvt_f32_f16_e32 v1, v1
	v_max_f32_e32 v4, 0xff7fffff, v1
.LBB431_3:
	s_or_b64 exec, exec, s[0:1]
	s_load_dword s0, s[4:5], 0x24
	s_add_u32 s2, s4, 24
	s_addc_u32 s3, s5, 0
	s_waitcnt lgkmcnt(0)
	s_and_b32 s0, s0, 0xffff
	v_mov_b32_e32 v1, s0
	s_lshl_b32 s0, s0, 1
	v_sub_u32_e64 v1, s7, v1 clamp
	s_add_u32 s0, s8, s0
	v_readfirstlane_b32 s7, v1
	s_addc_u32 s1, s9, 0
	s_branch .LBB431_5
.LBB431_4:
	s_add_u32 s2, s4, 24
	s_addc_u32 s3, s5, 0
	v_mov_b32_e32 v4, 0xff7fffff
	s_mov_b32 s7, s24
	s_mov_b64 s[0:1], s[14:15]
.LBB431_5:
	s_load_dword s8, s[2:3], 0x0
	v_mov_b32_e32 v1, 0
	v_lshlrev_b32_e32 v12, 3, v0
	s_waitcnt lgkmcnt(0)
	s_cmp_lt_u32 s6, s8
	s_cselect_b32 s8, 12, 18
	s_add_u32 s2, s2, s8
	s_addc_u32 s3, s3, 0
	global_load_ushort v1, v1, s[2:3]
	s_waitcnt vmcnt(0)
	v_readfirstlane_b32 s2, v1
	s_lshl_b32 s2, s2, 3
	v_cvt_f32_u32_e32 v2, s2
	s_sub_i32 s3, 0, s2
	v_rcp_iflag_f32_e32 v2, v2
	v_mul_f32_e32 v2, 0x4f7ffffe, v2
	v_cvt_u32_f32_e32 v2, v2
	v_readfirstlane_b32 s8, v2
	s_mul_i32 s3, s3, s8
	s_mul_hi_u32 s3, s8, s3
	s_add_i32 s8, s8, s3
	s_mul_hi_u32 s3, s7, s8
	s_mul_i32 s3, s3, s2
	s_sub_i32 s3, s7, s3
	s_sub_i32 s8, s3, s2
	s_cmp_ge_u32 s3, s2
	s_cselect_b32 s3, s8, s3
	s_sub_i32 s8, s3, s2
	s_cmp_ge_u32 s3, s2
	s_cselect_b32 s2, s8, s3
	s_sub_i32 s11, s7, s2
	v_cmp_gt_i32_e32 vcc, s11, v12
	s_and_saveexec_b64 s[2:3], vcc
	s_cbranch_execz .LBB431_9
; %bb.6:
	s_mov_b64 s[8:9], 0
	v_mov_b32_e32 v5, s1
	v_mov_b32_e32 v2, v0
.LBB431_7:                              ; =>This Inner Loop Header: Depth=1
	v_ashrrev_i32_e32 v3, 31, v2
	v_lshlrev_b64 v[6:7], 4, v[2:3]
	v_add_co_u32_e32 v6, vcc, s0, v6
	v_addc_co_u32_e32 v7, vcc, v5, v7, vcc
	global_load_dwordx4 v[6:9], v[6:7], off
	v_add_u32_e32 v2, v2, v1
	v_lshlrev_b32_e32 v3, 3, v2
	v_cmp_le_i32_e32 vcc, s11, v3
	s_or_b64 s[8:9], vcc, s[8:9]
	s_waitcnt vmcnt(0)
	v_cvt_f32_f16_e32 v3, v6
	v_cvt_f32_f16_sdwa v6, v6 dst_sel:DWORD dst_unused:UNUSED_PAD src0_sel:WORD_1
	v_cvt_f32_f16_e32 v10, v7
	v_cvt_f32_f16_sdwa v7, v7 dst_sel:DWORD dst_unused:UNUSED_PAD src0_sel:WORD_1
	;; [unrolled: 2-line block ×4, first 2 shown]
	v_max3_f32 v3, v4, v3, v6
	v_max3_f32 v3, v3, v10, v7
	;; [unrolled: 1-line block ×4, first 2 shown]
	s_andn2_b64 exec, exec, s[8:9]
	s_cbranch_execnz .LBB431_7
; %bb.8:
	s_or_b64 exec, exec, s[8:9]
.LBB431_9:
	s_or_b64 exec, exec, s[2:3]
	v_add_u32_e32 v2, s11, v0
	v_cmp_gt_i32_e32 vcc, s7, v2
	s_and_saveexec_b64 s[2:3], vcc
	s_cbranch_execz .LBB431_13
; %bb.10:
	s_mov_b64 s[8:9], 0
	v_mov_b32_e32 v5, s1
.LBB431_11:                             ; =>This Inner Loop Header: Depth=1
	v_ashrrev_i32_e32 v3, 31, v2
	v_lshlrev_b64 v[6:7], 1, v[2:3]
	v_add_co_u32_e32 v6, vcc, s0, v6
	v_addc_co_u32_e32 v7, vcc, v5, v7, vcc
	global_load_ushort v3, v[6:7], off
	v_add_u32_e32 v2, v2, v1
	v_max_f32_e32 v4, v4, v4
	v_cmp_le_i32_e32 vcc, s7, v2
	s_or_b64 s[8:9], vcc, s[8:9]
	s_waitcnt vmcnt(0)
	v_cvt_f32_f16_e32 v3, v3
	v_max_f32_e32 v4, v4, v3
	s_andn2_b64 exec, exec, s[8:9]
	s_cbranch_execnz .LBB431_11
; %bb.12:
	s_or_b64 exec, exec, s[8:9]
.LBB431_13:
	s_or_b64 exec, exec, s[2:3]
	v_mbcnt_lo_u32_b32 v1, -1, 0
	v_mbcnt_hi_u32_b32 v8, -1, v1
	v_and_b32_e32 v9, 63, v8
	v_cmp_gt_u32_e32 vcc, 32, v9
	v_cndmask_b32_e64 v1, 0, 1, vcc
	v_lshlrev_b32_e32 v1, 5, v1
	v_add_lshl_u32 v1, v1, v8, 2
	ds_bpermute_b32 v2, v1, v4
	v_cmp_gt_u32_e32 vcc, 48, v9
	v_cndmask_b32_e64 v3, 0, 1, vcc
	v_lshlrev_b32_e32 v3, 4, v3
	s_waitcnt lgkmcnt(0)
	v_cmp_lt_f32_e32 vcc, v4, v2
	v_cndmask_b32_e32 v2, v4, v2, vcc
	v_add_lshl_u32 v4, v3, v8, 2
	ds_bpermute_b32 v3, v4, v2
	s_barrier
	s_waitcnt lgkmcnt(0)
	v_cmp_lt_f32_e32 vcc, v2, v3
	v_cndmask_b32_e32 v2, v2, v3, vcc
	v_cmp_gt_u32_e32 vcc, 56, v9
	v_cndmask_b32_e64 v3, 0, 1, vcc
	v_lshlrev_b32_e32 v3, 3, v3
	v_add_lshl_u32 v5, v3, v8, 2
	ds_bpermute_b32 v3, v5, v2
	s_waitcnt lgkmcnt(0)
	v_cmp_lt_f32_e32 vcc, v2, v3
	v_cndmask_b32_e32 v2, v2, v3, vcc
	v_cmp_gt_u32_e32 vcc, 60, v9
	v_cndmask_b32_e64 v3, 0, 1, vcc
	v_lshlrev_b32_e32 v3, 2, v3
	v_add_lshl_u32 v6, v3, v8, 2
	ds_bpermute_b32 v3, v6, v2
	;; [unrolled: 8-line block ×3, first 2 shown]
	v_and_b32_e32 v3, 63, v0
	v_cmp_eq_u32_e64 s[0:1], 0, v3
	s_waitcnt lgkmcnt(0)
	v_cmp_lt_f32_e32 vcc, v2, v10
	v_cndmask_b32_e32 v2, v2, v10, vcc
	v_cmp_ne_u32_e32 vcc, 63, v9
	v_addc_co_u32_e32 v8, vcc, 0, v8, vcc
	v_lshlrev_b32_e32 v8, 2, v8
	ds_bpermute_b32 v9, v8, v2
	v_lshrrev_b32_e32 v10, 4, v0
	s_and_saveexec_b64 s[2:3], s[0:1]
	s_cbranch_execz .LBB431_15
; %bb.14:
	s_waitcnt lgkmcnt(0)
	v_cmp_lt_f32_e32 vcc, v2, v9
	v_add_u32_e32 v11, 0, v10
	v_cndmask_b32_e32 v2, v2, v9, vcc
	ds_write_b32 v11, v2
.LBB431_15:
	s_or_b64 exec, exec, s[2:3]
	s_waitcnt lgkmcnt(0)
	s_barrier
	s_load_dword s7, s[4:5], 0x24
	s_add_u32 s20, s4, 24
	s_addc_u32 s21, s5, 0
	v_mov_b32_e32 v2, 0xff7fffff
	v_lshl_add_u32 v11, v3, 2, 0
	s_waitcnt lgkmcnt(0)
	s_bfe_u32 s2, s7, 0xa0006
	v_cmp_gt_u32_e64 s[2:3], s2, v0
	s_and_saveexec_b64 s[4:5], s[2:3]
	s_cbranch_execnz .LBB431_23
; %bb.16:
	s_or_b64 exec, exec, s[4:5]
	v_cmp_gt_u32_e64 s[4:5], 64, v0
	s_and_saveexec_b64 s[8:9], s[4:5]
	s_cbranch_execnz .LBB431_24
.LBB431_17:
	s_or_b64 exec, exec, s[8:9]
	v_cmp_eq_u32_e64 s[8:9], 0, v0
	s_and_saveexec_b64 s[22:23], s[8:9]
	s_cbranch_execz .LBB431_19
.LBB431_18:
	v_mov_b32_e32 v3, 0
	s_waitcnt lgkmcnt(0)
	ds_write_b32 v3, v2
.LBB431_19:
	s_or_b64 exec, exec, s[22:23]
	v_mov_b32_e32 v13, 0
	s_waitcnt lgkmcnt(0)
	s_barrier
	ds_read_b32 v9, v13
	s_and_b32 s22, s7, 0xffff
	s_andn2_b64 vcc, exec, s[18:19]
	s_mov_b32 s11, 0
	s_cbranch_vccnz .LBB431_26
; %bb.20:
	s_lshl_b64 s[18:19], s[10:11], 1
	s_sub_u32 s18, s14, s18
	s_subb_u32 s19, s15, s19
	s_add_i32 s7, s10, s24
	v_cmp_le_u32_e32 vcc, s10, v0
	v_cmp_gt_i32_e64 s[10:11], s7, v0
	s_and_b64 s[26:27], vcc, s[10:11]
	v_mov_b32_e32 v13, 0
	s_and_saveexec_b64 s[10:11], s[26:27]
	s_cbranch_execz .LBB431_22
; %bb.21:
	v_lshlrev_b32_e32 v2, 1, v0
	global_load_ushort v2, v2, s[18:19]
	s_waitcnt vmcnt(0)
	v_cvt_f32_f16_e32 v2, v2
	s_waitcnt lgkmcnt(0)
	v_sub_f32_e32 v2, v2, v9
	v_mul_f32_e32 v2, 0x3fb8aa3b, v2
	v_exp_f32_e32 v2, v2
	v_add_f32_e32 v13, 0, v2
.LBB431_22:
	s_or_b64 exec, exec, s[10:11]
	v_mov_b32_e32 v2, s22
	v_sub_u32_e64 v2, s7, v2 clamp
	s_lshl_b32 s7, s22, 1
	s_add_u32 s10, s18, s7
	v_readfirstlane_b32 s23, v2
	s_addc_u32 s11, s19, 0
	s_branch .LBB431_27
.LBB431_23:
	ds_read_b32 v2, v11
	s_or_b64 exec, exec, s[4:5]
	v_cmp_gt_u32_e64 s[4:5], 64, v0
	s_and_saveexec_b64 s[8:9], s[4:5]
	s_cbranch_execz .LBB431_17
.LBB431_24:
	s_waitcnt lgkmcnt(0)
	ds_bpermute_b32 v3, v1, v2
	s_waitcnt lgkmcnt(0)
	v_cmp_lt_f32_e32 vcc, v2, v3
	v_cndmask_b32_e32 v2, v2, v3, vcc
	ds_bpermute_b32 v3, v4, v2
	s_waitcnt lgkmcnt(0)
	v_cmp_lt_f32_e32 vcc, v2, v3
	v_cndmask_b32_e32 v2, v2, v3, vcc
	;; [unrolled: 4-line block ×6, first 2 shown]
	s_or_b64 exec, exec, s[8:9]
	v_cmp_eq_u32_e64 s[8:9], 0, v0
	s_and_saveexec_b64 s[22:23], s[8:9]
	s_cbranch_execnz .LBB431_18
	s_branch .LBB431_19
.LBB431_25:
                                        ; implicit-def: $sgpr0_sgpr1
                                        ; implicit-def: $sgpr7
                                        ; implicit-def: $vgpr4
                                        ; implicit-def: $sgpr2_sgpr3
	s_cbranch_execnz .LBB431_4
	s_branch .LBB431_5
.LBB431_26:
	s_mov_b64 s[10:11], s[14:15]
	s_mov_b32 s23, s24
.LBB431_27:
	s_load_dword s7, s[20:21], 0x0
	v_mov_b32_e32 v2, 0
	s_waitcnt lgkmcnt(0)
	s_cmp_lt_u32 s6, s7
	s_cselect_b32 s6, 12, 18
	s_add_u32 s6, s20, s6
	s_addc_u32 s7, s21, 0
	global_load_ushort v14, v2, s[6:7]
	s_waitcnt vmcnt(0)
	v_readfirstlane_b32 s6, v14
	s_lshl_b32 s6, s6, 3
	v_cvt_f32_u32_e32 v2, s6
	s_sub_i32 s7, 0, s6
	v_rcp_iflag_f32_e32 v2, v2
	v_mul_f32_e32 v2, 0x4f7ffffe, v2
	v_cvt_u32_f32_e32 v2, v2
	v_readfirstlane_b32 s18, v2
	s_mul_i32 s7, s7, s18
	s_mul_hi_u32 s7, s18, s7
	s_add_i32 s18, s18, s7
	s_mul_hi_u32 s7, s23, s18
	s_mul_i32 s7, s7, s6
	s_sub_i32 s7, s23, s7
	s_sub_i32 s18, s7, s6
	s_cmp_ge_u32 s7, s6
	s_cselect_b32 s7, s18, s7
	s_sub_i32 s18, s7, s6
	s_cmp_ge_u32 s7, s6
	s_cselect_b32 s6, s18, s7
	s_sub_i32 s20, s23, s6
	v_cmp_gt_i32_e32 vcc, s20, v12
	s_and_saveexec_b64 s[6:7], vcc
	s_cbranch_execz .LBB431_31
; %bb.28:
	s_mov_b64 s[18:19], 0
	v_mov_b32_e32 v12, s11
	v_mov_b32_e32 v2, v0
.LBB431_29:                             ; =>This Inner Loop Header: Depth=1
	v_ashrrev_i32_e32 v3, 31, v2
	v_lshlrev_b64 v[16:17], 4, v[2:3]
	v_add_co_u32_e32 v16, vcc, s10, v16
	v_addc_co_u32_e32 v17, vcc, v12, v17, vcc
	global_load_dwordx4 v[16:19], v[16:17], off
	v_add_u32_e32 v2, v2, v14
	v_lshlrev_b32_e32 v3, 3, v2
	v_cmp_le_i32_e32 vcc, s20, v3
	s_or_b64 s[18:19], vcc, s[18:19]
	s_waitcnt vmcnt(0)
	v_cvt_f32_f16_e32 v3, v16
	v_cvt_f32_f16_sdwa v15, v16 dst_sel:DWORD dst_unused:UNUSED_PAD src0_sel:WORD_1
	v_cvt_f32_f16_e32 v16, v17
	v_cvt_f32_f16_sdwa v17, v17 dst_sel:DWORD dst_unused:UNUSED_PAD src0_sel:WORD_1
	v_cvt_f32_f16_e32 v20, v18
	v_sub_f32_e32 v3, v3, v9
	v_cvt_f32_f16_sdwa v18, v18 dst_sel:DWORD dst_unused:UNUSED_PAD src0_sel:WORD_1
	v_sub_f32_e32 v15, v15, v9
	v_mul_f32_e32 v3, 0x3fb8aa3b, v3
	v_cvt_f32_f16_e32 v21, v19
	v_sub_f32_e32 v16, v16, v9
	v_mul_f32_e32 v15, 0x3fb8aa3b, v15
	v_exp_f32_e32 v3, v3
	v_cvt_f32_f16_sdwa v19, v19 dst_sel:DWORD dst_unused:UNUSED_PAD src0_sel:WORD_1
	v_sub_f32_e32 v17, v17, v9
	v_mul_f32_e32 v16, 0x3fb8aa3b, v16
	v_exp_f32_e32 v15, v15
	v_sub_f32_e32 v20, v20, v9
	v_mul_f32_e32 v17, 0x3fb8aa3b, v17
	v_exp_f32_e32 v16, v16
	;; [unrolled: 3-line block ×4, first 2 shown]
	v_add_f32_e32 v3, v13, v3
	v_sub_f32_e32 v19, v19, v9
	v_mul_f32_e32 v21, 0x3fb8aa3b, v21
	v_exp_f32_e32 v18, v18
	v_add_f32_e32 v3, v3, v15
	v_mul_f32_e32 v19, 0x3fb8aa3b, v19
	v_exp_f32_e32 v21, v21
	v_add_f32_e32 v3, v3, v16
	v_exp_f32_e32 v19, v19
	v_add_f32_e32 v3, v3, v17
	v_add_f32_e32 v3, v3, v20
	;; [unrolled: 1-line block ×5, first 2 shown]
	s_andn2_b64 exec, exec, s[18:19]
	s_cbranch_execnz .LBB431_29
; %bb.30:
	s_or_b64 exec, exec, s[18:19]
.LBB431_31:
	s_or_b64 exec, exec, s[6:7]
	v_add_u32_e32 v2, s20, v0
	v_cmp_gt_i32_e32 vcc, s23, v2
	s_and_saveexec_b64 s[6:7], vcc
	s_cbranch_execz .LBB431_35
; %bb.32:
	s_mov_b64 s[18:19], 0
	v_mov_b32_e32 v12, s11
.LBB431_33:                             ; =>This Inner Loop Header: Depth=1
	v_ashrrev_i32_e32 v3, 31, v2
	v_lshlrev_b64 v[16:17], 1, v[2:3]
	v_add_co_u32_e32 v16, vcc, s10, v16
	v_addc_co_u32_e32 v17, vcc, v12, v17, vcc
	global_load_ushort v3, v[16:17], off
	v_add_u32_e32 v2, v2, v14
	v_cmp_le_i32_e32 vcc, s23, v2
	s_or_b64 s[18:19], vcc, s[18:19]
	s_waitcnt vmcnt(0)
	v_cvt_f32_f16_e32 v3, v3
	v_sub_f32_e32 v3, v3, v9
	v_mul_f32_e32 v3, 0x3fb8aa3b, v3
	v_exp_f32_e32 v3, v3
	v_add_f32_e32 v13, v13, v3
	s_andn2_b64 exec, exec, s[18:19]
	s_cbranch_execnz .LBB431_33
; %bb.34:
	s_or_b64 exec, exec, s[18:19]
.LBB431_35:
	s_or_b64 exec, exec, s[6:7]
	ds_bpermute_b32 v2, v1, v13
	s_waitcnt lgkmcnt(0)
	s_barrier
	v_add_f32_e32 v2, v13, v2
	ds_bpermute_b32 v3, v4, v2
	s_waitcnt lgkmcnt(0)
	v_add_f32_e32 v2, v2, v3
	ds_bpermute_b32 v3, v5, v2
	s_waitcnt lgkmcnt(0)
	;; [unrolled: 3-line block ×4, first 2 shown]
	v_add_f32_e32 v2, v2, v3
	ds_bpermute_b32 v3, v8, v2
	s_and_saveexec_b64 s[6:7], s[0:1]
	s_cbranch_execz .LBB431_37
; %bb.36:
	v_add_u32_e32 v10, 0, v10
	s_waitcnt lgkmcnt(0)
	v_add_f32_e32 v2, v2, v3
	ds_write_b32 v10, v2
.LBB431_37:
	s_or_b64 exec, exec, s[6:7]
	v_mov_b32_e32 v2, 0
	s_waitcnt lgkmcnt(0)
	s_barrier
	s_and_saveexec_b64 s[0:1], s[2:3]
	s_cbranch_execnz .LBB431_45
; %bb.38:
	s_or_b64 exec, exec, s[0:1]
	s_and_saveexec_b64 s[0:1], s[4:5]
	s_cbranch_execnz .LBB431_46
.LBB431_39:
	s_or_b64 exec, exec, s[0:1]
	s_and_saveexec_b64 s[0:1], s[8:9]
	s_cbranch_execz .LBB431_41
.LBB431_40:
	s_waitcnt lgkmcnt(0)
	v_div_scale_f32 v1, s[2:3], v2, v2, 1.0
	v_rcp_f32_e32 v3, v1
	v_div_scale_f32 v4, vcc, 1.0, v2, 1.0
	v_fma_f32 v5, -v1, v3, 1.0
	v_fmac_f32_e32 v3, v5, v3
	v_mul_f32_e32 v5, v4, v3
	v_fma_f32 v6, -v1, v5, v4
	v_fmac_f32_e32 v5, v6, v3
	v_fma_f32 v1, -v1, v5, v4
	v_div_fmas_f32 v1, v1, v3, v5
	v_div_fixup_f32 v1, v1, v2, 1.0
	v_mov_b32_e32 v2, 0
	ds_write_b32 v2, v1
.LBB431_41:
	s_or_b64 exec, exec, s[0:1]
	v_cmp_gt_i32_e32 vcc, s24, v0
	s_waitcnt lgkmcnt(0)
	s_barrier
	s_and_saveexec_b64 s[0:1], vcc
	s_cbranch_execz .LBB431_44
; %bb.42:
	v_mov_b32_e32 v1, 0
	ds_read_b32 v2, v1
	s_add_u32 s2, s12, s16
	s_addc_u32 s3, s13, s17
	s_mov_b64 s[0:1], 0
	v_mov_b32_e32 v3, s15
	v_mov_b32_e32 v4, s3
.LBB431_43:                             ; =>This Inner Loop Header: Depth=1
	v_ashrrev_i32_e32 v1, 31, v0
	v_lshlrev_b64 v[6:7], 1, v[0:1]
	v_add_co_u32_e32 v10, vcc, s14, v6
	v_addc_co_u32_e32 v11, vcc, v3, v7, vcc
	global_load_ushort v1, v[10:11], off
	v_add_co_u32_e32 v6, vcc, s2, v6
	v_add_u32_e32 v0, s22, v0
	v_addc_co_u32_e32 v7, vcc, v4, v7, vcc
	v_cmp_le_i32_e32 vcc, s24, v0
	s_or_b64 s[0:1], vcc, s[0:1]
	s_waitcnt vmcnt(0)
	v_cvt_f32_f16_e32 v1, v1
	v_sub_f32_e32 v1, v1, v9
	v_mul_f32_e32 v1, 0x3fb8aa3b, v1
	v_exp_f32_e32 v1, v1
	s_waitcnt lgkmcnt(0)
	v_fma_mixlo_f16 v1, v2, v1, 0
	global_store_short v[6:7], v1, off
	s_andn2_b64 exec, exec, s[0:1]
	s_cbranch_execnz .LBB431_43
.LBB431_44:
	s_endpgm
.LBB431_45:
	ds_read_b32 v2, v11
	s_or_b64 exec, exec, s[0:1]
	s_and_saveexec_b64 s[0:1], s[4:5]
	s_cbranch_execz .LBB431_39
.LBB431_46:
	s_waitcnt lgkmcnt(0)
	ds_bpermute_b32 v1, v1, v2
	s_waitcnt lgkmcnt(0)
	v_add_f32_e32 v1, v2, v1
	ds_bpermute_b32 v2, v4, v1
	s_waitcnt lgkmcnt(0)
	v_add_f32_e32 v1, v1, v2
	;; [unrolled: 3-line block ×6, first 2 shown]
	s_or_b64 exec, exec, s[0:1]
	s_and_saveexec_b64 s[0:1], s[8:9]
	s_cbranch_execnz .LBB431_40
	s_branch .LBB431_41
	.section	.rodata,"a",@progbits
	.p2align	6, 0x0
	.amdhsa_kernel _ZN2at6native12_GLOBAL__N_123cunn_SoftMaxForwardFastILi8EN3c104HalfEfS4_NS1_29SoftMaxForwardWithMulEpilogueEEEvPT2_PKT0_i
		.amdhsa_group_segment_fixed_size 0
		.amdhsa_private_segment_fixed_size 0
		.amdhsa_kernarg_size 280
		.amdhsa_user_sgpr_count 6
		.amdhsa_user_sgpr_private_segment_buffer 1
		.amdhsa_user_sgpr_dispatch_ptr 0
		.amdhsa_user_sgpr_queue_ptr 0
		.amdhsa_user_sgpr_kernarg_segment_ptr 1
		.amdhsa_user_sgpr_dispatch_id 0
		.amdhsa_user_sgpr_flat_scratch_init 0
		.amdhsa_user_sgpr_kernarg_preload_length 0
		.amdhsa_user_sgpr_kernarg_preload_offset 0
		.amdhsa_user_sgpr_private_segment_size 0
		.amdhsa_uses_dynamic_stack 0
		.amdhsa_system_sgpr_private_segment_wavefront_offset 0
		.amdhsa_system_sgpr_workgroup_id_x 1
		.amdhsa_system_sgpr_workgroup_id_y 0
		.amdhsa_system_sgpr_workgroup_id_z 0
		.amdhsa_system_sgpr_workgroup_info 0
		.amdhsa_system_vgpr_workitem_id 0
		.amdhsa_next_free_vgpr 22
		.amdhsa_next_free_sgpr 28
		.amdhsa_accum_offset 24
		.amdhsa_reserve_vcc 1
		.amdhsa_reserve_flat_scratch 0
		.amdhsa_float_round_mode_32 0
		.amdhsa_float_round_mode_16_64 0
		.amdhsa_float_denorm_mode_32 3
		.amdhsa_float_denorm_mode_16_64 3
		.amdhsa_dx10_clamp 1
		.amdhsa_ieee_mode 1
		.amdhsa_fp16_overflow 0
		.amdhsa_tg_split 0
		.amdhsa_exception_fp_ieee_invalid_op 0
		.amdhsa_exception_fp_denorm_src 0
		.amdhsa_exception_fp_ieee_div_zero 0
		.amdhsa_exception_fp_ieee_overflow 0
		.amdhsa_exception_fp_ieee_underflow 0
		.amdhsa_exception_fp_ieee_inexact 0
		.amdhsa_exception_int_div_zero 0
	.end_amdhsa_kernel
	.section	.text._ZN2at6native12_GLOBAL__N_123cunn_SoftMaxForwardFastILi8EN3c104HalfEfS4_NS1_29SoftMaxForwardWithMulEpilogueEEEvPT2_PKT0_i,"axG",@progbits,_ZN2at6native12_GLOBAL__N_123cunn_SoftMaxForwardFastILi8EN3c104HalfEfS4_NS1_29SoftMaxForwardWithMulEpilogueEEEvPT2_PKT0_i,comdat
.Lfunc_end431:
	.size	_ZN2at6native12_GLOBAL__N_123cunn_SoftMaxForwardFastILi8EN3c104HalfEfS4_NS1_29SoftMaxForwardWithMulEpilogueEEEvPT2_PKT0_i, .Lfunc_end431-_ZN2at6native12_GLOBAL__N_123cunn_SoftMaxForwardFastILi8EN3c104HalfEfS4_NS1_29SoftMaxForwardWithMulEpilogueEEEvPT2_PKT0_i
                                        ; -- End function
	.section	.AMDGPU.csdata,"",@progbits
; Kernel info:
; codeLenInByte = 2532
; NumSgprs: 32
; NumVgprs: 22
; NumAgprs: 0
; TotalNumVgprs: 22
; ScratchSize: 0
; MemoryBound: 0
; FloatMode: 240
; IeeeMode: 1
; LDSByteSize: 0 bytes/workgroup (compile time only)
; SGPRBlocks: 3
; VGPRBlocks: 2
; NumSGPRsForWavesPerEU: 32
; NumVGPRsForWavesPerEU: 22
; AccumOffset: 24
; Occupancy: 8
; WaveLimiterHint : 0
; COMPUTE_PGM_RSRC2:SCRATCH_EN: 0
; COMPUTE_PGM_RSRC2:USER_SGPR: 6
; COMPUTE_PGM_RSRC2:TRAP_HANDLER: 0
; COMPUTE_PGM_RSRC2:TGID_X_EN: 1
; COMPUTE_PGM_RSRC2:TGID_Y_EN: 0
; COMPUTE_PGM_RSRC2:TGID_Z_EN: 0
; COMPUTE_PGM_RSRC2:TIDIG_COMP_CNT: 0
; COMPUTE_PGM_RSRC3_GFX90A:ACCUM_OFFSET: 5
; COMPUTE_PGM_RSRC3_GFX90A:TG_SPLIT: 0
	.section	.text._ZN12_GLOBAL__N_120softmax_warp_forwardIN3c104HalfEffLi0ELb0ELb0ELi64EEEvPT0_PKT_iiiPKbib,"axG",@progbits,_ZN12_GLOBAL__N_120softmax_warp_forwardIN3c104HalfEffLi0ELb0ELb0ELi64EEEvPT0_PKT_iiiPKbib,comdat
	.globl	_ZN12_GLOBAL__N_120softmax_warp_forwardIN3c104HalfEffLi0ELb0ELb0ELi64EEEvPT0_PKT_iiiPKbib ; -- Begin function _ZN12_GLOBAL__N_120softmax_warp_forwardIN3c104HalfEffLi0ELb0ELb0ELi64EEEvPT0_PKT_iiiPKbib
	.p2align	8
	.type	_ZN12_GLOBAL__N_120softmax_warp_forwardIN3c104HalfEffLi0ELb0ELb0ELi64EEEvPT0_PKT_iiiPKbib,@function
_ZN12_GLOBAL__N_120softmax_warp_forwardIN3c104HalfEffLi0ELb0ELb0ELi64EEEvPT0_PKT_iiiPKbib: ; @_ZN12_GLOBAL__N_120softmax_warp_forwardIN3c104HalfEffLi0ELb0ELb0ELi64EEEvPT0_PKT_iiiPKbib
; %bb.0:
	s_load_dword s0, s[4:5], 0x3c
	s_load_dwordx8 s[8:15], s[4:5], 0x0
	v_bfe_u32 v1, v0, 10, 10
	v_and_b32_e32 v2, 0x3ff, v0
	s_waitcnt lgkmcnt(0)
	s_lshr_b32 s0, s0, 16
	s_mul_i32 s6, s6, s0
	v_add_lshl_u32 v1, s6, v1, 1
	v_sub_u32_e32 v6, s12, v1
	v_mad_u64_u32 v[0:1], s[0:1], v1, s13, v[2:3]
	v_ashrrev_i32_e32 v1, 31, v0
	v_lshlrev_b64 v[4:5], 1, v[0:1]
	v_mov_b32_e32 v3, s11
	v_add_co_u32_e32 v4, vcc, s10, v4
	v_addc_co_u32_e32 v5, vcc, v3, v5, vcc
	v_cmp_gt_i32_e64 s[0:1], s14, v2
	v_cmp_lt_i32_e32 vcc, 0, v6
	s_and_b64 s[4:5], s[0:1], vcc
	v_mov_b32_e32 v3, 0xff800000
	v_mov_b32_e32 v2, 0xff800000
	s_and_saveexec_b64 s[2:3], s[4:5]
	s_cbranch_execz .LBB432_2
; %bb.1:
	global_load_ushort v2, v[4:5], off
	s_waitcnt vmcnt(0)
	v_cvt_f32_f16_e32 v2, v2
.LBB432_2:
	s_or_b64 exec, exec, s[2:3]
	v_cmp_lt_i32_e64 s[2:3], 1, v6
	s_and_b64 s[2:3], s[0:1], s[2:3]
	s_and_saveexec_b64 s[4:5], s[2:3]
	s_cbranch_execz .LBB432_4
; %bb.3:
	s_mov_b32 s15, 0
	s_lshl_b64 s[2:3], s[14:15], 1
	v_mov_b32_e32 v3, s3
	v_add_co_u32_e64 v4, s[2:3], s2, v4
	v_addc_co_u32_e64 v5, s[2:3], v5, v3, s[2:3]
	global_load_ushort v3, v[4:5], off
	s_waitcnt vmcnt(0)
	v_cvt_f32_f16_e32 v3, v3
.LBB432_4:
	s_or_b64 exec, exec, s[4:5]
	s_and_saveexec_b64 s[2:3], vcc
	s_cbranch_execz .LBB432_12
; %bb.5:
	v_pk_add_f32 v[4:5], v[2:3], v[2:3] neg_lo:[0,1] neg_hi:[0,1]
	s_mov_b32 s2, 0x3fb8aa3b
	v_mul_f32_e32 v2, 0x3fb8aa3b, v5
	v_fma_f32 v3, v5, s2, -v2
	v_rndne_f32_e32 v7, v2
	v_fmac_f32_e32 v3, 0x32a5705f, v5
	v_sub_f32_e32 v2, v2, v7
	v_add_f32_e32 v2, v2, v3
	v_exp_f32_e32 v2, v2
	v_cvt_i32_f32_e32 v3, v7
	s_mov_b32 s3, 0xc2ce8ed0
	v_cmp_ngt_f32_e32 vcc, s3, v5
	s_mov_b32 s4, 0x42b17218
	v_ldexp_f32 v2, v2, v3
	v_mul_f32_e32 v3, 0x3fb8aa3b, v4
	v_fma_f32 v7, v4, s2, -v3
	v_rndne_f32_e32 v8, v3
	v_fmac_f32_e32 v7, 0x32a5705f, v4
	v_sub_f32_e32 v3, v3, v8
	v_add_f32_e32 v3, v3, v7
	v_exp_f32_e32 v3, v3
	v_cvt_i32_f32_e32 v7, v8
	v_cndmask_b32_e32 v2, 0, v2, vcc
	v_mov_b32_e32 v8, 0x7f800000
	v_cmp_nlt_f32_e32 vcc, s4, v5
	v_cndmask_b32_e32 v2, v8, v2, vcc
	v_ldexp_f32 v3, v3, v7
	v_cmp_ngt_f32_e32 vcc, s3, v4
	v_cndmask_b32_e32 v3, 0, v3, vcc
	v_cmp_nlt_f32_e32 vcc, s4, v4
	v_lshlrev_b64 v[0:1], 2, v[0:1]
	v_cndmask_b32_e32 v3, v8, v3, vcc
	v_mov_b32_e32 v4, s9
	v_add_co_u32_e32 v0, vcc, s8, v0
	v_addc_co_u32_e32 v1, vcc, v4, v1, vcc
	s_and_saveexec_b64 s[2:3], s[0:1]
	s_cbranch_execz .LBB432_9
; %bb.6:
	v_cmp_neq_f32_e32 vcc, 0, v3
	v_mov_b32_e32 v4, 0x7fc00000
	s_and_saveexec_b64 s[4:5], vcc
; %bb.7:
	v_div_scale_f32 v4, vcc, v3, v3, v3
	v_rcp_f32_e32 v5, v4
	v_fma_f32 v7, -v4, v5, 1.0
	v_fmac_f32_e32 v5, v7, v5
	v_mul_f32_e32 v7, v4, v5
	v_fma_f32 v8, -v4, v7, v4
	v_fmac_f32_e32 v7, v8, v5
	v_fma_f32 v4, -v4, v7, v4
	v_div_fmas_f32 v4, v4, v5, v7
	v_div_fixup_f32 v4, v4, v3, v3
; %bb.8:
	s_or_b64 exec, exec, s[4:5]
	global_store_dword v[0:1], v4, off
.LBB432_9:
	s_or_b64 exec, exec, s[2:3]
	v_cmp_ne_u32_e32 vcc, 1, v6
	s_and_b64 exec, exec, vcc
	s_cbranch_execz .LBB432_12
; %bb.10:
	s_and_b64 exec, exec, s[0:1]
	s_cbranch_execz .LBB432_12
; %bb.11:
	v_div_scale_f32 v3, vcc, v2, v2, v2
	v_rcp_f32_e32 v4, v3
	s_mov_b32 s15, 0
	s_lshl_b64 s[0:1], s[14:15], 2
	v_fma_f32 v5, -v3, v4, 1.0
	v_fmac_f32_e32 v4, v5, v4
	v_mul_f32_e32 v5, v3, v4
	v_fma_f32 v6, -v3, v5, v3
	v_fmac_f32_e32 v5, v6, v4
	v_fma_f32 v3, -v3, v5, v3
	v_div_fmas_f32 v3, v3, v4, v5
	v_mov_b32_e32 v4, s1
	v_add_co_u32_e32 v0, vcc, s0, v0
	v_addc_co_u32_e32 v1, vcc, v1, v4, vcc
	v_div_fixup_f32 v3, v3, v2, v2
	v_mov_b32_e32 v4, 0x7fc00000
	v_cmp_neq_f32_e32 vcc, 0, v2
	v_cndmask_b32_e32 v2, v4, v3, vcc
	global_store_dword v[0:1], v2, off
.LBB432_12:
	s_endpgm
	.section	.rodata,"a",@progbits
	.p2align	6, 0x0
	.amdhsa_kernel _ZN12_GLOBAL__N_120softmax_warp_forwardIN3c104HalfEffLi0ELb0ELb0ELi64EEEvPT0_PKT_iiiPKbib
		.amdhsa_group_segment_fixed_size 0
		.amdhsa_private_segment_fixed_size 0
		.amdhsa_kernarg_size 304
		.amdhsa_user_sgpr_count 6
		.amdhsa_user_sgpr_private_segment_buffer 1
		.amdhsa_user_sgpr_dispatch_ptr 0
		.amdhsa_user_sgpr_queue_ptr 0
		.amdhsa_user_sgpr_kernarg_segment_ptr 1
		.amdhsa_user_sgpr_dispatch_id 0
		.amdhsa_user_sgpr_flat_scratch_init 0
		.amdhsa_user_sgpr_kernarg_preload_length 0
		.amdhsa_user_sgpr_kernarg_preload_offset 0
		.amdhsa_user_sgpr_private_segment_size 0
		.amdhsa_uses_dynamic_stack 0
		.amdhsa_system_sgpr_private_segment_wavefront_offset 0
		.amdhsa_system_sgpr_workgroup_id_x 1
		.amdhsa_system_sgpr_workgroup_id_y 0
		.amdhsa_system_sgpr_workgroup_id_z 0
		.amdhsa_system_sgpr_workgroup_info 0
		.amdhsa_system_vgpr_workitem_id 1
		.amdhsa_next_free_vgpr 9
		.amdhsa_next_free_sgpr 16
		.amdhsa_accum_offset 12
		.amdhsa_reserve_vcc 1
		.amdhsa_reserve_flat_scratch 0
		.amdhsa_float_round_mode_32 0
		.amdhsa_float_round_mode_16_64 0
		.amdhsa_float_denorm_mode_32 3
		.amdhsa_float_denorm_mode_16_64 3
		.amdhsa_dx10_clamp 1
		.amdhsa_ieee_mode 1
		.amdhsa_fp16_overflow 0
		.amdhsa_tg_split 0
		.amdhsa_exception_fp_ieee_invalid_op 0
		.amdhsa_exception_fp_denorm_src 0
		.amdhsa_exception_fp_ieee_div_zero 0
		.amdhsa_exception_fp_ieee_overflow 0
		.amdhsa_exception_fp_ieee_underflow 0
		.amdhsa_exception_fp_ieee_inexact 0
		.amdhsa_exception_int_div_zero 0
	.end_amdhsa_kernel
	.section	.text._ZN12_GLOBAL__N_120softmax_warp_forwardIN3c104HalfEffLi0ELb0ELb0ELi64EEEvPT0_PKT_iiiPKbib,"axG",@progbits,_ZN12_GLOBAL__N_120softmax_warp_forwardIN3c104HalfEffLi0ELb0ELb0ELi64EEEvPT0_PKT_iiiPKbib,comdat
.Lfunc_end432:
	.size	_ZN12_GLOBAL__N_120softmax_warp_forwardIN3c104HalfEffLi0ELb0ELb0ELi64EEEvPT0_PKT_iiiPKbib, .Lfunc_end432-_ZN12_GLOBAL__N_120softmax_warp_forwardIN3c104HalfEffLi0ELb0ELb0ELi64EEEvPT0_PKT_iiiPKbib
                                        ; -- End function
	.section	.AMDGPU.csdata,"",@progbits
; Kernel info:
; codeLenInByte = 656
; NumSgprs: 20
; NumVgprs: 9
; NumAgprs: 0
; TotalNumVgprs: 9
; ScratchSize: 0
; MemoryBound: 0
; FloatMode: 240
; IeeeMode: 1
; LDSByteSize: 0 bytes/workgroup (compile time only)
; SGPRBlocks: 2
; VGPRBlocks: 1
; NumSGPRsForWavesPerEU: 20
; NumVGPRsForWavesPerEU: 9
; AccumOffset: 12
; Occupancy: 8
; WaveLimiterHint : 0
; COMPUTE_PGM_RSRC2:SCRATCH_EN: 0
; COMPUTE_PGM_RSRC2:USER_SGPR: 6
; COMPUTE_PGM_RSRC2:TRAP_HANDLER: 0
; COMPUTE_PGM_RSRC2:TGID_X_EN: 1
; COMPUTE_PGM_RSRC2:TGID_Y_EN: 0
; COMPUTE_PGM_RSRC2:TGID_Z_EN: 0
; COMPUTE_PGM_RSRC2:TIDIG_COMP_CNT: 1
; COMPUTE_PGM_RSRC3_GFX90A:ACCUM_OFFSET: 2
; COMPUTE_PGM_RSRC3_GFX90A:TG_SPLIT: 0
	.section	.text._ZN12_GLOBAL__N_120softmax_warp_forwardIN3c104HalfEffLi0ELb0ELb0ELi32EEEvPT0_PKT_iiiPKbib,"axG",@progbits,_ZN12_GLOBAL__N_120softmax_warp_forwardIN3c104HalfEffLi0ELb0ELb0ELi32EEEvPT0_PKT_iiiPKbib,comdat
	.globl	_ZN12_GLOBAL__N_120softmax_warp_forwardIN3c104HalfEffLi0ELb0ELb0ELi32EEEvPT0_PKT_iiiPKbib ; -- Begin function _ZN12_GLOBAL__N_120softmax_warp_forwardIN3c104HalfEffLi0ELb0ELb0ELi32EEEvPT0_PKT_iiiPKbib
	.p2align	8
	.type	_ZN12_GLOBAL__N_120softmax_warp_forwardIN3c104HalfEffLi0ELb0ELb0ELi32EEEvPT0_PKT_iiiPKbib,@function
_ZN12_GLOBAL__N_120softmax_warp_forwardIN3c104HalfEffLi0ELb0ELb0ELi32EEEvPT0_PKT_iiiPKbib: ; @_ZN12_GLOBAL__N_120softmax_warp_forwardIN3c104HalfEffLi0ELb0ELb0ELi32EEEvPT0_PKT_iiiPKbib
; %bb.0:
	s_load_dword s0, s[4:5], 0x3c
	s_load_dwordx8 s[8:15], s[4:5], 0x0
	v_bfe_u32 v1, v0, 10, 10
	v_and_b32_e32 v2, 0x3ff, v0
	s_waitcnt lgkmcnt(0)
	s_lshr_b32 s0, s0, 16
	s_mul_i32 s6, s6, s0
	v_add_lshl_u32 v1, s6, v1, 1
	v_sub_u32_e32 v6, s12, v1
	v_mad_u64_u32 v[0:1], s[0:1], v1, s13, v[2:3]
	v_ashrrev_i32_e32 v1, 31, v0
	v_lshlrev_b64 v[4:5], 1, v[0:1]
	v_mov_b32_e32 v3, s11
	v_add_co_u32_e32 v4, vcc, s10, v4
	v_addc_co_u32_e32 v5, vcc, v3, v5, vcc
	v_cmp_gt_i32_e64 s[0:1], s14, v2
	v_cmp_lt_i32_e32 vcc, 0, v6
	s_and_b64 s[4:5], s[0:1], vcc
	v_mov_b32_e32 v3, 0xff800000
	v_mov_b32_e32 v2, 0xff800000
	s_and_saveexec_b64 s[2:3], s[4:5]
	s_cbranch_execz .LBB433_2
; %bb.1:
	global_load_ushort v2, v[4:5], off
	s_waitcnt vmcnt(0)
	v_cvt_f32_f16_e32 v2, v2
.LBB433_2:
	s_or_b64 exec, exec, s[2:3]
	v_cmp_lt_i32_e64 s[2:3], 1, v6
	s_and_b64 s[2:3], s[0:1], s[2:3]
	s_and_saveexec_b64 s[4:5], s[2:3]
	s_cbranch_execz .LBB433_4
; %bb.3:
	s_mov_b32 s15, 0
	s_lshl_b64 s[2:3], s[14:15], 1
	v_mov_b32_e32 v3, s3
	v_add_co_u32_e64 v4, s[2:3], s2, v4
	v_addc_co_u32_e64 v5, s[2:3], v5, v3, s[2:3]
	global_load_ushort v3, v[4:5], off
	s_waitcnt vmcnt(0)
	v_cvt_f32_f16_e32 v3, v3
.LBB433_4:
	s_or_b64 exec, exec, s[4:5]
	s_and_saveexec_b64 s[2:3], vcc
	s_cbranch_execz .LBB433_12
; %bb.5:
	v_pk_add_f32 v[4:5], v[2:3], v[2:3] neg_lo:[0,1] neg_hi:[0,1]
	s_mov_b32 s2, 0x3fb8aa3b
	v_mul_f32_e32 v2, 0x3fb8aa3b, v5
	v_fma_f32 v3, v5, s2, -v2
	v_rndne_f32_e32 v7, v2
	v_fmac_f32_e32 v3, 0x32a5705f, v5
	v_sub_f32_e32 v2, v2, v7
	v_add_f32_e32 v2, v2, v3
	v_exp_f32_e32 v2, v2
	v_cvt_i32_f32_e32 v3, v7
	s_mov_b32 s3, 0xc2ce8ed0
	v_cmp_ngt_f32_e32 vcc, s3, v5
	s_mov_b32 s4, 0x42b17218
	v_ldexp_f32 v2, v2, v3
	v_mul_f32_e32 v3, 0x3fb8aa3b, v4
	v_fma_f32 v7, v4, s2, -v3
	v_rndne_f32_e32 v8, v3
	v_fmac_f32_e32 v7, 0x32a5705f, v4
	v_sub_f32_e32 v3, v3, v8
	v_add_f32_e32 v3, v3, v7
	v_exp_f32_e32 v3, v3
	v_cvt_i32_f32_e32 v7, v8
	v_cndmask_b32_e32 v2, 0, v2, vcc
	v_mov_b32_e32 v8, 0x7f800000
	v_cmp_nlt_f32_e32 vcc, s4, v5
	v_cndmask_b32_e32 v2, v8, v2, vcc
	v_ldexp_f32 v3, v3, v7
	v_cmp_ngt_f32_e32 vcc, s3, v4
	v_cndmask_b32_e32 v3, 0, v3, vcc
	v_cmp_nlt_f32_e32 vcc, s4, v4
	v_lshlrev_b64 v[0:1], 2, v[0:1]
	v_cndmask_b32_e32 v3, v8, v3, vcc
	v_mov_b32_e32 v4, s9
	v_add_co_u32_e32 v0, vcc, s8, v0
	v_addc_co_u32_e32 v1, vcc, v4, v1, vcc
	s_and_saveexec_b64 s[2:3], s[0:1]
	s_cbranch_execz .LBB433_9
; %bb.6:
	v_cmp_neq_f32_e32 vcc, 0, v3
	v_mov_b32_e32 v4, 0x7fc00000
	s_and_saveexec_b64 s[4:5], vcc
; %bb.7:
	v_div_scale_f32 v4, vcc, v3, v3, v3
	v_rcp_f32_e32 v5, v4
	v_fma_f32 v7, -v4, v5, 1.0
	v_fmac_f32_e32 v5, v7, v5
	v_mul_f32_e32 v7, v4, v5
	v_fma_f32 v8, -v4, v7, v4
	v_fmac_f32_e32 v7, v8, v5
	v_fma_f32 v4, -v4, v7, v4
	v_div_fmas_f32 v4, v4, v5, v7
	v_div_fixup_f32 v4, v4, v3, v3
; %bb.8:
	s_or_b64 exec, exec, s[4:5]
	global_store_dword v[0:1], v4, off
.LBB433_9:
	s_or_b64 exec, exec, s[2:3]
	v_cmp_ne_u32_e32 vcc, 1, v6
	s_and_b64 exec, exec, vcc
	s_cbranch_execz .LBB433_12
; %bb.10:
	s_and_b64 exec, exec, s[0:1]
	s_cbranch_execz .LBB433_12
; %bb.11:
	v_div_scale_f32 v3, vcc, v2, v2, v2
	v_rcp_f32_e32 v4, v3
	s_mov_b32 s15, 0
	s_lshl_b64 s[0:1], s[14:15], 2
	v_fma_f32 v5, -v3, v4, 1.0
	v_fmac_f32_e32 v4, v5, v4
	v_mul_f32_e32 v5, v3, v4
	v_fma_f32 v6, -v3, v5, v3
	v_fmac_f32_e32 v5, v6, v4
	v_fma_f32 v3, -v3, v5, v3
	v_div_fmas_f32 v3, v3, v4, v5
	v_mov_b32_e32 v4, s1
	v_add_co_u32_e32 v0, vcc, s0, v0
	v_addc_co_u32_e32 v1, vcc, v1, v4, vcc
	v_div_fixup_f32 v3, v3, v2, v2
	v_mov_b32_e32 v4, 0x7fc00000
	v_cmp_neq_f32_e32 vcc, 0, v2
	v_cndmask_b32_e32 v2, v4, v3, vcc
	global_store_dword v[0:1], v2, off
.LBB433_12:
	s_endpgm
	.section	.rodata,"a",@progbits
	.p2align	6, 0x0
	.amdhsa_kernel _ZN12_GLOBAL__N_120softmax_warp_forwardIN3c104HalfEffLi0ELb0ELb0ELi32EEEvPT0_PKT_iiiPKbib
		.amdhsa_group_segment_fixed_size 0
		.amdhsa_private_segment_fixed_size 0
		.amdhsa_kernarg_size 304
		.amdhsa_user_sgpr_count 6
		.amdhsa_user_sgpr_private_segment_buffer 1
		.amdhsa_user_sgpr_dispatch_ptr 0
		.amdhsa_user_sgpr_queue_ptr 0
		.amdhsa_user_sgpr_kernarg_segment_ptr 1
		.amdhsa_user_sgpr_dispatch_id 0
		.amdhsa_user_sgpr_flat_scratch_init 0
		.amdhsa_user_sgpr_kernarg_preload_length 0
		.amdhsa_user_sgpr_kernarg_preload_offset 0
		.amdhsa_user_sgpr_private_segment_size 0
		.amdhsa_uses_dynamic_stack 0
		.amdhsa_system_sgpr_private_segment_wavefront_offset 0
		.amdhsa_system_sgpr_workgroup_id_x 1
		.amdhsa_system_sgpr_workgroup_id_y 0
		.amdhsa_system_sgpr_workgroup_id_z 0
		.amdhsa_system_sgpr_workgroup_info 0
		.amdhsa_system_vgpr_workitem_id 1
		.amdhsa_next_free_vgpr 9
		.amdhsa_next_free_sgpr 16
		.amdhsa_accum_offset 12
		.amdhsa_reserve_vcc 1
		.amdhsa_reserve_flat_scratch 0
		.amdhsa_float_round_mode_32 0
		.amdhsa_float_round_mode_16_64 0
		.amdhsa_float_denorm_mode_32 3
		.amdhsa_float_denorm_mode_16_64 3
		.amdhsa_dx10_clamp 1
		.amdhsa_ieee_mode 1
		.amdhsa_fp16_overflow 0
		.amdhsa_tg_split 0
		.amdhsa_exception_fp_ieee_invalid_op 0
		.amdhsa_exception_fp_denorm_src 0
		.amdhsa_exception_fp_ieee_div_zero 0
		.amdhsa_exception_fp_ieee_overflow 0
		.amdhsa_exception_fp_ieee_underflow 0
		.amdhsa_exception_fp_ieee_inexact 0
		.amdhsa_exception_int_div_zero 0
	.end_amdhsa_kernel
	.section	.text._ZN12_GLOBAL__N_120softmax_warp_forwardIN3c104HalfEffLi0ELb0ELb0ELi32EEEvPT0_PKT_iiiPKbib,"axG",@progbits,_ZN12_GLOBAL__N_120softmax_warp_forwardIN3c104HalfEffLi0ELb0ELb0ELi32EEEvPT0_PKT_iiiPKbib,comdat
.Lfunc_end433:
	.size	_ZN12_GLOBAL__N_120softmax_warp_forwardIN3c104HalfEffLi0ELb0ELb0ELi32EEEvPT0_PKT_iiiPKbib, .Lfunc_end433-_ZN12_GLOBAL__N_120softmax_warp_forwardIN3c104HalfEffLi0ELb0ELb0ELi32EEEvPT0_PKT_iiiPKbib
                                        ; -- End function
	.section	.AMDGPU.csdata,"",@progbits
; Kernel info:
; codeLenInByte = 656
; NumSgprs: 20
; NumVgprs: 9
; NumAgprs: 0
; TotalNumVgprs: 9
; ScratchSize: 0
; MemoryBound: 0
; FloatMode: 240
; IeeeMode: 1
; LDSByteSize: 0 bytes/workgroup (compile time only)
; SGPRBlocks: 2
; VGPRBlocks: 1
; NumSGPRsForWavesPerEU: 20
; NumVGPRsForWavesPerEU: 9
; AccumOffset: 12
; Occupancy: 8
; WaveLimiterHint : 0
; COMPUTE_PGM_RSRC2:SCRATCH_EN: 0
; COMPUTE_PGM_RSRC2:USER_SGPR: 6
; COMPUTE_PGM_RSRC2:TRAP_HANDLER: 0
; COMPUTE_PGM_RSRC2:TGID_X_EN: 1
; COMPUTE_PGM_RSRC2:TGID_Y_EN: 0
; COMPUTE_PGM_RSRC2:TGID_Z_EN: 0
; COMPUTE_PGM_RSRC2:TIDIG_COMP_CNT: 1
; COMPUTE_PGM_RSRC3_GFX90A:ACCUM_OFFSET: 2
; COMPUTE_PGM_RSRC3_GFX90A:TG_SPLIT: 0
	.section	.text._ZN12_GLOBAL__N_120softmax_warp_forwardIN3c104HalfEffLi1ELb0ELb0ELi64EEEvPT0_PKT_iiiPKbib,"axG",@progbits,_ZN12_GLOBAL__N_120softmax_warp_forwardIN3c104HalfEffLi1ELb0ELb0ELi64EEEvPT0_PKT_iiiPKbib,comdat
	.globl	_ZN12_GLOBAL__N_120softmax_warp_forwardIN3c104HalfEffLi1ELb0ELb0ELi64EEEvPT0_PKT_iiiPKbib ; -- Begin function _ZN12_GLOBAL__N_120softmax_warp_forwardIN3c104HalfEffLi1ELb0ELb0ELi64EEEvPT0_PKT_iiiPKbib
	.p2align	8
	.type	_ZN12_GLOBAL__N_120softmax_warp_forwardIN3c104HalfEffLi1ELb0ELb0ELi64EEEvPT0_PKT_iiiPKbib,@function
_ZN12_GLOBAL__N_120softmax_warp_forwardIN3c104HalfEffLi1ELb0ELb0ELi64EEEvPT0_PKT_iiiPKbib: ; @_ZN12_GLOBAL__N_120softmax_warp_forwardIN3c104HalfEffLi1ELb0ELb0ELi64EEEvPT0_PKT_iiiPKbib
; %bb.0:
	s_load_dword s0, s[4:5], 0x3c
	s_load_dwordx8 s[8:15], s[4:5], 0x0
	v_bfe_u32 v1, v0, 10, 10
	v_and_b32_e32 v2, 0x3ff, v0
	s_waitcnt lgkmcnt(0)
	s_lshr_b32 s0, s0, 16
	s_mul_i32 s6, s6, s0
	v_add_lshl_u32 v1, s6, v1, 1
	v_sub_u32_e32 v6, s12, v1
	v_mad_u64_u32 v[0:1], s[0:1], v1, s13, v[2:3]
	v_ashrrev_i32_e32 v1, 31, v0
	v_lshlrev_b64 v[4:5], 1, v[0:1]
	v_mov_b32_e32 v3, s11
	v_add_co_u32_e32 v4, vcc, s10, v4
	v_addc_co_u32_e32 v5, vcc, v3, v5, vcc
	v_cmp_gt_i32_e64 s[0:1], s14, v2
	v_cmp_lt_i32_e32 vcc, 0, v6
	s_and_b64 s[4:5], s[0:1], vcc
	v_mov_b32_e32 v3, 0xff800000
	v_mov_b32_e32 v2, 0xff800000
	s_and_saveexec_b64 s[2:3], s[4:5]
	s_cbranch_execz .LBB434_2
; %bb.1:
	global_load_ushort v2, v[4:5], off
	s_waitcnt vmcnt(0)
	v_cvt_f32_f16_e32 v2, v2
.LBB434_2:
	s_or_b64 exec, exec, s[2:3]
	v_cmp_lt_i32_e64 s[2:3], 1, v6
	s_and_b64 s[2:3], s[0:1], s[2:3]
	s_and_saveexec_b64 s[4:5], s[2:3]
	s_cbranch_execz .LBB434_4
; %bb.3:
	s_mov_b32 s15, 0
	s_lshl_b64 s[2:3], s[14:15], 1
	v_mov_b32_e32 v3, s3
	v_add_co_u32_e64 v4, s[2:3], s2, v4
	v_addc_co_u32_e64 v5, s[2:3], v5, v3, s[2:3]
	global_load_ushort v3, v[4:5], off
	s_waitcnt vmcnt(0)
	v_cvt_f32_f16_e32 v3, v3
.LBB434_4:
	s_or_b64 exec, exec, s[4:5]
	v_mbcnt_lo_u32_b32 v4, -1, 0
	v_mbcnt_hi_u32_b32 v4, -1, v4
	v_and_b32_e32 v7, 0x7e, v4
	v_xor_b32_e32 v5, 1, v4
	v_add_u32_e32 v7, 2, v7
	v_cmp_lt_i32_e64 s[2:3], v5, v7
	v_cndmask_b32_e64 v4, v4, v5, s[2:3]
	v_lshlrev_b32_e32 v7, 2, v4
	ds_bpermute_b32 v4, v7, v3
	ds_bpermute_b32 v8, v7, v2
	s_mov_b32 s4, 0x3fb8aa3b
	s_mov_b32 s5, 0xc2ce8ed0
	;; [unrolled: 1-line block ×3, first 2 shown]
	s_waitcnt lgkmcnt(1)
	v_cmp_lt_f32_e64 s[2:3], v3, v4
	v_cndmask_b32_e64 v5, v3, v4, s[2:3]
	s_waitcnt lgkmcnt(0)
	v_cmp_lt_f32_e64 s[2:3], v2, v8
	v_cndmask_b32_e64 v4, v2, v8, s[2:3]
	v_pk_add_f32 v[2:3], v[2:3], v[4:5] neg_lo:[0,1] neg_hi:[0,1]
	v_mul_f32_e32 v4, 0x3fb8aa3b, v3
	v_fma_f32 v5, v3, s4, -v4
	v_rndne_f32_e32 v8, v4
	v_fmac_f32_e32 v5, 0x32a5705f, v3
	v_sub_f32_e32 v4, v4, v8
	v_add_f32_e32 v4, v4, v5
	v_exp_f32_e32 v4, v4
	v_cvt_i32_f32_e32 v5, v8
	v_cmp_ngt_f32_e64 s[2:3], s5, v3
	v_ldexp_f32 v4, v4, v5
	v_mul_f32_e32 v5, 0x3fb8aa3b, v2
	v_fma_f32 v8, v2, s4, -v5
	v_rndne_f32_e32 v9, v5
	v_fmac_f32_e32 v8, 0x32a5705f, v2
	v_sub_f32_e32 v5, v5, v9
	v_add_f32_e32 v5, v5, v8
	v_exp_f32_e32 v5, v5
	v_cvt_i32_f32_e32 v8, v9
	v_cndmask_b32_e64 v4, 0, v4, s[2:3]
	v_mov_b32_e32 v9, 0x7f800000
	v_cmp_nlt_f32_e64 s[2:3], s6, v3
	v_cndmask_b32_e64 v3, v9, v4, s[2:3]
	v_ldexp_f32 v4, v5, v8
	v_cmp_ngt_f32_e64 s[2:3], s5, v2
	v_cndmask_b32_e64 v4, 0, v4, s[2:3]
	v_cmp_nlt_f32_e64 s[2:3], s6, v2
	v_cndmask_b32_e64 v2, v9, v4, s[2:3]
	ds_bpermute_b32 v4, v7, v2
	ds_bpermute_b32 v5, v7, v3
	s_and_saveexec_b64 s[2:3], vcc
	s_cbranch_execz .LBB434_12
; %bb.5:
	v_lshlrev_b64 v[0:1], 2, v[0:1]
	v_mov_b32_e32 v7, s9
	v_add_co_u32_e32 v0, vcc, s8, v0
	v_addc_co_u32_e32 v1, vcc, v7, v1, vcc
	s_waitcnt lgkmcnt(0)
	v_pk_add_f32 v[4:5], v[2:3], v[4:5]
	s_and_saveexec_b64 s[2:3], s[0:1]
	s_cbranch_execz .LBB434_9
; %bb.6:
	v_cmp_neq_f32_e32 vcc, 0, v4
	v_mov_b32_e32 v7, 0x7fc00000
	s_and_saveexec_b64 s[4:5], vcc
; %bb.7:
	v_div_scale_f32 v7, s[6:7], v4, v4, v2
	v_rcp_f32_e32 v8, v7
	v_div_scale_f32 v9, vcc, v2, v4, v2
	v_fma_f32 v10, -v7, v8, 1.0
	v_fmac_f32_e32 v8, v10, v8
	v_mul_f32_e32 v10, v9, v8
	v_fma_f32 v11, -v7, v10, v9
	v_fmac_f32_e32 v10, v11, v8
	v_fma_f32 v7, -v7, v10, v9
	v_div_fmas_f32 v7, v7, v8, v10
	v_div_fixup_f32 v7, v7, v4, v2
; %bb.8:
	s_or_b64 exec, exec, s[4:5]
	global_store_dword v[0:1], v7, off
.LBB434_9:
	s_or_b64 exec, exec, s[2:3]
	v_cmp_ne_u32_e32 vcc, 1, v6
	s_and_b64 exec, exec, vcc
	s_cbranch_execz .LBB434_12
; %bb.10:
	s_and_b64 exec, exec, s[0:1]
	s_cbranch_execz .LBB434_12
; %bb.11:
	v_div_scale_f32 v2, s[0:1], v5, v5, v3
	v_rcp_f32_e32 v4, v2
	v_div_scale_f32 v6, vcc, v3, v5, v3
	s_mov_b32 s15, 0
	v_fma_f32 v7, -v2, v4, 1.0
	v_fmac_f32_e32 v4, v7, v4
	v_mul_f32_e32 v7, v6, v4
	v_fma_f32 v8, -v2, v7, v6
	v_fmac_f32_e32 v7, v8, v4
	v_fma_f32 v2, -v2, v7, v6
	v_div_fmas_f32 v2, v2, v4, v7
	s_lshl_b64 s[0:1], s[14:15], 2
	v_div_fixup_f32 v2, v2, v5, v3
	v_mov_b32_e32 v3, s1
	v_add_co_u32_e32 v0, vcc, s0, v0
	v_addc_co_u32_e32 v1, vcc, v1, v3, vcc
	v_mov_b32_e32 v3, 0x7fc00000
	v_cmp_neq_f32_e32 vcc, 0, v5
	v_cndmask_b32_e32 v2, v3, v2, vcc
	global_store_dword v[0:1], v2, off
.LBB434_12:
	s_endpgm
	.section	.rodata,"a",@progbits
	.p2align	6, 0x0
	.amdhsa_kernel _ZN12_GLOBAL__N_120softmax_warp_forwardIN3c104HalfEffLi1ELb0ELb0ELi64EEEvPT0_PKT_iiiPKbib
		.amdhsa_group_segment_fixed_size 0
		.amdhsa_private_segment_fixed_size 0
		.amdhsa_kernarg_size 304
		.amdhsa_user_sgpr_count 6
		.amdhsa_user_sgpr_private_segment_buffer 1
		.amdhsa_user_sgpr_dispatch_ptr 0
		.amdhsa_user_sgpr_queue_ptr 0
		.amdhsa_user_sgpr_kernarg_segment_ptr 1
		.amdhsa_user_sgpr_dispatch_id 0
		.amdhsa_user_sgpr_flat_scratch_init 0
		.amdhsa_user_sgpr_kernarg_preload_length 0
		.amdhsa_user_sgpr_kernarg_preload_offset 0
		.amdhsa_user_sgpr_private_segment_size 0
		.amdhsa_uses_dynamic_stack 0
		.amdhsa_system_sgpr_private_segment_wavefront_offset 0
		.amdhsa_system_sgpr_workgroup_id_x 1
		.amdhsa_system_sgpr_workgroup_id_y 0
		.amdhsa_system_sgpr_workgroup_id_z 0
		.amdhsa_system_sgpr_workgroup_info 0
		.amdhsa_system_vgpr_workitem_id 1
		.amdhsa_next_free_vgpr 12
		.amdhsa_next_free_sgpr 16
		.amdhsa_accum_offset 12
		.amdhsa_reserve_vcc 1
		.amdhsa_reserve_flat_scratch 0
		.amdhsa_float_round_mode_32 0
		.amdhsa_float_round_mode_16_64 0
		.amdhsa_float_denorm_mode_32 3
		.amdhsa_float_denorm_mode_16_64 3
		.amdhsa_dx10_clamp 1
		.amdhsa_ieee_mode 1
		.amdhsa_fp16_overflow 0
		.amdhsa_tg_split 0
		.amdhsa_exception_fp_ieee_invalid_op 0
		.amdhsa_exception_fp_denorm_src 0
		.amdhsa_exception_fp_ieee_div_zero 0
		.amdhsa_exception_fp_ieee_overflow 0
		.amdhsa_exception_fp_ieee_underflow 0
		.amdhsa_exception_fp_ieee_inexact 0
		.amdhsa_exception_int_div_zero 0
	.end_amdhsa_kernel
	.section	.text._ZN12_GLOBAL__N_120softmax_warp_forwardIN3c104HalfEffLi1ELb0ELb0ELi64EEEvPT0_PKT_iiiPKbib,"axG",@progbits,_ZN12_GLOBAL__N_120softmax_warp_forwardIN3c104HalfEffLi1ELb0ELb0ELi64EEEvPT0_PKT_iiiPKbib,comdat
.Lfunc_end434:
	.size	_ZN12_GLOBAL__N_120softmax_warp_forwardIN3c104HalfEffLi1ELb0ELb0ELi64EEEvPT0_PKT_iiiPKbib, .Lfunc_end434-_ZN12_GLOBAL__N_120softmax_warp_forwardIN3c104HalfEffLi1ELb0ELb0ELi64EEEvPT0_PKT_iiiPKbib
                                        ; -- End function
	.section	.AMDGPU.csdata,"",@progbits
; Kernel info:
; codeLenInByte = 840
; NumSgprs: 20
; NumVgprs: 12
; NumAgprs: 0
; TotalNumVgprs: 12
; ScratchSize: 0
; MemoryBound: 0
; FloatMode: 240
; IeeeMode: 1
; LDSByteSize: 0 bytes/workgroup (compile time only)
; SGPRBlocks: 2
; VGPRBlocks: 1
; NumSGPRsForWavesPerEU: 20
; NumVGPRsForWavesPerEU: 12
; AccumOffset: 12
; Occupancy: 8
; WaveLimiterHint : 0
; COMPUTE_PGM_RSRC2:SCRATCH_EN: 0
; COMPUTE_PGM_RSRC2:USER_SGPR: 6
; COMPUTE_PGM_RSRC2:TRAP_HANDLER: 0
; COMPUTE_PGM_RSRC2:TGID_X_EN: 1
; COMPUTE_PGM_RSRC2:TGID_Y_EN: 0
; COMPUTE_PGM_RSRC2:TGID_Z_EN: 0
; COMPUTE_PGM_RSRC2:TIDIG_COMP_CNT: 1
; COMPUTE_PGM_RSRC3_GFX90A:ACCUM_OFFSET: 2
; COMPUTE_PGM_RSRC3_GFX90A:TG_SPLIT: 0
	.section	.text._ZN12_GLOBAL__N_120softmax_warp_forwardIN3c104HalfEffLi1ELb0ELb0ELi32EEEvPT0_PKT_iiiPKbib,"axG",@progbits,_ZN12_GLOBAL__N_120softmax_warp_forwardIN3c104HalfEffLi1ELb0ELb0ELi32EEEvPT0_PKT_iiiPKbib,comdat
	.globl	_ZN12_GLOBAL__N_120softmax_warp_forwardIN3c104HalfEffLi1ELb0ELb0ELi32EEEvPT0_PKT_iiiPKbib ; -- Begin function _ZN12_GLOBAL__N_120softmax_warp_forwardIN3c104HalfEffLi1ELb0ELb0ELi32EEEvPT0_PKT_iiiPKbib
	.p2align	8
	.type	_ZN12_GLOBAL__N_120softmax_warp_forwardIN3c104HalfEffLi1ELb0ELb0ELi32EEEvPT0_PKT_iiiPKbib,@function
_ZN12_GLOBAL__N_120softmax_warp_forwardIN3c104HalfEffLi1ELb0ELb0ELi32EEEvPT0_PKT_iiiPKbib: ; @_ZN12_GLOBAL__N_120softmax_warp_forwardIN3c104HalfEffLi1ELb0ELb0ELi32EEEvPT0_PKT_iiiPKbib
; %bb.0:
	s_load_dword s0, s[4:5], 0x3c
	s_load_dwordx8 s[8:15], s[4:5], 0x0
	v_bfe_u32 v1, v0, 10, 10
	v_and_b32_e32 v2, 0x3ff, v0
	s_waitcnt lgkmcnt(0)
	s_lshr_b32 s0, s0, 16
	s_mul_i32 s6, s6, s0
	v_add_lshl_u32 v1, s6, v1, 1
	v_sub_u32_e32 v6, s12, v1
	v_mad_u64_u32 v[0:1], s[0:1], v1, s13, v[2:3]
	v_ashrrev_i32_e32 v1, 31, v0
	v_lshlrev_b64 v[4:5], 1, v[0:1]
	v_mov_b32_e32 v3, s11
	v_add_co_u32_e32 v4, vcc, s10, v4
	v_addc_co_u32_e32 v5, vcc, v3, v5, vcc
	v_cmp_gt_i32_e64 s[0:1], s14, v2
	v_cmp_lt_i32_e32 vcc, 0, v6
	s_and_b64 s[4:5], s[0:1], vcc
	v_mov_b32_e32 v3, 0xff800000
	v_mov_b32_e32 v2, 0xff800000
	s_and_saveexec_b64 s[2:3], s[4:5]
	s_cbranch_execz .LBB435_2
; %bb.1:
	global_load_ushort v2, v[4:5], off
	s_waitcnt vmcnt(0)
	v_cvt_f32_f16_e32 v2, v2
.LBB435_2:
	s_or_b64 exec, exec, s[2:3]
	v_cmp_lt_i32_e64 s[2:3], 1, v6
	s_and_b64 s[2:3], s[0:1], s[2:3]
	s_and_saveexec_b64 s[4:5], s[2:3]
	s_cbranch_execz .LBB435_4
; %bb.3:
	s_mov_b32 s15, 0
	s_lshl_b64 s[2:3], s[14:15], 1
	v_mov_b32_e32 v3, s3
	v_add_co_u32_e64 v4, s[2:3], s2, v4
	v_addc_co_u32_e64 v5, s[2:3], v5, v3, s[2:3]
	global_load_ushort v3, v[4:5], off
	s_waitcnt vmcnt(0)
	v_cvt_f32_f16_e32 v3, v3
.LBB435_4:
	s_or_b64 exec, exec, s[4:5]
	v_mbcnt_lo_u32_b32 v4, -1, 0
	v_mbcnt_hi_u32_b32 v4, -1, v4
	v_and_b32_e32 v7, 0x7e, v4
	v_xor_b32_e32 v5, 1, v4
	v_add_u32_e32 v7, 2, v7
	v_cmp_lt_i32_e64 s[2:3], v5, v7
	v_cndmask_b32_e64 v4, v4, v5, s[2:3]
	v_lshlrev_b32_e32 v7, 2, v4
	ds_bpermute_b32 v4, v7, v3
	ds_bpermute_b32 v8, v7, v2
	s_mov_b32 s4, 0x3fb8aa3b
	s_mov_b32 s5, 0xc2ce8ed0
	;; [unrolled: 1-line block ×3, first 2 shown]
	s_waitcnt lgkmcnt(1)
	v_cmp_lt_f32_e64 s[2:3], v3, v4
	v_cndmask_b32_e64 v5, v3, v4, s[2:3]
	s_waitcnt lgkmcnt(0)
	v_cmp_lt_f32_e64 s[2:3], v2, v8
	v_cndmask_b32_e64 v4, v2, v8, s[2:3]
	v_pk_add_f32 v[2:3], v[2:3], v[4:5] neg_lo:[0,1] neg_hi:[0,1]
	v_mul_f32_e32 v4, 0x3fb8aa3b, v3
	v_fma_f32 v5, v3, s4, -v4
	v_rndne_f32_e32 v8, v4
	v_fmac_f32_e32 v5, 0x32a5705f, v3
	v_sub_f32_e32 v4, v4, v8
	v_add_f32_e32 v4, v4, v5
	v_exp_f32_e32 v4, v4
	v_cvt_i32_f32_e32 v5, v8
	v_cmp_ngt_f32_e64 s[2:3], s5, v3
	v_ldexp_f32 v4, v4, v5
	v_mul_f32_e32 v5, 0x3fb8aa3b, v2
	v_fma_f32 v8, v2, s4, -v5
	v_rndne_f32_e32 v9, v5
	v_fmac_f32_e32 v8, 0x32a5705f, v2
	v_sub_f32_e32 v5, v5, v9
	v_add_f32_e32 v5, v5, v8
	v_exp_f32_e32 v5, v5
	v_cvt_i32_f32_e32 v8, v9
	v_cndmask_b32_e64 v4, 0, v4, s[2:3]
	v_mov_b32_e32 v9, 0x7f800000
	v_cmp_nlt_f32_e64 s[2:3], s6, v3
	v_cndmask_b32_e64 v3, v9, v4, s[2:3]
	v_ldexp_f32 v4, v5, v8
	v_cmp_ngt_f32_e64 s[2:3], s5, v2
	v_cndmask_b32_e64 v4, 0, v4, s[2:3]
	v_cmp_nlt_f32_e64 s[2:3], s6, v2
	v_cndmask_b32_e64 v2, v9, v4, s[2:3]
	ds_bpermute_b32 v4, v7, v2
	ds_bpermute_b32 v5, v7, v3
	s_and_saveexec_b64 s[2:3], vcc
	s_cbranch_execz .LBB435_12
; %bb.5:
	v_lshlrev_b64 v[0:1], 2, v[0:1]
	v_mov_b32_e32 v7, s9
	v_add_co_u32_e32 v0, vcc, s8, v0
	v_addc_co_u32_e32 v1, vcc, v7, v1, vcc
	s_waitcnt lgkmcnt(0)
	v_pk_add_f32 v[4:5], v[2:3], v[4:5]
	s_and_saveexec_b64 s[2:3], s[0:1]
	s_cbranch_execz .LBB435_9
; %bb.6:
	v_cmp_neq_f32_e32 vcc, 0, v4
	v_mov_b32_e32 v7, 0x7fc00000
	s_and_saveexec_b64 s[4:5], vcc
; %bb.7:
	v_div_scale_f32 v7, s[6:7], v4, v4, v2
	v_rcp_f32_e32 v8, v7
	v_div_scale_f32 v9, vcc, v2, v4, v2
	v_fma_f32 v10, -v7, v8, 1.0
	v_fmac_f32_e32 v8, v10, v8
	v_mul_f32_e32 v10, v9, v8
	v_fma_f32 v11, -v7, v10, v9
	v_fmac_f32_e32 v10, v11, v8
	v_fma_f32 v7, -v7, v10, v9
	v_div_fmas_f32 v7, v7, v8, v10
	v_div_fixup_f32 v7, v7, v4, v2
; %bb.8:
	s_or_b64 exec, exec, s[4:5]
	global_store_dword v[0:1], v7, off
.LBB435_9:
	s_or_b64 exec, exec, s[2:3]
	v_cmp_ne_u32_e32 vcc, 1, v6
	s_and_b64 exec, exec, vcc
	s_cbranch_execz .LBB435_12
; %bb.10:
	s_and_b64 exec, exec, s[0:1]
	s_cbranch_execz .LBB435_12
; %bb.11:
	v_div_scale_f32 v2, s[0:1], v5, v5, v3
	v_rcp_f32_e32 v4, v2
	v_div_scale_f32 v6, vcc, v3, v5, v3
	s_mov_b32 s15, 0
	v_fma_f32 v7, -v2, v4, 1.0
	v_fmac_f32_e32 v4, v7, v4
	v_mul_f32_e32 v7, v6, v4
	v_fma_f32 v8, -v2, v7, v6
	v_fmac_f32_e32 v7, v8, v4
	v_fma_f32 v2, -v2, v7, v6
	v_div_fmas_f32 v2, v2, v4, v7
	s_lshl_b64 s[0:1], s[14:15], 2
	v_div_fixup_f32 v2, v2, v5, v3
	v_mov_b32_e32 v3, s1
	v_add_co_u32_e32 v0, vcc, s0, v0
	v_addc_co_u32_e32 v1, vcc, v1, v3, vcc
	v_mov_b32_e32 v3, 0x7fc00000
	v_cmp_neq_f32_e32 vcc, 0, v5
	v_cndmask_b32_e32 v2, v3, v2, vcc
	global_store_dword v[0:1], v2, off
.LBB435_12:
	s_endpgm
	.section	.rodata,"a",@progbits
	.p2align	6, 0x0
	.amdhsa_kernel _ZN12_GLOBAL__N_120softmax_warp_forwardIN3c104HalfEffLi1ELb0ELb0ELi32EEEvPT0_PKT_iiiPKbib
		.amdhsa_group_segment_fixed_size 0
		.amdhsa_private_segment_fixed_size 0
		.amdhsa_kernarg_size 304
		.amdhsa_user_sgpr_count 6
		.amdhsa_user_sgpr_private_segment_buffer 1
		.amdhsa_user_sgpr_dispatch_ptr 0
		.amdhsa_user_sgpr_queue_ptr 0
		.amdhsa_user_sgpr_kernarg_segment_ptr 1
		.amdhsa_user_sgpr_dispatch_id 0
		.amdhsa_user_sgpr_flat_scratch_init 0
		.amdhsa_user_sgpr_kernarg_preload_length 0
		.amdhsa_user_sgpr_kernarg_preload_offset 0
		.amdhsa_user_sgpr_private_segment_size 0
		.amdhsa_uses_dynamic_stack 0
		.amdhsa_system_sgpr_private_segment_wavefront_offset 0
		.amdhsa_system_sgpr_workgroup_id_x 1
		.amdhsa_system_sgpr_workgroup_id_y 0
		.amdhsa_system_sgpr_workgroup_id_z 0
		.amdhsa_system_sgpr_workgroup_info 0
		.amdhsa_system_vgpr_workitem_id 1
		.amdhsa_next_free_vgpr 12
		.amdhsa_next_free_sgpr 16
		.amdhsa_accum_offset 12
		.amdhsa_reserve_vcc 1
		.amdhsa_reserve_flat_scratch 0
		.amdhsa_float_round_mode_32 0
		.amdhsa_float_round_mode_16_64 0
		.amdhsa_float_denorm_mode_32 3
		.amdhsa_float_denorm_mode_16_64 3
		.amdhsa_dx10_clamp 1
		.amdhsa_ieee_mode 1
		.amdhsa_fp16_overflow 0
		.amdhsa_tg_split 0
		.amdhsa_exception_fp_ieee_invalid_op 0
		.amdhsa_exception_fp_denorm_src 0
		.amdhsa_exception_fp_ieee_div_zero 0
		.amdhsa_exception_fp_ieee_overflow 0
		.amdhsa_exception_fp_ieee_underflow 0
		.amdhsa_exception_fp_ieee_inexact 0
		.amdhsa_exception_int_div_zero 0
	.end_amdhsa_kernel
	.section	.text._ZN12_GLOBAL__N_120softmax_warp_forwardIN3c104HalfEffLi1ELb0ELb0ELi32EEEvPT0_PKT_iiiPKbib,"axG",@progbits,_ZN12_GLOBAL__N_120softmax_warp_forwardIN3c104HalfEffLi1ELb0ELb0ELi32EEEvPT0_PKT_iiiPKbib,comdat
.Lfunc_end435:
	.size	_ZN12_GLOBAL__N_120softmax_warp_forwardIN3c104HalfEffLi1ELb0ELb0ELi32EEEvPT0_PKT_iiiPKbib, .Lfunc_end435-_ZN12_GLOBAL__N_120softmax_warp_forwardIN3c104HalfEffLi1ELb0ELb0ELi32EEEvPT0_PKT_iiiPKbib
                                        ; -- End function
	.section	.AMDGPU.csdata,"",@progbits
; Kernel info:
; codeLenInByte = 840
; NumSgprs: 20
; NumVgprs: 12
; NumAgprs: 0
; TotalNumVgprs: 12
; ScratchSize: 0
; MemoryBound: 0
; FloatMode: 240
; IeeeMode: 1
; LDSByteSize: 0 bytes/workgroup (compile time only)
; SGPRBlocks: 2
; VGPRBlocks: 1
; NumSGPRsForWavesPerEU: 20
; NumVGPRsForWavesPerEU: 12
; AccumOffset: 12
; Occupancy: 8
; WaveLimiterHint : 0
; COMPUTE_PGM_RSRC2:SCRATCH_EN: 0
; COMPUTE_PGM_RSRC2:USER_SGPR: 6
; COMPUTE_PGM_RSRC2:TRAP_HANDLER: 0
; COMPUTE_PGM_RSRC2:TGID_X_EN: 1
; COMPUTE_PGM_RSRC2:TGID_Y_EN: 0
; COMPUTE_PGM_RSRC2:TGID_Z_EN: 0
; COMPUTE_PGM_RSRC2:TIDIG_COMP_CNT: 1
; COMPUTE_PGM_RSRC3_GFX90A:ACCUM_OFFSET: 2
; COMPUTE_PGM_RSRC3_GFX90A:TG_SPLIT: 0
	.section	.text._ZN12_GLOBAL__N_120softmax_warp_forwardIN3c104HalfEffLi2ELb0ELb0ELi64EEEvPT0_PKT_iiiPKbib,"axG",@progbits,_ZN12_GLOBAL__N_120softmax_warp_forwardIN3c104HalfEffLi2ELb0ELb0ELi64EEEvPT0_PKT_iiiPKbib,comdat
	.globl	_ZN12_GLOBAL__N_120softmax_warp_forwardIN3c104HalfEffLi2ELb0ELb0ELi64EEEvPT0_PKT_iiiPKbib ; -- Begin function _ZN12_GLOBAL__N_120softmax_warp_forwardIN3c104HalfEffLi2ELb0ELb0ELi64EEEvPT0_PKT_iiiPKbib
	.p2align	8
	.type	_ZN12_GLOBAL__N_120softmax_warp_forwardIN3c104HalfEffLi2ELb0ELb0ELi64EEEvPT0_PKT_iiiPKbib,@function
_ZN12_GLOBAL__N_120softmax_warp_forwardIN3c104HalfEffLi2ELb0ELb0ELi64EEEvPT0_PKT_iiiPKbib: ; @_ZN12_GLOBAL__N_120softmax_warp_forwardIN3c104HalfEffLi2ELb0ELb0ELi64EEEvPT0_PKT_iiiPKbib
; %bb.0:
	s_load_dword s0, s[4:5], 0x3c
	s_load_dwordx8 s[8:15], s[4:5], 0x0
	v_bfe_u32 v1, v0, 10, 10
	v_and_b32_e32 v2, 0x3ff, v0
	s_waitcnt lgkmcnt(0)
	s_lshr_b32 s0, s0, 16
	s_mul_i32 s6, s6, s0
	v_add_lshl_u32 v1, s6, v1, 1
	v_sub_u32_e32 v8, s12, v1
	v_mad_u64_u32 v[0:1], s[0:1], v1, s13, v[2:3]
	v_ashrrev_i32_e32 v1, 31, v0
	v_lshlrev_b64 v[4:5], 1, v[0:1]
	v_mov_b32_e32 v3, s11
	v_add_co_u32_e32 v4, vcc, s10, v4
	v_addc_co_u32_e32 v5, vcc, v3, v5, vcc
	v_cmp_gt_i32_e64 s[0:1], s14, v2
	v_cmp_lt_i32_e32 vcc, 0, v8
	s_and_b64 s[4:5], s[0:1], vcc
	v_mov_b32_e32 v3, 0xff800000
	v_mov_b32_e32 v2, 0xff800000
	s_and_saveexec_b64 s[2:3], s[4:5]
	s_cbranch_execz .LBB436_2
; %bb.1:
	global_load_ushort v2, v[4:5], off
	s_waitcnt vmcnt(0)
	v_cvt_f32_f16_e32 v2, v2
.LBB436_2:
	s_or_b64 exec, exec, s[2:3]
	v_cmp_lt_i32_e64 s[2:3], 1, v8
	s_and_b64 s[2:3], s[0:1], s[2:3]
	s_and_saveexec_b64 s[4:5], s[2:3]
	s_cbranch_execz .LBB436_4
; %bb.3:
	s_mov_b32 s15, 0
	s_lshl_b64 s[2:3], s[14:15], 1
	v_mov_b32_e32 v3, s3
	v_add_co_u32_e64 v4, s[2:3], s2, v4
	v_addc_co_u32_e64 v5, s[2:3], v5, v3, s[2:3]
	global_load_ushort v3, v[4:5], off
	s_waitcnt vmcnt(0)
	v_cvt_f32_f16_e32 v3, v3
.LBB436_4:
	s_or_b64 exec, exec, s[4:5]
	v_mbcnt_lo_u32_b32 v4, -1, 0
	v_mbcnt_hi_u32_b32 v4, -1, v4
	v_and_b32_e32 v5, 0x7c, v4
	v_add_u32_e32 v5, 4, v5
	v_xor_b32_e32 v6, 2, v4
	v_cmp_lt_i32_e64 s[2:3], v6, v5
	v_cndmask_b32_e64 v6, v4, v6, s[2:3]
	v_lshlrev_b32_e32 v6, 2, v6
	ds_bpermute_b32 v9, v6, v3
	ds_bpermute_b32 v7, v6, v2
	v_xor_b32_e32 v10, 1, v4
	v_cmp_lt_i32_e64 s[2:3], v10, v5
	v_cndmask_b32_e64 v4, v4, v10, s[2:3]
	s_waitcnt lgkmcnt(1)
	v_cmp_lt_f32_e64 s[2:3], v3, v9
	v_lshlrev_b32_e32 v10, 2, v4
	v_cndmask_b32_e64 v4, v3, v9, s[2:3]
	s_waitcnt lgkmcnt(0)
	v_cmp_lt_f32_e64 s[2:3], v2, v7
	ds_bpermute_b32 v5, v10, v4
	v_cndmask_b32_e64 v7, v2, v7, s[2:3]
	ds_bpermute_b32 v9, v10, v7
	s_mov_b32 s4, 0x3fb8aa3b
	s_mov_b32 s5, 0xc2ce8ed0
	s_waitcnt lgkmcnt(1)
	v_cmp_lt_f32_e64 s[2:3], v4, v5
	v_cndmask_b32_e64 v5, v4, v5, s[2:3]
	s_waitcnt lgkmcnt(0)
	v_cmp_lt_f32_e64 s[2:3], v7, v9
	v_cndmask_b32_e64 v4, v7, v9, s[2:3]
	v_pk_add_f32 v[2:3], v[2:3], v[4:5] neg_lo:[0,1] neg_hi:[0,1]
	v_mul_f32_e32 v4, 0x3fb8aa3b, v3
	v_fma_f32 v5, v3, s4, -v4
	v_rndne_f32_e32 v7, v4
	v_fmac_f32_e32 v5, 0x32a5705f, v3
	v_sub_f32_e32 v4, v4, v7
	v_add_f32_e32 v4, v4, v5
	v_exp_f32_e32 v4, v4
	v_cvt_i32_f32_e32 v5, v7
	v_cmp_ngt_f32_e64 s[2:3], s5, v3
	s_mov_b32 s6, 0x42b17218
	v_ldexp_f32 v4, v4, v5
	v_mul_f32_e32 v5, 0x3fb8aa3b, v2
	v_fma_f32 v7, v2, s4, -v5
	v_rndne_f32_e32 v9, v5
	v_fmac_f32_e32 v7, 0x32a5705f, v2
	v_sub_f32_e32 v5, v5, v9
	v_add_f32_e32 v5, v5, v7
	v_exp_f32_e32 v5, v5
	v_cvt_i32_f32_e32 v7, v9
	v_cndmask_b32_e64 v4, 0, v4, s[2:3]
	v_mov_b32_e32 v9, 0x7f800000
	v_cmp_nlt_f32_e64 s[2:3], s6, v3
	v_cndmask_b32_e64 v3, v9, v4, s[2:3]
	v_ldexp_f32 v4, v5, v7
	v_cmp_ngt_f32_e64 s[2:3], s5, v2
	v_cndmask_b32_e64 v4, 0, v4, s[2:3]
	v_cmp_nlt_f32_e64 s[2:3], s6, v2
	v_cndmask_b32_e64 v2, v9, v4, s[2:3]
	ds_bpermute_b32 v4, v6, v2
	ds_bpermute_b32 v5, v6, v3
	s_waitcnt lgkmcnt(0)
	v_pk_add_f32 v[4:5], v[2:3], v[4:5]
	ds_bpermute_b32 v6, v10, v4
	ds_bpermute_b32 v7, v10, v5
	s_and_saveexec_b64 s[2:3], vcc
	s_cbranch_execz .LBB436_12
; %bb.5:
	v_lshlrev_b64 v[0:1], 2, v[0:1]
	v_mov_b32_e32 v9, s9
	v_add_co_u32_e32 v0, vcc, s8, v0
	v_addc_co_u32_e32 v1, vcc, v9, v1, vcc
	s_waitcnt lgkmcnt(0)
	v_pk_add_f32 v[4:5], v[4:5], v[6:7]
	s_and_saveexec_b64 s[2:3], s[0:1]
	s_cbranch_execz .LBB436_9
; %bb.6:
	v_cmp_neq_f32_e32 vcc, 0, v4
	v_mov_b32_e32 v6, 0x7fc00000
	s_and_saveexec_b64 s[4:5], vcc
; %bb.7:
	v_div_scale_f32 v6, s[6:7], v4, v4, v2
	v_rcp_f32_e32 v7, v6
	v_div_scale_f32 v9, vcc, v2, v4, v2
	v_fma_f32 v10, -v6, v7, 1.0
	v_fmac_f32_e32 v7, v10, v7
	v_mul_f32_e32 v10, v9, v7
	v_fma_f32 v11, -v6, v10, v9
	v_fmac_f32_e32 v10, v11, v7
	v_fma_f32 v6, -v6, v10, v9
	v_div_fmas_f32 v6, v6, v7, v10
	v_div_fixup_f32 v6, v6, v4, v2
; %bb.8:
	s_or_b64 exec, exec, s[4:5]
	global_store_dword v[0:1], v6, off
.LBB436_9:
	s_or_b64 exec, exec, s[2:3]
	v_cmp_ne_u32_e32 vcc, 1, v8
	s_and_b64 exec, exec, vcc
	s_cbranch_execz .LBB436_12
; %bb.10:
	s_and_b64 exec, exec, s[0:1]
	s_cbranch_execz .LBB436_12
; %bb.11:
	v_div_scale_f32 v2, s[0:1], v5, v5, v3
	v_rcp_f32_e32 v4, v2
	v_div_scale_f32 v6, vcc, v3, v5, v3
	s_mov_b32 s15, 0
	v_fma_f32 v7, -v2, v4, 1.0
	v_fmac_f32_e32 v4, v7, v4
	v_mul_f32_e32 v7, v6, v4
	v_fma_f32 v8, -v2, v7, v6
	v_fmac_f32_e32 v7, v8, v4
	v_fma_f32 v2, -v2, v7, v6
	v_div_fmas_f32 v2, v2, v4, v7
	s_lshl_b64 s[0:1], s[14:15], 2
	v_div_fixup_f32 v2, v2, v5, v3
	v_mov_b32_e32 v3, s1
	v_add_co_u32_e32 v0, vcc, s0, v0
	v_addc_co_u32_e32 v1, vcc, v1, v3, vcc
	v_mov_b32_e32 v3, 0x7fc00000
	v_cmp_neq_f32_e32 vcc, 0, v5
	v_cndmask_b32_e32 v2, v3, v2, vcc
	global_store_dword v[0:1], v2, off
.LBB436_12:
	s_endpgm
	.section	.rodata,"a",@progbits
	.p2align	6, 0x0
	.amdhsa_kernel _ZN12_GLOBAL__N_120softmax_warp_forwardIN3c104HalfEffLi2ELb0ELb0ELi64EEEvPT0_PKT_iiiPKbib
		.amdhsa_group_segment_fixed_size 0
		.amdhsa_private_segment_fixed_size 0
		.amdhsa_kernarg_size 304
		.amdhsa_user_sgpr_count 6
		.amdhsa_user_sgpr_private_segment_buffer 1
		.amdhsa_user_sgpr_dispatch_ptr 0
		.amdhsa_user_sgpr_queue_ptr 0
		.amdhsa_user_sgpr_kernarg_segment_ptr 1
		.amdhsa_user_sgpr_dispatch_id 0
		.amdhsa_user_sgpr_flat_scratch_init 0
		.amdhsa_user_sgpr_kernarg_preload_length 0
		.amdhsa_user_sgpr_kernarg_preload_offset 0
		.amdhsa_user_sgpr_private_segment_size 0
		.amdhsa_uses_dynamic_stack 0
		.amdhsa_system_sgpr_private_segment_wavefront_offset 0
		.amdhsa_system_sgpr_workgroup_id_x 1
		.amdhsa_system_sgpr_workgroup_id_y 0
		.amdhsa_system_sgpr_workgroup_id_z 0
		.amdhsa_system_sgpr_workgroup_info 0
		.amdhsa_system_vgpr_workitem_id 1
		.amdhsa_next_free_vgpr 12
		.amdhsa_next_free_sgpr 16
		.amdhsa_accum_offset 12
		.amdhsa_reserve_vcc 1
		.amdhsa_reserve_flat_scratch 0
		.amdhsa_float_round_mode_32 0
		.amdhsa_float_round_mode_16_64 0
		.amdhsa_float_denorm_mode_32 3
		.amdhsa_float_denorm_mode_16_64 3
		.amdhsa_dx10_clamp 1
		.amdhsa_ieee_mode 1
		.amdhsa_fp16_overflow 0
		.amdhsa_tg_split 0
		.amdhsa_exception_fp_ieee_invalid_op 0
		.amdhsa_exception_fp_denorm_src 0
		.amdhsa_exception_fp_ieee_div_zero 0
		.amdhsa_exception_fp_ieee_overflow 0
		.amdhsa_exception_fp_ieee_underflow 0
		.amdhsa_exception_fp_ieee_inexact 0
		.amdhsa_exception_int_div_zero 0
	.end_amdhsa_kernel
	.section	.text._ZN12_GLOBAL__N_120softmax_warp_forwardIN3c104HalfEffLi2ELb0ELb0ELi64EEEvPT0_PKT_iiiPKbib,"axG",@progbits,_ZN12_GLOBAL__N_120softmax_warp_forwardIN3c104HalfEffLi2ELb0ELb0ELi64EEEvPT0_PKT_iiiPKbib,comdat
.Lfunc_end436:
	.size	_ZN12_GLOBAL__N_120softmax_warp_forwardIN3c104HalfEffLi2ELb0ELb0ELi64EEEvPT0_PKT_iiiPKbib, .Lfunc_end436-_ZN12_GLOBAL__N_120softmax_warp_forwardIN3c104HalfEffLi2ELb0ELb0ELi64EEEvPT0_PKT_iiiPKbib
                                        ; -- End function
	.section	.AMDGPU.csdata,"",@progbits
; Kernel info:
; codeLenInByte = 948
; NumSgprs: 20
; NumVgprs: 12
; NumAgprs: 0
; TotalNumVgprs: 12
; ScratchSize: 0
; MemoryBound: 0
; FloatMode: 240
; IeeeMode: 1
; LDSByteSize: 0 bytes/workgroup (compile time only)
; SGPRBlocks: 2
; VGPRBlocks: 1
; NumSGPRsForWavesPerEU: 20
; NumVGPRsForWavesPerEU: 12
; AccumOffset: 12
; Occupancy: 8
; WaveLimiterHint : 0
; COMPUTE_PGM_RSRC2:SCRATCH_EN: 0
; COMPUTE_PGM_RSRC2:USER_SGPR: 6
; COMPUTE_PGM_RSRC2:TRAP_HANDLER: 0
; COMPUTE_PGM_RSRC2:TGID_X_EN: 1
; COMPUTE_PGM_RSRC2:TGID_Y_EN: 0
; COMPUTE_PGM_RSRC2:TGID_Z_EN: 0
; COMPUTE_PGM_RSRC2:TIDIG_COMP_CNT: 1
; COMPUTE_PGM_RSRC3_GFX90A:ACCUM_OFFSET: 2
; COMPUTE_PGM_RSRC3_GFX90A:TG_SPLIT: 0
	.section	.text._ZN12_GLOBAL__N_120softmax_warp_forwardIN3c104HalfEffLi2ELb0ELb0ELi32EEEvPT0_PKT_iiiPKbib,"axG",@progbits,_ZN12_GLOBAL__N_120softmax_warp_forwardIN3c104HalfEffLi2ELb0ELb0ELi32EEEvPT0_PKT_iiiPKbib,comdat
	.globl	_ZN12_GLOBAL__N_120softmax_warp_forwardIN3c104HalfEffLi2ELb0ELb0ELi32EEEvPT0_PKT_iiiPKbib ; -- Begin function _ZN12_GLOBAL__N_120softmax_warp_forwardIN3c104HalfEffLi2ELb0ELb0ELi32EEEvPT0_PKT_iiiPKbib
	.p2align	8
	.type	_ZN12_GLOBAL__N_120softmax_warp_forwardIN3c104HalfEffLi2ELb0ELb0ELi32EEEvPT0_PKT_iiiPKbib,@function
_ZN12_GLOBAL__N_120softmax_warp_forwardIN3c104HalfEffLi2ELb0ELb0ELi32EEEvPT0_PKT_iiiPKbib: ; @_ZN12_GLOBAL__N_120softmax_warp_forwardIN3c104HalfEffLi2ELb0ELb0ELi32EEEvPT0_PKT_iiiPKbib
; %bb.0:
	s_load_dword s0, s[4:5], 0x3c
	s_load_dwordx8 s[8:15], s[4:5], 0x0
	v_bfe_u32 v1, v0, 10, 10
	v_and_b32_e32 v2, 0x3ff, v0
	s_waitcnt lgkmcnt(0)
	s_lshr_b32 s0, s0, 16
	s_mul_i32 s6, s6, s0
	v_add_lshl_u32 v1, s6, v1, 1
	v_sub_u32_e32 v8, s12, v1
	v_mad_u64_u32 v[0:1], s[0:1], v1, s13, v[2:3]
	v_ashrrev_i32_e32 v1, 31, v0
	v_lshlrev_b64 v[4:5], 1, v[0:1]
	v_mov_b32_e32 v3, s11
	v_add_co_u32_e32 v4, vcc, s10, v4
	v_addc_co_u32_e32 v5, vcc, v3, v5, vcc
	v_cmp_gt_i32_e64 s[0:1], s14, v2
	v_cmp_lt_i32_e32 vcc, 0, v8
	s_and_b64 s[4:5], s[0:1], vcc
	v_mov_b32_e32 v3, 0xff800000
	v_mov_b32_e32 v2, 0xff800000
	s_and_saveexec_b64 s[2:3], s[4:5]
	s_cbranch_execz .LBB437_2
; %bb.1:
	global_load_ushort v2, v[4:5], off
	s_waitcnt vmcnt(0)
	v_cvt_f32_f16_e32 v2, v2
.LBB437_2:
	s_or_b64 exec, exec, s[2:3]
	v_cmp_lt_i32_e64 s[2:3], 1, v8
	s_and_b64 s[2:3], s[0:1], s[2:3]
	s_and_saveexec_b64 s[4:5], s[2:3]
	s_cbranch_execz .LBB437_4
; %bb.3:
	s_mov_b32 s15, 0
	s_lshl_b64 s[2:3], s[14:15], 1
	v_mov_b32_e32 v3, s3
	v_add_co_u32_e64 v4, s[2:3], s2, v4
	v_addc_co_u32_e64 v5, s[2:3], v5, v3, s[2:3]
	global_load_ushort v3, v[4:5], off
	s_waitcnt vmcnt(0)
	v_cvt_f32_f16_e32 v3, v3
.LBB437_4:
	s_or_b64 exec, exec, s[4:5]
	v_mbcnt_lo_u32_b32 v4, -1, 0
	v_mbcnt_hi_u32_b32 v4, -1, v4
	v_and_b32_e32 v5, 0x7c, v4
	v_add_u32_e32 v5, 4, v5
	v_xor_b32_e32 v6, 2, v4
	v_cmp_lt_i32_e64 s[2:3], v6, v5
	v_cndmask_b32_e64 v6, v4, v6, s[2:3]
	v_lshlrev_b32_e32 v6, 2, v6
	ds_bpermute_b32 v9, v6, v3
	ds_bpermute_b32 v7, v6, v2
	v_xor_b32_e32 v10, 1, v4
	v_cmp_lt_i32_e64 s[2:3], v10, v5
	v_cndmask_b32_e64 v4, v4, v10, s[2:3]
	s_waitcnt lgkmcnt(1)
	v_cmp_lt_f32_e64 s[2:3], v3, v9
	v_lshlrev_b32_e32 v10, 2, v4
	v_cndmask_b32_e64 v4, v3, v9, s[2:3]
	s_waitcnt lgkmcnt(0)
	v_cmp_lt_f32_e64 s[2:3], v2, v7
	ds_bpermute_b32 v5, v10, v4
	v_cndmask_b32_e64 v7, v2, v7, s[2:3]
	ds_bpermute_b32 v9, v10, v7
	s_mov_b32 s4, 0x3fb8aa3b
	s_mov_b32 s5, 0xc2ce8ed0
	s_waitcnt lgkmcnt(1)
	v_cmp_lt_f32_e64 s[2:3], v4, v5
	v_cndmask_b32_e64 v5, v4, v5, s[2:3]
	s_waitcnt lgkmcnt(0)
	v_cmp_lt_f32_e64 s[2:3], v7, v9
	v_cndmask_b32_e64 v4, v7, v9, s[2:3]
	v_pk_add_f32 v[2:3], v[2:3], v[4:5] neg_lo:[0,1] neg_hi:[0,1]
	v_mul_f32_e32 v4, 0x3fb8aa3b, v3
	v_fma_f32 v5, v3, s4, -v4
	v_rndne_f32_e32 v7, v4
	v_fmac_f32_e32 v5, 0x32a5705f, v3
	v_sub_f32_e32 v4, v4, v7
	v_add_f32_e32 v4, v4, v5
	v_exp_f32_e32 v4, v4
	v_cvt_i32_f32_e32 v5, v7
	v_cmp_ngt_f32_e64 s[2:3], s5, v3
	s_mov_b32 s6, 0x42b17218
	v_ldexp_f32 v4, v4, v5
	v_mul_f32_e32 v5, 0x3fb8aa3b, v2
	v_fma_f32 v7, v2, s4, -v5
	v_rndne_f32_e32 v9, v5
	v_fmac_f32_e32 v7, 0x32a5705f, v2
	v_sub_f32_e32 v5, v5, v9
	v_add_f32_e32 v5, v5, v7
	v_exp_f32_e32 v5, v5
	v_cvt_i32_f32_e32 v7, v9
	v_cndmask_b32_e64 v4, 0, v4, s[2:3]
	v_mov_b32_e32 v9, 0x7f800000
	v_cmp_nlt_f32_e64 s[2:3], s6, v3
	v_cndmask_b32_e64 v3, v9, v4, s[2:3]
	v_ldexp_f32 v4, v5, v7
	v_cmp_ngt_f32_e64 s[2:3], s5, v2
	v_cndmask_b32_e64 v4, 0, v4, s[2:3]
	v_cmp_nlt_f32_e64 s[2:3], s6, v2
	v_cndmask_b32_e64 v2, v9, v4, s[2:3]
	ds_bpermute_b32 v4, v6, v2
	ds_bpermute_b32 v5, v6, v3
	s_waitcnt lgkmcnt(0)
	v_pk_add_f32 v[4:5], v[2:3], v[4:5]
	ds_bpermute_b32 v6, v10, v4
	ds_bpermute_b32 v7, v10, v5
	s_and_saveexec_b64 s[2:3], vcc
	s_cbranch_execz .LBB437_12
; %bb.5:
	v_lshlrev_b64 v[0:1], 2, v[0:1]
	v_mov_b32_e32 v9, s9
	v_add_co_u32_e32 v0, vcc, s8, v0
	v_addc_co_u32_e32 v1, vcc, v9, v1, vcc
	s_waitcnt lgkmcnt(0)
	v_pk_add_f32 v[4:5], v[4:5], v[6:7]
	s_and_saveexec_b64 s[2:3], s[0:1]
	s_cbranch_execz .LBB437_9
; %bb.6:
	v_cmp_neq_f32_e32 vcc, 0, v4
	v_mov_b32_e32 v6, 0x7fc00000
	s_and_saveexec_b64 s[4:5], vcc
; %bb.7:
	v_div_scale_f32 v6, s[6:7], v4, v4, v2
	v_rcp_f32_e32 v7, v6
	v_div_scale_f32 v9, vcc, v2, v4, v2
	v_fma_f32 v10, -v6, v7, 1.0
	v_fmac_f32_e32 v7, v10, v7
	v_mul_f32_e32 v10, v9, v7
	v_fma_f32 v11, -v6, v10, v9
	v_fmac_f32_e32 v10, v11, v7
	v_fma_f32 v6, -v6, v10, v9
	v_div_fmas_f32 v6, v6, v7, v10
	v_div_fixup_f32 v6, v6, v4, v2
; %bb.8:
	s_or_b64 exec, exec, s[4:5]
	global_store_dword v[0:1], v6, off
.LBB437_9:
	s_or_b64 exec, exec, s[2:3]
	v_cmp_ne_u32_e32 vcc, 1, v8
	s_and_b64 exec, exec, vcc
	s_cbranch_execz .LBB437_12
; %bb.10:
	s_and_b64 exec, exec, s[0:1]
	s_cbranch_execz .LBB437_12
; %bb.11:
	v_div_scale_f32 v2, s[0:1], v5, v5, v3
	v_rcp_f32_e32 v4, v2
	v_div_scale_f32 v6, vcc, v3, v5, v3
	s_mov_b32 s15, 0
	v_fma_f32 v7, -v2, v4, 1.0
	v_fmac_f32_e32 v4, v7, v4
	v_mul_f32_e32 v7, v6, v4
	v_fma_f32 v8, -v2, v7, v6
	v_fmac_f32_e32 v7, v8, v4
	v_fma_f32 v2, -v2, v7, v6
	v_div_fmas_f32 v2, v2, v4, v7
	s_lshl_b64 s[0:1], s[14:15], 2
	v_div_fixup_f32 v2, v2, v5, v3
	v_mov_b32_e32 v3, s1
	v_add_co_u32_e32 v0, vcc, s0, v0
	v_addc_co_u32_e32 v1, vcc, v1, v3, vcc
	v_mov_b32_e32 v3, 0x7fc00000
	v_cmp_neq_f32_e32 vcc, 0, v5
	v_cndmask_b32_e32 v2, v3, v2, vcc
	global_store_dword v[0:1], v2, off
.LBB437_12:
	s_endpgm
	.section	.rodata,"a",@progbits
	.p2align	6, 0x0
	.amdhsa_kernel _ZN12_GLOBAL__N_120softmax_warp_forwardIN3c104HalfEffLi2ELb0ELb0ELi32EEEvPT0_PKT_iiiPKbib
		.amdhsa_group_segment_fixed_size 0
		.amdhsa_private_segment_fixed_size 0
		.amdhsa_kernarg_size 304
		.amdhsa_user_sgpr_count 6
		.amdhsa_user_sgpr_private_segment_buffer 1
		.amdhsa_user_sgpr_dispatch_ptr 0
		.amdhsa_user_sgpr_queue_ptr 0
		.amdhsa_user_sgpr_kernarg_segment_ptr 1
		.amdhsa_user_sgpr_dispatch_id 0
		.amdhsa_user_sgpr_flat_scratch_init 0
		.amdhsa_user_sgpr_kernarg_preload_length 0
		.amdhsa_user_sgpr_kernarg_preload_offset 0
		.amdhsa_user_sgpr_private_segment_size 0
		.amdhsa_uses_dynamic_stack 0
		.amdhsa_system_sgpr_private_segment_wavefront_offset 0
		.amdhsa_system_sgpr_workgroup_id_x 1
		.amdhsa_system_sgpr_workgroup_id_y 0
		.amdhsa_system_sgpr_workgroup_id_z 0
		.amdhsa_system_sgpr_workgroup_info 0
		.amdhsa_system_vgpr_workitem_id 1
		.amdhsa_next_free_vgpr 12
		.amdhsa_next_free_sgpr 16
		.amdhsa_accum_offset 12
		.amdhsa_reserve_vcc 1
		.amdhsa_reserve_flat_scratch 0
		.amdhsa_float_round_mode_32 0
		.amdhsa_float_round_mode_16_64 0
		.amdhsa_float_denorm_mode_32 3
		.amdhsa_float_denorm_mode_16_64 3
		.amdhsa_dx10_clamp 1
		.amdhsa_ieee_mode 1
		.amdhsa_fp16_overflow 0
		.amdhsa_tg_split 0
		.amdhsa_exception_fp_ieee_invalid_op 0
		.amdhsa_exception_fp_denorm_src 0
		.amdhsa_exception_fp_ieee_div_zero 0
		.amdhsa_exception_fp_ieee_overflow 0
		.amdhsa_exception_fp_ieee_underflow 0
		.amdhsa_exception_fp_ieee_inexact 0
		.amdhsa_exception_int_div_zero 0
	.end_amdhsa_kernel
	.section	.text._ZN12_GLOBAL__N_120softmax_warp_forwardIN3c104HalfEffLi2ELb0ELb0ELi32EEEvPT0_PKT_iiiPKbib,"axG",@progbits,_ZN12_GLOBAL__N_120softmax_warp_forwardIN3c104HalfEffLi2ELb0ELb0ELi32EEEvPT0_PKT_iiiPKbib,comdat
.Lfunc_end437:
	.size	_ZN12_GLOBAL__N_120softmax_warp_forwardIN3c104HalfEffLi2ELb0ELb0ELi32EEEvPT0_PKT_iiiPKbib, .Lfunc_end437-_ZN12_GLOBAL__N_120softmax_warp_forwardIN3c104HalfEffLi2ELb0ELb0ELi32EEEvPT0_PKT_iiiPKbib
                                        ; -- End function
	.section	.AMDGPU.csdata,"",@progbits
; Kernel info:
; codeLenInByte = 948
; NumSgprs: 20
; NumVgprs: 12
; NumAgprs: 0
; TotalNumVgprs: 12
; ScratchSize: 0
; MemoryBound: 0
; FloatMode: 240
; IeeeMode: 1
; LDSByteSize: 0 bytes/workgroup (compile time only)
; SGPRBlocks: 2
; VGPRBlocks: 1
; NumSGPRsForWavesPerEU: 20
; NumVGPRsForWavesPerEU: 12
; AccumOffset: 12
; Occupancy: 8
; WaveLimiterHint : 0
; COMPUTE_PGM_RSRC2:SCRATCH_EN: 0
; COMPUTE_PGM_RSRC2:USER_SGPR: 6
; COMPUTE_PGM_RSRC2:TRAP_HANDLER: 0
; COMPUTE_PGM_RSRC2:TGID_X_EN: 1
; COMPUTE_PGM_RSRC2:TGID_Y_EN: 0
; COMPUTE_PGM_RSRC2:TGID_Z_EN: 0
; COMPUTE_PGM_RSRC2:TIDIG_COMP_CNT: 1
; COMPUTE_PGM_RSRC3_GFX90A:ACCUM_OFFSET: 2
; COMPUTE_PGM_RSRC3_GFX90A:TG_SPLIT: 0
	.section	.text._ZN12_GLOBAL__N_120softmax_warp_forwardIN3c104HalfEffLi3ELb0ELb0ELi64EEEvPT0_PKT_iiiPKbib,"axG",@progbits,_ZN12_GLOBAL__N_120softmax_warp_forwardIN3c104HalfEffLi3ELb0ELb0ELi64EEEvPT0_PKT_iiiPKbib,comdat
	.globl	_ZN12_GLOBAL__N_120softmax_warp_forwardIN3c104HalfEffLi3ELb0ELb0ELi64EEEvPT0_PKT_iiiPKbib ; -- Begin function _ZN12_GLOBAL__N_120softmax_warp_forwardIN3c104HalfEffLi3ELb0ELb0ELi64EEEvPT0_PKT_iiiPKbib
	.p2align	8
	.type	_ZN12_GLOBAL__N_120softmax_warp_forwardIN3c104HalfEffLi3ELb0ELb0ELi64EEEvPT0_PKT_iiiPKbib,@function
_ZN12_GLOBAL__N_120softmax_warp_forwardIN3c104HalfEffLi3ELb0ELb0ELi64EEEvPT0_PKT_iiiPKbib: ; @_ZN12_GLOBAL__N_120softmax_warp_forwardIN3c104HalfEffLi3ELb0ELb0ELi64EEEvPT0_PKT_iiiPKbib
; %bb.0:
	s_load_dword s0, s[4:5], 0x3c
	s_load_dwordx8 s[8:15], s[4:5], 0x0
	v_bfe_u32 v1, v0, 10, 10
	v_and_b32_e32 v2, 0x3ff, v0
	s_waitcnt lgkmcnt(0)
	s_lshr_b32 s0, s0, 16
	s_mul_i32 s6, s6, s0
	v_add_lshl_u32 v1, s6, v1, 1
	v_sub_u32_e32 v8, s12, v1
	v_mad_u64_u32 v[0:1], s[0:1], v1, s13, v[2:3]
	v_ashrrev_i32_e32 v1, 31, v0
	v_lshlrev_b64 v[4:5], 1, v[0:1]
	v_mov_b32_e32 v3, s11
	v_add_co_u32_e32 v4, vcc, s10, v4
	v_addc_co_u32_e32 v5, vcc, v3, v5, vcc
	v_cmp_gt_i32_e64 s[0:1], s14, v2
	v_cmp_lt_i32_e32 vcc, 0, v8
	s_and_b64 s[4:5], s[0:1], vcc
	v_mov_b32_e32 v3, 0xff800000
	v_mov_b32_e32 v2, 0xff800000
	s_and_saveexec_b64 s[2:3], s[4:5]
	s_cbranch_execz .LBB438_2
; %bb.1:
	global_load_ushort v2, v[4:5], off
	s_waitcnt vmcnt(0)
	v_cvt_f32_f16_e32 v2, v2
.LBB438_2:
	s_or_b64 exec, exec, s[2:3]
	v_cmp_lt_i32_e64 s[2:3], 1, v8
	s_and_b64 s[2:3], s[0:1], s[2:3]
	s_and_saveexec_b64 s[4:5], s[2:3]
	s_cbranch_execz .LBB438_4
; %bb.3:
	s_mov_b32 s15, 0
	s_lshl_b64 s[2:3], s[14:15], 1
	v_mov_b32_e32 v3, s3
	v_add_co_u32_e64 v4, s[2:3], s2, v4
	v_addc_co_u32_e64 v5, s[2:3], v5, v3, s[2:3]
	global_load_ushort v3, v[4:5], off
	s_waitcnt vmcnt(0)
	v_cvt_f32_f16_e32 v3, v3
.LBB438_4:
	s_or_b64 exec, exec, s[4:5]
	v_mbcnt_lo_u32_b32 v4, -1, 0
	v_mbcnt_hi_u32_b32 v4, -1, v4
	v_and_b32_e32 v5, 0x78, v4
	v_add_u32_e32 v5, 8, v5
	v_xor_b32_e32 v6, 4, v4
	v_cmp_lt_i32_e64 s[2:3], v6, v5
	v_cndmask_b32_e64 v6, v4, v6, s[2:3]
	v_lshlrev_b32_e32 v6, 2, v6
	ds_bpermute_b32 v9, v6, v3
	ds_bpermute_b32 v7, v6, v2
	v_xor_b32_e32 v10, 2, v4
	v_cmp_lt_i32_e64 s[2:3], v10, v5
	v_xor_b32_e32 v11, 1, v4
	v_cndmask_b32_e64 v10, v4, v10, s[2:3]
	v_cmp_lt_i32_e64 s[2:3], v11, v5
	v_cndmask_b32_e64 v4, v4, v11, s[2:3]
	s_waitcnt lgkmcnt(1)
	v_cmp_lt_f32_e64 s[2:3], v3, v9
	v_lshlrev_b32_e32 v10, 2, v10
	v_cndmask_b32_e64 v5, v3, v9, s[2:3]
	s_waitcnt lgkmcnt(0)
	v_cmp_lt_f32_e64 s[2:3], v2, v7
	ds_bpermute_b32 v9, v10, v5
	v_cndmask_b32_e64 v7, v2, v7, s[2:3]
	ds_bpermute_b32 v11, v10, v7
	v_lshlrev_b32_e32 v12, 2, v4
	s_mov_b32 s4, 0x3fb8aa3b
	s_waitcnt lgkmcnt(1)
	v_cmp_lt_f32_e64 s[2:3], v5, v9
	v_cndmask_b32_e64 v4, v5, v9, s[2:3]
	s_waitcnt lgkmcnt(0)
	v_cmp_lt_f32_e64 s[2:3], v7, v11
	ds_bpermute_b32 v5, v12, v4
	v_cndmask_b32_e64 v7, v7, v11, s[2:3]
	ds_bpermute_b32 v9, v12, v7
	s_mov_b32 s5, 0xc2ce8ed0
	s_mov_b32 s6, 0x42b17218
	s_waitcnt lgkmcnt(1)
	v_cmp_lt_f32_e64 s[2:3], v4, v5
	v_cndmask_b32_e64 v5, v4, v5, s[2:3]
	s_waitcnt lgkmcnt(0)
	v_cmp_lt_f32_e64 s[2:3], v7, v9
	v_cndmask_b32_e64 v4, v7, v9, s[2:3]
	v_pk_add_f32 v[2:3], v[2:3], v[4:5] neg_lo:[0,1] neg_hi:[0,1]
	v_mul_f32_e32 v4, 0x3fb8aa3b, v3
	v_fma_f32 v5, v3, s4, -v4
	v_rndne_f32_e32 v7, v4
	v_fmac_f32_e32 v5, 0x32a5705f, v3
	v_sub_f32_e32 v4, v4, v7
	v_add_f32_e32 v4, v4, v5
	v_exp_f32_e32 v4, v4
	v_cvt_i32_f32_e32 v5, v7
	v_cmp_ngt_f32_e64 s[2:3], s5, v3
	v_ldexp_f32 v4, v4, v5
	v_mul_f32_e32 v5, 0x3fb8aa3b, v2
	v_fma_f32 v7, v2, s4, -v5
	v_rndne_f32_e32 v9, v5
	v_fmac_f32_e32 v7, 0x32a5705f, v2
	v_sub_f32_e32 v5, v5, v9
	v_add_f32_e32 v5, v5, v7
	v_exp_f32_e32 v5, v5
	v_cvt_i32_f32_e32 v7, v9
	v_cndmask_b32_e64 v4, 0, v4, s[2:3]
	v_mov_b32_e32 v9, 0x7f800000
	v_cmp_nlt_f32_e64 s[2:3], s6, v3
	v_cndmask_b32_e64 v3, v9, v4, s[2:3]
	v_ldexp_f32 v4, v5, v7
	v_cmp_ngt_f32_e64 s[2:3], s5, v2
	v_cndmask_b32_e64 v4, 0, v4, s[2:3]
	v_cmp_nlt_f32_e64 s[2:3], s6, v2
	v_cndmask_b32_e64 v2, v9, v4, s[2:3]
	ds_bpermute_b32 v4, v6, v2
	ds_bpermute_b32 v5, v6, v3
	s_waitcnt lgkmcnt(0)
	v_pk_add_f32 v[4:5], v[2:3], v[4:5]
	ds_bpermute_b32 v6, v10, v4
	ds_bpermute_b32 v7, v10, v5
	s_waitcnt lgkmcnt(0)
	v_pk_add_f32 v[4:5], v[4:5], v[6:7]
	ds_bpermute_b32 v6, v12, v4
	ds_bpermute_b32 v7, v12, v5
	s_and_saveexec_b64 s[2:3], vcc
	s_cbranch_execz .LBB438_12
; %bb.5:
	v_lshlrev_b64 v[0:1], 2, v[0:1]
	v_mov_b32_e32 v9, s9
	v_add_co_u32_e32 v0, vcc, s8, v0
	v_addc_co_u32_e32 v1, vcc, v9, v1, vcc
	s_waitcnt lgkmcnt(0)
	v_pk_add_f32 v[4:5], v[4:5], v[6:7]
	s_and_saveexec_b64 s[2:3], s[0:1]
	s_cbranch_execz .LBB438_9
; %bb.6:
	v_cmp_neq_f32_e32 vcc, 0, v4
	v_mov_b32_e32 v6, 0x7fc00000
	s_and_saveexec_b64 s[4:5], vcc
; %bb.7:
	v_div_scale_f32 v6, s[6:7], v4, v4, v2
	v_rcp_f32_e32 v7, v6
	v_div_scale_f32 v9, vcc, v2, v4, v2
	v_fma_f32 v10, -v6, v7, 1.0
	v_fmac_f32_e32 v7, v10, v7
	v_mul_f32_e32 v10, v9, v7
	v_fma_f32 v11, -v6, v10, v9
	v_fmac_f32_e32 v10, v11, v7
	v_fma_f32 v6, -v6, v10, v9
	v_div_fmas_f32 v6, v6, v7, v10
	v_div_fixup_f32 v6, v6, v4, v2
; %bb.8:
	s_or_b64 exec, exec, s[4:5]
	global_store_dword v[0:1], v6, off
.LBB438_9:
	s_or_b64 exec, exec, s[2:3]
	v_cmp_ne_u32_e32 vcc, 1, v8
	s_and_b64 exec, exec, vcc
	s_cbranch_execz .LBB438_12
; %bb.10:
	s_and_b64 exec, exec, s[0:1]
	s_cbranch_execz .LBB438_12
; %bb.11:
	v_div_scale_f32 v2, s[0:1], v5, v5, v3
	v_rcp_f32_e32 v4, v2
	v_div_scale_f32 v6, vcc, v3, v5, v3
	s_mov_b32 s15, 0
	v_fma_f32 v7, -v2, v4, 1.0
	v_fmac_f32_e32 v4, v7, v4
	v_mul_f32_e32 v7, v6, v4
	v_fma_f32 v8, -v2, v7, v6
	v_fmac_f32_e32 v7, v8, v4
	v_fma_f32 v2, -v2, v7, v6
	v_div_fmas_f32 v2, v2, v4, v7
	s_lshl_b64 s[0:1], s[14:15], 2
	v_div_fixup_f32 v2, v2, v5, v3
	v_mov_b32_e32 v3, s1
	v_add_co_u32_e32 v0, vcc, s0, v0
	v_addc_co_u32_e32 v1, vcc, v1, v3, vcc
	v_mov_b32_e32 v3, 0x7fc00000
	v_cmp_neq_f32_e32 vcc, 0, v5
	v_cndmask_b32_e32 v2, v3, v2, vcc
	global_store_dword v[0:1], v2, off
.LBB438_12:
	s_endpgm
	.section	.rodata,"a",@progbits
	.p2align	6, 0x0
	.amdhsa_kernel _ZN12_GLOBAL__N_120softmax_warp_forwardIN3c104HalfEffLi3ELb0ELb0ELi64EEEvPT0_PKT_iiiPKbib
		.amdhsa_group_segment_fixed_size 0
		.amdhsa_private_segment_fixed_size 0
		.amdhsa_kernarg_size 304
		.amdhsa_user_sgpr_count 6
		.amdhsa_user_sgpr_private_segment_buffer 1
		.amdhsa_user_sgpr_dispatch_ptr 0
		.amdhsa_user_sgpr_queue_ptr 0
		.amdhsa_user_sgpr_kernarg_segment_ptr 1
		.amdhsa_user_sgpr_dispatch_id 0
		.amdhsa_user_sgpr_flat_scratch_init 0
		.amdhsa_user_sgpr_kernarg_preload_length 0
		.amdhsa_user_sgpr_kernarg_preload_offset 0
		.amdhsa_user_sgpr_private_segment_size 0
		.amdhsa_uses_dynamic_stack 0
		.amdhsa_system_sgpr_private_segment_wavefront_offset 0
		.amdhsa_system_sgpr_workgroup_id_x 1
		.amdhsa_system_sgpr_workgroup_id_y 0
		.amdhsa_system_sgpr_workgroup_id_z 0
		.amdhsa_system_sgpr_workgroup_info 0
		.amdhsa_system_vgpr_workitem_id 1
		.amdhsa_next_free_vgpr 13
		.amdhsa_next_free_sgpr 16
		.amdhsa_accum_offset 16
		.amdhsa_reserve_vcc 1
		.amdhsa_reserve_flat_scratch 0
		.amdhsa_float_round_mode_32 0
		.amdhsa_float_round_mode_16_64 0
		.amdhsa_float_denorm_mode_32 3
		.amdhsa_float_denorm_mode_16_64 3
		.amdhsa_dx10_clamp 1
		.amdhsa_ieee_mode 1
		.amdhsa_fp16_overflow 0
		.amdhsa_tg_split 0
		.amdhsa_exception_fp_ieee_invalid_op 0
		.amdhsa_exception_fp_denorm_src 0
		.amdhsa_exception_fp_ieee_div_zero 0
		.amdhsa_exception_fp_ieee_overflow 0
		.amdhsa_exception_fp_ieee_underflow 0
		.amdhsa_exception_fp_ieee_inexact 0
		.amdhsa_exception_int_div_zero 0
	.end_amdhsa_kernel
	.section	.text._ZN12_GLOBAL__N_120softmax_warp_forwardIN3c104HalfEffLi3ELb0ELb0ELi64EEEvPT0_PKT_iiiPKbib,"axG",@progbits,_ZN12_GLOBAL__N_120softmax_warp_forwardIN3c104HalfEffLi3ELb0ELb0ELi64EEEvPT0_PKT_iiiPKbib,comdat
.Lfunc_end438:
	.size	_ZN12_GLOBAL__N_120softmax_warp_forwardIN3c104HalfEffLi3ELb0ELb0ELi64EEEvPT0_PKT_iiiPKbib, .Lfunc_end438-_ZN12_GLOBAL__N_120softmax_warp_forwardIN3c104HalfEffLi3ELb0ELb0ELi64EEEvPT0_PKT_iiiPKbib
                                        ; -- End function
	.section	.AMDGPU.csdata,"",@progbits
; Kernel info:
; codeLenInByte = 1056
; NumSgprs: 20
; NumVgprs: 13
; NumAgprs: 0
; TotalNumVgprs: 13
; ScratchSize: 0
; MemoryBound: 0
; FloatMode: 240
; IeeeMode: 1
; LDSByteSize: 0 bytes/workgroup (compile time only)
; SGPRBlocks: 2
; VGPRBlocks: 1
; NumSGPRsForWavesPerEU: 20
; NumVGPRsForWavesPerEU: 13
; AccumOffset: 16
; Occupancy: 8
; WaveLimiterHint : 0
; COMPUTE_PGM_RSRC2:SCRATCH_EN: 0
; COMPUTE_PGM_RSRC2:USER_SGPR: 6
; COMPUTE_PGM_RSRC2:TRAP_HANDLER: 0
; COMPUTE_PGM_RSRC2:TGID_X_EN: 1
; COMPUTE_PGM_RSRC2:TGID_Y_EN: 0
; COMPUTE_PGM_RSRC2:TGID_Z_EN: 0
; COMPUTE_PGM_RSRC2:TIDIG_COMP_CNT: 1
; COMPUTE_PGM_RSRC3_GFX90A:ACCUM_OFFSET: 3
; COMPUTE_PGM_RSRC3_GFX90A:TG_SPLIT: 0
	.section	.text._ZN12_GLOBAL__N_120softmax_warp_forwardIN3c104HalfEffLi3ELb0ELb0ELi32EEEvPT0_PKT_iiiPKbib,"axG",@progbits,_ZN12_GLOBAL__N_120softmax_warp_forwardIN3c104HalfEffLi3ELb0ELb0ELi32EEEvPT0_PKT_iiiPKbib,comdat
	.globl	_ZN12_GLOBAL__N_120softmax_warp_forwardIN3c104HalfEffLi3ELb0ELb0ELi32EEEvPT0_PKT_iiiPKbib ; -- Begin function _ZN12_GLOBAL__N_120softmax_warp_forwardIN3c104HalfEffLi3ELb0ELb0ELi32EEEvPT0_PKT_iiiPKbib
	.p2align	8
	.type	_ZN12_GLOBAL__N_120softmax_warp_forwardIN3c104HalfEffLi3ELb0ELb0ELi32EEEvPT0_PKT_iiiPKbib,@function
_ZN12_GLOBAL__N_120softmax_warp_forwardIN3c104HalfEffLi3ELb0ELb0ELi32EEEvPT0_PKT_iiiPKbib: ; @_ZN12_GLOBAL__N_120softmax_warp_forwardIN3c104HalfEffLi3ELb0ELb0ELi32EEEvPT0_PKT_iiiPKbib
; %bb.0:
	s_load_dword s0, s[4:5], 0x3c
	s_load_dwordx8 s[8:15], s[4:5], 0x0
	v_bfe_u32 v1, v0, 10, 10
	v_and_b32_e32 v2, 0x3ff, v0
	s_waitcnt lgkmcnt(0)
	s_lshr_b32 s0, s0, 16
	s_mul_i32 s6, s6, s0
	v_add_lshl_u32 v1, s6, v1, 1
	v_sub_u32_e32 v8, s12, v1
	v_mad_u64_u32 v[0:1], s[0:1], v1, s13, v[2:3]
	v_ashrrev_i32_e32 v1, 31, v0
	v_lshlrev_b64 v[4:5], 1, v[0:1]
	v_mov_b32_e32 v3, s11
	v_add_co_u32_e32 v4, vcc, s10, v4
	v_addc_co_u32_e32 v5, vcc, v3, v5, vcc
	v_cmp_gt_i32_e64 s[0:1], s14, v2
	v_cmp_lt_i32_e32 vcc, 0, v8
	s_and_b64 s[4:5], s[0:1], vcc
	v_mov_b32_e32 v3, 0xff800000
	v_mov_b32_e32 v2, 0xff800000
	s_and_saveexec_b64 s[2:3], s[4:5]
	s_cbranch_execz .LBB439_2
; %bb.1:
	global_load_ushort v2, v[4:5], off
	s_waitcnt vmcnt(0)
	v_cvt_f32_f16_e32 v2, v2
.LBB439_2:
	s_or_b64 exec, exec, s[2:3]
	v_cmp_lt_i32_e64 s[2:3], 1, v8
	s_and_b64 s[2:3], s[0:1], s[2:3]
	s_and_saveexec_b64 s[4:5], s[2:3]
	s_cbranch_execz .LBB439_4
; %bb.3:
	s_mov_b32 s15, 0
	s_lshl_b64 s[2:3], s[14:15], 1
	v_mov_b32_e32 v3, s3
	v_add_co_u32_e64 v4, s[2:3], s2, v4
	v_addc_co_u32_e64 v5, s[2:3], v5, v3, s[2:3]
	global_load_ushort v3, v[4:5], off
	s_waitcnt vmcnt(0)
	v_cvt_f32_f16_e32 v3, v3
.LBB439_4:
	s_or_b64 exec, exec, s[4:5]
	v_mbcnt_lo_u32_b32 v4, -1, 0
	v_mbcnt_hi_u32_b32 v4, -1, v4
	v_and_b32_e32 v5, 0x78, v4
	v_add_u32_e32 v5, 8, v5
	v_xor_b32_e32 v6, 4, v4
	v_cmp_lt_i32_e64 s[2:3], v6, v5
	v_cndmask_b32_e64 v6, v4, v6, s[2:3]
	v_lshlrev_b32_e32 v6, 2, v6
	ds_bpermute_b32 v9, v6, v3
	ds_bpermute_b32 v7, v6, v2
	v_xor_b32_e32 v10, 2, v4
	v_cmp_lt_i32_e64 s[2:3], v10, v5
	v_xor_b32_e32 v11, 1, v4
	v_cndmask_b32_e64 v10, v4, v10, s[2:3]
	v_cmp_lt_i32_e64 s[2:3], v11, v5
	v_cndmask_b32_e64 v4, v4, v11, s[2:3]
	s_waitcnt lgkmcnt(1)
	v_cmp_lt_f32_e64 s[2:3], v3, v9
	v_lshlrev_b32_e32 v10, 2, v10
	v_cndmask_b32_e64 v5, v3, v9, s[2:3]
	s_waitcnt lgkmcnt(0)
	v_cmp_lt_f32_e64 s[2:3], v2, v7
	ds_bpermute_b32 v9, v10, v5
	v_cndmask_b32_e64 v7, v2, v7, s[2:3]
	ds_bpermute_b32 v11, v10, v7
	v_lshlrev_b32_e32 v12, 2, v4
	s_mov_b32 s4, 0x3fb8aa3b
	s_waitcnt lgkmcnt(1)
	v_cmp_lt_f32_e64 s[2:3], v5, v9
	v_cndmask_b32_e64 v4, v5, v9, s[2:3]
	s_waitcnt lgkmcnt(0)
	v_cmp_lt_f32_e64 s[2:3], v7, v11
	ds_bpermute_b32 v5, v12, v4
	v_cndmask_b32_e64 v7, v7, v11, s[2:3]
	ds_bpermute_b32 v9, v12, v7
	s_mov_b32 s5, 0xc2ce8ed0
	s_mov_b32 s6, 0x42b17218
	s_waitcnt lgkmcnt(1)
	v_cmp_lt_f32_e64 s[2:3], v4, v5
	v_cndmask_b32_e64 v5, v4, v5, s[2:3]
	s_waitcnt lgkmcnt(0)
	v_cmp_lt_f32_e64 s[2:3], v7, v9
	v_cndmask_b32_e64 v4, v7, v9, s[2:3]
	v_pk_add_f32 v[2:3], v[2:3], v[4:5] neg_lo:[0,1] neg_hi:[0,1]
	v_mul_f32_e32 v4, 0x3fb8aa3b, v3
	v_fma_f32 v5, v3, s4, -v4
	v_rndne_f32_e32 v7, v4
	v_fmac_f32_e32 v5, 0x32a5705f, v3
	v_sub_f32_e32 v4, v4, v7
	v_add_f32_e32 v4, v4, v5
	v_exp_f32_e32 v4, v4
	v_cvt_i32_f32_e32 v5, v7
	v_cmp_ngt_f32_e64 s[2:3], s5, v3
	v_ldexp_f32 v4, v4, v5
	v_mul_f32_e32 v5, 0x3fb8aa3b, v2
	v_fma_f32 v7, v2, s4, -v5
	v_rndne_f32_e32 v9, v5
	v_fmac_f32_e32 v7, 0x32a5705f, v2
	v_sub_f32_e32 v5, v5, v9
	v_add_f32_e32 v5, v5, v7
	v_exp_f32_e32 v5, v5
	v_cvt_i32_f32_e32 v7, v9
	v_cndmask_b32_e64 v4, 0, v4, s[2:3]
	v_mov_b32_e32 v9, 0x7f800000
	v_cmp_nlt_f32_e64 s[2:3], s6, v3
	v_cndmask_b32_e64 v3, v9, v4, s[2:3]
	v_ldexp_f32 v4, v5, v7
	v_cmp_ngt_f32_e64 s[2:3], s5, v2
	v_cndmask_b32_e64 v4, 0, v4, s[2:3]
	v_cmp_nlt_f32_e64 s[2:3], s6, v2
	v_cndmask_b32_e64 v2, v9, v4, s[2:3]
	ds_bpermute_b32 v4, v6, v2
	ds_bpermute_b32 v5, v6, v3
	s_waitcnt lgkmcnt(0)
	v_pk_add_f32 v[4:5], v[2:3], v[4:5]
	ds_bpermute_b32 v6, v10, v4
	ds_bpermute_b32 v7, v10, v5
	s_waitcnt lgkmcnt(0)
	v_pk_add_f32 v[4:5], v[4:5], v[6:7]
	ds_bpermute_b32 v6, v12, v4
	ds_bpermute_b32 v7, v12, v5
	s_and_saveexec_b64 s[2:3], vcc
	s_cbranch_execz .LBB439_12
; %bb.5:
	v_lshlrev_b64 v[0:1], 2, v[0:1]
	v_mov_b32_e32 v9, s9
	v_add_co_u32_e32 v0, vcc, s8, v0
	v_addc_co_u32_e32 v1, vcc, v9, v1, vcc
	s_waitcnt lgkmcnt(0)
	v_pk_add_f32 v[4:5], v[4:5], v[6:7]
	s_and_saveexec_b64 s[2:3], s[0:1]
	s_cbranch_execz .LBB439_9
; %bb.6:
	v_cmp_neq_f32_e32 vcc, 0, v4
	v_mov_b32_e32 v6, 0x7fc00000
	s_and_saveexec_b64 s[4:5], vcc
; %bb.7:
	v_div_scale_f32 v6, s[6:7], v4, v4, v2
	v_rcp_f32_e32 v7, v6
	v_div_scale_f32 v9, vcc, v2, v4, v2
	v_fma_f32 v10, -v6, v7, 1.0
	v_fmac_f32_e32 v7, v10, v7
	v_mul_f32_e32 v10, v9, v7
	v_fma_f32 v11, -v6, v10, v9
	v_fmac_f32_e32 v10, v11, v7
	v_fma_f32 v6, -v6, v10, v9
	v_div_fmas_f32 v6, v6, v7, v10
	v_div_fixup_f32 v6, v6, v4, v2
; %bb.8:
	s_or_b64 exec, exec, s[4:5]
	global_store_dword v[0:1], v6, off
.LBB439_9:
	s_or_b64 exec, exec, s[2:3]
	v_cmp_ne_u32_e32 vcc, 1, v8
	s_and_b64 exec, exec, vcc
	s_cbranch_execz .LBB439_12
; %bb.10:
	s_and_b64 exec, exec, s[0:1]
	s_cbranch_execz .LBB439_12
; %bb.11:
	v_div_scale_f32 v2, s[0:1], v5, v5, v3
	v_rcp_f32_e32 v4, v2
	v_div_scale_f32 v6, vcc, v3, v5, v3
	s_mov_b32 s15, 0
	v_fma_f32 v7, -v2, v4, 1.0
	v_fmac_f32_e32 v4, v7, v4
	v_mul_f32_e32 v7, v6, v4
	v_fma_f32 v8, -v2, v7, v6
	v_fmac_f32_e32 v7, v8, v4
	v_fma_f32 v2, -v2, v7, v6
	v_div_fmas_f32 v2, v2, v4, v7
	s_lshl_b64 s[0:1], s[14:15], 2
	v_div_fixup_f32 v2, v2, v5, v3
	v_mov_b32_e32 v3, s1
	v_add_co_u32_e32 v0, vcc, s0, v0
	v_addc_co_u32_e32 v1, vcc, v1, v3, vcc
	v_mov_b32_e32 v3, 0x7fc00000
	v_cmp_neq_f32_e32 vcc, 0, v5
	v_cndmask_b32_e32 v2, v3, v2, vcc
	global_store_dword v[0:1], v2, off
.LBB439_12:
	s_endpgm
	.section	.rodata,"a",@progbits
	.p2align	6, 0x0
	.amdhsa_kernel _ZN12_GLOBAL__N_120softmax_warp_forwardIN3c104HalfEffLi3ELb0ELb0ELi32EEEvPT0_PKT_iiiPKbib
		.amdhsa_group_segment_fixed_size 0
		.amdhsa_private_segment_fixed_size 0
		.amdhsa_kernarg_size 304
		.amdhsa_user_sgpr_count 6
		.amdhsa_user_sgpr_private_segment_buffer 1
		.amdhsa_user_sgpr_dispatch_ptr 0
		.amdhsa_user_sgpr_queue_ptr 0
		.amdhsa_user_sgpr_kernarg_segment_ptr 1
		.amdhsa_user_sgpr_dispatch_id 0
		.amdhsa_user_sgpr_flat_scratch_init 0
		.amdhsa_user_sgpr_kernarg_preload_length 0
		.amdhsa_user_sgpr_kernarg_preload_offset 0
		.amdhsa_user_sgpr_private_segment_size 0
		.amdhsa_uses_dynamic_stack 0
		.amdhsa_system_sgpr_private_segment_wavefront_offset 0
		.amdhsa_system_sgpr_workgroup_id_x 1
		.amdhsa_system_sgpr_workgroup_id_y 0
		.amdhsa_system_sgpr_workgroup_id_z 0
		.amdhsa_system_sgpr_workgroup_info 0
		.amdhsa_system_vgpr_workitem_id 1
		.amdhsa_next_free_vgpr 13
		.amdhsa_next_free_sgpr 16
		.amdhsa_accum_offset 16
		.amdhsa_reserve_vcc 1
		.amdhsa_reserve_flat_scratch 0
		.amdhsa_float_round_mode_32 0
		.amdhsa_float_round_mode_16_64 0
		.amdhsa_float_denorm_mode_32 3
		.amdhsa_float_denorm_mode_16_64 3
		.amdhsa_dx10_clamp 1
		.amdhsa_ieee_mode 1
		.amdhsa_fp16_overflow 0
		.amdhsa_tg_split 0
		.amdhsa_exception_fp_ieee_invalid_op 0
		.amdhsa_exception_fp_denorm_src 0
		.amdhsa_exception_fp_ieee_div_zero 0
		.amdhsa_exception_fp_ieee_overflow 0
		.amdhsa_exception_fp_ieee_underflow 0
		.amdhsa_exception_fp_ieee_inexact 0
		.amdhsa_exception_int_div_zero 0
	.end_amdhsa_kernel
	.section	.text._ZN12_GLOBAL__N_120softmax_warp_forwardIN3c104HalfEffLi3ELb0ELb0ELi32EEEvPT0_PKT_iiiPKbib,"axG",@progbits,_ZN12_GLOBAL__N_120softmax_warp_forwardIN3c104HalfEffLi3ELb0ELb0ELi32EEEvPT0_PKT_iiiPKbib,comdat
.Lfunc_end439:
	.size	_ZN12_GLOBAL__N_120softmax_warp_forwardIN3c104HalfEffLi3ELb0ELb0ELi32EEEvPT0_PKT_iiiPKbib, .Lfunc_end439-_ZN12_GLOBAL__N_120softmax_warp_forwardIN3c104HalfEffLi3ELb0ELb0ELi32EEEvPT0_PKT_iiiPKbib
                                        ; -- End function
	.section	.AMDGPU.csdata,"",@progbits
; Kernel info:
; codeLenInByte = 1056
; NumSgprs: 20
; NumVgprs: 13
; NumAgprs: 0
; TotalNumVgprs: 13
; ScratchSize: 0
; MemoryBound: 0
; FloatMode: 240
; IeeeMode: 1
; LDSByteSize: 0 bytes/workgroup (compile time only)
; SGPRBlocks: 2
; VGPRBlocks: 1
; NumSGPRsForWavesPerEU: 20
; NumVGPRsForWavesPerEU: 13
; AccumOffset: 16
; Occupancy: 8
; WaveLimiterHint : 0
; COMPUTE_PGM_RSRC2:SCRATCH_EN: 0
; COMPUTE_PGM_RSRC2:USER_SGPR: 6
; COMPUTE_PGM_RSRC2:TRAP_HANDLER: 0
; COMPUTE_PGM_RSRC2:TGID_X_EN: 1
; COMPUTE_PGM_RSRC2:TGID_Y_EN: 0
; COMPUTE_PGM_RSRC2:TGID_Z_EN: 0
; COMPUTE_PGM_RSRC2:TIDIG_COMP_CNT: 1
; COMPUTE_PGM_RSRC3_GFX90A:ACCUM_OFFSET: 3
; COMPUTE_PGM_RSRC3_GFX90A:TG_SPLIT: 0
	.section	.text._ZN12_GLOBAL__N_120softmax_warp_forwardIN3c104HalfEffLi4ELb0ELb0ELi64EEEvPT0_PKT_iiiPKbib,"axG",@progbits,_ZN12_GLOBAL__N_120softmax_warp_forwardIN3c104HalfEffLi4ELb0ELb0ELi64EEEvPT0_PKT_iiiPKbib,comdat
	.globl	_ZN12_GLOBAL__N_120softmax_warp_forwardIN3c104HalfEffLi4ELb0ELb0ELi64EEEvPT0_PKT_iiiPKbib ; -- Begin function _ZN12_GLOBAL__N_120softmax_warp_forwardIN3c104HalfEffLi4ELb0ELb0ELi64EEEvPT0_PKT_iiiPKbib
	.p2align	8
	.type	_ZN12_GLOBAL__N_120softmax_warp_forwardIN3c104HalfEffLi4ELb0ELb0ELi64EEEvPT0_PKT_iiiPKbib,@function
_ZN12_GLOBAL__N_120softmax_warp_forwardIN3c104HalfEffLi4ELb0ELb0ELi64EEEvPT0_PKT_iiiPKbib: ; @_ZN12_GLOBAL__N_120softmax_warp_forwardIN3c104HalfEffLi4ELb0ELb0ELi64EEEvPT0_PKT_iiiPKbib
; %bb.0:
	s_load_dword s0, s[4:5], 0x3c
	s_load_dwordx8 s[8:15], s[4:5], 0x0
	v_bfe_u32 v1, v0, 10, 10
	v_and_b32_e32 v2, 0x3ff, v0
	s_waitcnt lgkmcnt(0)
	s_lshr_b32 s0, s0, 16
	s_mul_i32 s6, s6, s0
	v_add_lshl_u32 v1, s6, v1, 1
	v_sub_u32_e32 v8, s12, v1
	v_mad_u64_u32 v[0:1], s[0:1], v1, s13, v[2:3]
	v_ashrrev_i32_e32 v1, 31, v0
	v_lshlrev_b64 v[4:5], 1, v[0:1]
	v_mov_b32_e32 v3, s11
	v_add_co_u32_e32 v4, vcc, s10, v4
	v_addc_co_u32_e32 v5, vcc, v3, v5, vcc
	v_cmp_gt_i32_e64 s[0:1], s14, v2
	v_cmp_lt_i32_e32 vcc, 0, v8
	s_and_b64 s[4:5], s[0:1], vcc
	v_mov_b32_e32 v3, 0xff800000
	v_mov_b32_e32 v2, 0xff800000
	s_and_saveexec_b64 s[2:3], s[4:5]
	s_cbranch_execz .LBB440_2
; %bb.1:
	global_load_ushort v2, v[4:5], off
	s_waitcnt vmcnt(0)
	v_cvt_f32_f16_e32 v2, v2
.LBB440_2:
	s_or_b64 exec, exec, s[2:3]
	v_cmp_lt_i32_e64 s[2:3], 1, v8
	s_and_b64 s[2:3], s[0:1], s[2:3]
	s_and_saveexec_b64 s[4:5], s[2:3]
	s_cbranch_execz .LBB440_4
; %bb.3:
	s_mov_b32 s15, 0
	s_lshl_b64 s[2:3], s[14:15], 1
	v_mov_b32_e32 v3, s3
	v_add_co_u32_e64 v4, s[2:3], s2, v4
	v_addc_co_u32_e64 v5, s[2:3], v5, v3, s[2:3]
	global_load_ushort v3, v[4:5], off
	s_waitcnt vmcnt(0)
	v_cvt_f32_f16_e32 v3, v3
.LBB440_4:
	s_or_b64 exec, exec, s[4:5]
	v_mbcnt_lo_u32_b32 v4, -1, 0
	v_mbcnt_hi_u32_b32 v4, -1, v4
	v_and_b32_e32 v5, 0x70, v4
	v_add_u32_e32 v5, 16, v5
	v_xor_b32_e32 v6, 8, v4
	v_cmp_lt_i32_e64 s[2:3], v6, v5
	v_cndmask_b32_e64 v6, v4, v6, s[2:3]
	v_lshlrev_b32_e32 v6, 2, v6
	ds_bpermute_b32 v9, v6, v3
	ds_bpermute_b32 v7, v6, v2
	v_xor_b32_e32 v10, 4, v4
	v_cmp_lt_i32_e64 s[2:3], v10, v5
	v_xor_b32_e32 v11, 2, v4
	v_cndmask_b32_e64 v10, v4, v10, s[2:3]
	v_cmp_lt_i32_e64 s[2:3], v11, v5
	v_cndmask_b32_e64 v11, v4, v11, s[2:3]
	s_waitcnt lgkmcnt(1)
	v_cmp_lt_f32_e64 s[2:3], v3, v9
	v_lshlrev_b32_e32 v10, 2, v10
	v_cndmask_b32_e64 v9, v3, v9, s[2:3]
	s_waitcnt lgkmcnt(0)
	v_cmp_lt_f32_e64 s[2:3], v2, v7
	ds_bpermute_b32 v13, v10, v9
	v_cndmask_b32_e64 v7, v2, v7, s[2:3]
	ds_bpermute_b32 v14, v10, v7
	v_xor_b32_e32 v12, 1, v4
	v_cmp_lt_i32_e64 s[2:3], v12, v5
	v_cndmask_b32_e64 v4, v4, v12, s[2:3]
	s_waitcnt lgkmcnt(1)
	v_cmp_lt_f32_e64 s[2:3], v9, v13
	v_lshlrev_b32_e32 v11, 2, v11
	v_cndmask_b32_e64 v5, v9, v13, s[2:3]
	s_waitcnt lgkmcnt(0)
	v_cmp_lt_f32_e64 s[2:3], v7, v14
	ds_bpermute_b32 v9, v11, v5
	v_cndmask_b32_e64 v7, v7, v14, s[2:3]
	ds_bpermute_b32 v12, v11, v7
	v_lshlrev_b32_e32 v13, 2, v4
	s_mov_b32 s4, 0x3fb8aa3b
	s_waitcnt lgkmcnt(1)
	v_cmp_lt_f32_e64 s[2:3], v5, v9
	v_cndmask_b32_e64 v4, v5, v9, s[2:3]
	s_waitcnt lgkmcnt(0)
	v_cmp_lt_f32_e64 s[2:3], v7, v12
	ds_bpermute_b32 v5, v13, v4
	v_cndmask_b32_e64 v7, v7, v12, s[2:3]
	ds_bpermute_b32 v9, v13, v7
	s_mov_b32 s5, 0xc2ce8ed0
	s_mov_b32 s6, 0x42b17218
	s_waitcnt lgkmcnt(1)
	v_cmp_lt_f32_e64 s[2:3], v4, v5
	v_cndmask_b32_e64 v5, v4, v5, s[2:3]
	s_waitcnt lgkmcnt(0)
	v_cmp_lt_f32_e64 s[2:3], v7, v9
	v_cndmask_b32_e64 v4, v7, v9, s[2:3]
	v_pk_add_f32 v[2:3], v[2:3], v[4:5] neg_lo:[0,1] neg_hi:[0,1]
	v_mul_f32_e32 v4, 0x3fb8aa3b, v3
	v_fma_f32 v5, v3, s4, -v4
	v_rndne_f32_e32 v7, v4
	v_fmac_f32_e32 v5, 0x32a5705f, v3
	v_sub_f32_e32 v4, v4, v7
	v_add_f32_e32 v4, v4, v5
	v_exp_f32_e32 v4, v4
	v_cvt_i32_f32_e32 v5, v7
	v_cmp_ngt_f32_e64 s[2:3], s5, v3
	v_ldexp_f32 v4, v4, v5
	v_mul_f32_e32 v5, 0x3fb8aa3b, v2
	v_fma_f32 v7, v2, s4, -v5
	v_rndne_f32_e32 v9, v5
	v_fmac_f32_e32 v7, 0x32a5705f, v2
	v_sub_f32_e32 v5, v5, v9
	v_add_f32_e32 v5, v5, v7
	v_exp_f32_e32 v5, v5
	v_cvt_i32_f32_e32 v7, v9
	v_cndmask_b32_e64 v4, 0, v4, s[2:3]
	v_mov_b32_e32 v9, 0x7f800000
	v_cmp_nlt_f32_e64 s[2:3], s6, v3
	v_cndmask_b32_e64 v3, v9, v4, s[2:3]
	v_ldexp_f32 v4, v5, v7
	v_cmp_ngt_f32_e64 s[2:3], s5, v2
	v_cndmask_b32_e64 v4, 0, v4, s[2:3]
	v_cmp_nlt_f32_e64 s[2:3], s6, v2
	v_cndmask_b32_e64 v2, v9, v4, s[2:3]
	ds_bpermute_b32 v4, v6, v2
	ds_bpermute_b32 v5, v6, v3
	s_waitcnt lgkmcnt(0)
	v_pk_add_f32 v[4:5], v[2:3], v[4:5]
	ds_bpermute_b32 v6, v10, v4
	ds_bpermute_b32 v7, v10, v5
	s_waitcnt lgkmcnt(0)
	v_pk_add_f32 v[4:5], v[4:5], v[6:7]
	;; [unrolled: 4-line block ×3, first 2 shown]
	ds_bpermute_b32 v6, v13, v4
	ds_bpermute_b32 v7, v13, v5
	s_and_saveexec_b64 s[2:3], vcc
	s_cbranch_execz .LBB440_12
; %bb.5:
	v_lshlrev_b64 v[0:1], 2, v[0:1]
	v_mov_b32_e32 v9, s9
	v_add_co_u32_e32 v0, vcc, s8, v0
	v_addc_co_u32_e32 v1, vcc, v9, v1, vcc
	s_waitcnt lgkmcnt(0)
	v_pk_add_f32 v[4:5], v[4:5], v[6:7]
	s_and_saveexec_b64 s[2:3], s[0:1]
	s_cbranch_execz .LBB440_9
; %bb.6:
	v_cmp_neq_f32_e32 vcc, 0, v4
	v_mov_b32_e32 v6, 0x7fc00000
	s_and_saveexec_b64 s[4:5], vcc
; %bb.7:
	v_div_scale_f32 v6, s[6:7], v4, v4, v2
	v_rcp_f32_e32 v7, v6
	v_div_scale_f32 v9, vcc, v2, v4, v2
	v_fma_f32 v10, -v6, v7, 1.0
	v_fmac_f32_e32 v7, v10, v7
	v_mul_f32_e32 v10, v9, v7
	v_fma_f32 v11, -v6, v10, v9
	v_fmac_f32_e32 v10, v11, v7
	v_fma_f32 v6, -v6, v10, v9
	v_div_fmas_f32 v6, v6, v7, v10
	v_div_fixup_f32 v6, v6, v4, v2
; %bb.8:
	s_or_b64 exec, exec, s[4:5]
	global_store_dword v[0:1], v6, off
.LBB440_9:
	s_or_b64 exec, exec, s[2:3]
	v_cmp_ne_u32_e32 vcc, 1, v8
	s_and_b64 exec, exec, vcc
	s_cbranch_execz .LBB440_12
; %bb.10:
	s_and_b64 exec, exec, s[0:1]
	s_cbranch_execz .LBB440_12
; %bb.11:
	v_div_scale_f32 v2, s[0:1], v5, v5, v3
	v_rcp_f32_e32 v4, v2
	v_div_scale_f32 v6, vcc, v3, v5, v3
	s_mov_b32 s15, 0
	v_fma_f32 v7, -v2, v4, 1.0
	v_fmac_f32_e32 v4, v7, v4
	v_mul_f32_e32 v7, v6, v4
	v_fma_f32 v8, -v2, v7, v6
	v_fmac_f32_e32 v7, v8, v4
	v_fma_f32 v2, -v2, v7, v6
	v_div_fmas_f32 v2, v2, v4, v7
	s_lshl_b64 s[0:1], s[14:15], 2
	v_div_fixup_f32 v2, v2, v5, v3
	v_mov_b32_e32 v3, s1
	v_add_co_u32_e32 v0, vcc, s0, v0
	v_addc_co_u32_e32 v1, vcc, v1, v3, vcc
	v_mov_b32_e32 v3, 0x7fc00000
	v_cmp_neq_f32_e32 vcc, 0, v5
	v_cndmask_b32_e32 v2, v3, v2, vcc
	global_store_dword v[0:1], v2, off
.LBB440_12:
	s_endpgm
	.section	.rodata,"a",@progbits
	.p2align	6, 0x0
	.amdhsa_kernel _ZN12_GLOBAL__N_120softmax_warp_forwardIN3c104HalfEffLi4ELb0ELb0ELi64EEEvPT0_PKT_iiiPKbib
		.amdhsa_group_segment_fixed_size 0
		.amdhsa_private_segment_fixed_size 0
		.amdhsa_kernarg_size 304
		.amdhsa_user_sgpr_count 6
		.amdhsa_user_sgpr_private_segment_buffer 1
		.amdhsa_user_sgpr_dispatch_ptr 0
		.amdhsa_user_sgpr_queue_ptr 0
		.amdhsa_user_sgpr_kernarg_segment_ptr 1
		.amdhsa_user_sgpr_dispatch_id 0
		.amdhsa_user_sgpr_flat_scratch_init 0
		.amdhsa_user_sgpr_kernarg_preload_length 0
		.amdhsa_user_sgpr_kernarg_preload_offset 0
		.amdhsa_user_sgpr_private_segment_size 0
		.amdhsa_uses_dynamic_stack 0
		.amdhsa_system_sgpr_private_segment_wavefront_offset 0
		.amdhsa_system_sgpr_workgroup_id_x 1
		.amdhsa_system_sgpr_workgroup_id_y 0
		.amdhsa_system_sgpr_workgroup_id_z 0
		.amdhsa_system_sgpr_workgroup_info 0
		.amdhsa_system_vgpr_workitem_id 1
		.amdhsa_next_free_vgpr 15
		.amdhsa_next_free_sgpr 16
		.amdhsa_accum_offset 16
		.amdhsa_reserve_vcc 1
		.amdhsa_reserve_flat_scratch 0
		.amdhsa_float_round_mode_32 0
		.amdhsa_float_round_mode_16_64 0
		.amdhsa_float_denorm_mode_32 3
		.amdhsa_float_denorm_mode_16_64 3
		.amdhsa_dx10_clamp 1
		.amdhsa_ieee_mode 1
		.amdhsa_fp16_overflow 0
		.amdhsa_tg_split 0
		.amdhsa_exception_fp_ieee_invalid_op 0
		.amdhsa_exception_fp_denorm_src 0
		.amdhsa_exception_fp_ieee_div_zero 0
		.amdhsa_exception_fp_ieee_overflow 0
		.amdhsa_exception_fp_ieee_underflow 0
		.amdhsa_exception_fp_ieee_inexact 0
		.amdhsa_exception_int_div_zero 0
	.end_amdhsa_kernel
	.section	.text._ZN12_GLOBAL__N_120softmax_warp_forwardIN3c104HalfEffLi4ELb0ELb0ELi64EEEvPT0_PKT_iiiPKbib,"axG",@progbits,_ZN12_GLOBAL__N_120softmax_warp_forwardIN3c104HalfEffLi4ELb0ELb0ELi64EEEvPT0_PKT_iiiPKbib,comdat
.Lfunc_end440:
	.size	_ZN12_GLOBAL__N_120softmax_warp_forwardIN3c104HalfEffLi4ELb0ELb0ELi64EEEvPT0_PKT_iiiPKbib, .Lfunc_end440-_ZN12_GLOBAL__N_120softmax_warp_forwardIN3c104HalfEffLi4ELb0ELb0ELi64EEEvPT0_PKT_iiiPKbib
                                        ; -- End function
	.section	.AMDGPU.csdata,"",@progbits
; Kernel info:
; codeLenInByte = 1164
; NumSgprs: 20
; NumVgprs: 15
; NumAgprs: 0
; TotalNumVgprs: 15
; ScratchSize: 0
; MemoryBound: 0
; FloatMode: 240
; IeeeMode: 1
; LDSByteSize: 0 bytes/workgroup (compile time only)
; SGPRBlocks: 2
; VGPRBlocks: 1
; NumSGPRsForWavesPerEU: 20
; NumVGPRsForWavesPerEU: 15
; AccumOffset: 16
; Occupancy: 8
; WaveLimiterHint : 0
; COMPUTE_PGM_RSRC2:SCRATCH_EN: 0
; COMPUTE_PGM_RSRC2:USER_SGPR: 6
; COMPUTE_PGM_RSRC2:TRAP_HANDLER: 0
; COMPUTE_PGM_RSRC2:TGID_X_EN: 1
; COMPUTE_PGM_RSRC2:TGID_Y_EN: 0
; COMPUTE_PGM_RSRC2:TGID_Z_EN: 0
; COMPUTE_PGM_RSRC2:TIDIG_COMP_CNT: 1
; COMPUTE_PGM_RSRC3_GFX90A:ACCUM_OFFSET: 3
; COMPUTE_PGM_RSRC3_GFX90A:TG_SPLIT: 0
	.section	.text._ZN12_GLOBAL__N_120softmax_warp_forwardIN3c104HalfEffLi4ELb0ELb0ELi32EEEvPT0_PKT_iiiPKbib,"axG",@progbits,_ZN12_GLOBAL__N_120softmax_warp_forwardIN3c104HalfEffLi4ELb0ELb0ELi32EEEvPT0_PKT_iiiPKbib,comdat
	.globl	_ZN12_GLOBAL__N_120softmax_warp_forwardIN3c104HalfEffLi4ELb0ELb0ELi32EEEvPT0_PKT_iiiPKbib ; -- Begin function _ZN12_GLOBAL__N_120softmax_warp_forwardIN3c104HalfEffLi4ELb0ELb0ELi32EEEvPT0_PKT_iiiPKbib
	.p2align	8
	.type	_ZN12_GLOBAL__N_120softmax_warp_forwardIN3c104HalfEffLi4ELb0ELb0ELi32EEEvPT0_PKT_iiiPKbib,@function
_ZN12_GLOBAL__N_120softmax_warp_forwardIN3c104HalfEffLi4ELb0ELb0ELi32EEEvPT0_PKT_iiiPKbib: ; @_ZN12_GLOBAL__N_120softmax_warp_forwardIN3c104HalfEffLi4ELb0ELb0ELi32EEEvPT0_PKT_iiiPKbib
; %bb.0:
	s_load_dword s0, s[4:5], 0x3c
	s_load_dwordx8 s[8:15], s[4:5], 0x0
	v_bfe_u32 v1, v0, 10, 10
	v_and_b32_e32 v2, 0x3ff, v0
	s_waitcnt lgkmcnt(0)
	s_lshr_b32 s0, s0, 16
	s_mul_i32 s6, s6, s0
	v_add_lshl_u32 v1, s6, v1, 1
	v_sub_u32_e32 v8, s12, v1
	v_mad_u64_u32 v[0:1], s[0:1], v1, s13, v[2:3]
	v_ashrrev_i32_e32 v1, 31, v0
	v_lshlrev_b64 v[4:5], 1, v[0:1]
	v_mov_b32_e32 v3, s11
	v_add_co_u32_e32 v4, vcc, s10, v4
	v_addc_co_u32_e32 v5, vcc, v3, v5, vcc
	v_cmp_gt_i32_e64 s[0:1], s14, v2
	v_cmp_lt_i32_e32 vcc, 0, v8
	s_and_b64 s[4:5], s[0:1], vcc
	v_mov_b32_e32 v3, 0xff800000
	v_mov_b32_e32 v2, 0xff800000
	s_and_saveexec_b64 s[2:3], s[4:5]
	s_cbranch_execz .LBB441_2
; %bb.1:
	global_load_ushort v2, v[4:5], off
	s_waitcnt vmcnt(0)
	v_cvt_f32_f16_e32 v2, v2
.LBB441_2:
	s_or_b64 exec, exec, s[2:3]
	v_cmp_lt_i32_e64 s[2:3], 1, v8
	s_and_b64 s[2:3], s[0:1], s[2:3]
	s_and_saveexec_b64 s[4:5], s[2:3]
	s_cbranch_execz .LBB441_4
; %bb.3:
	s_mov_b32 s15, 0
	s_lshl_b64 s[2:3], s[14:15], 1
	v_mov_b32_e32 v3, s3
	v_add_co_u32_e64 v4, s[2:3], s2, v4
	v_addc_co_u32_e64 v5, s[2:3], v5, v3, s[2:3]
	global_load_ushort v3, v[4:5], off
	s_waitcnt vmcnt(0)
	v_cvt_f32_f16_e32 v3, v3
.LBB441_4:
	s_or_b64 exec, exec, s[4:5]
	v_mbcnt_lo_u32_b32 v4, -1, 0
	v_mbcnt_hi_u32_b32 v4, -1, v4
	v_and_b32_e32 v5, 0x70, v4
	v_add_u32_e32 v5, 16, v5
	v_xor_b32_e32 v6, 8, v4
	v_cmp_lt_i32_e64 s[2:3], v6, v5
	v_cndmask_b32_e64 v6, v4, v6, s[2:3]
	v_lshlrev_b32_e32 v6, 2, v6
	ds_bpermute_b32 v9, v6, v3
	ds_bpermute_b32 v7, v6, v2
	v_xor_b32_e32 v10, 4, v4
	v_cmp_lt_i32_e64 s[2:3], v10, v5
	v_xor_b32_e32 v11, 2, v4
	v_cndmask_b32_e64 v10, v4, v10, s[2:3]
	v_cmp_lt_i32_e64 s[2:3], v11, v5
	v_cndmask_b32_e64 v11, v4, v11, s[2:3]
	s_waitcnt lgkmcnt(1)
	v_cmp_lt_f32_e64 s[2:3], v3, v9
	v_lshlrev_b32_e32 v10, 2, v10
	v_cndmask_b32_e64 v9, v3, v9, s[2:3]
	s_waitcnt lgkmcnt(0)
	v_cmp_lt_f32_e64 s[2:3], v2, v7
	ds_bpermute_b32 v13, v10, v9
	v_cndmask_b32_e64 v7, v2, v7, s[2:3]
	ds_bpermute_b32 v14, v10, v7
	v_xor_b32_e32 v12, 1, v4
	v_cmp_lt_i32_e64 s[2:3], v12, v5
	v_cndmask_b32_e64 v4, v4, v12, s[2:3]
	s_waitcnt lgkmcnt(1)
	v_cmp_lt_f32_e64 s[2:3], v9, v13
	v_lshlrev_b32_e32 v11, 2, v11
	v_cndmask_b32_e64 v5, v9, v13, s[2:3]
	s_waitcnt lgkmcnt(0)
	v_cmp_lt_f32_e64 s[2:3], v7, v14
	ds_bpermute_b32 v9, v11, v5
	v_cndmask_b32_e64 v7, v7, v14, s[2:3]
	ds_bpermute_b32 v12, v11, v7
	v_lshlrev_b32_e32 v13, 2, v4
	s_mov_b32 s4, 0x3fb8aa3b
	s_waitcnt lgkmcnt(1)
	v_cmp_lt_f32_e64 s[2:3], v5, v9
	v_cndmask_b32_e64 v4, v5, v9, s[2:3]
	s_waitcnt lgkmcnt(0)
	v_cmp_lt_f32_e64 s[2:3], v7, v12
	ds_bpermute_b32 v5, v13, v4
	v_cndmask_b32_e64 v7, v7, v12, s[2:3]
	ds_bpermute_b32 v9, v13, v7
	s_mov_b32 s5, 0xc2ce8ed0
	s_mov_b32 s6, 0x42b17218
	s_waitcnt lgkmcnt(1)
	v_cmp_lt_f32_e64 s[2:3], v4, v5
	v_cndmask_b32_e64 v5, v4, v5, s[2:3]
	s_waitcnt lgkmcnt(0)
	v_cmp_lt_f32_e64 s[2:3], v7, v9
	v_cndmask_b32_e64 v4, v7, v9, s[2:3]
	v_pk_add_f32 v[2:3], v[2:3], v[4:5] neg_lo:[0,1] neg_hi:[0,1]
	v_mul_f32_e32 v4, 0x3fb8aa3b, v3
	v_fma_f32 v5, v3, s4, -v4
	v_rndne_f32_e32 v7, v4
	v_fmac_f32_e32 v5, 0x32a5705f, v3
	v_sub_f32_e32 v4, v4, v7
	v_add_f32_e32 v4, v4, v5
	v_exp_f32_e32 v4, v4
	v_cvt_i32_f32_e32 v5, v7
	v_cmp_ngt_f32_e64 s[2:3], s5, v3
	v_ldexp_f32 v4, v4, v5
	v_mul_f32_e32 v5, 0x3fb8aa3b, v2
	v_fma_f32 v7, v2, s4, -v5
	v_rndne_f32_e32 v9, v5
	v_fmac_f32_e32 v7, 0x32a5705f, v2
	v_sub_f32_e32 v5, v5, v9
	v_add_f32_e32 v5, v5, v7
	v_exp_f32_e32 v5, v5
	v_cvt_i32_f32_e32 v7, v9
	v_cndmask_b32_e64 v4, 0, v4, s[2:3]
	v_mov_b32_e32 v9, 0x7f800000
	v_cmp_nlt_f32_e64 s[2:3], s6, v3
	v_cndmask_b32_e64 v3, v9, v4, s[2:3]
	v_ldexp_f32 v4, v5, v7
	v_cmp_ngt_f32_e64 s[2:3], s5, v2
	v_cndmask_b32_e64 v4, 0, v4, s[2:3]
	v_cmp_nlt_f32_e64 s[2:3], s6, v2
	v_cndmask_b32_e64 v2, v9, v4, s[2:3]
	ds_bpermute_b32 v4, v6, v2
	ds_bpermute_b32 v5, v6, v3
	s_waitcnt lgkmcnt(0)
	v_pk_add_f32 v[4:5], v[2:3], v[4:5]
	ds_bpermute_b32 v6, v10, v4
	ds_bpermute_b32 v7, v10, v5
	s_waitcnt lgkmcnt(0)
	v_pk_add_f32 v[4:5], v[4:5], v[6:7]
	;; [unrolled: 4-line block ×3, first 2 shown]
	ds_bpermute_b32 v6, v13, v4
	ds_bpermute_b32 v7, v13, v5
	s_and_saveexec_b64 s[2:3], vcc
	s_cbranch_execz .LBB441_12
; %bb.5:
	v_lshlrev_b64 v[0:1], 2, v[0:1]
	v_mov_b32_e32 v9, s9
	v_add_co_u32_e32 v0, vcc, s8, v0
	v_addc_co_u32_e32 v1, vcc, v9, v1, vcc
	s_waitcnt lgkmcnt(0)
	v_pk_add_f32 v[4:5], v[4:5], v[6:7]
	s_and_saveexec_b64 s[2:3], s[0:1]
	s_cbranch_execz .LBB441_9
; %bb.6:
	v_cmp_neq_f32_e32 vcc, 0, v4
	v_mov_b32_e32 v6, 0x7fc00000
	s_and_saveexec_b64 s[4:5], vcc
; %bb.7:
	v_div_scale_f32 v6, s[6:7], v4, v4, v2
	v_rcp_f32_e32 v7, v6
	v_div_scale_f32 v9, vcc, v2, v4, v2
	v_fma_f32 v10, -v6, v7, 1.0
	v_fmac_f32_e32 v7, v10, v7
	v_mul_f32_e32 v10, v9, v7
	v_fma_f32 v11, -v6, v10, v9
	v_fmac_f32_e32 v10, v11, v7
	v_fma_f32 v6, -v6, v10, v9
	v_div_fmas_f32 v6, v6, v7, v10
	v_div_fixup_f32 v6, v6, v4, v2
; %bb.8:
	s_or_b64 exec, exec, s[4:5]
	global_store_dword v[0:1], v6, off
.LBB441_9:
	s_or_b64 exec, exec, s[2:3]
	v_cmp_ne_u32_e32 vcc, 1, v8
	s_and_b64 exec, exec, vcc
	s_cbranch_execz .LBB441_12
; %bb.10:
	s_and_b64 exec, exec, s[0:1]
	s_cbranch_execz .LBB441_12
; %bb.11:
	v_div_scale_f32 v2, s[0:1], v5, v5, v3
	v_rcp_f32_e32 v4, v2
	v_div_scale_f32 v6, vcc, v3, v5, v3
	s_mov_b32 s15, 0
	v_fma_f32 v7, -v2, v4, 1.0
	v_fmac_f32_e32 v4, v7, v4
	v_mul_f32_e32 v7, v6, v4
	v_fma_f32 v8, -v2, v7, v6
	v_fmac_f32_e32 v7, v8, v4
	v_fma_f32 v2, -v2, v7, v6
	v_div_fmas_f32 v2, v2, v4, v7
	s_lshl_b64 s[0:1], s[14:15], 2
	v_div_fixup_f32 v2, v2, v5, v3
	v_mov_b32_e32 v3, s1
	v_add_co_u32_e32 v0, vcc, s0, v0
	v_addc_co_u32_e32 v1, vcc, v1, v3, vcc
	v_mov_b32_e32 v3, 0x7fc00000
	v_cmp_neq_f32_e32 vcc, 0, v5
	v_cndmask_b32_e32 v2, v3, v2, vcc
	global_store_dword v[0:1], v2, off
.LBB441_12:
	s_endpgm
	.section	.rodata,"a",@progbits
	.p2align	6, 0x0
	.amdhsa_kernel _ZN12_GLOBAL__N_120softmax_warp_forwardIN3c104HalfEffLi4ELb0ELb0ELi32EEEvPT0_PKT_iiiPKbib
		.amdhsa_group_segment_fixed_size 0
		.amdhsa_private_segment_fixed_size 0
		.amdhsa_kernarg_size 304
		.amdhsa_user_sgpr_count 6
		.amdhsa_user_sgpr_private_segment_buffer 1
		.amdhsa_user_sgpr_dispatch_ptr 0
		.amdhsa_user_sgpr_queue_ptr 0
		.amdhsa_user_sgpr_kernarg_segment_ptr 1
		.amdhsa_user_sgpr_dispatch_id 0
		.amdhsa_user_sgpr_flat_scratch_init 0
		.amdhsa_user_sgpr_kernarg_preload_length 0
		.amdhsa_user_sgpr_kernarg_preload_offset 0
		.amdhsa_user_sgpr_private_segment_size 0
		.amdhsa_uses_dynamic_stack 0
		.amdhsa_system_sgpr_private_segment_wavefront_offset 0
		.amdhsa_system_sgpr_workgroup_id_x 1
		.amdhsa_system_sgpr_workgroup_id_y 0
		.amdhsa_system_sgpr_workgroup_id_z 0
		.amdhsa_system_sgpr_workgroup_info 0
		.amdhsa_system_vgpr_workitem_id 1
		.amdhsa_next_free_vgpr 15
		.amdhsa_next_free_sgpr 16
		.amdhsa_accum_offset 16
		.amdhsa_reserve_vcc 1
		.amdhsa_reserve_flat_scratch 0
		.amdhsa_float_round_mode_32 0
		.amdhsa_float_round_mode_16_64 0
		.amdhsa_float_denorm_mode_32 3
		.amdhsa_float_denorm_mode_16_64 3
		.amdhsa_dx10_clamp 1
		.amdhsa_ieee_mode 1
		.amdhsa_fp16_overflow 0
		.amdhsa_tg_split 0
		.amdhsa_exception_fp_ieee_invalid_op 0
		.amdhsa_exception_fp_denorm_src 0
		.amdhsa_exception_fp_ieee_div_zero 0
		.amdhsa_exception_fp_ieee_overflow 0
		.amdhsa_exception_fp_ieee_underflow 0
		.amdhsa_exception_fp_ieee_inexact 0
		.amdhsa_exception_int_div_zero 0
	.end_amdhsa_kernel
	.section	.text._ZN12_GLOBAL__N_120softmax_warp_forwardIN3c104HalfEffLi4ELb0ELb0ELi32EEEvPT0_PKT_iiiPKbib,"axG",@progbits,_ZN12_GLOBAL__N_120softmax_warp_forwardIN3c104HalfEffLi4ELb0ELb0ELi32EEEvPT0_PKT_iiiPKbib,comdat
.Lfunc_end441:
	.size	_ZN12_GLOBAL__N_120softmax_warp_forwardIN3c104HalfEffLi4ELb0ELb0ELi32EEEvPT0_PKT_iiiPKbib, .Lfunc_end441-_ZN12_GLOBAL__N_120softmax_warp_forwardIN3c104HalfEffLi4ELb0ELb0ELi32EEEvPT0_PKT_iiiPKbib
                                        ; -- End function
	.section	.AMDGPU.csdata,"",@progbits
; Kernel info:
; codeLenInByte = 1164
; NumSgprs: 20
; NumVgprs: 15
; NumAgprs: 0
; TotalNumVgprs: 15
; ScratchSize: 0
; MemoryBound: 0
; FloatMode: 240
; IeeeMode: 1
; LDSByteSize: 0 bytes/workgroup (compile time only)
; SGPRBlocks: 2
; VGPRBlocks: 1
; NumSGPRsForWavesPerEU: 20
; NumVGPRsForWavesPerEU: 15
; AccumOffset: 16
; Occupancy: 8
; WaveLimiterHint : 0
; COMPUTE_PGM_RSRC2:SCRATCH_EN: 0
; COMPUTE_PGM_RSRC2:USER_SGPR: 6
; COMPUTE_PGM_RSRC2:TRAP_HANDLER: 0
; COMPUTE_PGM_RSRC2:TGID_X_EN: 1
; COMPUTE_PGM_RSRC2:TGID_Y_EN: 0
; COMPUTE_PGM_RSRC2:TGID_Z_EN: 0
; COMPUTE_PGM_RSRC2:TIDIG_COMP_CNT: 1
; COMPUTE_PGM_RSRC3_GFX90A:ACCUM_OFFSET: 3
; COMPUTE_PGM_RSRC3_GFX90A:TG_SPLIT: 0
	.section	.text._ZN12_GLOBAL__N_120softmax_warp_forwardIN3c104HalfEffLi5ELb0ELb0ELi64EEEvPT0_PKT_iiiPKbib,"axG",@progbits,_ZN12_GLOBAL__N_120softmax_warp_forwardIN3c104HalfEffLi5ELb0ELb0ELi64EEEvPT0_PKT_iiiPKbib,comdat
	.globl	_ZN12_GLOBAL__N_120softmax_warp_forwardIN3c104HalfEffLi5ELb0ELb0ELi64EEEvPT0_PKT_iiiPKbib ; -- Begin function _ZN12_GLOBAL__N_120softmax_warp_forwardIN3c104HalfEffLi5ELb0ELb0ELi64EEEvPT0_PKT_iiiPKbib
	.p2align	8
	.type	_ZN12_GLOBAL__N_120softmax_warp_forwardIN3c104HalfEffLi5ELb0ELb0ELi64EEEvPT0_PKT_iiiPKbib,@function
_ZN12_GLOBAL__N_120softmax_warp_forwardIN3c104HalfEffLi5ELb0ELb0ELi64EEEvPT0_PKT_iiiPKbib: ; @_ZN12_GLOBAL__N_120softmax_warp_forwardIN3c104HalfEffLi5ELb0ELb0ELi64EEEvPT0_PKT_iiiPKbib
; %bb.0:
	s_load_dword s0, s[4:5], 0x3c
	s_load_dwordx8 s[8:15], s[4:5], 0x0
	v_bfe_u32 v1, v0, 10, 10
	v_and_b32_e32 v2, 0x3ff, v0
	s_waitcnt lgkmcnt(0)
	s_lshr_b32 s0, s0, 16
	s_mul_i32 s6, s6, s0
	v_add_lshl_u32 v1, s6, v1, 1
	v_sub_u32_e32 v8, s12, v1
	v_mad_u64_u32 v[0:1], s[0:1], v1, s13, v[2:3]
	v_ashrrev_i32_e32 v1, 31, v0
	v_lshlrev_b64 v[4:5], 1, v[0:1]
	v_mov_b32_e32 v3, s11
	v_add_co_u32_e32 v4, vcc, s10, v4
	v_addc_co_u32_e32 v5, vcc, v3, v5, vcc
	v_cmp_gt_i32_e64 s[0:1], s14, v2
	v_cmp_lt_i32_e32 vcc, 0, v8
	s_and_b64 s[4:5], s[0:1], vcc
	v_mov_b32_e32 v3, 0xff800000
	v_mov_b32_e32 v2, 0xff800000
	s_and_saveexec_b64 s[2:3], s[4:5]
	s_cbranch_execz .LBB442_2
; %bb.1:
	global_load_ushort v2, v[4:5], off
	s_waitcnt vmcnt(0)
	v_cvt_f32_f16_e32 v2, v2
.LBB442_2:
	s_or_b64 exec, exec, s[2:3]
	v_cmp_lt_i32_e64 s[2:3], 1, v8
	s_and_b64 s[2:3], s[0:1], s[2:3]
	s_and_saveexec_b64 s[4:5], s[2:3]
	s_cbranch_execz .LBB442_4
; %bb.3:
	s_mov_b32 s15, 0
	s_lshl_b64 s[2:3], s[14:15], 1
	v_mov_b32_e32 v3, s3
	v_add_co_u32_e64 v4, s[2:3], s2, v4
	v_addc_co_u32_e64 v5, s[2:3], v5, v3, s[2:3]
	global_load_ushort v3, v[4:5], off
	s_waitcnt vmcnt(0)
	v_cvt_f32_f16_e32 v3, v3
.LBB442_4:
	s_or_b64 exec, exec, s[4:5]
	v_mbcnt_lo_u32_b32 v4, -1, 0
	v_mbcnt_hi_u32_b32 v4, -1, v4
	v_and_b32_e32 v5, 0x60, v4
	v_add_u32_e32 v5, 32, v5
	v_xor_b32_e32 v6, 16, v4
	v_cmp_lt_i32_e64 s[2:3], v6, v5
	v_cndmask_b32_e64 v6, v4, v6, s[2:3]
	v_lshlrev_b32_e32 v6, 2, v6
	ds_bpermute_b32 v9, v6, v3
	ds_bpermute_b32 v7, v6, v2
	v_xor_b32_e32 v10, 8, v4
	v_cmp_lt_i32_e64 s[2:3], v10, v5
	v_xor_b32_e32 v11, 4, v4
	v_cndmask_b32_e64 v10, v4, v10, s[2:3]
	v_cmp_lt_i32_e64 s[2:3], v11, v5
	v_xor_b32_e32 v12, 2, v4
	v_cndmask_b32_e64 v11, v4, v11, s[2:3]
	v_cmp_lt_i32_e64 s[2:3], v12, v5
	v_cndmask_b32_e64 v12, v4, v12, s[2:3]
	s_waitcnt lgkmcnt(1)
	v_cmp_lt_f32_e64 s[2:3], v3, v9
	v_lshlrev_b32_e32 v10, 2, v10
	v_cndmask_b32_e64 v9, v3, v9, s[2:3]
	s_waitcnt lgkmcnt(0)
	v_cmp_lt_f32_e64 s[2:3], v2, v7
	ds_bpermute_b32 v13, v10, v9
	v_cndmask_b32_e64 v7, v2, v7, s[2:3]
	ds_bpermute_b32 v14, v10, v7
	v_lshlrev_b32_e32 v11, 2, v11
	v_xor_b32_e32 v15, 1, v4
	s_waitcnt lgkmcnt(1)
	v_cmp_lt_f32_e64 s[2:3], v9, v13
	v_cndmask_b32_e64 v9, v9, v13, s[2:3]
	s_waitcnt lgkmcnt(0)
	v_cmp_lt_f32_e64 s[2:3], v7, v14
	ds_bpermute_b32 v13, v11, v9
	v_cndmask_b32_e64 v7, v7, v14, s[2:3]
	ds_bpermute_b32 v14, v11, v7
	v_cmp_lt_i32_e64 s[2:3], v15, v5
	v_cndmask_b32_e64 v4, v4, v15, s[2:3]
	s_waitcnt lgkmcnt(1)
	v_cmp_lt_f32_e64 s[2:3], v9, v13
	v_lshlrev_b32_e32 v12, 2, v12
	v_cndmask_b32_e64 v5, v9, v13, s[2:3]
	s_waitcnt lgkmcnt(0)
	v_cmp_lt_f32_e64 s[2:3], v7, v14
	ds_bpermute_b32 v9, v12, v5
	v_cndmask_b32_e64 v7, v7, v14, s[2:3]
	ds_bpermute_b32 v13, v12, v7
	v_lshlrev_b32_e32 v14, 2, v4
	s_mov_b32 s4, 0x3fb8aa3b
	s_waitcnt lgkmcnt(1)
	v_cmp_lt_f32_e64 s[2:3], v5, v9
	v_cndmask_b32_e64 v4, v5, v9, s[2:3]
	s_waitcnt lgkmcnt(0)
	v_cmp_lt_f32_e64 s[2:3], v7, v13
	ds_bpermute_b32 v5, v14, v4
	v_cndmask_b32_e64 v7, v7, v13, s[2:3]
	ds_bpermute_b32 v9, v14, v7
	s_mov_b32 s5, 0xc2ce8ed0
	s_mov_b32 s6, 0x42b17218
	s_waitcnt lgkmcnt(1)
	v_cmp_lt_f32_e64 s[2:3], v4, v5
	v_cndmask_b32_e64 v5, v4, v5, s[2:3]
	s_waitcnt lgkmcnt(0)
	v_cmp_lt_f32_e64 s[2:3], v7, v9
	v_cndmask_b32_e64 v4, v7, v9, s[2:3]
	v_pk_add_f32 v[2:3], v[2:3], v[4:5] neg_lo:[0,1] neg_hi:[0,1]
	v_mul_f32_e32 v4, 0x3fb8aa3b, v3
	v_fma_f32 v5, v3, s4, -v4
	v_rndne_f32_e32 v7, v4
	v_fmac_f32_e32 v5, 0x32a5705f, v3
	v_sub_f32_e32 v4, v4, v7
	v_add_f32_e32 v4, v4, v5
	v_exp_f32_e32 v4, v4
	v_cvt_i32_f32_e32 v5, v7
	v_cmp_ngt_f32_e64 s[2:3], s5, v3
	v_ldexp_f32 v4, v4, v5
	v_mul_f32_e32 v5, 0x3fb8aa3b, v2
	v_fma_f32 v7, v2, s4, -v5
	v_rndne_f32_e32 v9, v5
	v_fmac_f32_e32 v7, 0x32a5705f, v2
	v_sub_f32_e32 v5, v5, v9
	v_add_f32_e32 v5, v5, v7
	v_exp_f32_e32 v5, v5
	v_cvt_i32_f32_e32 v7, v9
	v_cndmask_b32_e64 v4, 0, v4, s[2:3]
	v_mov_b32_e32 v9, 0x7f800000
	v_cmp_nlt_f32_e64 s[2:3], s6, v3
	v_cndmask_b32_e64 v3, v9, v4, s[2:3]
	v_ldexp_f32 v4, v5, v7
	v_cmp_ngt_f32_e64 s[2:3], s5, v2
	v_cndmask_b32_e64 v4, 0, v4, s[2:3]
	v_cmp_nlt_f32_e64 s[2:3], s6, v2
	v_cndmask_b32_e64 v2, v9, v4, s[2:3]
	ds_bpermute_b32 v4, v6, v2
	ds_bpermute_b32 v5, v6, v3
	s_waitcnt lgkmcnt(0)
	v_pk_add_f32 v[4:5], v[2:3], v[4:5]
	ds_bpermute_b32 v6, v10, v4
	ds_bpermute_b32 v7, v10, v5
	s_waitcnt lgkmcnt(0)
	v_pk_add_f32 v[4:5], v[4:5], v[6:7]
	;; [unrolled: 4-line block ×4, first 2 shown]
	ds_bpermute_b32 v6, v14, v4
	ds_bpermute_b32 v7, v14, v5
	s_and_saveexec_b64 s[2:3], vcc
	s_cbranch_execz .LBB442_12
; %bb.5:
	v_lshlrev_b64 v[0:1], 2, v[0:1]
	v_mov_b32_e32 v9, s9
	v_add_co_u32_e32 v0, vcc, s8, v0
	v_addc_co_u32_e32 v1, vcc, v9, v1, vcc
	s_waitcnt lgkmcnt(0)
	v_pk_add_f32 v[4:5], v[4:5], v[6:7]
	s_and_saveexec_b64 s[2:3], s[0:1]
	s_cbranch_execz .LBB442_9
; %bb.6:
	v_cmp_neq_f32_e32 vcc, 0, v4
	v_mov_b32_e32 v6, 0x7fc00000
	s_and_saveexec_b64 s[4:5], vcc
; %bb.7:
	v_div_scale_f32 v6, s[6:7], v4, v4, v2
	v_rcp_f32_e32 v7, v6
	v_div_scale_f32 v9, vcc, v2, v4, v2
	v_fma_f32 v10, -v6, v7, 1.0
	v_fmac_f32_e32 v7, v10, v7
	v_mul_f32_e32 v10, v9, v7
	v_fma_f32 v11, -v6, v10, v9
	v_fmac_f32_e32 v10, v11, v7
	v_fma_f32 v6, -v6, v10, v9
	v_div_fmas_f32 v6, v6, v7, v10
	v_div_fixup_f32 v6, v6, v4, v2
; %bb.8:
	s_or_b64 exec, exec, s[4:5]
	global_store_dword v[0:1], v6, off
.LBB442_9:
	s_or_b64 exec, exec, s[2:3]
	v_cmp_ne_u32_e32 vcc, 1, v8
	s_and_b64 exec, exec, vcc
	s_cbranch_execz .LBB442_12
; %bb.10:
	s_and_b64 exec, exec, s[0:1]
	s_cbranch_execz .LBB442_12
; %bb.11:
	v_div_scale_f32 v2, s[0:1], v5, v5, v3
	v_rcp_f32_e32 v4, v2
	v_div_scale_f32 v6, vcc, v3, v5, v3
	s_mov_b32 s15, 0
	v_fma_f32 v7, -v2, v4, 1.0
	v_fmac_f32_e32 v4, v7, v4
	v_mul_f32_e32 v7, v6, v4
	v_fma_f32 v8, -v2, v7, v6
	v_fmac_f32_e32 v7, v8, v4
	v_fma_f32 v2, -v2, v7, v6
	v_div_fmas_f32 v2, v2, v4, v7
	s_lshl_b64 s[0:1], s[14:15], 2
	v_div_fixup_f32 v2, v2, v5, v3
	v_mov_b32_e32 v3, s1
	v_add_co_u32_e32 v0, vcc, s0, v0
	v_addc_co_u32_e32 v1, vcc, v1, v3, vcc
	v_mov_b32_e32 v3, 0x7fc00000
	v_cmp_neq_f32_e32 vcc, 0, v5
	v_cndmask_b32_e32 v2, v3, v2, vcc
	global_store_dword v[0:1], v2, off
.LBB442_12:
	s_endpgm
	.section	.rodata,"a",@progbits
	.p2align	6, 0x0
	.amdhsa_kernel _ZN12_GLOBAL__N_120softmax_warp_forwardIN3c104HalfEffLi5ELb0ELb0ELi64EEEvPT0_PKT_iiiPKbib
		.amdhsa_group_segment_fixed_size 0
		.amdhsa_private_segment_fixed_size 0
		.amdhsa_kernarg_size 304
		.amdhsa_user_sgpr_count 6
		.amdhsa_user_sgpr_private_segment_buffer 1
		.amdhsa_user_sgpr_dispatch_ptr 0
		.amdhsa_user_sgpr_queue_ptr 0
		.amdhsa_user_sgpr_kernarg_segment_ptr 1
		.amdhsa_user_sgpr_dispatch_id 0
		.amdhsa_user_sgpr_flat_scratch_init 0
		.amdhsa_user_sgpr_kernarg_preload_length 0
		.amdhsa_user_sgpr_kernarg_preload_offset 0
		.amdhsa_user_sgpr_private_segment_size 0
		.amdhsa_uses_dynamic_stack 0
		.amdhsa_system_sgpr_private_segment_wavefront_offset 0
		.amdhsa_system_sgpr_workgroup_id_x 1
		.amdhsa_system_sgpr_workgroup_id_y 0
		.amdhsa_system_sgpr_workgroup_id_z 0
		.amdhsa_system_sgpr_workgroup_info 0
		.amdhsa_system_vgpr_workitem_id 1
		.amdhsa_next_free_vgpr 16
		.amdhsa_next_free_sgpr 16
		.amdhsa_accum_offset 16
		.amdhsa_reserve_vcc 1
		.amdhsa_reserve_flat_scratch 0
		.amdhsa_float_round_mode_32 0
		.amdhsa_float_round_mode_16_64 0
		.amdhsa_float_denorm_mode_32 3
		.amdhsa_float_denorm_mode_16_64 3
		.amdhsa_dx10_clamp 1
		.amdhsa_ieee_mode 1
		.amdhsa_fp16_overflow 0
		.amdhsa_tg_split 0
		.amdhsa_exception_fp_ieee_invalid_op 0
		.amdhsa_exception_fp_denorm_src 0
		.amdhsa_exception_fp_ieee_div_zero 0
		.amdhsa_exception_fp_ieee_overflow 0
		.amdhsa_exception_fp_ieee_underflow 0
		.amdhsa_exception_fp_ieee_inexact 0
		.amdhsa_exception_int_div_zero 0
	.end_amdhsa_kernel
	.section	.text._ZN12_GLOBAL__N_120softmax_warp_forwardIN3c104HalfEffLi5ELb0ELb0ELi64EEEvPT0_PKT_iiiPKbib,"axG",@progbits,_ZN12_GLOBAL__N_120softmax_warp_forwardIN3c104HalfEffLi5ELb0ELb0ELi64EEEvPT0_PKT_iiiPKbib,comdat
.Lfunc_end442:
	.size	_ZN12_GLOBAL__N_120softmax_warp_forwardIN3c104HalfEffLi5ELb0ELb0ELi64EEEvPT0_PKT_iiiPKbib, .Lfunc_end442-_ZN12_GLOBAL__N_120softmax_warp_forwardIN3c104HalfEffLi5ELb0ELb0ELi64EEEvPT0_PKT_iiiPKbib
                                        ; -- End function
	.section	.AMDGPU.csdata,"",@progbits
; Kernel info:
; codeLenInByte = 1272
; NumSgprs: 20
; NumVgprs: 16
; NumAgprs: 0
; TotalNumVgprs: 16
; ScratchSize: 0
; MemoryBound: 0
; FloatMode: 240
; IeeeMode: 1
; LDSByteSize: 0 bytes/workgroup (compile time only)
; SGPRBlocks: 2
; VGPRBlocks: 1
; NumSGPRsForWavesPerEU: 20
; NumVGPRsForWavesPerEU: 16
; AccumOffset: 16
; Occupancy: 8
; WaveLimiterHint : 0
; COMPUTE_PGM_RSRC2:SCRATCH_EN: 0
; COMPUTE_PGM_RSRC2:USER_SGPR: 6
; COMPUTE_PGM_RSRC2:TRAP_HANDLER: 0
; COMPUTE_PGM_RSRC2:TGID_X_EN: 1
; COMPUTE_PGM_RSRC2:TGID_Y_EN: 0
; COMPUTE_PGM_RSRC2:TGID_Z_EN: 0
; COMPUTE_PGM_RSRC2:TIDIG_COMP_CNT: 1
; COMPUTE_PGM_RSRC3_GFX90A:ACCUM_OFFSET: 3
; COMPUTE_PGM_RSRC3_GFX90A:TG_SPLIT: 0
	.section	.text._ZN12_GLOBAL__N_120softmax_warp_forwardIN3c104HalfEffLi5ELb0ELb0ELi32EEEvPT0_PKT_iiiPKbib,"axG",@progbits,_ZN12_GLOBAL__N_120softmax_warp_forwardIN3c104HalfEffLi5ELb0ELb0ELi32EEEvPT0_PKT_iiiPKbib,comdat
	.globl	_ZN12_GLOBAL__N_120softmax_warp_forwardIN3c104HalfEffLi5ELb0ELb0ELi32EEEvPT0_PKT_iiiPKbib ; -- Begin function _ZN12_GLOBAL__N_120softmax_warp_forwardIN3c104HalfEffLi5ELb0ELb0ELi32EEEvPT0_PKT_iiiPKbib
	.p2align	8
	.type	_ZN12_GLOBAL__N_120softmax_warp_forwardIN3c104HalfEffLi5ELb0ELb0ELi32EEEvPT0_PKT_iiiPKbib,@function
_ZN12_GLOBAL__N_120softmax_warp_forwardIN3c104HalfEffLi5ELb0ELb0ELi32EEEvPT0_PKT_iiiPKbib: ; @_ZN12_GLOBAL__N_120softmax_warp_forwardIN3c104HalfEffLi5ELb0ELb0ELi32EEEvPT0_PKT_iiiPKbib
; %bb.0:
	s_load_dword s0, s[4:5], 0x3c
	s_load_dwordx8 s[8:15], s[4:5], 0x0
	v_bfe_u32 v1, v0, 10, 10
	v_and_b32_e32 v2, 0x3ff, v0
	s_waitcnt lgkmcnt(0)
	s_lshr_b32 s0, s0, 16
	s_mul_i32 s6, s6, s0
	v_add_lshl_u32 v1, s6, v1, 1
	v_sub_u32_e32 v8, s12, v1
	v_mad_u64_u32 v[0:1], s[0:1], v1, s13, v[2:3]
	v_ashrrev_i32_e32 v1, 31, v0
	v_lshlrev_b64 v[4:5], 1, v[0:1]
	v_mov_b32_e32 v3, s11
	v_add_co_u32_e32 v4, vcc, s10, v4
	v_addc_co_u32_e32 v5, vcc, v3, v5, vcc
	v_cmp_gt_i32_e64 s[0:1], s14, v2
	v_cmp_lt_i32_e32 vcc, 0, v8
	s_and_b64 s[4:5], s[0:1], vcc
	v_mov_b32_e32 v3, 0xff800000
	v_mov_b32_e32 v2, 0xff800000
	s_and_saveexec_b64 s[2:3], s[4:5]
	s_cbranch_execz .LBB443_2
; %bb.1:
	global_load_ushort v2, v[4:5], off
	s_waitcnt vmcnt(0)
	v_cvt_f32_f16_e32 v2, v2
.LBB443_2:
	s_or_b64 exec, exec, s[2:3]
	v_cmp_lt_i32_e64 s[2:3], 1, v8
	s_and_b64 s[2:3], s[0:1], s[2:3]
	s_and_saveexec_b64 s[4:5], s[2:3]
	s_cbranch_execz .LBB443_4
; %bb.3:
	s_mov_b32 s15, 0
	s_lshl_b64 s[2:3], s[14:15], 1
	v_mov_b32_e32 v3, s3
	v_add_co_u32_e64 v4, s[2:3], s2, v4
	v_addc_co_u32_e64 v5, s[2:3], v5, v3, s[2:3]
	global_load_ushort v3, v[4:5], off
	s_waitcnt vmcnt(0)
	v_cvt_f32_f16_e32 v3, v3
.LBB443_4:
	s_or_b64 exec, exec, s[4:5]
	v_mbcnt_lo_u32_b32 v4, -1, 0
	v_mbcnt_hi_u32_b32 v4, -1, v4
	v_and_b32_e32 v5, 0x60, v4
	v_add_u32_e32 v5, 32, v5
	v_xor_b32_e32 v6, 16, v4
	v_cmp_lt_i32_e64 s[2:3], v6, v5
	v_cndmask_b32_e64 v6, v4, v6, s[2:3]
	v_lshlrev_b32_e32 v6, 2, v6
	ds_bpermute_b32 v9, v6, v3
	ds_bpermute_b32 v7, v6, v2
	v_xor_b32_e32 v10, 8, v4
	v_cmp_lt_i32_e64 s[2:3], v10, v5
	v_xor_b32_e32 v11, 4, v4
	v_cndmask_b32_e64 v10, v4, v10, s[2:3]
	v_cmp_lt_i32_e64 s[2:3], v11, v5
	v_xor_b32_e32 v12, 2, v4
	v_cndmask_b32_e64 v11, v4, v11, s[2:3]
	v_cmp_lt_i32_e64 s[2:3], v12, v5
	v_cndmask_b32_e64 v12, v4, v12, s[2:3]
	s_waitcnt lgkmcnt(1)
	v_cmp_lt_f32_e64 s[2:3], v3, v9
	v_lshlrev_b32_e32 v10, 2, v10
	v_cndmask_b32_e64 v9, v3, v9, s[2:3]
	s_waitcnt lgkmcnt(0)
	v_cmp_lt_f32_e64 s[2:3], v2, v7
	ds_bpermute_b32 v13, v10, v9
	v_cndmask_b32_e64 v7, v2, v7, s[2:3]
	ds_bpermute_b32 v14, v10, v7
	v_lshlrev_b32_e32 v11, 2, v11
	v_xor_b32_e32 v15, 1, v4
	s_waitcnt lgkmcnt(1)
	v_cmp_lt_f32_e64 s[2:3], v9, v13
	v_cndmask_b32_e64 v9, v9, v13, s[2:3]
	s_waitcnt lgkmcnt(0)
	v_cmp_lt_f32_e64 s[2:3], v7, v14
	ds_bpermute_b32 v13, v11, v9
	v_cndmask_b32_e64 v7, v7, v14, s[2:3]
	ds_bpermute_b32 v14, v11, v7
	v_cmp_lt_i32_e64 s[2:3], v15, v5
	v_cndmask_b32_e64 v4, v4, v15, s[2:3]
	s_waitcnt lgkmcnt(1)
	v_cmp_lt_f32_e64 s[2:3], v9, v13
	v_lshlrev_b32_e32 v12, 2, v12
	v_cndmask_b32_e64 v5, v9, v13, s[2:3]
	s_waitcnt lgkmcnt(0)
	v_cmp_lt_f32_e64 s[2:3], v7, v14
	ds_bpermute_b32 v9, v12, v5
	v_cndmask_b32_e64 v7, v7, v14, s[2:3]
	ds_bpermute_b32 v13, v12, v7
	v_lshlrev_b32_e32 v14, 2, v4
	s_mov_b32 s4, 0x3fb8aa3b
	s_waitcnt lgkmcnt(1)
	v_cmp_lt_f32_e64 s[2:3], v5, v9
	v_cndmask_b32_e64 v4, v5, v9, s[2:3]
	s_waitcnt lgkmcnt(0)
	v_cmp_lt_f32_e64 s[2:3], v7, v13
	ds_bpermute_b32 v5, v14, v4
	v_cndmask_b32_e64 v7, v7, v13, s[2:3]
	ds_bpermute_b32 v9, v14, v7
	s_mov_b32 s5, 0xc2ce8ed0
	s_mov_b32 s6, 0x42b17218
	s_waitcnt lgkmcnt(1)
	v_cmp_lt_f32_e64 s[2:3], v4, v5
	v_cndmask_b32_e64 v5, v4, v5, s[2:3]
	s_waitcnt lgkmcnt(0)
	v_cmp_lt_f32_e64 s[2:3], v7, v9
	v_cndmask_b32_e64 v4, v7, v9, s[2:3]
	v_pk_add_f32 v[2:3], v[2:3], v[4:5] neg_lo:[0,1] neg_hi:[0,1]
	v_mul_f32_e32 v4, 0x3fb8aa3b, v3
	v_fma_f32 v5, v3, s4, -v4
	v_rndne_f32_e32 v7, v4
	v_fmac_f32_e32 v5, 0x32a5705f, v3
	v_sub_f32_e32 v4, v4, v7
	v_add_f32_e32 v4, v4, v5
	v_exp_f32_e32 v4, v4
	v_cvt_i32_f32_e32 v5, v7
	v_cmp_ngt_f32_e64 s[2:3], s5, v3
	v_ldexp_f32 v4, v4, v5
	v_mul_f32_e32 v5, 0x3fb8aa3b, v2
	v_fma_f32 v7, v2, s4, -v5
	v_rndne_f32_e32 v9, v5
	v_fmac_f32_e32 v7, 0x32a5705f, v2
	v_sub_f32_e32 v5, v5, v9
	v_add_f32_e32 v5, v5, v7
	v_exp_f32_e32 v5, v5
	v_cvt_i32_f32_e32 v7, v9
	v_cndmask_b32_e64 v4, 0, v4, s[2:3]
	v_mov_b32_e32 v9, 0x7f800000
	v_cmp_nlt_f32_e64 s[2:3], s6, v3
	v_cndmask_b32_e64 v3, v9, v4, s[2:3]
	v_ldexp_f32 v4, v5, v7
	v_cmp_ngt_f32_e64 s[2:3], s5, v2
	v_cndmask_b32_e64 v4, 0, v4, s[2:3]
	v_cmp_nlt_f32_e64 s[2:3], s6, v2
	v_cndmask_b32_e64 v2, v9, v4, s[2:3]
	ds_bpermute_b32 v4, v6, v2
	ds_bpermute_b32 v5, v6, v3
	s_waitcnt lgkmcnt(0)
	v_pk_add_f32 v[4:5], v[2:3], v[4:5]
	ds_bpermute_b32 v6, v10, v4
	ds_bpermute_b32 v7, v10, v5
	s_waitcnt lgkmcnt(0)
	v_pk_add_f32 v[4:5], v[4:5], v[6:7]
	;; [unrolled: 4-line block ×4, first 2 shown]
	ds_bpermute_b32 v6, v14, v4
	ds_bpermute_b32 v7, v14, v5
	s_and_saveexec_b64 s[2:3], vcc
	s_cbranch_execz .LBB443_12
; %bb.5:
	v_lshlrev_b64 v[0:1], 2, v[0:1]
	v_mov_b32_e32 v9, s9
	v_add_co_u32_e32 v0, vcc, s8, v0
	v_addc_co_u32_e32 v1, vcc, v9, v1, vcc
	s_waitcnt lgkmcnt(0)
	v_pk_add_f32 v[4:5], v[4:5], v[6:7]
	s_and_saveexec_b64 s[2:3], s[0:1]
	s_cbranch_execz .LBB443_9
; %bb.6:
	v_cmp_neq_f32_e32 vcc, 0, v4
	v_mov_b32_e32 v6, 0x7fc00000
	s_and_saveexec_b64 s[4:5], vcc
; %bb.7:
	v_div_scale_f32 v6, s[6:7], v4, v4, v2
	v_rcp_f32_e32 v7, v6
	v_div_scale_f32 v9, vcc, v2, v4, v2
	v_fma_f32 v10, -v6, v7, 1.0
	v_fmac_f32_e32 v7, v10, v7
	v_mul_f32_e32 v10, v9, v7
	v_fma_f32 v11, -v6, v10, v9
	v_fmac_f32_e32 v10, v11, v7
	v_fma_f32 v6, -v6, v10, v9
	v_div_fmas_f32 v6, v6, v7, v10
	v_div_fixup_f32 v6, v6, v4, v2
; %bb.8:
	s_or_b64 exec, exec, s[4:5]
	global_store_dword v[0:1], v6, off
.LBB443_9:
	s_or_b64 exec, exec, s[2:3]
	v_cmp_ne_u32_e32 vcc, 1, v8
	s_and_b64 exec, exec, vcc
	s_cbranch_execz .LBB443_12
; %bb.10:
	s_and_b64 exec, exec, s[0:1]
	s_cbranch_execz .LBB443_12
; %bb.11:
	v_div_scale_f32 v2, s[0:1], v5, v5, v3
	v_rcp_f32_e32 v4, v2
	v_div_scale_f32 v6, vcc, v3, v5, v3
	s_mov_b32 s15, 0
	v_fma_f32 v7, -v2, v4, 1.0
	v_fmac_f32_e32 v4, v7, v4
	v_mul_f32_e32 v7, v6, v4
	v_fma_f32 v8, -v2, v7, v6
	v_fmac_f32_e32 v7, v8, v4
	v_fma_f32 v2, -v2, v7, v6
	v_div_fmas_f32 v2, v2, v4, v7
	s_lshl_b64 s[0:1], s[14:15], 2
	v_div_fixup_f32 v2, v2, v5, v3
	v_mov_b32_e32 v3, s1
	v_add_co_u32_e32 v0, vcc, s0, v0
	v_addc_co_u32_e32 v1, vcc, v1, v3, vcc
	v_mov_b32_e32 v3, 0x7fc00000
	v_cmp_neq_f32_e32 vcc, 0, v5
	v_cndmask_b32_e32 v2, v3, v2, vcc
	global_store_dword v[0:1], v2, off
.LBB443_12:
	s_endpgm
	.section	.rodata,"a",@progbits
	.p2align	6, 0x0
	.amdhsa_kernel _ZN12_GLOBAL__N_120softmax_warp_forwardIN3c104HalfEffLi5ELb0ELb0ELi32EEEvPT0_PKT_iiiPKbib
		.amdhsa_group_segment_fixed_size 0
		.amdhsa_private_segment_fixed_size 0
		.amdhsa_kernarg_size 304
		.amdhsa_user_sgpr_count 6
		.amdhsa_user_sgpr_private_segment_buffer 1
		.amdhsa_user_sgpr_dispatch_ptr 0
		.amdhsa_user_sgpr_queue_ptr 0
		.amdhsa_user_sgpr_kernarg_segment_ptr 1
		.amdhsa_user_sgpr_dispatch_id 0
		.amdhsa_user_sgpr_flat_scratch_init 0
		.amdhsa_user_sgpr_kernarg_preload_length 0
		.amdhsa_user_sgpr_kernarg_preload_offset 0
		.amdhsa_user_sgpr_private_segment_size 0
		.amdhsa_uses_dynamic_stack 0
		.amdhsa_system_sgpr_private_segment_wavefront_offset 0
		.amdhsa_system_sgpr_workgroup_id_x 1
		.amdhsa_system_sgpr_workgroup_id_y 0
		.amdhsa_system_sgpr_workgroup_id_z 0
		.amdhsa_system_sgpr_workgroup_info 0
		.amdhsa_system_vgpr_workitem_id 1
		.amdhsa_next_free_vgpr 16
		.amdhsa_next_free_sgpr 16
		.amdhsa_accum_offset 16
		.amdhsa_reserve_vcc 1
		.amdhsa_reserve_flat_scratch 0
		.amdhsa_float_round_mode_32 0
		.amdhsa_float_round_mode_16_64 0
		.amdhsa_float_denorm_mode_32 3
		.amdhsa_float_denorm_mode_16_64 3
		.amdhsa_dx10_clamp 1
		.amdhsa_ieee_mode 1
		.amdhsa_fp16_overflow 0
		.amdhsa_tg_split 0
		.amdhsa_exception_fp_ieee_invalid_op 0
		.amdhsa_exception_fp_denorm_src 0
		.amdhsa_exception_fp_ieee_div_zero 0
		.amdhsa_exception_fp_ieee_overflow 0
		.amdhsa_exception_fp_ieee_underflow 0
		.amdhsa_exception_fp_ieee_inexact 0
		.amdhsa_exception_int_div_zero 0
	.end_amdhsa_kernel
	.section	.text._ZN12_GLOBAL__N_120softmax_warp_forwardIN3c104HalfEffLi5ELb0ELb0ELi32EEEvPT0_PKT_iiiPKbib,"axG",@progbits,_ZN12_GLOBAL__N_120softmax_warp_forwardIN3c104HalfEffLi5ELb0ELb0ELi32EEEvPT0_PKT_iiiPKbib,comdat
.Lfunc_end443:
	.size	_ZN12_GLOBAL__N_120softmax_warp_forwardIN3c104HalfEffLi5ELb0ELb0ELi32EEEvPT0_PKT_iiiPKbib, .Lfunc_end443-_ZN12_GLOBAL__N_120softmax_warp_forwardIN3c104HalfEffLi5ELb0ELb0ELi32EEEvPT0_PKT_iiiPKbib
                                        ; -- End function
	.section	.AMDGPU.csdata,"",@progbits
; Kernel info:
; codeLenInByte = 1272
; NumSgprs: 20
; NumVgprs: 16
; NumAgprs: 0
; TotalNumVgprs: 16
; ScratchSize: 0
; MemoryBound: 0
; FloatMode: 240
; IeeeMode: 1
; LDSByteSize: 0 bytes/workgroup (compile time only)
; SGPRBlocks: 2
; VGPRBlocks: 1
; NumSGPRsForWavesPerEU: 20
; NumVGPRsForWavesPerEU: 16
; AccumOffset: 16
; Occupancy: 8
; WaveLimiterHint : 0
; COMPUTE_PGM_RSRC2:SCRATCH_EN: 0
; COMPUTE_PGM_RSRC2:USER_SGPR: 6
; COMPUTE_PGM_RSRC2:TRAP_HANDLER: 0
; COMPUTE_PGM_RSRC2:TGID_X_EN: 1
; COMPUTE_PGM_RSRC2:TGID_Y_EN: 0
; COMPUTE_PGM_RSRC2:TGID_Z_EN: 0
; COMPUTE_PGM_RSRC2:TIDIG_COMP_CNT: 1
; COMPUTE_PGM_RSRC3_GFX90A:ACCUM_OFFSET: 3
; COMPUTE_PGM_RSRC3_GFX90A:TG_SPLIT: 0
	.section	.text._ZN12_GLOBAL__N_120softmax_warp_forwardIN3c104HalfEffLi6ELb0ELb0ELi64EEEvPT0_PKT_iiiPKbib,"axG",@progbits,_ZN12_GLOBAL__N_120softmax_warp_forwardIN3c104HalfEffLi6ELb0ELb0ELi64EEEvPT0_PKT_iiiPKbib,comdat
	.globl	_ZN12_GLOBAL__N_120softmax_warp_forwardIN3c104HalfEffLi6ELb0ELb0ELi64EEEvPT0_PKT_iiiPKbib ; -- Begin function _ZN12_GLOBAL__N_120softmax_warp_forwardIN3c104HalfEffLi6ELb0ELb0ELi64EEEvPT0_PKT_iiiPKbib
	.p2align	8
	.type	_ZN12_GLOBAL__N_120softmax_warp_forwardIN3c104HalfEffLi6ELb0ELb0ELi64EEEvPT0_PKT_iiiPKbib,@function
_ZN12_GLOBAL__N_120softmax_warp_forwardIN3c104HalfEffLi6ELb0ELb0ELi64EEEvPT0_PKT_iiiPKbib: ; @_ZN12_GLOBAL__N_120softmax_warp_forwardIN3c104HalfEffLi6ELb0ELb0ELi64EEEvPT0_PKT_iiiPKbib
; %bb.0:
	s_load_dword s0, s[4:5], 0x3c
	s_load_dwordx8 s[8:15], s[4:5], 0x0
	v_bfe_u32 v1, v0, 10, 10
	v_and_b32_e32 v2, 0x3ff, v0
	s_waitcnt lgkmcnt(0)
	s_lshr_b32 s0, s0, 16
	s_mul_i32 s6, s6, s0
	v_add_lshl_u32 v1, s6, v1, 1
	v_sub_u32_e32 v8, s12, v1
	v_mad_u64_u32 v[0:1], s[0:1], v1, s13, v[2:3]
	v_ashrrev_i32_e32 v1, 31, v0
	v_lshlrev_b64 v[4:5], 1, v[0:1]
	v_mov_b32_e32 v3, s11
	v_add_co_u32_e32 v4, vcc, s10, v4
	v_addc_co_u32_e32 v5, vcc, v3, v5, vcc
	v_cmp_gt_i32_e64 s[0:1], s14, v2
	v_cmp_lt_i32_e32 vcc, 0, v8
	s_and_b64 s[4:5], s[0:1], vcc
	v_mov_b32_e32 v3, 0xff800000
	v_mov_b32_e32 v2, 0xff800000
	s_and_saveexec_b64 s[2:3], s[4:5]
	s_cbranch_execz .LBB444_2
; %bb.1:
	global_load_ushort v2, v[4:5], off
	s_waitcnt vmcnt(0)
	v_cvt_f32_f16_e32 v2, v2
.LBB444_2:
	s_or_b64 exec, exec, s[2:3]
	v_cmp_lt_i32_e64 s[2:3], 1, v8
	s_and_b64 s[2:3], s[0:1], s[2:3]
	s_and_saveexec_b64 s[4:5], s[2:3]
	s_cbranch_execz .LBB444_4
; %bb.3:
	s_mov_b32 s15, 0
	s_lshl_b64 s[2:3], s[14:15], 1
	v_mov_b32_e32 v3, s3
	v_add_co_u32_e64 v4, s[2:3], s2, v4
	v_addc_co_u32_e64 v5, s[2:3], v5, v3, s[2:3]
	global_load_ushort v3, v[4:5], off
	s_waitcnt vmcnt(0)
	v_cvt_f32_f16_e32 v3, v3
.LBB444_4:
	s_or_b64 exec, exec, s[4:5]
	v_mbcnt_lo_u32_b32 v4, -1, 0
	v_mbcnt_hi_u32_b32 v4, -1, v4
	v_and_b32_e32 v5, 64, v4
	v_add_u32_e32 v5, 64, v5
	v_xor_b32_e32 v6, 32, v4
	v_cmp_lt_i32_e64 s[2:3], v6, v5
	v_cndmask_b32_e64 v6, v4, v6, s[2:3]
	v_lshlrev_b32_e32 v6, 2, v6
	ds_bpermute_b32 v7, v6, v3
	ds_bpermute_b32 v9, v6, v2
	v_xor_b32_e32 v10, 16, v4
	v_xor_b32_e32 v13, 8, v4
	;; [unrolled: 1-line block ×3, first 2 shown]
	s_waitcnt lgkmcnt(1)
	v_cmp_lt_f32_e64 s[2:3], v3, v7
	v_cndmask_b32_e64 v7, v3, v7, s[2:3]
	s_waitcnt lgkmcnt(0)
	v_cmp_lt_f32_e64 s[2:3], v2, v9
	v_cndmask_b32_e64 v9, v2, v9, s[2:3]
	v_cmp_lt_i32_e64 s[2:3], v10, v5
	v_cndmask_b32_e64 v10, v4, v10, s[2:3]
	v_lshlrev_b32_e32 v10, 2, v10
	ds_bpermute_b32 v12, v10, v7
	ds_bpermute_b32 v11, v10, v9
	v_cmp_lt_i32_e64 s[2:3], v13, v5
	v_cndmask_b32_e64 v13, v4, v13, s[2:3]
	v_cmp_lt_i32_e64 s[2:3], v14, v5
	v_xor_b32_e32 v15, 2, v4
	v_cndmask_b32_e64 v14, v4, v14, s[2:3]
	v_cmp_lt_i32_e64 s[2:3], v15, v5
	v_cndmask_b32_e64 v15, v4, v15, s[2:3]
	s_waitcnt lgkmcnt(1)
	v_cmp_lt_f32_e64 s[2:3], v7, v12
	v_lshlrev_b32_e32 v13, 2, v13
	v_cndmask_b32_e64 v7, v7, v12, s[2:3]
	s_waitcnt lgkmcnt(0)
	v_cmp_lt_f32_e64 s[2:3], v9, v11
	ds_bpermute_b32 v12, v13, v7
	v_cndmask_b32_e64 v9, v9, v11, s[2:3]
	ds_bpermute_b32 v11, v13, v9
	v_lshlrev_b32_e32 v14, 2, v14
	v_xor_b32_e32 v16, 1, v4
	s_waitcnt lgkmcnt(1)
	v_cmp_lt_f32_e64 s[2:3], v7, v12
	v_cndmask_b32_e64 v7, v7, v12, s[2:3]
	s_waitcnt lgkmcnt(0)
	v_cmp_lt_f32_e64 s[2:3], v9, v11
	ds_bpermute_b32 v12, v14, v7
	v_cndmask_b32_e64 v9, v9, v11, s[2:3]
	ds_bpermute_b32 v11, v14, v9
	v_cmp_lt_i32_e64 s[2:3], v16, v5
	v_cndmask_b32_e64 v4, v4, v16, s[2:3]
	s_waitcnt lgkmcnt(1)
	v_cmp_lt_f32_e64 s[2:3], v7, v12
	v_lshlrev_b32_e32 v15, 2, v15
	v_cndmask_b32_e64 v5, v7, v12, s[2:3]
	s_waitcnt lgkmcnt(0)
	v_cmp_lt_f32_e64 s[2:3], v9, v11
	ds_bpermute_b32 v7, v15, v5
	v_cndmask_b32_e64 v9, v9, v11, s[2:3]
	ds_bpermute_b32 v11, v15, v9
	v_lshlrev_b32_e32 v12, 2, v4
	s_mov_b32 s4, 0x3fb8aa3b
	s_waitcnt lgkmcnt(1)
	v_cmp_lt_f32_e64 s[2:3], v5, v7
	v_cndmask_b32_e64 v4, v5, v7, s[2:3]
	s_waitcnt lgkmcnt(0)
	v_cmp_lt_f32_e64 s[2:3], v9, v11
	ds_bpermute_b32 v5, v12, v4
	v_cndmask_b32_e64 v7, v9, v11, s[2:3]
	ds_bpermute_b32 v9, v12, v7
	s_mov_b32 s5, 0xc2ce8ed0
	s_mov_b32 s6, 0x42b17218
	s_waitcnt lgkmcnt(1)
	v_cmp_lt_f32_e64 s[2:3], v4, v5
	v_cndmask_b32_e64 v5, v4, v5, s[2:3]
	s_waitcnt lgkmcnt(0)
	v_cmp_lt_f32_e64 s[2:3], v7, v9
	v_cndmask_b32_e64 v4, v7, v9, s[2:3]
	v_pk_add_f32 v[2:3], v[2:3], v[4:5] neg_lo:[0,1] neg_hi:[0,1]
	v_mul_f32_e32 v4, 0x3fb8aa3b, v3
	v_fma_f32 v5, v3, s4, -v4
	v_rndne_f32_e32 v7, v4
	v_fmac_f32_e32 v5, 0x32a5705f, v3
	v_sub_f32_e32 v4, v4, v7
	v_add_f32_e32 v4, v4, v5
	v_exp_f32_e32 v4, v4
	v_cvt_i32_f32_e32 v5, v7
	v_cmp_ngt_f32_e64 s[2:3], s5, v3
	v_ldexp_f32 v4, v4, v5
	v_mul_f32_e32 v5, 0x3fb8aa3b, v2
	v_fma_f32 v7, v2, s4, -v5
	v_rndne_f32_e32 v9, v5
	v_fmac_f32_e32 v7, 0x32a5705f, v2
	v_sub_f32_e32 v5, v5, v9
	v_add_f32_e32 v5, v5, v7
	v_exp_f32_e32 v5, v5
	v_cvt_i32_f32_e32 v7, v9
	v_cndmask_b32_e64 v4, 0, v4, s[2:3]
	v_mov_b32_e32 v9, 0x7f800000
	v_cmp_nlt_f32_e64 s[2:3], s6, v3
	v_cndmask_b32_e64 v3, v9, v4, s[2:3]
	v_ldexp_f32 v4, v5, v7
	v_cmp_ngt_f32_e64 s[2:3], s5, v2
	v_cndmask_b32_e64 v4, 0, v4, s[2:3]
	v_cmp_nlt_f32_e64 s[2:3], s6, v2
	v_cndmask_b32_e64 v2, v9, v4, s[2:3]
	ds_bpermute_b32 v4, v6, v2
	ds_bpermute_b32 v5, v6, v3
	s_waitcnt lgkmcnt(0)
	v_pk_add_f32 v[4:5], v[2:3], v[4:5]
	ds_bpermute_b32 v6, v10, v4
	ds_bpermute_b32 v7, v10, v5
	s_waitcnt lgkmcnt(0)
	v_pk_add_f32 v[4:5], v[4:5], v[6:7]
	;; [unrolled: 4-line block ×5, first 2 shown]
	ds_bpermute_b32 v6, v12, v4
	ds_bpermute_b32 v7, v12, v5
	s_and_saveexec_b64 s[2:3], vcc
	s_cbranch_execz .LBB444_12
; %bb.5:
	v_lshlrev_b64 v[0:1], 2, v[0:1]
	v_mov_b32_e32 v9, s9
	v_add_co_u32_e32 v0, vcc, s8, v0
	v_addc_co_u32_e32 v1, vcc, v9, v1, vcc
	s_waitcnt lgkmcnt(0)
	v_pk_add_f32 v[4:5], v[4:5], v[6:7]
	s_and_saveexec_b64 s[2:3], s[0:1]
	s_cbranch_execz .LBB444_9
; %bb.6:
	v_cmp_neq_f32_e32 vcc, 0, v4
	v_mov_b32_e32 v6, 0x7fc00000
	s_and_saveexec_b64 s[4:5], vcc
; %bb.7:
	v_div_scale_f32 v6, s[6:7], v4, v4, v2
	v_rcp_f32_e32 v7, v6
	v_div_scale_f32 v9, vcc, v2, v4, v2
	v_fma_f32 v10, -v6, v7, 1.0
	v_fmac_f32_e32 v7, v10, v7
	v_mul_f32_e32 v10, v9, v7
	v_fma_f32 v11, -v6, v10, v9
	v_fmac_f32_e32 v10, v11, v7
	v_fma_f32 v6, -v6, v10, v9
	v_div_fmas_f32 v6, v6, v7, v10
	v_div_fixup_f32 v6, v6, v4, v2
; %bb.8:
	s_or_b64 exec, exec, s[4:5]
	global_store_dword v[0:1], v6, off
.LBB444_9:
	s_or_b64 exec, exec, s[2:3]
	v_cmp_ne_u32_e32 vcc, 1, v8
	s_and_b64 exec, exec, vcc
	s_cbranch_execz .LBB444_12
; %bb.10:
	s_and_b64 exec, exec, s[0:1]
	s_cbranch_execz .LBB444_12
; %bb.11:
	v_div_scale_f32 v2, s[0:1], v5, v5, v3
	v_rcp_f32_e32 v4, v2
	v_div_scale_f32 v6, vcc, v3, v5, v3
	s_mov_b32 s15, 0
	v_fma_f32 v7, -v2, v4, 1.0
	v_fmac_f32_e32 v4, v7, v4
	v_mul_f32_e32 v7, v6, v4
	v_fma_f32 v8, -v2, v7, v6
	v_fmac_f32_e32 v7, v8, v4
	v_fma_f32 v2, -v2, v7, v6
	v_div_fmas_f32 v2, v2, v4, v7
	s_lshl_b64 s[0:1], s[14:15], 2
	v_div_fixup_f32 v2, v2, v5, v3
	v_mov_b32_e32 v3, s1
	v_add_co_u32_e32 v0, vcc, s0, v0
	v_addc_co_u32_e32 v1, vcc, v1, v3, vcc
	v_mov_b32_e32 v3, 0x7fc00000
	v_cmp_neq_f32_e32 vcc, 0, v5
	v_cndmask_b32_e32 v2, v3, v2, vcc
	global_store_dword v[0:1], v2, off
.LBB444_12:
	s_endpgm
	.section	.rodata,"a",@progbits
	.p2align	6, 0x0
	.amdhsa_kernel _ZN12_GLOBAL__N_120softmax_warp_forwardIN3c104HalfEffLi6ELb0ELb0ELi64EEEvPT0_PKT_iiiPKbib
		.amdhsa_group_segment_fixed_size 0
		.amdhsa_private_segment_fixed_size 0
		.amdhsa_kernarg_size 304
		.amdhsa_user_sgpr_count 6
		.amdhsa_user_sgpr_private_segment_buffer 1
		.amdhsa_user_sgpr_dispatch_ptr 0
		.amdhsa_user_sgpr_queue_ptr 0
		.amdhsa_user_sgpr_kernarg_segment_ptr 1
		.amdhsa_user_sgpr_dispatch_id 0
		.amdhsa_user_sgpr_flat_scratch_init 0
		.amdhsa_user_sgpr_kernarg_preload_length 0
		.amdhsa_user_sgpr_kernarg_preload_offset 0
		.amdhsa_user_sgpr_private_segment_size 0
		.amdhsa_uses_dynamic_stack 0
		.amdhsa_system_sgpr_private_segment_wavefront_offset 0
		.amdhsa_system_sgpr_workgroup_id_x 1
		.amdhsa_system_sgpr_workgroup_id_y 0
		.amdhsa_system_sgpr_workgroup_id_z 0
		.amdhsa_system_sgpr_workgroup_info 0
		.amdhsa_system_vgpr_workitem_id 1
		.amdhsa_next_free_vgpr 17
		.amdhsa_next_free_sgpr 16
		.amdhsa_accum_offset 20
		.amdhsa_reserve_vcc 1
		.amdhsa_reserve_flat_scratch 0
		.amdhsa_float_round_mode_32 0
		.amdhsa_float_round_mode_16_64 0
		.amdhsa_float_denorm_mode_32 3
		.amdhsa_float_denorm_mode_16_64 3
		.amdhsa_dx10_clamp 1
		.amdhsa_ieee_mode 1
		.amdhsa_fp16_overflow 0
		.amdhsa_tg_split 0
		.amdhsa_exception_fp_ieee_invalid_op 0
		.amdhsa_exception_fp_denorm_src 0
		.amdhsa_exception_fp_ieee_div_zero 0
		.amdhsa_exception_fp_ieee_overflow 0
		.amdhsa_exception_fp_ieee_underflow 0
		.amdhsa_exception_fp_ieee_inexact 0
		.amdhsa_exception_int_div_zero 0
	.end_amdhsa_kernel
	.section	.text._ZN12_GLOBAL__N_120softmax_warp_forwardIN3c104HalfEffLi6ELb0ELb0ELi64EEEvPT0_PKT_iiiPKbib,"axG",@progbits,_ZN12_GLOBAL__N_120softmax_warp_forwardIN3c104HalfEffLi6ELb0ELb0ELi64EEEvPT0_PKT_iiiPKbib,comdat
.Lfunc_end444:
	.size	_ZN12_GLOBAL__N_120softmax_warp_forwardIN3c104HalfEffLi6ELb0ELb0ELi64EEEvPT0_PKT_iiiPKbib, .Lfunc_end444-_ZN12_GLOBAL__N_120softmax_warp_forwardIN3c104HalfEffLi6ELb0ELb0ELi64EEEvPT0_PKT_iiiPKbib
                                        ; -- End function
	.section	.AMDGPU.csdata,"",@progbits
; Kernel info:
; codeLenInByte = 1376
; NumSgprs: 20
; NumVgprs: 17
; NumAgprs: 0
; TotalNumVgprs: 17
; ScratchSize: 0
; MemoryBound: 0
; FloatMode: 240
; IeeeMode: 1
; LDSByteSize: 0 bytes/workgroup (compile time only)
; SGPRBlocks: 2
; VGPRBlocks: 2
; NumSGPRsForWavesPerEU: 20
; NumVGPRsForWavesPerEU: 17
; AccumOffset: 20
; Occupancy: 8
; WaveLimiterHint : 0
; COMPUTE_PGM_RSRC2:SCRATCH_EN: 0
; COMPUTE_PGM_RSRC2:USER_SGPR: 6
; COMPUTE_PGM_RSRC2:TRAP_HANDLER: 0
; COMPUTE_PGM_RSRC2:TGID_X_EN: 1
; COMPUTE_PGM_RSRC2:TGID_Y_EN: 0
; COMPUTE_PGM_RSRC2:TGID_Z_EN: 0
; COMPUTE_PGM_RSRC2:TIDIG_COMP_CNT: 1
; COMPUTE_PGM_RSRC3_GFX90A:ACCUM_OFFSET: 4
; COMPUTE_PGM_RSRC3_GFX90A:TG_SPLIT: 0
	.section	.text._ZN12_GLOBAL__N_120softmax_warp_forwardIN3c104HalfEffLi6ELb0ELb0ELi32EEEvPT0_PKT_iiiPKbib,"axG",@progbits,_ZN12_GLOBAL__N_120softmax_warp_forwardIN3c104HalfEffLi6ELb0ELb0ELi32EEEvPT0_PKT_iiiPKbib,comdat
	.globl	_ZN12_GLOBAL__N_120softmax_warp_forwardIN3c104HalfEffLi6ELb0ELb0ELi32EEEvPT0_PKT_iiiPKbib ; -- Begin function _ZN12_GLOBAL__N_120softmax_warp_forwardIN3c104HalfEffLi6ELb0ELb0ELi32EEEvPT0_PKT_iiiPKbib
	.p2align	8
	.type	_ZN12_GLOBAL__N_120softmax_warp_forwardIN3c104HalfEffLi6ELb0ELb0ELi32EEEvPT0_PKT_iiiPKbib,@function
_ZN12_GLOBAL__N_120softmax_warp_forwardIN3c104HalfEffLi6ELb0ELb0ELi32EEEvPT0_PKT_iiiPKbib: ; @_ZN12_GLOBAL__N_120softmax_warp_forwardIN3c104HalfEffLi6ELb0ELb0ELi32EEEvPT0_PKT_iiiPKbib
; %bb.0:
	s_load_dword s0, s[4:5], 0x3c
	s_load_dwordx8 s[8:15], s[4:5], 0x0
	v_bfe_u32 v1, v0, 10, 10
	v_and_b32_e32 v4, 0x3ff, v0
	s_waitcnt lgkmcnt(0)
	s_lshr_b32 s0, s0, 16
	s_mul_i32 s6, s6, s0
	v_add_lshl_u32 v1, s6, v1, 1
	v_sub_u32_e32 v10, s12, v1
	v_mad_u64_u32 v[0:1], s[0:1], v1, s13, v[4:5]
	v_ashrrev_i32_e32 v1, 31, v0
	v_lshlrev_b64 v[2:3], 1, v[0:1]
	v_mov_b32_e32 v5, s11
	v_add_co_u32_e32 v6, vcc, s10, v2
	v_addc_co_u32_e32 v7, vcc, v5, v3, vcc
	v_cmp_lt_i32_e32 vcc, 0, v10
	v_cmp_gt_i32_e64 s[2:3], s14, v4
	s_and_b64 s[4:5], vcc, s[2:3]
	v_mov_b32_e32 v3, 0xff800000
	v_mov_b32_e32 v2, 0xff800000
	s_and_saveexec_b64 s[0:1], s[4:5]
	s_cbranch_execz .LBB445_2
; %bb.1:
	global_load_ushort v2, v[6:7], off
	s_waitcnt vmcnt(0)
	v_cvt_f32_f16_e32 v2, v2
.LBB445_2:
	s_or_b64 exec, exec, s[0:1]
	v_add_u32_e32 v4, 32, v4
	v_cmp_gt_i32_e64 s[0:1], s14, v4
	s_and_b64 s[6:7], vcc, s[0:1]
	s_and_saveexec_b64 s[4:5], s[6:7]
	s_cbranch_execz .LBB445_4
; %bb.3:
	global_load_ushort v3, v[6:7], off offset:64
	s_waitcnt vmcnt(0)
	v_cvt_f32_f16_e32 v3, v3
.LBB445_4:
	s_or_b64 exec, exec, s[4:5]
	v_cmp_lt_i32_e64 s[4:5], 1, v10
	s_and_b64 s[6:7], s[4:5], s[2:3]
	v_mov_b32_e32 v5, 0xff800000
	v_mov_b32_e32 v4, 0xff800000
	s_and_saveexec_b64 s[10:11], s[6:7]
	s_cbranch_execz .LBB445_6
; %bb.5:
	s_mov_b32 s15, 0
	s_lshl_b64 s[6:7], s[14:15], 1
	v_mov_b32_e32 v4, s7
	v_add_co_u32_e64 v8, s[6:7], s6, v6
	v_addc_co_u32_e64 v9, s[6:7], v7, v4, s[6:7]
	global_load_ushort v4, v[8:9], off
	s_waitcnt vmcnt(0)
	v_cvt_f32_f16_e32 v4, v4
.LBB445_6:
	s_or_b64 exec, exec, s[10:11]
	s_and_b64 s[4:5], s[4:5], s[0:1]
	s_and_saveexec_b64 s[6:7], s[4:5]
	s_cbranch_execz .LBB445_8
; %bb.7:
	s_mov_b32 s15, 0
	s_lshl_b64 s[4:5], s[14:15], 1
	v_mov_b32_e32 v5, s5
	v_add_co_u32_e64 v6, s[4:5], s4, v6
	v_addc_co_u32_e64 v7, s[4:5], v7, v5, s[4:5]
	global_load_ushort v5, v[6:7], off offset:64
	s_waitcnt vmcnt(0)
	v_cvt_f32_f16_e32 v5, v5
.LBB445_8:
	s_or_b64 exec, exec, s[6:7]
	v_mbcnt_lo_u32_b32 v7, -1, 0
	v_mbcnt_hi_u32_b32 v7, -1, v7
	v_and_b32_e32 v8, 0x60, v7
	v_cmp_gt_f32_e64 s[4:5], v2, v3
	v_add_u32_e32 v8, 32, v8
	v_xor_b32_e32 v9, 16, v7
	v_cndmask_b32_e64 v6, v3, v2, s[4:5]
	v_cmp_lt_i32_e64 s[4:5], v9, v8
	v_cndmask_b32_e64 v9, v7, v9, s[4:5]
	v_lshlrev_b32_e32 v11, 2, v9
	ds_bpermute_b32 v9, v11, v6
	v_cmp_gt_f32_e64 s[4:5], v4, v5
	v_cndmask_b32_e64 v12, v5, v4, s[4:5]
	v_xor_b32_e32 v13, 8, v7
	s_mov_b32 s6, 0x3fb8aa3b
	s_waitcnt lgkmcnt(0)
	v_cmp_lt_f32_e64 s[4:5], v6, v9
	v_cndmask_b32_e64 v6, v6, v9, s[4:5]
	v_cmp_lt_i32_e64 s[4:5], v13, v8
	v_cndmask_b32_e64 v13, v7, v13, s[4:5]
	ds_bpermute_b32 v9, v11, v12
	v_lshlrev_b32_e32 v13, 2, v13
	ds_bpermute_b32 v14, v13, v6
	s_mov_b32 s7, 0xc2ce8ed0
	s_mov_b32 s10, 0x42b17218
	s_waitcnt lgkmcnt(1)
	v_cmp_lt_f32_e64 s[4:5], v12, v9
	v_cndmask_b32_e64 v9, v12, v9, s[4:5]
	s_waitcnt lgkmcnt(0)
	v_cmp_lt_f32_e64 s[4:5], v6, v14
	v_cndmask_b32_e64 v6, v6, v14, s[4:5]
	v_xor_b32_e32 v14, 4, v7
	v_cmp_lt_i32_e64 s[4:5], v14, v8
	v_cndmask_b32_e64 v14, v7, v14, s[4:5]
	ds_bpermute_b32 v12, v13, v9
	v_lshlrev_b32_e32 v14, 2, v14
	ds_bpermute_b32 v15, v14, v6
	s_waitcnt lgkmcnt(1)
	v_cmp_lt_f32_e64 s[4:5], v9, v12
	v_cndmask_b32_e64 v9, v9, v12, s[4:5]
	s_waitcnt lgkmcnt(0)
	v_cmp_lt_f32_e64 s[4:5], v6, v15
	v_cndmask_b32_e64 v6, v6, v15, s[4:5]
	v_xor_b32_e32 v15, 2, v7
	v_cmp_lt_i32_e64 s[4:5], v15, v8
	v_cndmask_b32_e64 v15, v7, v15, s[4:5]
	ds_bpermute_b32 v12, v14, v9
	v_lshlrev_b32_e32 v15, 2, v15
	ds_bpermute_b32 v16, v15, v6
	;; [unrolled: 12-line block ×3, first 2 shown]
	s_waitcnt lgkmcnt(1)
	v_cmp_lt_f32_e64 s[4:5], v9, v12
	v_cndmask_b32_e64 v8, v9, v12, s[4:5]
	s_waitcnt lgkmcnt(0)
	v_cmp_lt_f32_e64 s[4:5], v6, v7
	v_cndmask_b32_e64 v6, v6, v7, s[4:5]
	v_pk_add_f32 v[6:7], v[2:3], v[6:7] op_sel_hi:[1,0] neg_lo:[0,1] neg_hi:[0,1]
	v_mul_f32_e32 v2, 0x3fb8aa3b, v7
	v_fma_f32 v3, v7, s6, -v2
	v_rndne_f32_e32 v12, v2
	v_fmac_f32_e32 v3, 0x32a5705f, v7
	v_sub_f32_e32 v2, v2, v12
	ds_bpermute_b32 v9, v16, v8
	v_add_f32_e32 v2, v2, v3
	v_exp_f32_e32 v2, v2
	v_cvt_i32_f32_e32 v3, v12
	s_waitcnt lgkmcnt(0)
	v_cmp_lt_f32_e64 s[4:5], v8, v9
	v_cndmask_b32_e64 v8, v8, v9, s[4:5]
	v_ldexp_f32 v2, v2, v3
	v_mul_f32_e32 v3, 0x3fb8aa3b, v6
	v_fma_f32 v9, v6, s6, -v3
	v_rndne_f32_e32 v12, v3
	v_fmac_f32_e32 v9, 0x32a5705f, v6
	v_sub_f32_e32 v3, v3, v12
	v_add_f32_e32 v3, v3, v9
	v_exp_f32_e32 v3, v3
	v_cvt_i32_f32_e32 v9, v12
	v_cmp_ngt_f32_e64 s[4:5], s7, v7
	v_cndmask_b32_e64 v2, 0, v2, s[4:5]
	v_cmp_nlt_f32_e64 s[4:5], s10, v7
	v_ldexp_f32 v3, v3, v9
	v_pk_add_f32 v[8:9], v[4:5], v[8:9] op_sel_hi:[1,0] neg_lo:[0,1] neg_hi:[0,1]
	v_mul_f32_e32 v4, 0x3fb8aa3b, v9
	v_fma_f32 v5, v9, s6, -v4
	v_rndne_f32_e32 v7, v4
	v_fmac_f32_e32 v5, 0x32a5705f, v9
	v_sub_f32_e32 v4, v4, v7
	v_add_f32_e32 v4, v4, v5
	v_exp_f32_e32 v5, v4
	v_cvt_i32_f32_e32 v7, v7
	v_mov_b32_e32 v12, 0x7f800000
	v_cndmask_b32_e64 v2, v12, v2, s[4:5]
	v_cmp_ngt_f32_e64 s[4:5], s7, v6
	v_cndmask_b32_e64 v3, 0, v3, s[4:5]
	v_cmp_nlt_f32_e64 s[4:5], s10, v6
	v_cndmask_b32_e64 v4, v12, v3, s[4:5]
	v_ldexp_f32 v3, v5, v7
	v_mul_f32_e32 v5, 0x3fb8aa3b, v8
	v_fma_f32 v6, v8, s6, -v5
	v_rndne_f32_e32 v7, v5
	v_fmac_f32_e32 v6, 0x32a5705f, v8
	v_sub_f32_e32 v5, v5, v7
	v_add_f32_e32 v5, v5, v6
	v_exp_f32_e32 v5, v5
	v_cvt_i32_f32_e32 v6, v7
	v_cmp_ngt_f32_e64 s[4:5], s7, v9
	v_cndmask_b32_e64 v3, 0, v3, s[4:5]
	v_cmp_nlt_f32_e64 s[4:5], s10, v9
	v_cndmask_b32_e64 v3, v12, v3, s[4:5]
	v_ldexp_f32 v5, v5, v6
	v_cmp_ngt_f32_e64 s[4:5], s7, v8
	v_cndmask_b32_e64 v5, 0, v5, s[4:5]
	v_cmp_nlt_f32_e64 s[4:5], s10, v8
	v_cndmask_b32_e64 v5, v12, v5, s[4:5]
	v_pk_add_f32 v[6:7], v[4:5], v[2:3]
	ds_bpermute_b32 v8, v11, v6
	ds_bpermute_b32 v9, v11, v7
	s_waitcnt lgkmcnt(0)
	v_pk_add_f32 v[6:7], v[6:7], v[8:9]
	ds_bpermute_b32 v8, v13, v6
	ds_bpermute_b32 v9, v13, v7
	s_waitcnt lgkmcnt(0)
	;; [unrolled: 4-line block ×4, first 2 shown]
	v_pk_add_f32 v[6:7], v[6:7], v[8:9]
	ds_bpermute_b32 v8, v16, v6
	ds_bpermute_b32 v9, v16, v7
	s_and_saveexec_b64 s[4:5], vcc
	s_cbranch_execz .LBB445_20
; %bb.9:
	v_lshlrev_b64 v[0:1], 2, v[0:1]
	v_mov_b32_e32 v11, s9
	v_add_co_u32_e32 v0, vcc, s8, v0
	v_addc_co_u32_e32 v1, vcc, v11, v1, vcc
	s_waitcnt lgkmcnt(0)
	v_pk_add_f32 v[6:7], v[6:7], v[8:9]
	s_and_saveexec_b64 s[6:7], s[2:3]
	s_cbranch_execz .LBB445_16
; %bb.10:
	v_cmp_neq_f32_e64 s[4:5], 0, v6
	v_mov_b32_e32 v8, 0x7fc00000
	s_and_saveexec_b64 s[8:9], s[4:5]
; %bb.11:
	v_div_scale_f32 v8, s[10:11], v6, v6, v4
	v_rcp_f32_e32 v9, v8
	v_div_scale_f32 v11, vcc, v4, v6, v4
	v_fma_f32 v12, -v8, v9, 1.0
	v_fmac_f32_e32 v9, v12, v9
	v_mul_f32_e32 v12, v11, v9
	v_fma_f32 v13, -v8, v12, v11
	v_fmac_f32_e32 v12, v13, v9
	v_fma_f32 v8, -v8, v12, v11
	v_div_fmas_f32 v8, v8, v9, v12
	v_div_fixup_f32 v8, v8, v6, v4
; %bb.12:
	s_or_b64 exec, exec, s[8:9]
	global_store_dword v[0:1], v8, off
	s_and_b64 exec, exec, s[0:1]
	s_cbranch_execz .LBB445_16
; %bb.13:
	v_mov_b32_e32 v4, 0x7fc00000
	s_and_saveexec_b64 s[8:9], s[4:5]
; %bb.14:
	v_div_scale_f32 v4, s[4:5], v6, v6, v2
	v_rcp_f32_e32 v8, v4
	v_div_scale_f32 v9, vcc, v2, v6, v2
	v_fma_f32 v11, -v4, v8, 1.0
	v_fmac_f32_e32 v8, v11, v8
	v_mul_f32_e32 v11, v9, v8
	v_fma_f32 v12, -v4, v11, v9
	v_fmac_f32_e32 v11, v12, v8
	v_fma_f32 v4, -v4, v11, v9
	v_div_fmas_f32 v4, v4, v8, v11
	v_div_fixup_f32 v4, v4, v6, v2
; %bb.15:
	s_or_b64 exec, exec, s[8:9]
	global_store_dword v[0:1], v4, off offset:128
.LBB445_16:
	s_or_b64 exec, exec, s[6:7]
	v_cmp_ne_u32_e32 vcc, 1, v10
	s_and_b64 exec, exec, vcc
	s_cbranch_execz .LBB445_20
; %bb.17:
	s_and_b64 exec, exec, s[2:3]
	s_cbranch_execz .LBB445_20
; %bb.18:
	v_div_scale_f32 v2, s[2:3], v7, v7, v5
	v_rcp_f32_e32 v4, v2
	s_mov_b32 s15, 0
	s_lshl_b64 s[2:3], s[14:15], 2
	v_fma_f32 v6, -v2, v4, 1.0
	v_fmac_f32_e32 v4, v6, v4
	v_div_scale_f32 v6, vcc, v5, v7, v5
	v_mul_f32_e32 v8, v6, v4
	v_fma_f32 v9, -v2, v8, v6
	v_fmac_f32_e32 v8, v9, v4
	v_fma_f32 v2, -v2, v8, v6
	v_div_fmas_f32 v2, v2, v4, v8
	v_div_fixup_f32 v6, v2, v7, v5
	v_mov_b32_e32 v2, s3
	v_add_co_u32_e32 v4, vcc, s2, v0
	v_addc_co_u32_e32 v5, vcc, v1, v2, vcc
	v_mov_b32_e32 v2, 0x7fc00000
	v_cmp_eq_f32_e64 s[2:3], 0, v7
	v_cndmask_b32_e64 v6, v6, v2, s[2:3]
	global_store_dword v[4:5], v6, off
	s_and_b64 exec, exec, s[0:1]
	s_cbranch_execz .LBB445_20
; %bb.19:
	v_div_scale_f32 v4, s[0:1], v7, v7, v3
	v_rcp_f32_e32 v5, v4
	v_div_scale_f32 v6, vcc, v3, v7, v3
	s_ashr_i32 s15, s14, 31
	v_fma_f32 v8, -v4, v5, 1.0
	v_fmac_f32_e32 v5, v8, v5
	v_mul_f32_e32 v8, v6, v5
	v_fma_f32 v9, -v4, v8, v6
	v_fmac_f32_e32 v8, v9, v5
	v_fma_f32 v4, -v4, v8, v6
	v_div_fmas_f32 v4, v4, v5, v8
	s_lshl_b64 s[0:1], s[14:15], 2
	v_div_fixup_f32 v3, v4, v7, v3
	v_mov_b32_e32 v4, s1
	v_add_co_u32_e32 v0, vcc, s0, v0
	v_addc_co_u32_e32 v1, vcc, v1, v4, vcc
	v_cndmask_b32_e64 v2, v3, v2, s[2:3]
	global_store_dword v[0:1], v2, off offset:128
.LBB445_20:
	s_endpgm
	.section	.rodata,"a",@progbits
	.p2align	6, 0x0
	.amdhsa_kernel _ZN12_GLOBAL__N_120softmax_warp_forwardIN3c104HalfEffLi6ELb0ELb0ELi32EEEvPT0_PKT_iiiPKbib
		.amdhsa_group_segment_fixed_size 0
		.amdhsa_private_segment_fixed_size 0
		.amdhsa_kernarg_size 304
		.amdhsa_user_sgpr_count 6
		.amdhsa_user_sgpr_private_segment_buffer 1
		.amdhsa_user_sgpr_dispatch_ptr 0
		.amdhsa_user_sgpr_queue_ptr 0
		.amdhsa_user_sgpr_kernarg_segment_ptr 1
		.amdhsa_user_sgpr_dispatch_id 0
		.amdhsa_user_sgpr_flat_scratch_init 0
		.amdhsa_user_sgpr_kernarg_preload_length 0
		.amdhsa_user_sgpr_kernarg_preload_offset 0
		.amdhsa_user_sgpr_private_segment_size 0
		.amdhsa_uses_dynamic_stack 0
		.amdhsa_system_sgpr_private_segment_wavefront_offset 0
		.amdhsa_system_sgpr_workgroup_id_x 1
		.amdhsa_system_sgpr_workgroup_id_y 0
		.amdhsa_system_sgpr_workgroup_id_z 0
		.amdhsa_system_sgpr_workgroup_info 0
		.amdhsa_system_vgpr_workitem_id 1
		.amdhsa_next_free_vgpr 17
		.amdhsa_next_free_sgpr 16
		.amdhsa_accum_offset 20
		.amdhsa_reserve_vcc 1
		.amdhsa_reserve_flat_scratch 0
		.amdhsa_float_round_mode_32 0
		.amdhsa_float_round_mode_16_64 0
		.amdhsa_float_denorm_mode_32 3
		.amdhsa_float_denorm_mode_16_64 3
		.amdhsa_dx10_clamp 1
		.amdhsa_ieee_mode 1
		.amdhsa_fp16_overflow 0
		.amdhsa_tg_split 0
		.amdhsa_exception_fp_ieee_invalid_op 0
		.amdhsa_exception_fp_denorm_src 0
		.amdhsa_exception_fp_ieee_div_zero 0
		.amdhsa_exception_fp_ieee_overflow 0
		.amdhsa_exception_fp_ieee_underflow 0
		.amdhsa_exception_fp_ieee_inexact 0
		.amdhsa_exception_int_div_zero 0
	.end_amdhsa_kernel
	.section	.text._ZN12_GLOBAL__N_120softmax_warp_forwardIN3c104HalfEffLi6ELb0ELb0ELi32EEEvPT0_PKT_iiiPKbib,"axG",@progbits,_ZN12_GLOBAL__N_120softmax_warp_forwardIN3c104HalfEffLi6ELb0ELb0ELi32EEEvPT0_PKT_iiiPKbib,comdat
.Lfunc_end445:
	.size	_ZN12_GLOBAL__N_120softmax_warp_forwardIN3c104HalfEffLi6ELb0ELb0ELi32EEEvPT0_PKT_iiiPKbib, .Lfunc_end445-_ZN12_GLOBAL__N_120softmax_warp_forwardIN3c104HalfEffLi6ELb0ELb0ELi32EEEvPT0_PKT_iiiPKbib
                                        ; -- End function
	.section	.AMDGPU.csdata,"",@progbits
; Kernel info:
; codeLenInByte = 1840
; NumSgprs: 20
; NumVgprs: 17
; NumAgprs: 0
; TotalNumVgprs: 17
; ScratchSize: 0
; MemoryBound: 0
; FloatMode: 240
; IeeeMode: 1
; LDSByteSize: 0 bytes/workgroup (compile time only)
; SGPRBlocks: 2
; VGPRBlocks: 2
; NumSGPRsForWavesPerEU: 20
; NumVGPRsForWavesPerEU: 17
; AccumOffset: 20
; Occupancy: 8
; WaveLimiterHint : 0
; COMPUTE_PGM_RSRC2:SCRATCH_EN: 0
; COMPUTE_PGM_RSRC2:USER_SGPR: 6
; COMPUTE_PGM_RSRC2:TRAP_HANDLER: 0
; COMPUTE_PGM_RSRC2:TGID_X_EN: 1
; COMPUTE_PGM_RSRC2:TGID_Y_EN: 0
; COMPUTE_PGM_RSRC2:TGID_Z_EN: 0
; COMPUTE_PGM_RSRC2:TIDIG_COMP_CNT: 1
; COMPUTE_PGM_RSRC3_GFX90A:ACCUM_OFFSET: 4
; COMPUTE_PGM_RSRC3_GFX90A:TG_SPLIT: 0
	.section	.text._ZN12_GLOBAL__N_120softmax_warp_forwardIN3c104HalfEffLi7ELb0ELb0ELi64EEEvPT0_PKT_iiiPKbib,"axG",@progbits,_ZN12_GLOBAL__N_120softmax_warp_forwardIN3c104HalfEffLi7ELb0ELb0ELi64EEEvPT0_PKT_iiiPKbib,comdat
	.globl	_ZN12_GLOBAL__N_120softmax_warp_forwardIN3c104HalfEffLi7ELb0ELb0ELi64EEEvPT0_PKT_iiiPKbib ; -- Begin function _ZN12_GLOBAL__N_120softmax_warp_forwardIN3c104HalfEffLi7ELb0ELb0ELi64EEEvPT0_PKT_iiiPKbib
	.p2align	8
	.type	_ZN12_GLOBAL__N_120softmax_warp_forwardIN3c104HalfEffLi7ELb0ELb0ELi64EEEvPT0_PKT_iiiPKbib,@function
_ZN12_GLOBAL__N_120softmax_warp_forwardIN3c104HalfEffLi7ELb0ELb0ELi64EEEvPT0_PKT_iiiPKbib: ; @_ZN12_GLOBAL__N_120softmax_warp_forwardIN3c104HalfEffLi7ELb0ELb0ELi64EEEvPT0_PKT_iiiPKbib
; %bb.0:
	s_load_dword s0, s[4:5], 0x3c
	s_load_dwordx8 s[8:15], s[4:5], 0x0
	v_bfe_u32 v1, v0, 10, 10
	v_and_b32_e32 v4, 0x3ff, v0
	s_waitcnt lgkmcnt(0)
	s_lshr_b32 s0, s0, 16
	s_mul_i32 s6, s6, s0
	v_add_lshl_u32 v1, s6, v1, 1
	v_sub_u32_e32 v10, s12, v1
	v_mad_u64_u32 v[0:1], s[0:1], v1, s13, v[4:5]
	v_ashrrev_i32_e32 v1, 31, v0
	v_lshlrev_b64 v[2:3], 1, v[0:1]
	v_mov_b32_e32 v5, s11
	v_add_co_u32_e32 v6, vcc, s10, v2
	v_addc_co_u32_e32 v7, vcc, v5, v3, vcc
	v_cmp_lt_i32_e32 vcc, 0, v10
	v_cmp_gt_i32_e64 s[2:3], s14, v4
	s_and_b64 s[4:5], vcc, s[2:3]
	v_mov_b32_e32 v3, 0xff800000
	v_mov_b32_e32 v2, 0xff800000
	s_and_saveexec_b64 s[0:1], s[4:5]
	s_cbranch_execz .LBB446_2
; %bb.1:
	global_load_ushort v2, v[6:7], off
	s_waitcnt vmcnt(0)
	v_cvt_f32_f16_e32 v2, v2
.LBB446_2:
	s_or_b64 exec, exec, s[0:1]
	v_add_u32_e32 v4, 64, v4
	v_cmp_gt_i32_e64 s[0:1], s14, v4
	s_and_b64 s[6:7], vcc, s[0:1]
	s_and_saveexec_b64 s[4:5], s[6:7]
	s_cbranch_execz .LBB446_4
; %bb.3:
	global_load_ushort v3, v[6:7], off offset:128
	s_waitcnt vmcnt(0)
	v_cvt_f32_f16_e32 v3, v3
.LBB446_4:
	s_or_b64 exec, exec, s[4:5]
	v_cmp_lt_i32_e64 s[4:5], 1, v10
	s_and_b64 s[6:7], s[4:5], s[2:3]
	v_mov_b32_e32 v5, 0xff800000
	v_mov_b32_e32 v4, 0xff800000
	s_and_saveexec_b64 s[10:11], s[6:7]
	s_cbranch_execz .LBB446_6
; %bb.5:
	s_mov_b32 s15, 0
	s_lshl_b64 s[6:7], s[14:15], 1
	v_mov_b32_e32 v4, s7
	v_add_co_u32_e64 v8, s[6:7], s6, v6
	v_addc_co_u32_e64 v9, s[6:7], v7, v4, s[6:7]
	global_load_ushort v4, v[8:9], off
	s_waitcnt vmcnt(0)
	v_cvt_f32_f16_e32 v4, v4
.LBB446_6:
	s_or_b64 exec, exec, s[10:11]
	s_and_b64 s[4:5], s[4:5], s[0:1]
	s_and_saveexec_b64 s[6:7], s[4:5]
	s_cbranch_execz .LBB446_8
; %bb.7:
	s_mov_b32 s15, 0
	s_lshl_b64 s[4:5], s[14:15], 1
	v_mov_b32_e32 v5, s5
	v_add_co_u32_e64 v6, s[4:5], s4, v6
	v_addc_co_u32_e64 v7, s[4:5], v7, v5, s[4:5]
	global_load_ushort v5, v[6:7], off offset:128
	s_waitcnt vmcnt(0)
	v_cvt_f32_f16_e32 v5, v5
.LBB446_8:
	s_or_b64 exec, exec, s[6:7]
	v_mbcnt_lo_u32_b32 v7, -1, 0
	v_mbcnt_hi_u32_b32 v7, -1, v7
	v_and_b32_e32 v8, 64, v7
	v_cmp_gt_f32_e64 s[4:5], v2, v3
	v_add_u32_e32 v8, 64, v8
	v_xor_b32_e32 v9, 32, v7
	v_cndmask_b32_e64 v6, v3, v2, s[4:5]
	v_cmp_lt_i32_e64 s[4:5], v9, v8
	v_cndmask_b32_e64 v9, v7, v9, s[4:5]
	v_lshlrev_b32_e32 v11, 2, v9
	ds_bpermute_b32 v9, v11, v6
	v_cmp_gt_f32_e64 s[4:5], v4, v5
	v_cndmask_b32_e64 v12, v5, v4, s[4:5]
	v_xor_b32_e32 v13, 16, v7
	s_mov_b32 s6, 0x3fb8aa3b
	s_waitcnt lgkmcnt(0)
	v_cmp_lt_f32_e64 s[4:5], v6, v9
	v_cndmask_b32_e64 v6, v6, v9, s[4:5]
	v_cmp_lt_i32_e64 s[4:5], v13, v8
	v_cndmask_b32_e64 v13, v7, v13, s[4:5]
	ds_bpermute_b32 v9, v11, v12
	v_lshlrev_b32_e32 v13, 2, v13
	ds_bpermute_b32 v14, v13, v6
	s_mov_b32 s7, 0xc2ce8ed0
	s_mov_b32 s10, 0x42b17218
	s_waitcnt lgkmcnt(1)
	v_cmp_lt_f32_e64 s[4:5], v12, v9
	v_cndmask_b32_e64 v9, v12, v9, s[4:5]
	s_waitcnt lgkmcnt(0)
	v_cmp_lt_f32_e64 s[4:5], v6, v14
	v_cndmask_b32_e64 v6, v6, v14, s[4:5]
	v_xor_b32_e32 v14, 8, v7
	v_cmp_lt_i32_e64 s[4:5], v14, v8
	v_cndmask_b32_e64 v14, v7, v14, s[4:5]
	ds_bpermute_b32 v12, v13, v9
	v_lshlrev_b32_e32 v14, 2, v14
	ds_bpermute_b32 v15, v14, v6
	s_waitcnt lgkmcnt(1)
	v_cmp_lt_f32_e64 s[4:5], v9, v12
	v_cndmask_b32_e64 v9, v9, v12, s[4:5]
	s_waitcnt lgkmcnt(0)
	v_cmp_lt_f32_e64 s[4:5], v6, v15
	v_cndmask_b32_e64 v6, v6, v15, s[4:5]
	v_xor_b32_e32 v15, 4, v7
	v_cmp_lt_i32_e64 s[4:5], v15, v8
	v_cndmask_b32_e64 v15, v7, v15, s[4:5]
	ds_bpermute_b32 v12, v14, v9
	v_lshlrev_b32_e32 v15, 2, v15
	ds_bpermute_b32 v16, v15, v6
	;; [unrolled: 12-line block ×4, first 2 shown]
	s_waitcnt lgkmcnt(1)
	v_cmp_lt_f32_e64 s[4:5], v9, v12
	v_cndmask_b32_e64 v8, v9, v12, s[4:5]
	s_waitcnt lgkmcnt(0)
	v_cmp_lt_f32_e64 s[4:5], v6, v7
	v_cndmask_b32_e64 v6, v6, v7, s[4:5]
	v_pk_add_f32 v[6:7], v[2:3], v[6:7] op_sel_hi:[1,0] neg_lo:[0,1] neg_hi:[0,1]
	v_mul_f32_e32 v2, 0x3fb8aa3b, v7
	v_fma_f32 v3, v7, s6, -v2
	v_rndne_f32_e32 v12, v2
	v_fmac_f32_e32 v3, 0x32a5705f, v7
	v_sub_f32_e32 v2, v2, v12
	ds_bpermute_b32 v9, v17, v8
	v_add_f32_e32 v2, v2, v3
	v_exp_f32_e32 v2, v2
	v_cvt_i32_f32_e32 v3, v12
	s_waitcnt lgkmcnt(0)
	v_cmp_lt_f32_e64 s[4:5], v8, v9
	v_cndmask_b32_e64 v8, v8, v9, s[4:5]
	v_ldexp_f32 v2, v2, v3
	v_mul_f32_e32 v3, 0x3fb8aa3b, v6
	v_fma_f32 v9, v6, s6, -v3
	v_rndne_f32_e32 v12, v3
	v_fmac_f32_e32 v9, 0x32a5705f, v6
	v_sub_f32_e32 v3, v3, v12
	v_add_f32_e32 v3, v3, v9
	v_exp_f32_e32 v3, v3
	v_cvt_i32_f32_e32 v9, v12
	v_cmp_ngt_f32_e64 s[4:5], s7, v7
	v_cndmask_b32_e64 v2, 0, v2, s[4:5]
	v_cmp_nlt_f32_e64 s[4:5], s10, v7
	v_ldexp_f32 v3, v3, v9
	v_pk_add_f32 v[8:9], v[4:5], v[8:9] op_sel_hi:[1,0] neg_lo:[0,1] neg_hi:[0,1]
	v_mul_f32_e32 v4, 0x3fb8aa3b, v9
	v_fma_f32 v5, v9, s6, -v4
	v_rndne_f32_e32 v7, v4
	v_fmac_f32_e32 v5, 0x32a5705f, v9
	v_sub_f32_e32 v4, v4, v7
	v_add_f32_e32 v4, v4, v5
	v_exp_f32_e32 v5, v4
	v_cvt_i32_f32_e32 v7, v7
	v_mov_b32_e32 v12, 0x7f800000
	v_cndmask_b32_e64 v2, v12, v2, s[4:5]
	v_cmp_ngt_f32_e64 s[4:5], s7, v6
	v_cndmask_b32_e64 v3, 0, v3, s[4:5]
	v_cmp_nlt_f32_e64 s[4:5], s10, v6
	v_cndmask_b32_e64 v4, v12, v3, s[4:5]
	v_ldexp_f32 v3, v5, v7
	v_mul_f32_e32 v5, 0x3fb8aa3b, v8
	v_fma_f32 v6, v8, s6, -v5
	v_rndne_f32_e32 v7, v5
	v_fmac_f32_e32 v6, 0x32a5705f, v8
	v_sub_f32_e32 v5, v5, v7
	v_add_f32_e32 v5, v5, v6
	v_exp_f32_e32 v5, v5
	v_cvt_i32_f32_e32 v6, v7
	v_cmp_ngt_f32_e64 s[4:5], s7, v9
	v_cndmask_b32_e64 v3, 0, v3, s[4:5]
	v_cmp_nlt_f32_e64 s[4:5], s10, v9
	v_cndmask_b32_e64 v3, v12, v3, s[4:5]
	v_ldexp_f32 v5, v5, v6
	v_cmp_ngt_f32_e64 s[4:5], s7, v8
	v_cndmask_b32_e64 v5, 0, v5, s[4:5]
	v_cmp_nlt_f32_e64 s[4:5], s10, v8
	v_cndmask_b32_e64 v5, v12, v5, s[4:5]
	v_pk_add_f32 v[6:7], v[4:5], v[2:3]
	ds_bpermute_b32 v8, v11, v6
	ds_bpermute_b32 v9, v11, v7
	s_waitcnt lgkmcnt(0)
	v_pk_add_f32 v[6:7], v[6:7], v[8:9]
	ds_bpermute_b32 v8, v13, v6
	ds_bpermute_b32 v9, v13, v7
	s_waitcnt lgkmcnt(0)
	;; [unrolled: 4-line block ×5, first 2 shown]
	v_pk_add_f32 v[6:7], v[6:7], v[8:9]
	ds_bpermute_b32 v8, v17, v6
	ds_bpermute_b32 v9, v17, v7
	s_and_saveexec_b64 s[4:5], vcc
	s_cbranch_execz .LBB446_20
; %bb.9:
	v_lshlrev_b64 v[0:1], 2, v[0:1]
	v_mov_b32_e32 v11, s9
	v_add_co_u32_e32 v0, vcc, s8, v0
	v_addc_co_u32_e32 v1, vcc, v11, v1, vcc
	s_waitcnt lgkmcnt(0)
	v_pk_add_f32 v[6:7], v[6:7], v[8:9]
	s_and_saveexec_b64 s[6:7], s[2:3]
	s_cbranch_execz .LBB446_16
; %bb.10:
	v_cmp_neq_f32_e64 s[4:5], 0, v6
	v_mov_b32_e32 v8, 0x7fc00000
	s_and_saveexec_b64 s[8:9], s[4:5]
; %bb.11:
	v_div_scale_f32 v8, s[10:11], v6, v6, v4
	v_rcp_f32_e32 v9, v8
	v_div_scale_f32 v11, vcc, v4, v6, v4
	v_fma_f32 v12, -v8, v9, 1.0
	v_fmac_f32_e32 v9, v12, v9
	v_mul_f32_e32 v12, v11, v9
	v_fma_f32 v13, -v8, v12, v11
	v_fmac_f32_e32 v12, v13, v9
	v_fma_f32 v8, -v8, v12, v11
	v_div_fmas_f32 v8, v8, v9, v12
	v_div_fixup_f32 v8, v8, v6, v4
; %bb.12:
	s_or_b64 exec, exec, s[8:9]
	global_store_dword v[0:1], v8, off
	s_and_b64 exec, exec, s[0:1]
	s_cbranch_execz .LBB446_16
; %bb.13:
	v_mov_b32_e32 v4, 0x7fc00000
	s_and_saveexec_b64 s[8:9], s[4:5]
; %bb.14:
	v_div_scale_f32 v4, s[4:5], v6, v6, v2
	v_rcp_f32_e32 v8, v4
	v_div_scale_f32 v9, vcc, v2, v6, v2
	v_fma_f32 v11, -v4, v8, 1.0
	v_fmac_f32_e32 v8, v11, v8
	v_mul_f32_e32 v11, v9, v8
	v_fma_f32 v12, -v4, v11, v9
	v_fmac_f32_e32 v11, v12, v8
	v_fma_f32 v4, -v4, v11, v9
	v_div_fmas_f32 v4, v4, v8, v11
	v_div_fixup_f32 v4, v4, v6, v2
; %bb.15:
	s_or_b64 exec, exec, s[8:9]
	global_store_dword v[0:1], v4, off offset:256
.LBB446_16:
	s_or_b64 exec, exec, s[6:7]
	v_cmp_ne_u32_e32 vcc, 1, v10
	s_and_b64 exec, exec, vcc
	s_cbranch_execz .LBB446_20
; %bb.17:
	s_and_b64 exec, exec, s[2:3]
	s_cbranch_execz .LBB446_20
; %bb.18:
	v_div_scale_f32 v2, s[2:3], v7, v7, v5
	v_rcp_f32_e32 v4, v2
	s_mov_b32 s15, 0
	s_lshl_b64 s[2:3], s[14:15], 2
	v_fma_f32 v6, -v2, v4, 1.0
	v_fmac_f32_e32 v4, v6, v4
	v_div_scale_f32 v6, vcc, v5, v7, v5
	v_mul_f32_e32 v8, v6, v4
	v_fma_f32 v9, -v2, v8, v6
	v_fmac_f32_e32 v8, v9, v4
	v_fma_f32 v2, -v2, v8, v6
	v_div_fmas_f32 v2, v2, v4, v8
	v_div_fixup_f32 v6, v2, v7, v5
	v_mov_b32_e32 v2, s3
	v_add_co_u32_e32 v4, vcc, s2, v0
	v_addc_co_u32_e32 v5, vcc, v1, v2, vcc
	v_mov_b32_e32 v2, 0x7fc00000
	v_cmp_eq_f32_e64 s[2:3], 0, v7
	v_cndmask_b32_e64 v6, v6, v2, s[2:3]
	global_store_dword v[4:5], v6, off
	s_and_b64 exec, exec, s[0:1]
	s_cbranch_execz .LBB446_20
; %bb.19:
	v_div_scale_f32 v4, s[0:1], v7, v7, v3
	v_rcp_f32_e32 v5, v4
	v_div_scale_f32 v6, vcc, v3, v7, v3
	s_ashr_i32 s15, s14, 31
	v_fma_f32 v8, -v4, v5, 1.0
	v_fmac_f32_e32 v5, v8, v5
	v_mul_f32_e32 v8, v6, v5
	v_fma_f32 v9, -v4, v8, v6
	v_fmac_f32_e32 v8, v9, v5
	v_fma_f32 v4, -v4, v8, v6
	v_div_fmas_f32 v4, v4, v5, v8
	s_lshl_b64 s[0:1], s[14:15], 2
	v_div_fixup_f32 v3, v4, v7, v3
	v_mov_b32_e32 v4, s1
	v_add_co_u32_e32 v0, vcc, s0, v0
	v_addc_co_u32_e32 v1, vcc, v1, v4, vcc
	v_cndmask_b32_e64 v2, v3, v2, s[2:3]
	global_store_dword v[0:1], v2, off offset:256
.LBB446_20:
	s_endpgm
	.section	.rodata,"a",@progbits
	.p2align	6, 0x0
	.amdhsa_kernel _ZN12_GLOBAL__N_120softmax_warp_forwardIN3c104HalfEffLi7ELb0ELb0ELi64EEEvPT0_PKT_iiiPKbib
		.amdhsa_group_segment_fixed_size 0
		.amdhsa_private_segment_fixed_size 0
		.amdhsa_kernarg_size 304
		.amdhsa_user_sgpr_count 6
		.amdhsa_user_sgpr_private_segment_buffer 1
		.amdhsa_user_sgpr_dispatch_ptr 0
		.amdhsa_user_sgpr_queue_ptr 0
		.amdhsa_user_sgpr_kernarg_segment_ptr 1
		.amdhsa_user_sgpr_dispatch_id 0
		.amdhsa_user_sgpr_flat_scratch_init 0
		.amdhsa_user_sgpr_kernarg_preload_length 0
		.amdhsa_user_sgpr_kernarg_preload_offset 0
		.amdhsa_user_sgpr_private_segment_size 0
		.amdhsa_uses_dynamic_stack 0
		.amdhsa_system_sgpr_private_segment_wavefront_offset 0
		.amdhsa_system_sgpr_workgroup_id_x 1
		.amdhsa_system_sgpr_workgroup_id_y 0
		.amdhsa_system_sgpr_workgroup_id_z 0
		.amdhsa_system_sgpr_workgroup_info 0
		.amdhsa_system_vgpr_workitem_id 1
		.amdhsa_next_free_vgpr 18
		.amdhsa_next_free_sgpr 16
		.amdhsa_accum_offset 20
		.amdhsa_reserve_vcc 1
		.amdhsa_reserve_flat_scratch 0
		.amdhsa_float_round_mode_32 0
		.amdhsa_float_round_mode_16_64 0
		.amdhsa_float_denorm_mode_32 3
		.amdhsa_float_denorm_mode_16_64 3
		.amdhsa_dx10_clamp 1
		.amdhsa_ieee_mode 1
		.amdhsa_fp16_overflow 0
		.amdhsa_tg_split 0
		.amdhsa_exception_fp_ieee_invalid_op 0
		.amdhsa_exception_fp_denorm_src 0
		.amdhsa_exception_fp_ieee_div_zero 0
		.amdhsa_exception_fp_ieee_overflow 0
		.amdhsa_exception_fp_ieee_underflow 0
		.amdhsa_exception_fp_ieee_inexact 0
		.amdhsa_exception_int_div_zero 0
	.end_amdhsa_kernel
	.section	.text._ZN12_GLOBAL__N_120softmax_warp_forwardIN3c104HalfEffLi7ELb0ELb0ELi64EEEvPT0_PKT_iiiPKbib,"axG",@progbits,_ZN12_GLOBAL__N_120softmax_warp_forwardIN3c104HalfEffLi7ELb0ELb0ELi64EEEvPT0_PKT_iiiPKbib,comdat
.Lfunc_end446:
	.size	_ZN12_GLOBAL__N_120softmax_warp_forwardIN3c104HalfEffLi7ELb0ELb0ELi64EEEvPT0_PKT_iiiPKbib, .Lfunc_end446-_ZN12_GLOBAL__N_120softmax_warp_forwardIN3c104HalfEffLi7ELb0ELb0ELi64EEEvPT0_PKT_iiiPKbib
                                        ; -- End function
	.section	.AMDGPU.csdata,"",@progbits
; Kernel info:
; codeLenInByte = 1944
; NumSgprs: 20
; NumVgprs: 18
; NumAgprs: 0
; TotalNumVgprs: 18
; ScratchSize: 0
; MemoryBound: 0
; FloatMode: 240
; IeeeMode: 1
; LDSByteSize: 0 bytes/workgroup (compile time only)
; SGPRBlocks: 2
; VGPRBlocks: 2
; NumSGPRsForWavesPerEU: 20
; NumVGPRsForWavesPerEU: 18
; AccumOffset: 20
; Occupancy: 8
; WaveLimiterHint : 0
; COMPUTE_PGM_RSRC2:SCRATCH_EN: 0
; COMPUTE_PGM_RSRC2:USER_SGPR: 6
; COMPUTE_PGM_RSRC2:TRAP_HANDLER: 0
; COMPUTE_PGM_RSRC2:TGID_X_EN: 1
; COMPUTE_PGM_RSRC2:TGID_Y_EN: 0
; COMPUTE_PGM_RSRC2:TGID_Z_EN: 0
; COMPUTE_PGM_RSRC2:TIDIG_COMP_CNT: 1
; COMPUTE_PGM_RSRC3_GFX90A:ACCUM_OFFSET: 4
; COMPUTE_PGM_RSRC3_GFX90A:TG_SPLIT: 0
	.section	.text._ZN12_GLOBAL__N_120softmax_warp_forwardIN3c104HalfEffLi7ELb0ELb0ELi32EEEvPT0_PKT_iiiPKbib,"axG",@progbits,_ZN12_GLOBAL__N_120softmax_warp_forwardIN3c104HalfEffLi7ELb0ELb0ELi32EEEvPT0_PKT_iiiPKbib,comdat
	.globl	_ZN12_GLOBAL__N_120softmax_warp_forwardIN3c104HalfEffLi7ELb0ELb0ELi32EEEvPT0_PKT_iiiPKbib ; -- Begin function _ZN12_GLOBAL__N_120softmax_warp_forwardIN3c104HalfEffLi7ELb0ELb0ELi32EEEvPT0_PKT_iiiPKbib
	.p2align	8
	.type	_ZN12_GLOBAL__N_120softmax_warp_forwardIN3c104HalfEffLi7ELb0ELb0ELi32EEEvPT0_PKT_iiiPKbib,@function
_ZN12_GLOBAL__N_120softmax_warp_forwardIN3c104HalfEffLi7ELb0ELb0ELi32EEEvPT0_PKT_iiiPKbib: ; @_ZN12_GLOBAL__N_120softmax_warp_forwardIN3c104HalfEffLi7ELb0ELb0ELi32EEEvPT0_PKT_iiiPKbib
; %bb.0:
	s_load_dword s0, s[4:5], 0x3c
	s_load_dwordx8 s[12:19], s[4:5], 0x0
	v_bfe_u32 v1, v0, 10, 10
	v_and_b32_e32 v6, 0x3ff, v0
	v_mov_b32_e32 v5, 0xff800000
	s_waitcnt lgkmcnt(0)
	s_lshr_b32 s0, s0, 16
	s_mul_i32 s6, s6, s0
	v_add_lshl_u32 v1, s6, v1, 1
	v_sub_u32_e32 v16, s16, v1
	v_mad_u64_u32 v[0:1], s[0:1], v1, s17, v[6:7]
	v_ashrrev_i32_e32 v1, 31, v0
	v_lshlrev_b64 v[2:3], 1, v[0:1]
	v_mov_b32_e32 v4, s15
	v_add_co_u32_e32 v8, vcc, s14, v2
	v_addc_co_u32_e32 v9, vcc, v4, v3, vcc
	v_cmp_lt_i32_e32 vcc, 0, v16
	v_cmp_gt_i32_e64 s[6:7], s18, v6
	s_and_b64 s[2:3], vcc, s[6:7]
	v_mov_b32_e32 v4, 0xff800000
	s_and_saveexec_b64 s[0:1], s[2:3]
	s_cbranch_execz .LBB447_2
; %bb.1:
	global_load_ushort v2, v[8:9], off
	s_waitcnt vmcnt(0)
	v_cvt_f32_f16_e32 v4, v2
.LBB447_2:
	s_or_b64 exec, exec, s[0:1]
	v_add_u32_e32 v2, 32, v6
	v_cmp_gt_i32_e64 s[4:5], s18, v2
	s_and_b64 s[2:3], vcc, s[4:5]
	s_and_saveexec_b64 s[0:1], s[2:3]
	s_cbranch_execz .LBB447_4
; %bb.3:
	global_load_ushort v2, v[8:9], off offset:64
	s_waitcnt vmcnt(0)
	v_cvt_f32_f16_e32 v5, v2
.LBB447_4:
	s_or_b64 exec, exec, s[0:1]
	v_add_u32_e32 v2, 64, v6
	v_cmp_gt_i32_e64 s[2:3], s18, v2
	s_and_b64 s[8:9], vcc, s[2:3]
	v_mov_b32_e32 v3, 0xff800000
	v_mov_b32_e32 v2, 0xff800000
	s_and_saveexec_b64 s[0:1], s[8:9]
	s_cbranch_execz .LBB447_6
; %bb.5:
	global_load_ushort v2, v[8:9], off offset:128
	s_waitcnt vmcnt(0)
	v_cvt_f32_f16_e32 v2, v2
.LBB447_6:
	s_or_b64 exec, exec, s[0:1]
	v_add_u32_e32 v6, 0x60, v6
	v_cmp_gt_i32_e64 s[0:1], s18, v6
	s_and_b64 s[10:11], vcc, s[0:1]
	s_and_saveexec_b64 s[8:9], s[10:11]
	s_cbranch_execz .LBB447_8
; %bb.7:
	global_load_ushort v3, v[8:9], off offset:192
	s_waitcnt vmcnt(0)
	v_cvt_f32_f16_e32 v3, v3
.LBB447_8:
	s_or_b64 exec, exec, s[8:9]
	v_cmp_lt_i32_e64 s[8:9], 1, v16
	s_and_b64 s[10:11], s[8:9], s[6:7]
	v_mov_b32_e32 v7, 0xff800000
	v_mov_b32_e32 v6, 0xff800000
	s_and_saveexec_b64 s[14:15], s[10:11]
	s_cbranch_execz .LBB447_10
; %bb.9:
	s_mov_b32 s19, 0
	s_lshl_b64 s[10:11], s[18:19], 1
	v_mov_b32_e32 v6, s11
	v_add_co_u32_e64 v10, s[10:11], s10, v8
	v_addc_co_u32_e64 v11, s[10:11], v9, v6, s[10:11]
	global_load_ushort v6, v[10:11], off
	s_waitcnt vmcnt(0)
	v_cvt_f32_f16_e32 v6, v6
.LBB447_10:
	s_or_b64 exec, exec, s[14:15]
	s_and_b64 s[10:11], s[8:9], s[4:5]
	s_and_saveexec_b64 s[14:15], s[10:11]
	s_cbranch_execz .LBB447_12
; %bb.11:
	s_mov_b32 s19, 0
	s_lshl_b64 s[10:11], s[18:19], 1
	v_mov_b32_e32 v7, s11
	v_add_co_u32_e64 v10, s[10:11], s10, v8
	v_addc_co_u32_e64 v11, s[10:11], v9, v7, s[10:11]
	global_load_ushort v7, v[10:11], off offset:64
	s_waitcnt vmcnt(0)
	v_cvt_f32_f16_e32 v7, v7
.LBB447_12:
	s_or_b64 exec, exec, s[14:15]
	s_and_b64 s[10:11], s[8:9], s[2:3]
	v_mov_b32_e32 v11, 0xff800000
	v_mov_b32_e32 v10, 0xff800000
	s_and_saveexec_b64 s[14:15], s[10:11]
	s_cbranch_execz .LBB447_14
; %bb.13:
	s_mov_b32 s19, 0
	s_lshl_b64 s[10:11], s[18:19], 1
	v_mov_b32_e32 v10, s11
	v_add_co_u32_e64 v12, s[10:11], s10, v8
	v_addc_co_u32_e64 v13, s[10:11], v9, v10, s[10:11]
	global_load_ushort v10, v[12:13], off offset:128
	s_waitcnt vmcnt(0)
	v_cvt_f32_f16_e32 v10, v10
.LBB447_14:
	s_or_b64 exec, exec, s[14:15]
	s_and_b64 s[8:9], s[8:9], s[0:1]
	s_and_saveexec_b64 s[10:11], s[8:9]
	s_cbranch_execz .LBB447_16
; %bb.15:
	s_mov_b32 s19, 0
	s_lshl_b64 s[8:9], s[18:19], 1
	v_mov_b32_e32 v11, s9
	v_add_co_u32_e64 v8, s[8:9], s8, v8
	v_addc_co_u32_e64 v9, s[8:9], v9, v11, s[8:9]
	global_load_ushort v8, v[8:9], off offset:192
	s_waitcnt vmcnt(0)
	v_cvt_f32_f16_e32 v11, v8
.LBB447_16:
	s_or_b64 exec, exec, s[10:11]
	v_cmp_gt_f32_e64 s[8:9], v4, v5
	v_cndmask_b32_e64 v8, v5, v4, s[8:9]
	v_cmp_gt_f32_e64 s[8:9], v8, v2
	v_mbcnt_lo_u32_b32 v12, -1, 0
	v_cndmask_b32_e64 v8, v2, v8, s[8:9]
	v_mbcnt_hi_u32_b32 v12, -1, v12
	v_cmp_gt_f32_e64 s[8:9], v8, v3
	v_and_b32_e32 v13, 0x60, v12
	v_cndmask_b32_e64 v8, v3, v8, s[8:9]
	v_cmp_gt_f32_e64 s[8:9], v6, v7
	v_add_u32_e32 v13, 32, v13
	v_xor_b32_e32 v14, 16, v12
	v_cndmask_b32_e64 v9, v7, v6, s[8:9]
	v_cmp_lt_i32_e64 s[8:9], v14, v13
	v_cndmask_b32_e64 v14, v12, v14, s[8:9]
	v_lshlrev_b32_e32 v15, 2, v14
	ds_bpermute_b32 v14, v15, v8
	v_cmp_gt_f32_e64 s[8:9], v9, v10
	v_cndmask_b32_e64 v9, v10, v9, s[8:9]
	v_cmp_gt_f32_e64 s[8:9], v9, v11
	v_cndmask_b32_e64 v9, v11, v9, s[8:9]
	s_waitcnt lgkmcnt(0)
	v_cmp_lt_f32_e64 s[8:9], v8, v14
	v_xor_b32_e32 v17, 8, v12
	v_cndmask_b32_e64 v8, v8, v14, s[8:9]
	v_cmp_lt_i32_e64 s[8:9], v17, v13
	v_cndmask_b32_e64 v17, v12, v17, s[8:9]
	ds_bpermute_b32 v14, v15, v9
	v_lshlrev_b32_e32 v17, 2, v17
	ds_bpermute_b32 v18, v17, v8
	s_mov_b32 s10, 0x3fb8aa3b
	s_mov_b32 s11, 0xc2ce8ed0
	s_waitcnt lgkmcnt(1)
	v_cmp_lt_f32_e64 s[8:9], v9, v14
	v_cndmask_b32_e64 v9, v9, v14, s[8:9]
	s_waitcnt lgkmcnt(0)
	v_cmp_lt_f32_e64 s[8:9], v8, v18
	v_cndmask_b32_e64 v8, v8, v18, s[8:9]
	v_xor_b32_e32 v18, 4, v12
	v_cmp_lt_i32_e64 s[8:9], v18, v13
	v_cndmask_b32_e64 v18, v12, v18, s[8:9]
	ds_bpermute_b32 v14, v17, v9
	v_lshlrev_b32_e32 v20, 2, v18
	ds_bpermute_b32 v18, v20, v8
	s_mov_b32 s14, 0x42b17218
	v_mov_b32_e32 v23, 0x7f800000
	s_waitcnt lgkmcnt(1)
	v_cmp_lt_f32_e64 s[8:9], v9, v14
	v_cndmask_b32_e64 v9, v9, v14, s[8:9]
	s_waitcnt lgkmcnt(0)
	v_cmp_lt_f32_e64 s[8:9], v8, v18
	v_cndmask_b32_e64 v8, v8, v18, s[8:9]
	v_xor_b32_e32 v18, 2, v12
	v_cmp_lt_i32_e64 s[8:9], v18, v13
	v_cndmask_b32_e64 v18, v12, v18, s[8:9]
	ds_bpermute_b32 v14, v20, v9
	v_lshlrev_b32_e32 v21, 2, v18
	ds_bpermute_b32 v18, v21, v8
	s_waitcnt lgkmcnt(1)
	v_cmp_lt_f32_e64 s[8:9], v9, v14
	v_cndmask_b32_e64 v9, v9, v14, s[8:9]
	s_waitcnt lgkmcnt(0)
	v_cmp_lt_f32_e64 s[8:9], v8, v18
	v_cndmask_b32_e64 v8, v8, v18, s[8:9]
	v_xor_b32_e32 v18, 1, v12
	v_cmp_lt_i32_e64 s[8:9], v18, v13
	v_cndmask_b32_e64 v12, v12, v18, s[8:9]
	ds_bpermute_b32 v14, v21, v9
	v_lshlrev_b32_e32 v22, 2, v12
	ds_bpermute_b32 v12, v22, v8
	s_waitcnt lgkmcnt(1)
	v_cmp_lt_f32_e64 s[8:9], v9, v14
	v_cndmask_b32_e64 v9, v9, v14, s[8:9]
	s_waitcnt lgkmcnt(0)
	v_cmp_lt_f32_e64 s[8:9], v8, v12
	v_cndmask_b32_e64 v8, v8, v12, s[8:9]
	v_pk_add_f32 v[12:13], v[4:5], v[8:9] op_sel_hi:[1,0] neg_lo:[0,1] neg_hi:[0,1]
	v_mul_f32_e32 v4, 0x3fb8aa3b, v13
	v_fma_f32 v5, v13, s10, -v4
	v_rndne_f32_e32 v18, v4
	v_fmac_f32_e32 v5, 0x32a5705f, v13
	v_sub_f32_e32 v4, v4, v18
	ds_bpermute_b32 v14, v22, v9
	v_add_f32_e32 v4, v4, v5
	v_exp_f32_e32 v4, v4
	v_cvt_i32_f32_e32 v5, v18
	s_waitcnt lgkmcnt(0)
	v_cmp_lt_f32_e64 s[8:9], v9, v14
	v_cndmask_b32_e64 v14, v9, v14, s[8:9]
	v_ldexp_f32 v4, v4, v5
	v_mul_f32_e32 v5, 0x3fb8aa3b, v12
	v_fma_f32 v9, v12, s10, -v5
	v_rndne_f32_e32 v18, v5
	v_fmac_f32_e32 v9, 0x32a5705f, v12
	v_sub_f32_e32 v5, v5, v18
	v_add_f32_e32 v5, v5, v9
	v_cvt_i32_f32_e32 v9, v18
	v_exp_f32_e32 v5, v5
	v_cmp_ngt_f32_e64 s[8:9], s11, v13
	v_cndmask_b32_e64 v4, 0, v4, s[8:9]
	v_pk_add_f32 v[18:19], v[2:3], v[8:9] op_sel_hi:[1,0] neg_lo:[0,1] neg_hi:[0,1]
	v_mul_f32_e32 v2, 0x3fb8aa3b, v19
	v_fma_f32 v3, v19, s10, -v2
	v_rndne_f32_e32 v8, v2
	v_fmac_f32_e32 v3, 0x32a5705f, v19
	v_sub_f32_e32 v2, v2, v8
	v_add_f32_e32 v2, v2, v3
	v_exp_f32_e32 v2, v2
	v_cvt_i32_f32_e32 v3, v8
	v_cmp_nlt_f32_e64 s[8:9], s14, v13
	v_cndmask_b32_e64 v4, v23, v4, s[8:9]
	v_ldexp_f32 v5, v5, v9
	v_cmp_ngt_f32_e64 s[8:9], s11, v12
	v_cndmask_b32_e64 v5, 0, v5, s[8:9]
	v_cmp_nlt_f32_e64 s[8:9], s14, v12
	v_ldexp_f32 v2, v2, v3
	v_mul_f32_e32 v3, 0x3fb8aa3b, v18
	v_cndmask_b32_e64 v8, v23, v5, s[8:9]
	v_fma_f32 v5, v18, s10, -v3
	v_rndne_f32_e32 v9, v3
	v_fmac_f32_e32 v5, 0x32a5705f, v18
	v_sub_f32_e32 v3, v3, v9
	v_add_f32_e32 v3, v3, v5
	v_exp_f32_e32 v3, v3
	v_cvt_i32_f32_e32 v5, v9
	v_pk_add_f32 v[12:13], v[6:7], v[14:15] op_sel_hi:[1,0] neg_lo:[0,1] neg_hi:[0,1]
	v_cmp_ngt_f32_e64 s[8:9], s11, v19
	v_cndmask_b32_e64 v2, 0, v2, s[8:9]
	v_ldexp_f32 v3, v3, v5
	v_mul_f32_e32 v5, 0x3fb8aa3b, v13
	v_fma_f32 v6, v13, s10, -v5
	v_rndne_f32_e32 v7, v5
	v_fmac_f32_e32 v6, 0x32a5705f, v13
	v_sub_f32_e32 v5, v5, v7
	v_add_f32_e32 v5, v5, v6
	v_exp_f32_e32 v5, v5
	v_cvt_i32_f32_e32 v7, v7
	v_cmp_nlt_f32_e64 s[8:9], s14, v19
	v_cndmask_b32_e64 v2, v23, v2, s[8:9]
	v_cmp_ngt_f32_e64 s[8:9], s11, v18
	v_cndmask_b32_e64 v3, 0, v3, s[8:9]
	v_cmp_nlt_f32_e64 s[8:9], s14, v18
	v_cndmask_b32_e64 v6, v23, v3, s[8:9]
	v_ldexp_f32 v3, v5, v7
	v_mul_f32_e32 v5, 0x3fb8aa3b, v12
	v_fma_f32 v7, v12, s10, -v5
	v_rndne_f32_e32 v9, v5
	v_fmac_f32_e32 v7, 0x32a5705f, v12
	v_sub_f32_e32 v5, v5, v9
	v_add_f32_e32 v5, v5, v7
	v_exp_f32_e32 v7, v5
	v_cvt_i32_f32_e32 v9, v9
	v_cmp_ngt_f32_e64 s[8:9], s11, v13
	v_cndmask_b32_e64 v3, 0, v3, s[8:9]
	v_cmp_nlt_f32_e64 s[8:9], s14, v13
	v_pk_add_f32 v[10:11], v[10:11], v[14:15] op_sel_hi:[1,0] neg_lo:[0,1] neg_hi:[0,1]
	v_cndmask_b32_e64 v5, v23, v3, s[8:9]
	v_ldexp_f32 v3, v7, v9
	v_mul_f32_e32 v7, 0x3fb8aa3b, v11
	v_fma_f32 v9, v11, s10, -v7
	v_rndne_f32_e32 v13, v7
	v_fmac_f32_e32 v9, 0x32a5705f, v11
	v_sub_f32_e32 v7, v7, v13
	v_add_f32_e32 v7, v7, v9
	v_exp_f32_e32 v7, v7
	v_cvt_i32_f32_e32 v13, v13
	v_cmp_ngt_f32_e64 s[8:9], s11, v12
	v_cndmask_b32_e64 v3, 0, v3, s[8:9]
	v_cmp_nlt_f32_e64 s[8:9], s14, v12
	v_cndmask_b32_e64 v9, v23, v3, s[8:9]
	v_ldexp_f32 v3, v7, v13
	v_mul_f32_e32 v7, 0x3fb8aa3b, v10
	v_fma_f32 v12, v10, s10, -v7
	v_rndne_f32_e32 v13, v7
	v_fmac_f32_e32 v12, 0x32a5705f, v10
	v_sub_f32_e32 v7, v7, v13
	v_add_f32_e32 v7, v7, v12
	v_exp_f32_e32 v7, v7
	v_cvt_i32_f32_e32 v12, v13
	v_cmp_ngt_f32_e64 s[8:9], s11, v11
	v_cndmask_b32_e64 v3, 0, v3, s[8:9]
	v_cmp_nlt_f32_e64 s[8:9], s14, v11
	v_cndmask_b32_e64 v3, v23, v3, s[8:9]
	v_ldexp_f32 v7, v7, v12
	v_cmp_ngt_f32_e64 s[8:9], s11, v10
	v_cndmask_b32_e64 v7, 0, v7, s[8:9]
	v_cmp_nlt_f32_e64 s[8:9], s14, v10
	v_cndmask_b32_e64 v7, v23, v7, s[8:9]
	v_pk_add_f32 v[10:11], v[8:9], v[4:5]
	v_pk_add_f32 v[10:11], v[10:11], v[6:7]
	;; [unrolled: 1-line block ×3, first 2 shown]
	ds_bpermute_b32 v12, v15, v10
	ds_bpermute_b32 v13, v15, v11
	s_waitcnt lgkmcnt(0)
	v_pk_add_f32 v[10:11], v[10:11], v[12:13]
	ds_bpermute_b32 v12, v17, v10
	ds_bpermute_b32 v13, v17, v11
	s_waitcnt lgkmcnt(0)
	v_pk_add_f32 v[10:11], v[10:11], v[12:13]
	;; [unrolled: 4-line block ×4, first 2 shown]
	ds_bpermute_b32 v14, v22, v12
	ds_bpermute_b32 v15, v22, v13
	s_and_saveexec_b64 s[8:9], vcc
	s_cbranch_execz .LBB447_36
; %bb.17:
	v_lshlrev_b64 v[0:1], 2, v[0:1]
	v_mov_b32_e32 v11, s13
	v_add_co_u32_e32 v10, vcc, s12, v0
	v_addc_co_u32_e32 v11, vcc, v11, v1, vcc
	s_waitcnt lgkmcnt(0)
	v_pk_add_f32 v[0:1], v[12:13], v[14:15]
	s_and_saveexec_b64 s[10:11], s[6:7]
	s_cbranch_execz .LBB447_30
; %bb.18:
	v_cmp_neq_f32_e64 s[8:9], 0, v0
	v_mov_b32_e32 v12, 0x7fc00000
	s_and_saveexec_b64 s[12:13], s[8:9]
; %bb.19:
	v_div_scale_f32 v12, s[14:15], v0, v0, v8
	v_rcp_f32_e32 v13, v12
	v_div_scale_f32 v14, vcc, v8, v0, v8
	v_fma_f32 v15, -v12, v13, 1.0
	v_fmac_f32_e32 v13, v15, v13
	v_mul_f32_e32 v15, v14, v13
	v_fma_f32 v17, -v12, v15, v14
	v_fmac_f32_e32 v15, v17, v13
	v_fma_f32 v12, -v12, v15, v14
	v_div_fmas_f32 v12, v12, v13, v15
	v_div_fixup_f32 v12, v12, v0, v8
; %bb.20:
	s_or_b64 exec, exec, s[12:13]
	global_store_dword v[10:11], v12, off
	s_and_b64 exec, exec, s[4:5]
	s_cbranch_execz .LBB447_30
; %bb.21:
	v_mov_b32_e32 v8, 0x7fc00000
	s_and_saveexec_b64 s[12:13], s[8:9]
; %bb.22:
	v_div_scale_f32 v8, s[14:15], v0, v0, v4
	v_rcp_f32_e32 v12, v8
	v_div_scale_f32 v13, vcc, v4, v0, v4
	v_fma_f32 v14, -v8, v12, 1.0
	v_fmac_f32_e32 v12, v14, v12
	v_mul_f32_e32 v14, v13, v12
	v_fma_f32 v15, -v8, v14, v13
	v_fmac_f32_e32 v14, v15, v12
	v_fma_f32 v8, -v8, v14, v13
	v_div_fmas_f32 v8, v8, v12, v14
	v_div_fixup_f32 v8, v8, v0, v4
; %bb.23:
	s_or_b64 exec, exec, s[12:13]
	global_store_dword v[10:11], v8, off offset:128
	s_and_b64 exec, exec, s[2:3]
	s_cbranch_execz .LBB447_30
; %bb.24:
	v_mov_b32_e32 v4, 0x7fc00000
	s_and_saveexec_b64 s[12:13], s[8:9]
; %bb.25:
	v_div_scale_f32 v4, s[14:15], v0, v0, v6
	v_rcp_f32_e32 v8, v4
	v_div_scale_f32 v12, vcc, v6, v0, v6
	v_fma_f32 v13, -v4, v8, 1.0
	v_fmac_f32_e32 v8, v13, v8
	v_mul_f32_e32 v13, v12, v8
	v_fma_f32 v14, -v4, v13, v12
	v_fmac_f32_e32 v13, v14, v8
	v_fma_f32 v4, -v4, v13, v12
	v_div_fmas_f32 v4, v4, v8, v13
	v_div_fixup_f32 v4, v4, v0, v6
; %bb.26:
	s_or_b64 exec, exec, s[12:13]
	global_store_dword v[10:11], v4, off offset:256
	;; [unrolled: 20-line block ×3, first 2 shown]
.LBB447_30:
	s_or_b64 exec, exec, s[10:11]
	v_cmp_ne_u32_e32 vcc, 1, v16
	s_and_b64 exec, exec, vcc
	s_cbranch_execz .LBB447_36
; %bb.31:
	s_and_b64 exec, exec, s[6:7]
	s_cbranch_execz .LBB447_36
; %bb.32:
	v_div_scale_f32 v0, s[6:7], v1, v1, v9
	v_rcp_f32_e32 v2, v0
	v_div_scale_f32 v4, vcc, v9, v1, v9
	s_ashr_i32 s19, s18, 31
	v_fma_f32 v6, -v0, v2, 1.0
	v_fmac_f32_e32 v2, v6, v2
	v_mul_f32_e32 v6, v4, v2
	v_fma_f32 v8, -v0, v6, v4
	v_fmac_f32_e32 v6, v8, v2
	v_fma_f32 v0, -v0, v6, v4
	v_div_fmas_f32 v0, v0, v2, v6
	s_lshl_b64 s[6:7], s[18:19], 2
	v_div_fixup_f32 v2, v0, v1, v9
	v_mov_b32_e32 v0, s7
	v_add_co_u32_e32 v8, vcc, s6, v10
	v_addc_co_u32_e32 v9, vcc, v11, v0, vcc
	v_mov_b32_e32 v0, 0x7fc00000
	v_cmp_eq_f32_e64 s[6:7], 0, v1
	v_cndmask_b32_e64 v2, v2, v0, s[6:7]
	global_store_dword v[8:9], v2, off
	s_and_b64 exec, exec, s[4:5]
	s_cbranch_execz .LBB447_36
; %bb.33:
	v_div_scale_f32 v2, s[4:5], v1, v1, v5
	v_rcp_f32_e32 v4, v2
	v_div_scale_f32 v6, vcc, v5, v1, v5
	v_fma_f32 v10, -v2, v4, 1.0
	v_fmac_f32_e32 v4, v10, v4
	v_mul_f32_e32 v10, v6, v4
	v_fma_f32 v11, -v2, v10, v6
	v_fmac_f32_e32 v10, v11, v4
	v_fma_f32 v2, -v2, v10, v6
	v_div_fmas_f32 v2, v2, v4, v10
	v_div_fixup_f32 v2, v2, v1, v5
	v_cndmask_b32_e64 v0, v2, v0, s[6:7]
	global_store_dword v[8:9], v0, off offset:128
	s_and_b64 exec, exec, s[2:3]
	s_cbranch_execz .LBB447_36
; %bb.34:
	v_div_scale_f32 v0, s[2:3], v1, v1, v7
	v_rcp_f32_e32 v2, v0
	v_div_scale_f32 v4, vcc, v7, v1, v7
	v_fma_f32 v5, -v0, v2, 1.0
	v_fmac_f32_e32 v2, v5, v2
	v_mul_f32_e32 v5, v4, v2
	v_fma_f32 v6, -v0, v5, v4
	v_fmac_f32_e32 v5, v6, v2
	v_fma_f32 v0, -v0, v5, v4
	v_div_fmas_f32 v0, v0, v2, v5
	v_div_fixup_f32 v2, v0, v1, v7
	v_mov_b32_e32 v0, 0x7fc00000
	v_cndmask_b32_e64 v2, v2, v0, s[6:7]
	global_store_dword v[8:9], v2, off offset:256
	s_and_b64 exec, exec, s[0:1]
	s_cbranch_execz .LBB447_36
; %bb.35:
	v_div_scale_f32 v2, s[0:1], v1, v1, v3
	v_rcp_f32_e32 v4, v2
	v_div_scale_f32 v5, vcc, v3, v1, v3
	v_fma_f32 v6, -v2, v4, 1.0
	v_fmac_f32_e32 v4, v6, v4
	v_mul_f32_e32 v6, v5, v4
	v_fma_f32 v7, -v2, v6, v5
	v_fmac_f32_e32 v6, v7, v4
	v_fma_f32 v2, -v2, v6, v5
	v_div_fmas_f32 v2, v2, v4, v6
	v_div_fixup_f32 v1, v2, v1, v3
	v_cndmask_b32_e64 v0, v1, v0, s[6:7]
	global_store_dword v[8:9], v0, off offset:384
.LBB447_36:
	s_endpgm
	.section	.rodata,"a",@progbits
	.p2align	6, 0x0
	.amdhsa_kernel _ZN12_GLOBAL__N_120softmax_warp_forwardIN3c104HalfEffLi7ELb0ELb0ELi32EEEvPT0_PKT_iiiPKbib
		.amdhsa_group_segment_fixed_size 0
		.amdhsa_private_segment_fixed_size 0
		.amdhsa_kernarg_size 304
		.amdhsa_user_sgpr_count 6
		.amdhsa_user_sgpr_private_segment_buffer 1
		.amdhsa_user_sgpr_dispatch_ptr 0
		.amdhsa_user_sgpr_queue_ptr 0
		.amdhsa_user_sgpr_kernarg_segment_ptr 1
		.amdhsa_user_sgpr_dispatch_id 0
		.amdhsa_user_sgpr_flat_scratch_init 0
		.amdhsa_user_sgpr_kernarg_preload_length 0
		.amdhsa_user_sgpr_kernarg_preload_offset 0
		.amdhsa_user_sgpr_private_segment_size 0
		.amdhsa_uses_dynamic_stack 0
		.amdhsa_system_sgpr_private_segment_wavefront_offset 0
		.amdhsa_system_sgpr_workgroup_id_x 1
		.amdhsa_system_sgpr_workgroup_id_y 0
		.amdhsa_system_sgpr_workgroup_id_z 0
		.amdhsa_system_sgpr_workgroup_info 0
		.amdhsa_system_vgpr_workitem_id 1
		.amdhsa_next_free_vgpr 24
		.amdhsa_next_free_sgpr 20
		.amdhsa_accum_offset 24
		.amdhsa_reserve_vcc 1
		.amdhsa_reserve_flat_scratch 0
		.amdhsa_float_round_mode_32 0
		.amdhsa_float_round_mode_16_64 0
		.amdhsa_float_denorm_mode_32 3
		.amdhsa_float_denorm_mode_16_64 3
		.amdhsa_dx10_clamp 1
		.amdhsa_ieee_mode 1
		.amdhsa_fp16_overflow 0
		.amdhsa_tg_split 0
		.amdhsa_exception_fp_ieee_invalid_op 0
		.amdhsa_exception_fp_denorm_src 0
		.amdhsa_exception_fp_ieee_div_zero 0
		.amdhsa_exception_fp_ieee_overflow 0
		.amdhsa_exception_fp_ieee_underflow 0
		.amdhsa_exception_fp_ieee_inexact 0
		.amdhsa_exception_int_div_zero 0
	.end_amdhsa_kernel
	.section	.text._ZN12_GLOBAL__N_120softmax_warp_forwardIN3c104HalfEffLi7ELb0ELb0ELi32EEEvPT0_PKT_iiiPKbib,"axG",@progbits,_ZN12_GLOBAL__N_120softmax_warp_forwardIN3c104HalfEffLi7ELb0ELb0ELi32EEEvPT0_PKT_iiiPKbib,comdat
.Lfunc_end447:
	.size	_ZN12_GLOBAL__N_120softmax_warp_forwardIN3c104HalfEffLi7ELb0ELb0ELi32EEEvPT0_PKT_iiiPKbib, .Lfunc_end447-_ZN12_GLOBAL__N_120softmax_warp_forwardIN3c104HalfEffLi7ELb0ELb0ELi32EEEvPT0_PKT_iiiPKbib
                                        ; -- End function
	.section	.AMDGPU.csdata,"",@progbits
; Kernel info:
; codeLenInByte = 2904
; NumSgprs: 24
; NumVgprs: 24
; NumAgprs: 0
; TotalNumVgprs: 24
; ScratchSize: 0
; MemoryBound: 0
; FloatMode: 240
; IeeeMode: 1
; LDSByteSize: 0 bytes/workgroup (compile time only)
; SGPRBlocks: 2
; VGPRBlocks: 2
; NumSGPRsForWavesPerEU: 24
; NumVGPRsForWavesPerEU: 24
; AccumOffset: 24
; Occupancy: 8
; WaveLimiterHint : 0
; COMPUTE_PGM_RSRC2:SCRATCH_EN: 0
; COMPUTE_PGM_RSRC2:USER_SGPR: 6
; COMPUTE_PGM_RSRC2:TRAP_HANDLER: 0
; COMPUTE_PGM_RSRC2:TGID_X_EN: 1
; COMPUTE_PGM_RSRC2:TGID_Y_EN: 0
; COMPUTE_PGM_RSRC2:TGID_Z_EN: 0
; COMPUTE_PGM_RSRC2:TIDIG_COMP_CNT: 1
; COMPUTE_PGM_RSRC3_GFX90A:ACCUM_OFFSET: 5
; COMPUTE_PGM_RSRC3_GFX90A:TG_SPLIT: 0
	.section	.text._ZN12_GLOBAL__N_120softmax_warp_forwardIN3c104HalfEffLi8ELb0ELb0ELi64EEEvPT0_PKT_iiiPKbib,"axG",@progbits,_ZN12_GLOBAL__N_120softmax_warp_forwardIN3c104HalfEffLi8ELb0ELb0ELi64EEEvPT0_PKT_iiiPKbib,comdat
	.globl	_ZN12_GLOBAL__N_120softmax_warp_forwardIN3c104HalfEffLi8ELb0ELb0ELi64EEEvPT0_PKT_iiiPKbib ; -- Begin function _ZN12_GLOBAL__N_120softmax_warp_forwardIN3c104HalfEffLi8ELb0ELb0ELi64EEEvPT0_PKT_iiiPKbib
	.p2align	8
	.type	_ZN12_GLOBAL__N_120softmax_warp_forwardIN3c104HalfEffLi8ELb0ELb0ELi64EEEvPT0_PKT_iiiPKbib,@function
_ZN12_GLOBAL__N_120softmax_warp_forwardIN3c104HalfEffLi8ELb0ELb0ELi64EEEvPT0_PKT_iiiPKbib: ; @_ZN12_GLOBAL__N_120softmax_warp_forwardIN3c104HalfEffLi8ELb0ELb0ELi64EEEvPT0_PKT_iiiPKbib
; %bb.0:
	s_load_dword s0, s[4:5], 0x3c
	s_load_dwordx8 s[8:15], s[4:5], 0x0
	v_bfe_u32 v1, v0, 10, 10
	v_and_b32_e32 v4, 0x3ff, v0
	v_mov_b32_e32 v7, 0xff800000
	s_waitcnt lgkmcnt(0)
	s_lshr_b32 s0, s0, 16
	s_mul_i32 s6, s6, s0
	v_add_u32_e32 v1, s6, v1
	v_sub_u32_e32 v5, s12, v1
	v_mad_u64_u32 v[0:1], s[0:1], v1, s13, v[4:5]
	v_ashrrev_i32_e32 v1, 31, v0
	v_lshlrev_b64 v[2:3], 1, v[0:1]
	v_mov_b32_e32 v6, s11
	v_add_co_u32_e32 v2, vcc, s10, v2
	v_addc_co_u32_e32 v3, vcc, v6, v3, vcc
	v_cmp_lt_i32_e64 s[6:7], 0, v5
	v_cmp_gt_i32_e32 vcc, s14, v4
	s_and_b64 s[2:3], s[6:7], vcc
	v_mov_b32_e32 v9, 0xff800000
	s_and_saveexec_b64 s[0:1], s[2:3]
	s_cbranch_execz .LBB448_2
; %bb.1:
	global_load_ushort v6, v[2:3], off
	s_waitcnt vmcnt(0)
	v_cvt_f32_f16_e32 v9, v6
.LBB448_2:
	s_or_b64 exec, exec, s[0:1]
	v_add_u32_e32 v6, 64, v4
	v_cmp_gt_i32_e64 s[4:5], s14, v6
	s_and_b64 s[2:3], s[6:7], s[4:5]
	s_and_saveexec_b64 s[0:1], s[2:3]
	s_cbranch_execz .LBB448_4
; %bb.3:
	global_load_ushort v6, v[2:3], off offset:128
	s_waitcnt vmcnt(0)
	v_cvt_f32_f16_e32 v7, v6
.LBB448_4:
	s_or_b64 exec, exec, s[0:1]
	v_add_u32_e32 v6, 0x80, v4
	v_cmp_gt_i32_e64 s[2:3], s14, v6
	s_and_b64 s[10:11], s[6:7], s[2:3]
	v_mov_b32_e32 v6, 0xff800000
	v_mov_b32_e32 v8, 0xff800000
	s_and_saveexec_b64 s[0:1], s[10:11]
	s_cbranch_execz .LBB448_6
; %bb.5:
	global_load_ushort v8, v[2:3], off offset:256
	s_waitcnt vmcnt(0)
	v_cvt_f32_f16_e32 v8, v8
.LBB448_6:
	s_or_b64 exec, exec, s[0:1]
	v_add_u32_e32 v4, 0xc0, v4
	v_cmp_gt_i32_e64 s[0:1], s14, v4
	s_and_b64 s[10:11], s[6:7], s[0:1]
	s_and_saveexec_b64 s[6:7], s[10:11]
	s_cbranch_execz .LBB448_8
; %bb.7:
	global_load_ushort v2, v[2:3], off offset:384
	s_waitcnt vmcnt(0)
	v_cvt_f32_f16_e32 v6, v2
.LBB448_8:
	s_or_b64 exec, exec, s[6:7]
	v_cmp_gt_f32_e64 s[6:7], v9, v7
	v_cndmask_b32_e64 v2, v7, v9, s[6:7]
	v_mbcnt_lo_u32_b32 v3, -1, 0
	v_cmp_gt_f32_e64 s[6:7], v2, v8
	v_mbcnt_hi_u32_b32 v3, -1, v3
	v_cndmask_b32_e64 v2, v8, v2, s[6:7]
	v_and_b32_e32 v4, 64, v3
	v_cmp_gt_f32_e64 s[6:7], v2, v6
	v_add_u32_e32 v4, 64, v4
	v_xor_b32_e32 v10, 32, v3
	v_cndmask_b32_e64 v2, v6, v2, s[6:7]
	v_cmp_lt_i32_e64 s[6:7], v10, v4
	v_cndmask_b32_e64 v10, v3, v10, s[6:7]
	v_lshlrev_b32_e32 v10, 2, v10
	ds_bpermute_b32 v11, v10, v2
	s_mov_b32 s10, 0x3fb8aa3b
	s_mov_b32 s11, 0xc2ce8ed0
	;; [unrolled: 1-line block ×3, first 2 shown]
	v_mov_b32_e32 v18, 0x7f800000
	s_waitcnt lgkmcnt(0)
	v_cmp_lt_f32_e64 s[6:7], v2, v11
	v_cndmask_b32_e64 v2, v2, v11, s[6:7]
	v_xor_b32_e32 v11, 16, v3
	v_cmp_lt_i32_e64 s[6:7], v11, v4
	v_cndmask_b32_e64 v11, v3, v11, s[6:7]
	v_lshlrev_b32_e32 v11, 2, v11
	ds_bpermute_b32 v12, v11, v2
	s_waitcnt lgkmcnt(0)
	v_cmp_lt_f32_e64 s[6:7], v2, v12
	v_cndmask_b32_e64 v2, v2, v12, s[6:7]
	v_xor_b32_e32 v12, 8, v3
	v_cmp_lt_i32_e64 s[6:7], v12, v4
	v_cndmask_b32_e64 v12, v3, v12, s[6:7]
	v_lshlrev_b32_e32 v12, 2, v12
	ds_bpermute_b32 v13, v12, v2
	;; [unrolled: 8-line block ×5, first 2 shown]
	s_waitcnt lgkmcnt(0)
	v_cmp_lt_f32_e64 s[6:7], v2, v3
	v_cndmask_b32_e64 v2, v2, v3, s[6:7]
	v_sub_f32_e32 v3, v9, v2
	v_mul_f32_e32 v4, 0x3fb8aa3b, v3
	v_fma_f32 v9, v3, s10, -v4
	v_rndne_f32_e32 v16, v4
	v_fmac_f32_e32 v9, 0x32a5705f, v3
	v_sub_f32_e32 v4, v4, v16
	v_add_f32_e32 v4, v4, v9
	v_exp_f32_e32 v4, v4
	v_cvt_i32_f32_e32 v9, v16
	v_cmp_ngt_f32_e64 s[6:7], s11, v3
	v_sub_f32_e32 v8, v8, v2
	v_ldexp_f32 v4, v4, v9
	v_sub_f32_e32 v9, v7, v2
	v_mul_f32_e32 v7, 0x3fb8aa3b, v9
	v_fma_f32 v16, v9, s10, -v7
	v_rndne_f32_e32 v17, v7
	v_fmac_f32_e32 v16, 0x32a5705f, v9
	v_sub_f32_e32 v7, v7, v17
	v_add_f32_e32 v7, v7, v16
	v_exp_f32_e32 v16, v7
	v_cvt_i32_f32_e32 v17, v17
	v_cndmask_b32_e64 v4, 0, v4, s[6:7]
	v_cmp_nlt_f32_e64 s[6:7], s12, v3
	v_cndmask_b32_e64 v7, v18, v4, s[6:7]
	v_mul_f32_e32 v4, 0x3fb8aa3b, v8
	v_ldexp_f32 v3, v16, v17
	v_fma_f32 v16, v8, s10, -v4
	v_rndne_f32_e32 v17, v4
	v_fmac_f32_e32 v16, 0x32a5705f, v8
	v_sub_f32_e32 v4, v4, v17
	v_add_f32_e32 v4, v4, v16
	v_exp_f32_e32 v16, v4
	v_cvt_i32_f32_e32 v17, v17
	v_cmp_ngt_f32_e64 s[6:7], s11, v9
	v_sub_f32_e32 v2, v6, v2
	v_cndmask_b32_e64 v3, 0, v3, s[6:7]
	v_cmp_nlt_f32_e64 s[6:7], s12, v9
	v_mul_f32_e32 v6, 0x3fb8aa3b, v2
	v_cndmask_b32_e64 v4, v18, v3, s[6:7]
	v_ldexp_f32 v3, v16, v17
	v_fma_f32 v16, v2, s10, -v6
	v_rndne_f32_e32 v17, v6
	v_fmac_f32_e32 v16, 0x32a5705f, v2
	v_sub_f32_e32 v6, v6, v17
	v_add_f32_e32 v6, v6, v16
	v_exp_f32_e32 v6, v6
	v_cvt_i32_f32_e32 v16, v17
	v_cmp_ngt_f32_e64 s[6:7], s11, v8
	v_cndmask_b32_e64 v3, 0, v3, s[6:7]
	v_cmp_nlt_f32_e64 s[6:7], s12, v8
	v_cndmask_b32_e64 v3, v18, v3, s[6:7]
	v_ldexp_f32 v6, v6, v16
	v_cmp_ngt_f32_e64 s[6:7], s11, v2
	v_add_f32_e32 v9, v7, v4
	v_cndmask_b32_e64 v6, 0, v6, s[6:7]
	v_cmp_nlt_f32_e64 s[6:7], s12, v2
	v_add_f32_e32 v8, v9, v3
	v_cndmask_b32_e64 v2, v18, v6, s[6:7]
	v_add_f32_e32 v6, v8, v2
	ds_bpermute_b32 v8, v10, v6
	v_cmp_lt_i32_e64 s[6:7], 0, v5
	s_waitcnt lgkmcnt(0)
	v_add_f32_e32 v6, v6, v8
	ds_bpermute_b32 v8, v11, v6
	s_waitcnt lgkmcnt(0)
	v_add_f32_e32 v6, v6, v8
	ds_bpermute_b32 v8, v12, v6
	;; [unrolled: 3-line block ×5, first 2 shown]
	s_and_saveexec_b64 s[10:11], s[6:7]
	s_cbranch_execz .LBB448_14
; %bb.9:
	s_and_b64 exec, exec, vcc
	s_cbranch_execz .LBB448_14
; %bb.10:
	s_waitcnt lgkmcnt(0)
	v_add_f32_e32 v5, v6, v8
	v_div_scale_f32 v8, s[6:7], v5, v5, v7
	v_rcp_f32_e32 v9, v8
	v_lshlrev_b64 v[0:1], 2, v[0:1]
	v_mov_b32_e32 v6, s9
	v_add_co_u32_e32 v0, vcc, s8, v0
	v_addc_co_u32_e32 v1, vcc, v6, v1, vcc
	v_fma_f32 v6, -v8, v9, 1.0
	v_fmac_f32_e32 v9, v6, v9
	v_div_scale_f32 v6, vcc, v7, v5, v7
	v_mul_f32_e32 v10, v6, v9
	v_fma_f32 v11, -v8, v10, v6
	v_fmac_f32_e32 v10, v11, v9
	v_fma_f32 v6, -v8, v10, v6
	v_div_fmas_f32 v6, v6, v9, v10
	v_div_fixup_f32 v7, v6, v5, v7
	v_mov_b32_e32 v6, 0x7fc00000
	v_cmp_eq_f32_e64 s[6:7], 0, v5
	v_cndmask_b32_e64 v7, v7, v6, s[6:7]
	global_store_dword v[0:1], v7, off
	s_and_b64 exec, exec, s[4:5]
	s_cbranch_execz .LBB448_14
; %bb.11:
	v_div_scale_f32 v7, s[4:5], v5, v5, v4
	v_rcp_f32_e32 v8, v7
	v_div_scale_f32 v9, vcc, v4, v5, v4
	v_fma_f32 v10, -v7, v8, 1.0
	v_fmac_f32_e32 v8, v10, v8
	v_mul_f32_e32 v10, v9, v8
	v_fma_f32 v11, -v7, v10, v9
	v_fmac_f32_e32 v10, v11, v8
	v_fma_f32 v7, -v7, v10, v9
	v_div_fmas_f32 v7, v7, v8, v10
	v_div_fixup_f32 v4, v7, v5, v4
	v_cndmask_b32_e64 v4, v4, v6, s[6:7]
	global_store_dword v[0:1], v4, off offset:256
	s_and_b64 exec, exec, s[2:3]
	s_cbranch_execz .LBB448_14
; %bb.12:
	v_div_scale_f32 v4, s[2:3], v5, v5, v3
	v_rcp_f32_e32 v6, v4
	v_div_scale_f32 v7, vcc, v3, v5, v3
	v_fma_f32 v8, -v4, v6, 1.0
	v_fmac_f32_e32 v6, v8, v6
	v_mul_f32_e32 v8, v7, v6
	v_fma_f32 v9, -v4, v8, v7
	v_fmac_f32_e32 v8, v9, v6
	v_fma_f32 v4, -v4, v8, v7
	v_div_fmas_f32 v4, v4, v6, v8
	v_div_fixup_f32 v4, v4, v5, v3
	v_mov_b32_e32 v3, 0x7fc00000
	v_cndmask_b32_e64 v4, v4, v3, s[6:7]
	global_store_dword v[0:1], v4, off offset:512
	s_and_b64 exec, exec, s[0:1]
	s_cbranch_execz .LBB448_14
; %bb.13:
	v_div_scale_f32 v4, s[0:1], v5, v5, v2
	v_rcp_f32_e32 v6, v4
	v_div_scale_f32 v7, vcc, v2, v5, v2
	v_fma_f32 v8, -v4, v6, 1.0
	v_fmac_f32_e32 v6, v8, v6
	v_mul_f32_e32 v8, v7, v6
	v_fma_f32 v9, -v4, v8, v7
	v_fmac_f32_e32 v8, v9, v6
	v_fma_f32 v4, -v4, v8, v7
	v_div_fmas_f32 v4, v4, v6, v8
	v_div_fixup_f32 v2, v4, v5, v2
	v_cndmask_b32_e64 v2, v2, v3, s[6:7]
	global_store_dword v[0:1], v2, off offset:768
.LBB448_14:
	s_endpgm
	.section	.rodata,"a",@progbits
	.p2align	6, 0x0
	.amdhsa_kernel _ZN12_GLOBAL__N_120softmax_warp_forwardIN3c104HalfEffLi8ELb0ELb0ELi64EEEvPT0_PKT_iiiPKbib
		.amdhsa_group_segment_fixed_size 0
		.amdhsa_private_segment_fixed_size 0
		.amdhsa_kernarg_size 304
		.amdhsa_user_sgpr_count 6
		.amdhsa_user_sgpr_private_segment_buffer 1
		.amdhsa_user_sgpr_dispatch_ptr 0
		.amdhsa_user_sgpr_queue_ptr 0
		.amdhsa_user_sgpr_kernarg_segment_ptr 1
		.amdhsa_user_sgpr_dispatch_id 0
		.amdhsa_user_sgpr_flat_scratch_init 0
		.amdhsa_user_sgpr_kernarg_preload_length 0
		.amdhsa_user_sgpr_kernarg_preload_offset 0
		.amdhsa_user_sgpr_private_segment_size 0
		.amdhsa_uses_dynamic_stack 0
		.amdhsa_system_sgpr_private_segment_wavefront_offset 0
		.amdhsa_system_sgpr_workgroup_id_x 1
		.amdhsa_system_sgpr_workgroup_id_y 0
		.amdhsa_system_sgpr_workgroup_id_z 0
		.amdhsa_system_sgpr_workgroup_info 0
		.amdhsa_system_vgpr_workitem_id 1
		.amdhsa_next_free_vgpr 19
		.amdhsa_next_free_sgpr 16
		.amdhsa_accum_offset 20
		.amdhsa_reserve_vcc 1
		.amdhsa_reserve_flat_scratch 0
		.amdhsa_float_round_mode_32 0
		.amdhsa_float_round_mode_16_64 0
		.amdhsa_float_denorm_mode_32 3
		.amdhsa_float_denorm_mode_16_64 3
		.amdhsa_dx10_clamp 1
		.amdhsa_ieee_mode 1
		.amdhsa_fp16_overflow 0
		.amdhsa_tg_split 0
		.amdhsa_exception_fp_ieee_invalid_op 0
		.amdhsa_exception_fp_denorm_src 0
		.amdhsa_exception_fp_ieee_div_zero 0
		.amdhsa_exception_fp_ieee_overflow 0
		.amdhsa_exception_fp_ieee_underflow 0
		.amdhsa_exception_fp_ieee_inexact 0
		.amdhsa_exception_int_div_zero 0
	.end_amdhsa_kernel
	.section	.text._ZN12_GLOBAL__N_120softmax_warp_forwardIN3c104HalfEffLi8ELb0ELb0ELi64EEEvPT0_PKT_iiiPKbib,"axG",@progbits,_ZN12_GLOBAL__N_120softmax_warp_forwardIN3c104HalfEffLi8ELb0ELb0ELi64EEEvPT0_PKT_iiiPKbib,comdat
.Lfunc_end448:
	.size	_ZN12_GLOBAL__N_120softmax_warp_forwardIN3c104HalfEffLi8ELb0ELb0ELi64EEEvPT0_PKT_iiiPKbib, .Lfunc_end448-_ZN12_GLOBAL__N_120softmax_warp_forwardIN3c104HalfEffLi8ELb0ELb0ELi64EEEvPT0_PKT_iiiPKbib
                                        ; -- End function
	.section	.AMDGPU.csdata,"",@progbits
; Kernel info:
; codeLenInByte = 1624
; NumSgprs: 20
; NumVgprs: 19
; NumAgprs: 0
; TotalNumVgprs: 19
; ScratchSize: 0
; MemoryBound: 0
; FloatMode: 240
; IeeeMode: 1
; LDSByteSize: 0 bytes/workgroup (compile time only)
; SGPRBlocks: 2
; VGPRBlocks: 2
; NumSGPRsForWavesPerEU: 20
; NumVGPRsForWavesPerEU: 19
; AccumOffset: 20
; Occupancy: 8
; WaveLimiterHint : 0
; COMPUTE_PGM_RSRC2:SCRATCH_EN: 0
; COMPUTE_PGM_RSRC2:USER_SGPR: 6
; COMPUTE_PGM_RSRC2:TRAP_HANDLER: 0
; COMPUTE_PGM_RSRC2:TGID_X_EN: 1
; COMPUTE_PGM_RSRC2:TGID_Y_EN: 0
; COMPUTE_PGM_RSRC2:TGID_Z_EN: 0
; COMPUTE_PGM_RSRC2:TIDIG_COMP_CNT: 1
; COMPUTE_PGM_RSRC3_GFX90A:ACCUM_OFFSET: 4
; COMPUTE_PGM_RSRC3_GFX90A:TG_SPLIT: 0
	.section	.text._ZN12_GLOBAL__N_120softmax_warp_forwardIN3c104HalfEffLi8ELb0ELb0ELi32EEEvPT0_PKT_iiiPKbib,"axG",@progbits,_ZN12_GLOBAL__N_120softmax_warp_forwardIN3c104HalfEffLi8ELb0ELb0ELi32EEEvPT0_PKT_iiiPKbib,comdat
	.globl	_ZN12_GLOBAL__N_120softmax_warp_forwardIN3c104HalfEffLi8ELb0ELb0ELi32EEEvPT0_PKT_iiiPKbib ; -- Begin function _ZN12_GLOBAL__N_120softmax_warp_forwardIN3c104HalfEffLi8ELb0ELb0ELi32EEEvPT0_PKT_iiiPKbib
	.p2align	8
	.type	_ZN12_GLOBAL__N_120softmax_warp_forwardIN3c104HalfEffLi8ELb0ELb0ELi32EEEvPT0_PKT_iiiPKbib,@function
_ZN12_GLOBAL__N_120softmax_warp_forwardIN3c104HalfEffLi8ELb0ELb0ELi32EEEvPT0_PKT_iiiPKbib: ; @_ZN12_GLOBAL__N_120softmax_warp_forwardIN3c104HalfEffLi8ELb0ELb0ELi32EEEvPT0_PKT_iiiPKbib
; %bb.0:
	s_load_dword s0, s[4:5], 0x3c
	s_load_dwordx8 s[16:23], s[4:5], 0x0
	v_bfe_u32 v1, v0, 10, 10
	v_and_b32_e32 v4, 0x3ff, v0
	v_mov_b32_e32 v9, 0xff800000
	s_waitcnt lgkmcnt(0)
	s_lshr_b32 s0, s0, 16
	s_mul_i32 s6, s6, s0
	v_add_u32_e32 v1, s6, v1
	v_sub_u32_e32 v5, s20, v1
	v_mad_u64_u32 v[0:1], s[0:1], v1, s21, v[4:5]
	v_ashrrev_i32_e32 v1, 31, v0
	v_lshlrev_b64 v[2:3], 1, v[0:1]
	v_mov_b32_e32 v6, s19
	v_add_co_u32_e32 v2, vcc, s18, v2
	v_addc_co_u32_e32 v3, vcc, v6, v3, vcc
	v_cmp_lt_i32_e64 s[14:15], 0, v5
	v_cmp_gt_i32_e32 vcc, s22, v4
	s_and_b64 s[2:3], s[14:15], vcc
	v_mov_b32_e32 v13, 0xff800000
	s_and_saveexec_b64 s[0:1], s[2:3]
	s_cbranch_execz .LBB449_2
; %bb.1:
	global_load_ushort v6, v[2:3], off
	s_waitcnt vmcnt(0)
	v_cvt_f32_f16_e32 v13, v6
.LBB449_2:
	s_or_b64 exec, exec, s[0:1]
	v_add_u32_e32 v6, 32, v4
	v_cmp_gt_i32_e64 s[12:13], s22, v6
	s_and_b64 s[2:3], s[14:15], s[12:13]
	s_and_saveexec_b64 s[0:1], s[2:3]
	s_cbranch_execz .LBB449_4
; %bb.3:
	global_load_ushort v6, v[2:3], off offset:64
	s_waitcnt vmcnt(0)
	v_cvt_f32_f16_e32 v9, v6
.LBB449_4:
	s_or_b64 exec, exec, s[0:1]
	v_add_u32_e32 v6, 64, v4
	v_cmp_gt_i32_e64 s[10:11], s22, v6
	s_and_b64 s[2:3], s[14:15], s[10:11]
	v_mov_b32_e32 v8, 0xff800000
	v_mov_b32_e32 v12, 0xff800000
	s_and_saveexec_b64 s[0:1], s[2:3]
	s_cbranch_execz .LBB449_6
; %bb.5:
	global_load_ushort v6, v[2:3], off offset:128
	s_waitcnt vmcnt(0)
	v_cvt_f32_f16_e32 v12, v6
.LBB449_6:
	s_or_b64 exec, exec, s[0:1]
	v_add_u32_e32 v6, 0x60, v4
	v_cmp_gt_i32_e64 s[8:9], s22, v6
	s_and_b64 s[2:3], s[14:15], s[8:9]
	s_and_saveexec_b64 s[0:1], s[2:3]
	s_cbranch_execz .LBB449_8
; %bb.7:
	global_load_ushort v6, v[2:3], off offset:192
	s_waitcnt vmcnt(0)
	v_cvt_f32_f16_e32 v8, v6
.LBB449_8:
	s_or_b64 exec, exec, s[0:1]
	v_add_u32_e32 v6, 0x80, v4
	v_cmp_gt_i32_e64 s[6:7], s22, v6
	s_and_b64 s[2:3], s[14:15], s[6:7]
	v_mov_b32_e32 v7, 0xff800000
	v_mov_b32_e32 v11, 0xff800000
	s_and_saveexec_b64 s[0:1], s[2:3]
	s_cbranch_execz .LBB449_10
; %bb.9:
	global_load_ushort v6, v[2:3], off offset:256
	s_waitcnt vmcnt(0)
	v_cvt_f32_f16_e32 v11, v6
.LBB449_10:
	;; [unrolled: 24-line block ×3, first 2 shown]
	s_or_b64 exec, exec, s[0:1]
	v_add_u32_e32 v4, 0xe0, v4
	v_cmp_gt_i32_e64 s[0:1], s22, v4
	s_and_b64 s[18:19], s[14:15], s[0:1]
	s_and_saveexec_b64 s[14:15], s[18:19]
	s_cbranch_execz .LBB449_16
; %bb.15:
	global_load_ushort v2, v[2:3], off offset:448
	s_waitcnt vmcnt(0)
	v_cvt_f32_f16_e32 v6, v2
.LBB449_16:
	s_or_b64 exec, exec, s[14:15]
	v_cmp_gt_f32_e64 s[14:15], v13, v9
	v_cndmask_b32_e64 v2, v9, v13, s[14:15]
	v_cmp_gt_f32_e64 s[14:15], v2, v12
	v_cndmask_b32_e64 v2, v12, v2, s[14:15]
	;; [unrolled: 2-line block ×5, first 2 shown]
	v_mbcnt_lo_u32_b32 v3, -1, 0
	v_cmp_gt_f32_e64 s[14:15], v2, v10
	v_mbcnt_hi_u32_b32 v3, -1, v3
	v_cndmask_b32_e64 v2, v10, v2, s[14:15]
	v_and_b32_e32 v4, 0x60, v3
	v_cmp_gt_f32_e64 s[14:15], v2, v6
	v_add_u32_e32 v4, 32, v4
	v_xor_b32_e32 v14, 16, v3
	v_cndmask_b32_e64 v2, v6, v2, s[14:15]
	v_cmp_lt_i32_e64 s[14:15], v14, v4
	v_cndmask_b32_e64 v14, v3, v14, s[14:15]
	v_lshlrev_b32_e32 v14, 2, v14
	ds_bpermute_b32 v15, v14, v2
	s_mov_b32 s18, 0x3fb8aa3b
	s_mov_b32 s19, 0xc2ce8ed0
	;; [unrolled: 1-line block ×3, first 2 shown]
	v_mov_b32_e32 v21, 0x7f800000
	s_waitcnt lgkmcnt(0)
	v_cmp_lt_f32_e64 s[14:15], v2, v15
	v_cndmask_b32_e64 v2, v2, v15, s[14:15]
	v_xor_b32_e32 v15, 8, v3
	v_cmp_lt_i32_e64 s[14:15], v15, v4
	v_cndmask_b32_e64 v15, v3, v15, s[14:15]
	v_lshlrev_b32_e32 v15, 2, v15
	ds_bpermute_b32 v16, v15, v2
	s_waitcnt lgkmcnt(0)
	v_cmp_lt_f32_e64 s[14:15], v2, v16
	v_cndmask_b32_e64 v2, v2, v16, s[14:15]
	v_xor_b32_e32 v16, 4, v3
	v_cmp_lt_i32_e64 s[14:15], v16, v4
	v_cndmask_b32_e64 v16, v3, v16, s[14:15]
	v_lshlrev_b32_e32 v16, 2, v16
	ds_bpermute_b32 v17, v16, v2
	;; [unrolled: 8-line block ×4, first 2 shown]
	s_waitcnt lgkmcnt(0)
	v_cmp_lt_f32_e64 s[14:15], v2, v3
	v_cndmask_b32_e64 v2, v2, v3, s[14:15]
	v_sub_f32_e32 v3, v13, v2
	v_mul_f32_e32 v4, 0x3fb8aa3b, v3
	v_fma_f32 v13, v3, s18, -v4
	v_rndne_f32_e32 v19, v4
	v_fmac_f32_e32 v13, 0x32a5705f, v3
	v_sub_f32_e32 v4, v4, v19
	v_add_f32_e32 v4, v4, v13
	v_exp_f32_e32 v4, v4
	v_cvt_i32_f32_e32 v13, v19
	v_sub_f32_e32 v9, v9, v2
	v_cmp_ngt_f32_e64 s[14:15], s19, v3
	v_sub_f32_e32 v8, v8, v2
	v_ldexp_f32 v4, v4, v13
	v_mul_f32_e32 v13, 0x3fb8aa3b, v9
	v_fma_f32 v19, v9, s18, -v13
	v_rndne_f32_e32 v20, v13
	v_fmac_f32_e32 v19, 0x32a5705f, v9
	v_sub_f32_e32 v13, v13, v20
	v_add_f32_e32 v13, v13, v19
	v_exp_f32_e32 v19, v13
	v_cvt_i32_f32_e32 v20, v20
	v_cndmask_b32_e64 v4, 0, v4, s[14:15]
	v_cmp_nlt_f32_e64 s[14:15], s20, v3
	v_cndmask_b32_e64 v13, v21, v4, s[14:15]
	v_sub_f32_e32 v4, v12, v2
	v_mul_f32_e32 v12, 0x3fb8aa3b, v4
	v_ldexp_f32 v3, v19, v20
	v_fma_f32 v19, v4, s18, -v12
	v_rndne_f32_e32 v20, v12
	v_fmac_f32_e32 v19, 0x32a5705f, v4
	v_sub_f32_e32 v12, v12, v20
	v_add_f32_e32 v12, v12, v19
	v_exp_f32_e32 v19, v12
	v_cvt_i32_f32_e32 v20, v20
	v_cmp_ngt_f32_e64 s[14:15], s19, v9
	v_cndmask_b32_e64 v3, 0, v3, s[14:15]
	v_cmp_nlt_f32_e64 s[14:15], s20, v9
	v_ldexp_f32 v9, v19, v20
	v_mul_f32_e32 v19, 0x3fb8aa3b, v8
	v_fma_f32 v20, v8, s18, -v19
	v_rndne_f32_e32 v22, v19
	v_fmac_f32_e32 v20, 0x32a5705f, v8
	v_sub_f32_e32 v19, v19, v22
	v_add_f32_e32 v19, v19, v20
	v_exp_f32_e32 v19, v19
	v_cvt_i32_f32_e32 v20, v22
	v_cndmask_b32_e64 v12, v21, v3, s[14:15]
	v_cmp_ngt_f32_e64 s[14:15], s19, v4
	v_sub_f32_e32 v11, v11, v2
	v_cndmask_b32_e64 v9, 0, v9, s[14:15]
	v_cmp_nlt_f32_e64 s[14:15], s20, v4
	v_ldexp_f32 v4, v19, v20
	v_mul_f32_e32 v19, 0x3fb8aa3b, v11
	v_fma_f32 v20, v11, s18, -v19
	v_rndne_f32_e32 v22, v19
	v_fmac_f32_e32 v20, 0x32a5705f, v11
	v_sub_f32_e32 v19, v19, v22
	v_add_f32_e32 v19, v19, v20
	v_exp_f32_e32 v19, v19
	v_cvt_i32_f32_e32 v20, v22
	v_cndmask_b32_e64 v9, v21, v9, s[14:15]
	v_cmp_ngt_f32_e64 s[14:15], s19, v8
	v_cndmask_b32_e64 v4, 0, v4, s[14:15]
	v_cmp_nlt_f32_e64 s[14:15], s20, v8
	v_cndmask_b32_e64 v8, v21, v4, s[14:15]
	v_ldexp_f32 v4, v19, v20
	v_sub_f32_e32 v19, v7, v2
	v_mul_f32_e32 v7, 0x3fb8aa3b, v19
	v_fma_f32 v20, v19, s18, -v7
	v_rndne_f32_e32 v22, v7
	v_fmac_f32_e32 v20, 0x32a5705f, v19
	v_sub_f32_e32 v7, v7, v22
	v_add_f32_e32 v7, v7, v20
	v_exp_f32_e32 v20, v7
	v_cvt_i32_f32_e32 v22, v22
	v_cmp_ngt_f32_e64 s[14:15], s19, v11
	v_sub_f32_e32 v10, v10, v2
	v_cndmask_b32_e64 v4, 0, v4, s[14:15]
	v_cmp_nlt_f32_e64 s[14:15], s20, v11
	v_mul_f32_e32 v11, 0x3fb8aa3b, v10
	v_cndmask_b32_e64 v7, v21, v4, s[14:15]
	v_ldexp_f32 v4, v20, v22
	v_fma_f32 v20, v10, s18, -v11
	v_rndne_f32_e32 v22, v11
	v_fmac_f32_e32 v20, 0x32a5705f, v10
	v_sub_f32_e32 v11, v11, v22
	v_add_f32_e32 v11, v11, v20
	v_add_f32_e32 v3, v13, v12
	v_exp_f32_e32 v11, v11
	v_cvt_i32_f32_e32 v20, v22
	v_add_f32_e32 v3, v3, v9
	v_cmp_ngt_f32_e64 s[14:15], s19, v19
	v_add_f32_e32 v3, v3, v8
	v_cndmask_b32_e64 v4, 0, v4, s[14:15]
	v_cmp_nlt_f32_e64 s[14:15], s20, v19
	v_sub_f32_e32 v2, v6, v2
	v_add_f32_e32 v3, v3, v7
	v_cndmask_b32_e64 v4, v21, v4, s[14:15]
	v_mul_f32_e32 v6, 0x3fb8aa3b, v2
	v_add_f32_e32 v19, v3, v4
	v_ldexp_f32 v3, v11, v20
	v_fma_f32 v11, v2, s18, -v6
	v_rndne_f32_e32 v20, v6
	v_fmac_f32_e32 v11, 0x32a5705f, v2
	v_sub_f32_e32 v6, v6, v20
	v_add_f32_e32 v6, v6, v11
	v_exp_f32_e32 v6, v6
	v_cvt_i32_f32_e32 v11, v20
	v_cmp_ngt_f32_e64 s[14:15], s19, v10
	v_cndmask_b32_e64 v3, 0, v3, s[14:15]
	v_cmp_nlt_f32_e64 s[14:15], s20, v10
	v_cndmask_b32_e64 v3, v21, v3, s[14:15]
	v_ldexp_f32 v6, v6, v11
	v_cmp_ngt_f32_e64 s[14:15], s19, v2
	v_cndmask_b32_e64 v6, 0, v6, s[14:15]
	v_cmp_nlt_f32_e64 s[14:15], s20, v2
	v_add_f32_e32 v10, v19, v3
	v_cndmask_b32_e64 v2, v21, v6, s[14:15]
	v_add_f32_e32 v6, v10, v2
	ds_bpermute_b32 v10, v14, v6
	v_cmp_lt_i32_e64 s[14:15], 0, v5
	s_waitcnt lgkmcnt(0)
	v_add_f32_e32 v6, v6, v10
	ds_bpermute_b32 v10, v15, v6
	s_waitcnt lgkmcnt(0)
	v_add_f32_e32 v6, v6, v10
	ds_bpermute_b32 v10, v16, v6
	;; [unrolled: 3-line block ×4, first 2 shown]
	s_and_saveexec_b64 s[18:19], s[14:15]
	s_cbranch_execz .LBB449_26
; %bb.17:
	s_and_b64 exec, exec, vcc
	s_cbranch_execz .LBB449_26
; %bb.18:
	s_waitcnt lgkmcnt(0)
	v_add_f32_e32 v5, v6, v10
	v_div_scale_f32 v10, s[14:15], v5, v5, v13
	v_rcp_f32_e32 v11, v10
	v_lshlrev_b64 v[0:1], 2, v[0:1]
	v_mov_b32_e32 v6, s17
	v_add_co_u32_e32 v0, vcc, s16, v0
	v_addc_co_u32_e32 v1, vcc, v6, v1, vcc
	v_fma_f32 v6, -v10, v11, 1.0
	v_fmac_f32_e32 v11, v6, v11
	v_div_scale_f32 v6, vcc, v13, v5, v13
	v_mul_f32_e32 v14, v6, v11
	v_fma_f32 v15, -v10, v14, v6
	v_fmac_f32_e32 v14, v15, v11
	v_fma_f32 v6, -v10, v14, v6
	v_div_fmas_f32 v6, v6, v11, v14
	v_div_fixup_f32 v10, v6, v5, v13
	v_mov_b32_e32 v6, 0x7fc00000
	v_cmp_eq_f32_e64 s[14:15], 0, v5
	v_cndmask_b32_e64 v10, v10, v6, s[14:15]
	global_store_dword v[0:1], v10, off
	s_and_b64 exec, exec, s[12:13]
	s_cbranch_execz .LBB449_26
; %bb.19:
	v_div_scale_f32 v10, s[12:13], v5, v5, v12
	v_rcp_f32_e32 v11, v10
	v_div_scale_f32 v13, vcc, v12, v5, v12
	v_fma_f32 v14, -v10, v11, 1.0
	v_fmac_f32_e32 v11, v14, v11
	v_mul_f32_e32 v14, v13, v11
	v_fma_f32 v15, -v10, v14, v13
	v_fmac_f32_e32 v14, v15, v11
	v_fma_f32 v10, -v10, v14, v13
	v_div_fmas_f32 v10, v10, v11, v14
	v_div_fixup_f32 v10, v10, v5, v12
	v_cndmask_b32_e64 v6, v10, v6, s[14:15]
	global_store_dword v[0:1], v6, off offset:128
	s_and_b64 exec, exec, s[10:11]
	s_cbranch_execz .LBB449_26
; %bb.20:
	v_div_scale_f32 v6, s[10:11], v5, v5, v9
	v_rcp_f32_e32 v10, v6
	v_div_scale_f32 v11, vcc, v9, v5, v9
	v_fma_f32 v12, -v6, v10, 1.0
	v_fmac_f32_e32 v10, v12, v10
	v_mul_f32_e32 v12, v11, v10
	v_fma_f32 v13, -v6, v12, v11
	v_fmac_f32_e32 v12, v13, v10
	v_fma_f32 v6, -v6, v12, v11
	v_div_fmas_f32 v6, v6, v10, v12
	v_div_fixup_f32 v9, v6, v5, v9
	v_mov_b32_e32 v6, 0x7fc00000
	v_cndmask_b32_e64 v9, v9, v6, s[14:15]
	global_store_dword v[0:1], v9, off offset:256
	s_and_b64 exec, exec, s[8:9]
	s_cbranch_execz .LBB449_26
; %bb.21:
	v_div_scale_f32 v9, s[8:9], v5, v5, v8
	v_rcp_f32_e32 v10, v9
	v_div_scale_f32 v11, vcc, v8, v5, v8
	v_fma_f32 v12, -v9, v10, 1.0
	v_fmac_f32_e32 v10, v12, v10
	v_mul_f32_e32 v12, v11, v10
	v_fma_f32 v13, -v9, v12, v11
	v_fmac_f32_e32 v12, v13, v10
	v_fma_f32 v9, -v9, v12, v11
	v_div_fmas_f32 v9, v9, v10, v12
	v_div_fixup_f32 v8, v9, v5, v8
	v_cndmask_b32_e64 v6, v8, v6, s[14:15]
	global_store_dword v[0:1], v6, off offset:384
	s_and_b64 exec, exec, s[6:7]
	s_cbranch_execz .LBB449_26
; %bb.22:
	v_div_scale_f32 v6, s[6:7], v5, v5, v7
	v_rcp_f32_e32 v8, v6
	v_div_scale_f32 v9, vcc, v7, v5, v7
	v_fma_f32 v10, -v6, v8, 1.0
	v_fmac_f32_e32 v8, v10, v8
	v_mul_f32_e32 v10, v9, v8
	v_fma_f32 v11, -v6, v10, v9
	v_fmac_f32_e32 v10, v11, v8
	v_fma_f32 v6, -v6, v10, v9
	v_div_fmas_f32 v6, v6, v8, v10
	v_div_fixup_f32 v7, v6, v5, v7
	v_mov_b32_e32 v6, 0x7fc00000
	v_cndmask_b32_e64 v7, v7, v6, s[14:15]
	global_store_dword v[0:1], v7, off offset:512
	;; [unrolled: 33-line block ×3, first 2 shown]
	s_and_b64 exec, exec, s[0:1]
	s_cbranch_execz .LBB449_26
; %bb.25:
	v_div_scale_f32 v4, s[0:1], v5, v5, v2
	v_rcp_f32_e32 v6, v4
	v_div_scale_f32 v7, vcc, v2, v5, v2
	v_fma_f32 v8, -v4, v6, 1.0
	v_fmac_f32_e32 v6, v8, v6
	v_mul_f32_e32 v8, v7, v6
	v_fma_f32 v9, -v4, v8, v7
	v_fmac_f32_e32 v8, v9, v6
	v_fma_f32 v4, -v4, v8, v7
	v_div_fmas_f32 v4, v4, v6, v8
	v_div_fixup_f32 v2, v4, v5, v2
	v_cndmask_b32_e64 v2, v2, v3, s[14:15]
	global_store_dword v[0:1], v2, off offset:896
.LBB449_26:
	s_endpgm
	.section	.rodata,"a",@progbits
	.p2align	6, 0x0
	.amdhsa_kernel _ZN12_GLOBAL__N_120softmax_warp_forwardIN3c104HalfEffLi8ELb0ELb0ELi32EEEvPT0_PKT_iiiPKbib
		.amdhsa_group_segment_fixed_size 0
		.amdhsa_private_segment_fixed_size 0
		.amdhsa_kernarg_size 304
		.amdhsa_user_sgpr_count 6
		.amdhsa_user_sgpr_private_segment_buffer 1
		.amdhsa_user_sgpr_dispatch_ptr 0
		.amdhsa_user_sgpr_queue_ptr 0
		.amdhsa_user_sgpr_kernarg_segment_ptr 1
		.amdhsa_user_sgpr_dispatch_id 0
		.amdhsa_user_sgpr_flat_scratch_init 0
		.amdhsa_user_sgpr_kernarg_preload_length 0
		.amdhsa_user_sgpr_kernarg_preload_offset 0
		.amdhsa_user_sgpr_private_segment_size 0
		.amdhsa_uses_dynamic_stack 0
		.amdhsa_system_sgpr_private_segment_wavefront_offset 0
		.amdhsa_system_sgpr_workgroup_id_x 1
		.amdhsa_system_sgpr_workgroup_id_y 0
		.amdhsa_system_sgpr_workgroup_id_z 0
		.amdhsa_system_sgpr_workgroup_info 0
		.amdhsa_system_vgpr_workitem_id 1
		.amdhsa_next_free_vgpr 23
		.amdhsa_next_free_sgpr 24
		.amdhsa_accum_offset 24
		.amdhsa_reserve_vcc 1
		.amdhsa_reserve_flat_scratch 0
		.amdhsa_float_round_mode_32 0
		.amdhsa_float_round_mode_16_64 0
		.amdhsa_float_denorm_mode_32 3
		.amdhsa_float_denorm_mode_16_64 3
		.amdhsa_dx10_clamp 1
		.amdhsa_ieee_mode 1
		.amdhsa_fp16_overflow 0
		.amdhsa_tg_split 0
		.amdhsa_exception_fp_ieee_invalid_op 0
		.amdhsa_exception_fp_denorm_src 0
		.amdhsa_exception_fp_ieee_div_zero 0
		.amdhsa_exception_fp_ieee_overflow 0
		.amdhsa_exception_fp_ieee_underflow 0
		.amdhsa_exception_fp_ieee_inexact 0
		.amdhsa_exception_int_div_zero 0
	.end_amdhsa_kernel
	.section	.text._ZN12_GLOBAL__N_120softmax_warp_forwardIN3c104HalfEffLi8ELb0ELb0ELi32EEEvPT0_PKT_iiiPKbib,"axG",@progbits,_ZN12_GLOBAL__N_120softmax_warp_forwardIN3c104HalfEffLi8ELb0ELb0ELi32EEEvPT0_PKT_iiiPKbib,comdat
.Lfunc_end449:
	.size	_ZN12_GLOBAL__N_120softmax_warp_forwardIN3c104HalfEffLi8ELb0ELb0ELi32EEEvPT0_PKT_iiiPKbib, .Lfunc_end449-_ZN12_GLOBAL__N_120softmax_warp_forwardIN3c104HalfEffLi8ELb0ELb0ELi32EEEvPT0_PKT_iiiPKbib
                                        ; -- End function
	.section	.AMDGPU.csdata,"",@progbits
; Kernel info:
; codeLenInByte = 2612
; NumSgprs: 28
; NumVgprs: 23
; NumAgprs: 0
; TotalNumVgprs: 23
; ScratchSize: 0
; MemoryBound: 0
; FloatMode: 240
; IeeeMode: 1
; LDSByteSize: 0 bytes/workgroup (compile time only)
; SGPRBlocks: 3
; VGPRBlocks: 2
; NumSGPRsForWavesPerEU: 28
; NumVGPRsForWavesPerEU: 23
; AccumOffset: 24
; Occupancy: 8
; WaveLimiterHint : 0
; COMPUTE_PGM_RSRC2:SCRATCH_EN: 0
; COMPUTE_PGM_RSRC2:USER_SGPR: 6
; COMPUTE_PGM_RSRC2:TRAP_HANDLER: 0
; COMPUTE_PGM_RSRC2:TGID_X_EN: 1
; COMPUTE_PGM_RSRC2:TGID_Y_EN: 0
; COMPUTE_PGM_RSRC2:TGID_Z_EN: 0
; COMPUTE_PGM_RSRC2:TIDIG_COMP_CNT: 1
; COMPUTE_PGM_RSRC3_GFX90A:ACCUM_OFFSET: 5
; COMPUTE_PGM_RSRC3_GFX90A:TG_SPLIT: 0
	.section	.text._ZN12_GLOBAL__N_120softmax_warp_forwardIN3c104HalfEffLi9ELb0ELb0ELi64EEEvPT0_PKT_iiiPKbib,"axG",@progbits,_ZN12_GLOBAL__N_120softmax_warp_forwardIN3c104HalfEffLi9ELb0ELb0ELi64EEEvPT0_PKT_iiiPKbib,comdat
	.globl	_ZN12_GLOBAL__N_120softmax_warp_forwardIN3c104HalfEffLi9ELb0ELb0ELi64EEEvPT0_PKT_iiiPKbib ; -- Begin function _ZN12_GLOBAL__N_120softmax_warp_forwardIN3c104HalfEffLi9ELb0ELb0ELi64EEEvPT0_PKT_iiiPKbib
	.p2align	8
	.type	_ZN12_GLOBAL__N_120softmax_warp_forwardIN3c104HalfEffLi9ELb0ELb0ELi64EEEvPT0_PKT_iiiPKbib,@function
_ZN12_GLOBAL__N_120softmax_warp_forwardIN3c104HalfEffLi9ELb0ELb0ELi64EEEvPT0_PKT_iiiPKbib: ; @_ZN12_GLOBAL__N_120softmax_warp_forwardIN3c104HalfEffLi9ELb0ELb0ELi64EEEvPT0_PKT_iiiPKbib
; %bb.0:
	s_load_dword s0, s[4:5], 0x3c
	s_load_dwordx8 s[16:23], s[4:5], 0x0
	v_bfe_u32 v1, v0, 10, 10
	v_and_b32_e32 v4, 0x3ff, v0
	v_mov_b32_e32 v9, 0xff800000
	s_waitcnt lgkmcnt(0)
	s_lshr_b32 s0, s0, 16
	s_mul_i32 s6, s6, s0
	v_add_u32_e32 v1, s6, v1
	v_sub_u32_e32 v5, s20, v1
	v_mad_u64_u32 v[0:1], s[0:1], v1, s21, v[4:5]
	v_ashrrev_i32_e32 v1, 31, v0
	v_lshlrev_b64 v[2:3], 1, v[0:1]
	v_mov_b32_e32 v6, s19
	v_add_co_u32_e32 v2, vcc, s18, v2
	v_addc_co_u32_e32 v3, vcc, v6, v3, vcc
	v_cmp_lt_i32_e64 s[14:15], 0, v5
	v_cmp_gt_i32_e32 vcc, s22, v4
	s_and_b64 s[2:3], s[14:15], vcc
	v_mov_b32_e32 v13, 0xff800000
	s_and_saveexec_b64 s[0:1], s[2:3]
	s_cbranch_execz .LBB450_2
; %bb.1:
	global_load_ushort v6, v[2:3], off
	s_waitcnt vmcnt(0)
	v_cvt_f32_f16_e32 v13, v6
.LBB450_2:
	s_or_b64 exec, exec, s[0:1]
	v_add_u32_e32 v6, 64, v4
	v_cmp_gt_i32_e64 s[12:13], s22, v6
	s_and_b64 s[2:3], s[14:15], s[12:13]
	s_and_saveexec_b64 s[0:1], s[2:3]
	s_cbranch_execz .LBB450_4
; %bb.3:
	global_load_ushort v6, v[2:3], off offset:128
	s_waitcnt vmcnt(0)
	v_cvt_f32_f16_e32 v9, v6
.LBB450_4:
	s_or_b64 exec, exec, s[0:1]
	v_add_u32_e32 v6, 0x80, v4
	v_cmp_gt_i32_e64 s[10:11], s22, v6
	s_and_b64 s[2:3], s[14:15], s[10:11]
	v_mov_b32_e32 v8, 0xff800000
	v_mov_b32_e32 v12, 0xff800000
	s_and_saveexec_b64 s[0:1], s[2:3]
	s_cbranch_execz .LBB450_6
; %bb.5:
	global_load_ushort v6, v[2:3], off offset:256
	s_waitcnt vmcnt(0)
	v_cvt_f32_f16_e32 v12, v6
.LBB450_6:
	s_or_b64 exec, exec, s[0:1]
	v_add_u32_e32 v6, 0xc0, v4
	v_cmp_gt_i32_e64 s[8:9], s22, v6
	s_and_b64 s[2:3], s[14:15], s[8:9]
	s_and_saveexec_b64 s[0:1], s[2:3]
	s_cbranch_execz .LBB450_8
; %bb.7:
	global_load_ushort v6, v[2:3], off offset:384
	s_waitcnt vmcnt(0)
	v_cvt_f32_f16_e32 v8, v6
.LBB450_8:
	s_or_b64 exec, exec, s[0:1]
	v_add_u32_e32 v6, 0x100, v4
	v_cmp_gt_i32_e64 s[6:7], s22, v6
	s_and_b64 s[2:3], s[14:15], s[6:7]
	v_mov_b32_e32 v7, 0xff800000
	v_mov_b32_e32 v11, 0xff800000
	s_and_saveexec_b64 s[0:1], s[2:3]
	s_cbranch_execz .LBB450_10
; %bb.9:
	global_load_ushort v6, v[2:3], off offset:512
	s_waitcnt vmcnt(0)
	v_cvt_f32_f16_e32 v11, v6
.LBB450_10:
	;; [unrolled: 24-line block ×3, first 2 shown]
	s_or_b64 exec, exec, s[0:1]
	v_add_u32_e32 v4, 0x1c0, v4
	v_cmp_gt_i32_e64 s[0:1], s22, v4
	s_and_b64 s[18:19], s[14:15], s[0:1]
	s_and_saveexec_b64 s[14:15], s[18:19]
	s_cbranch_execz .LBB450_16
; %bb.15:
	global_load_ushort v2, v[2:3], off offset:896
	s_waitcnt vmcnt(0)
	v_cvt_f32_f16_e32 v6, v2
.LBB450_16:
	s_or_b64 exec, exec, s[14:15]
	v_cmp_gt_f32_e64 s[14:15], v13, v9
	v_cndmask_b32_e64 v2, v9, v13, s[14:15]
	v_cmp_gt_f32_e64 s[14:15], v2, v12
	v_cndmask_b32_e64 v2, v12, v2, s[14:15]
	v_cmp_gt_f32_e64 s[14:15], v2, v8
	v_cndmask_b32_e64 v2, v8, v2, s[14:15]
	v_cmp_gt_f32_e64 s[14:15], v2, v11
	v_cndmask_b32_e64 v2, v11, v2, s[14:15]
	v_cmp_gt_f32_e64 s[14:15], v2, v7
	v_cndmask_b32_e64 v2, v7, v2, s[14:15]
	v_mbcnt_lo_u32_b32 v3, -1, 0
	v_cmp_gt_f32_e64 s[14:15], v2, v10
	v_mbcnt_hi_u32_b32 v3, -1, v3
	v_cndmask_b32_e64 v2, v10, v2, s[14:15]
	v_and_b32_e32 v4, 64, v3
	v_cmp_gt_f32_e64 s[14:15], v2, v6
	v_add_u32_e32 v4, 64, v4
	v_xor_b32_e32 v14, 32, v3
	v_cndmask_b32_e64 v2, v6, v2, s[14:15]
	v_cmp_lt_i32_e64 s[14:15], v14, v4
	v_cndmask_b32_e64 v14, v3, v14, s[14:15]
	v_lshlrev_b32_e32 v14, 2, v14
	ds_bpermute_b32 v15, v14, v2
	s_mov_b32 s18, 0x3fb8aa3b
	s_mov_b32 s19, 0xc2ce8ed0
	;; [unrolled: 1-line block ×3, first 2 shown]
	v_mov_b32_e32 v22, 0x7f800000
	s_waitcnt lgkmcnt(0)
	v_cmp_lt_f32_e64 s[14:15], v2, v15
	v_cndmask_b32_e64 v2, v2, v15, s[14:15]
	v_xor_b32_e32 v15, 16, v3
	v_cmp_lt_i32_e64 s[14:15], v15, v4
	v_cndmask_b32_e64 v15, v3, v15, s[14:15]
	v_lshlrev_b32_e32 v15, 2, v15
	ds_bpermute_b32 v16, v15, v2
	s_waitcnt lgkmcnt(0)
	v_cmp_lt_f32_e64 s[14:15], v2, v16
	v_cndmask_b32_e64 v2, v2, v16, s[14:15]
	v_xor_b32_e32 v16, 8, v3
	v_cmp_lt_i32_e64 s[14:15], v16, v4
	v_cndmask_b32_e64 v16, v3, v16, s[14:15]
	v_lshlrev_b32_e32 v16, 2, v16
	ds_bpermute_b32 v17, v16, v2
	;; [unrolled: 8-line block ×5, first 2 shown]
	s_waitcnt lgkmcnt(0)
	v_cmp_lt_f32_e64 s[14:15], v2, v3
	v_cndmask_b32_e64 v2, v2, v3, s[14:15]
	v_sub_f32_e32 v3, v13, v2
	v_mul_f32_e32 v4, 0x3fb8aa3b, v3
	v_fma_f32 v13, v3, s18, -v4
	v_rndne_f32_e32 v20, v4
	v_fmac_f32_e32 v13, 0x32a5705f, v3
	v_sub_f32_e32 v4, v4, v20
	v_add_f32_e32 v4, v4, v13
	v_exp_f32_e32 v4, v4
	v_cvt_i32_f32_e32 v13, v20
	v_sub_f32_e32 v9, v9, v2
	v_cmp_ngt_f32_e64 s[14:15], s19, v3
	v_sub_f32_e32 v8, v8, v2
	v_ldexp_f32 v4, v4, v13
	v_mul_f32_e32 v13, 0x3fb8aa3b, v9
	v_fma_f32 v20, v9, s18, -v13
	v_rndne_f32_e32 v21, v13
	v_fmac_f32_e32 v20, 0x32a5705f, v9
	v_sub_f32_e32 v13, v13, v21
	v_add_f32_e32 v13, v13, v20
	v_exp_f32_e32 v20, v13
	v_cvt_i32_f32_e32 v21, v21
	v_cndmask_b32_e64 v4, 0, v4, s[14:15]
	v_cmp_nlt_f32_e64 s[14:15], s20, v3
	v_cndmask_b32_e64 v13, v22, v4, s[14:15]
	v_sub_f32_e32 v4, v12, v2
	v_mul_f32_e32 v12, 0x3fb8aa3b, v4
	v_ldexp_f32 v3, v20, v21
	v_fma_f32 v20, v4, s18, -v12
	v_rndne_f32_e32 v21, v12
	v_fmac_f32_e32 v20, 0x32a5705f, v4
	v_sub_f32_e32 v12, v12, v21
	v_add_f32_e32 v12, v12, v20
	v_exp_f32_e32 v20, v12
	v_cvt_i32_f32_e32 v21, v21
	v_cmp_ngt_f32_e64 s[14:15], s19, v9
	v_cndmask_b32_e64 v3, 0, v3, s[14:15]
	v_cmp_nlt_f32_e64 s[14:15], s20, v9
	v_ldexp_f32 v9, v20, v21
	v_mul_f32_e32 v20, 0x3fb8aa3b, v8
	v_fma_f32 v21, v8, s18, -v20
	v_rndne_f32_e32 v23, v20
	v_fmac_f32_e32 v21, 0x32a5705f, v8
	v_sub_f32_e32 v20, v20, v23
	v_add_f32_e32 v20, v20, v21
	v_exp_f32_e32 v20, v20
	v_cvt_i32_f32_e32 v21, v23
	v_cndmask_b32_e64 v12, v22, v3, s[14:15]
	v_cmp_ngt_f32_e64 s[14:15], s19, v4
	v_sub_f32_e32 v11, v11, v2
	v_cndmask_b32_e64 v9, 0, v9, s[14:15]
	v_cmp_nlt_f32_e64 s[14:15], s20, v4
	v_ldexp_f32 v4, v20, v21
	v_mul_f32_e32 v20, 0x3fb8aa3b, v11
	v_fma_f32 v21, v11, s18, -v20
	v_rndne_f32_e32 v23, v20
	v_fmac_f32_e32 v21, 0x32a5705f, v11
	v_sub_f32_e32 v20, v20, v23
	v_add_f32_e32 v20, v20, v21
	v_exp_f32_e32 v20, v20
	v_cvt_i32_f32_e32 v21, v23
	v_cndmask_b32_e64 v9, v22, v9, s[14:15]
	v_cmp_ngt_f32_e64 s[14:15], s19, v8
	v_cndmask_b32_e64 v4, 0, v4, s[14:15]
	v_cmp_nlt_f32_e64 s[14:15], s20, v8
	v_cndmask_b32_e64 v8, v22, v4, s[14:15]
	v_ldexp_f32 v4, v20, v21
	v_sub_f32_e32 v20, v7, v2
	v_mul_f32_e32 v7, 0x3fb8aa3b, v20
	v_fma_f32 v21, v20, s18, -v7
	v_rndne_f32_e32 v23, v7
	v_fmac_f32_e32 v21, 0x32a5705f, v20
	v_sub_f32_e32 v7, v7, v23
	v_add_f32_e32 v7, v7, v21
	v_exp_f32_e32 v21, v7
	v_cvt_i32_f32_e32 v23, v23
	v_cmp_ngt_f32_e64 s[14:15], s19, v11
	v_sub_f32_e32 v10, v10, v2
	v_cndmask_b32_e64 v4, 0, v4, s[14:15]
	v_cmp_nlt_f32_e64 s[14:15], s20, v11
	v_mul_f32_e32 v11, 0x3fb8aa3b, v10
	v_cndmask_b32_e64 v7, v22, v4, s[14:15]
	v_ldexp_f32 v4, v21, v23
	v_fma_f32 v21, v10, s18, -v11
	v_rndne_f32_e32 v23, v11
	v_fmac_f32_e32 v21, 0x32a5705f, v10
	v_sub_f32_e32 v11, v11, v23
	v_add_f32_e32 v11, v11, v21
	v_add_f32_e32 v3, v13, v12
	v_exp_f32_e32 v11, v11
	v_cvt_i32_f32_e32 v21, v23
	v_add_f32_e32 v3, v3, v9
	v_cmp_ngt_f32_e64 s[14:15], s19, v20
	v_add_f32_e32 v3, v3, v8
	v_cndmask_b32_e64 v4, 0, v4, s[14:15]
	v_cmp_nlt_f32_e64 s[14:15], s20, v20
	v_sub_f32_e32 v2, v6, v2
	v_add_f32_e32 v3, v3, v7
	v_cndmask_b32_e64 v4, v22, v4, s[14:15]
	v_mul_f32_e32 v6, 0x3fb8aa3b, v2
	v_add_f32_e32 v20, v3, v4
	v_ldexp_f32 v3, v11, v21
	v_fma_f32 v11, v2, s18, -v6
	v_rndne_f32_e32 v21, v6
	v_fmac_f32_e32 v11, 0x32a5705f, v2
	v_sub_f32_e32 v6, v6, v21
	v_add_f32_e32 v6, v6, v11
	v_exp_f32_e32 v6, v6
	v_cvt_i32_f32_e32 v11, v21
	v_cmp_ngt_f32_e64 s[14:15], s19, v10
	v_cndmask_b32_e64 v3, 0, v3, s[14:15]
	v_cmp_nlt_f32_e64 s[14:15], s20, v10
	v_cndmask_b32_e64 v3, v22, v3, s[14:15]
	v_ldexp_f32 v6, v6, v11
	v_cmp_ngt_f32_e64 s[14:15], s19, v2
	v_cndmask_b32_e64 v6, 0, v6, s[14:15]
	v_cmp_nlt_f32_e64 s[14:15], s20, v2
	v_add_f32_e32 v10, v20, v3
	v_cndmask_b32_e64 v2, v22, v6, s[14:15]
	v_add_f32_e32 v6, v10, v2
	ds_bpermute_b32 v10, v14, v6
	v_cmp_lt_i32_e64 s[14:15], 0, v5
	s_waitcnt lgkmcnt(0)
	v_add_f32_e32 v6, v6, v10
	ds_bpermute_b32 v10, v15, v6
	s_waitcnt lgkmcnt(0)
	v_add_f32_e32 v6, v6, v10
	ds_bpermute_b32 v10, v16, v6
	;; [unrolled: 3-line block ×5, first 2 shown]
	s_and_saveexec_b64 s[18:19], s[14:15]
	s_cbranch_execz .LBB450_26
; %bb.17:
	s_and_b64 exec, exec, vcc
	s_cbranch_execz .LBB450_26
; %bb.18:
	s_waitcnt lgkmcnt(0)
	v_add_f32_e32 v5, v6, v10
	v_div_scale_f32 v10, s[14:15], v5, v5, v13
	v_rcp_f32_e32 v11, v10
	v_lshlrev_b64 v[0:1], 2, v[0:1]
	v_mov_b32_e32 v6, s17
	v_add_co_u32_e32 v0, vcc, s16, v0
	v_addc_co_u32_e32 v1, vcc, v6, v1, vcc
	v_fma_f32 v6, -v10, v11, 1.0
	v_fmac_f32_e32 v11, v6, v11
	v_div_scale_f32 v6, vcc, v13, v5, v13
	v_mul_f32_e32 v14, v6, v11
	v_fma_f32 v15, -v10, v14, v6
	v_fmac_f32_e32 v14, v15, v11
	v_fma_f32 v6, -v10, v14, v6
	v_div_fmas_f32 v6, v6, v11, v14
	v_div_fixup_f32 v10, v6, v5, v13
	v_mov_b32_e32 v6, 0x7fc00000
	v_cmp_eq_f32_e64 s[14:15], 0, v5
	v_cndmask_b32_e64 v10, v10, v6, s[14:15]
	global_store_dword v[0:1], v10, off
	s_and_b64 exec, exec, s[12:13]
	s_cbranch_execz .LBB450_26
; %bb.19:
	v_div_scale_f32 v10, s[12:13], v5, v5, v12
	v_rcp_f32_e32 v11, v10
	v_div_scale_f32 v13, vcc, v12, v5, v12
	v_fma_f32 v14, -v10, v11, 1.0
	v_fmac_f32_e32 v11, v14, v11
	v_mul_f32_e32 v14, v13, v11
	v_fma_f32 v15, -v10, v14, v13
	v_fmac_f32_e32 v14, v15, v11
	v_fma_f32 v10, -v10, v14, v13
	v_div_fmas_f32 v10, v10, v11, v14
	v_div_fixup_f32 v10, v10, v5, v12
	v_cndmask_b32_e64 v6, v10, v6, s[14:15]
	global_store_dword v[0:1], v6, off offset:256
	s_and_b64 exec, exec, s[10:11]
	s_cbranch_execz .LBB450_26
; %bb.20:
	v_div_scale_f32 v6, s[10:11], v5, v5, v9
	v_rcp_f32_e32 v10, v6
	v_div_scale_f32 v11, vcc, v9, v5, v9
	v_fma_f32 v12, -v6, v10, 1.0
	v_fmac_f32_e32 v10, v12, v10
	v_mul_f32_e32 v12, v11, v10
	v_fma_f32 v13, -v6, v12, v11
	v_fmac_f32_e32 v12, v13, v10
	v_fma_f32 v6, -v6, v12, v11
	v_div_fmas_f32 v6, v6, v10, v12
	v_div_fixup_f32 v9, v6, v5, v9
	v_mov_b32_e32 v6, 0x7fc00000
	v_cndmask_b32_e64 v9, v9, v6, s[14:15]
	global_store_dword v[0:1], v9, off offset:512
	s_and_b64 exec, exec, s[8:9]
	s_cbranch_execz .LBB450_26
; %bb.21:
	v_div_scale_f32 v9, s[8:9], v5, v5, v8
	v_rcp_f32_e32 v10, v9
	v_div_scale_f32 v11, vcc, v8, v5, v8
	v_fma_f32 v12, -v9, v10, 1.0
	v_fmac_f32_e32 v10, v12, v10
	v_mul_f32_e32 v12, v11, v10
	v_fma_f32 v13, -v9, v12, v11
	v_fmac_f32_e32 v12, v13, v10
	v_fma_f32 v9, -v9, v12, v11
	v_div_fmas_f32 v9, v9, v10, v12
	v_div_fixup_f32 v8, v9, v5, v8
	v_cndmask_b32_e64 v6, v8, v6, s[14:15]
	global_store_dword v[0:1], v6, off offset:768
	s_and_b64 exec, exec, s[6:7]
	s_cbranch_execz .LBB450_26
; %bb.22:
	v_div_scale_f32 v6, s[6:7], v5, v5, v7
	v_rcp_f32_e32 v8, v6
	v_div_scale_f32 v9, vcc, v7, v5, v7
	v_fma_f32 v10, -v6, v8, 1.0
	v_fmac_f32_e32 v8, v10, v8
	v_mul_f32_e32 v10, v9, v8
	v_fma_f32 v11, -v6, v10, v9
	v_fmac_f32_e32 v10, v11, v8
	v_fma_f32 v6, -v6, v10, v9
	v_div_fmas_f32 v6, v6, v8, v10
	v_div_fixup_f32 v7, v6, v5, v7
	v_mov_b32_e32 v6, 0x7fc00000
	v_cndmask_b32_e64 v7, v7, v6, s[14:15]
	global_store_dword v[0:1], v7, off offset:1024
	;; [unrolled: 33-line block ×3, first 2 shown]
	s_and_b64 exec, exec, s[0:1]
	s_cbranch_execz .LBB450_26
; %bb.25:
	v_div_scale_f32 v4, s[0:1], v5, v5, v2
	v_rcp_f32_e32 v6, v4
	v_div_scale_f32 v7, vcc, v2, v5, v2
	v_fma_f32 v8, -v4, v6, 1.0
	v_fmac_f32_e32 v6, v8, v6
	v_mul_f32_e32 v8, v7, v6
	v_fma_f32 v9, -v4, v8, v7
	v_fmac_f32_e32 v8, v9, v6
	v_fma_f32 v4, -v4, v8, v7
	v_div_fmas_f32 v4, v4, v6, v8
	v_div_fixup_f32 v2, v4, v5, v2
	v_cndmask_b32_e64 v2, v2, v3, s[14:15]
	global_store_dword v[0:1], v2, off offset:1792
.LBB450_26:
	s_endpgm
	.section	.rodata,"a",@progbits
	.p2align	6, 0x0
	.amdhsa_kernel _ZN12_GLOBAL__N_120softmax_warp_forwardIN3c104HalfEffLi9ELb0ELb0ELi64EEEvPT0_PKT_iiiPKbib
		.amdhsa_group_segment_fixed_size 0
		.amdhsa_private_segment_fixed_size 0
		.amdhsa_kernarg_size 304
		.amdhsa_user_sgpr_count 6
		.amdhsa_user_sgpr_private_segment_buffer 1
		.amdhsa_user_sgpr_dispatch_ptr 0
		.amdhsa_user_sgpr_queue_ptr 0
		.amdhsa_user_sgpr_kernarg_segment_ptr 1
		.amdhsa_user_sgpr_dispatch_id 0
		.amdhsa_user_sgpr_flat_scratch_init 0
		.amdhsa_user_sgpr_kernarg_preload_length 0
		.amdhsa_user_sgpr_kernarg_preload_offset 0
		.amdhsa_user_sgpr_private_segment_size 0
		.amdhsa_uses_dynamic_stack 0
		.amdhsa_system_sgpr_private_segment_wavefront_offset 0
		.amdhsa_system_sgpr_workgroup_id_x 1
		.amdhsa_system_sgpr_workgroup_id_y 0
		.amdhsa_system_sgpr_workgroup_id_z 0
		.amdhsa_system_sgpr_workgroup_info 0
		.amdhsa_system_vgpr_workitem_id 1
		.amdhsa_next_free_vgpr 24
		.amdhsa_next_free_sgpr 24
		.amdhsa_accum_offset 24
		.amdhsa_reserve_vcc 1
		.amdhsa_reserve_flat_scratch 0
		.amdhsa_float_round_mode_32 0
		.amdhsa_float_round_mode_16_64 0
		.amdhsa_float_denorm_mode_32 3
		.amdhsa_float_denorm_mode_16_64 3
		.amdhsa_dx10_clamp 1
		.amdhsa_ieee_mode 1
		.amdhsa_fp16_overflow 0
		.amdhsa_tg_split 0
		.amdhsa_exception_fp_ieee_invalid_op 0
		.amdhsa_exception_fp_denorm_src 0
		.amdhsa_exception_fp_ieee_div_zero 0
		.amdhsa_exception_fp_ieee_overflow 0
		.amdhsa_exception_fp_ieee_underflow 0
		.amdhsa_exception_fp_ieee_inexact 0
		.amdhsa_exception_int_div_zero 0
	.end_amdhsa_kernel
	.section	.text._ZN12_GLOBAL__N_120softmax_warp_forwardIN3c104HalfEffLi9ELb0ELb0ELi64EEEvPT0_PKT_iiiPKbib,"axG",@progbits,_ZN12_GLOBAL__N_120softmax_warp_forwardIN3c104HalfEffLi9ELb0ELb0ELi64EEEvPT0_PKT_iiiPKbib,comdat
.Lfunc_end450:
	.size	_ZN12_GLOBAL__N_120softmax_warp_forwardIN3c104HalfEffLi9ELb0ELb0ELi64EEEvPT0_PKT_iiiPKbib, .Lfunc_end450-_ZN12_GLOBAL__N_120softmax_warp_forwardIN3c104HalfEffLi9ELb0ELb0ELi64EEEvPT0_PKT_iiiPKbib
                                        ; -- End function
	.section	.AMDGPU.csdata,"",@progbits
; Kernel info:
; codeLenInByte = 2680
; NumSgprs: 28
; NumVgprs: 24
; NumAgprs: 0
; TotalNumVgprs: 24
; ScratchSize: 0
; MemoryBound: 0
; FloatMode: 240
; IeeeMode: 1
; LDSByteSize: 0 bytes/workgroup (compile time only)
; SGPRBlocks: 3
; VGPRBlocks: 2
; NumSGPRsForWavesPerEU: 28
; NumVGPRsForWavesPerEU: 24
; AccumOffset: 24
; Occupancy: 8
; WaveLimiterHint : 0
; COMPUTE_PGM_RSRC2:SCRATCH_EN: 0
; COMPUTE_PGM_RSRC2:USER_SGPR: 6
; COMPUTE_PGM_RSRC2:TRAP_HANDLER: 0
; COMPUTE_PGM_RSRC2:TGID_X_EN: 1
; COMPUTE_PGM_RSRC2:TGID_Y_EN: 0
; COMPUTE_PGM_RSRC2:TGID_Z_EN: 0
; COMPUTE_PGM_RSRC2:TIDIG_COMP_CNT: 1
; COMPUTE_PGM_RSRC3_GFX90A:ACCUM_OFFSET: 5
; COMPUTE_PGM_RSRC3_GFX90A:TG_SPLIT: 0
	.section	.text._ZN12_GLOBAL__N_120softmax_warp_forwardIN3c104HalfEffLi9ELb0ELb0ELi32EEEvPT0_PKT_iiiPKbib,"axG",@progbits,_ZN12_GLOBAL__N_120softmax_warp_forwardIN3c104HalfEffLi9ELb0ELb0ELi32EEEvPT0_PKT_iiiPKbib,comdat
	.globl	_ZN12_GLOBAL__N_120softmax_warp_forwardIN3c104HalfEffLi9ELb0ELb0ELi32EEEvPT0_PKT_iiiPKbib ; -- Begin function _ZN12_GLOBAL__N_120softmax_warp_forwardIN3c104HalfEffLi9ELb0ELb0ELi32EEEvPT0_PKT_iiiPKbib
	.p2align	8
	.type	_ZN12_GLOBAL__N_120softmax_warp_forwardIN3c104HalfEffLi9ELb0ELb0ELi32EEEvPT0_PKT_iiiPKbib,@function
_ZN12_GLOBAL__N_120softmax_warp_forwardIN3c104HalfEffLi9ELb0ELb0ELi32EEEvPT0_PKT_iiiPKbib: ; @_ZN12_GLOBAL__N_120softmax_warp_forwardIN3c104HalfEffLi9ELb0ELb0ELi32EEEvPT0_PKT_iiiPKbib
; %bb.0:
	s_load_dword s0, s[4:5], 0x3c
	s_load_dwordx8 s[36:43], s[4:5], 0x0
	v_bfe_u32 v1, v0, 10, 10
	v_and_b32_e32 v4, 0x3ff, v0
	v_mov_b32_e32 v15, 0xff800000
	s_waitcnt lgkmcnt(0)
	s_lshr_b32 s0, s0, 16
	s_mul_i32 s6, s6, s0
	v_add_u32_e32 v1, s6, v1
	v_sub_u32_e32 v5, s40, v1
	v_mad_u64_u32 v[0:1], s[0:1], v1, s41, v[4:5]
	v_ashrrev_i32_e32 v1, 31, v0
	v_lshlrev_b64 v[2:3], 1, v[0:1]
	v_mov_b32_e32 v6, s39
	v_add_co_u32_e32 v2, vcc, s38, v2
	v_addc_co_u32_e32 v3, vcc, v6, v3, vcc
	v_cmp_lt_i32_e64 s[30:31], 0, v5
	v_cmp_gt_i32_e32 vcc, s42, v4
	s_and_b64 s[2:3], s[30:31], vcc
	v_mov_b32_e32 v22, 0xff800000
	s_and_saveexec_b64 s[0:1], s[2:3]
	s_cbranch_execz .LBB451_2
; %bb.1:
	global_load_ushort v6, v[2:3], off
	s_waitcnt vmcnt(0)
	v_cvt_f32_f16_e32 v22, v6
.LBB451_2:
	s_or_b64 exec, exec, s[0:1]
	v_add_u32_e32 v6, 32, v4
	v_cmp_gt_i32_e64 s[28:29], s42, v6
	s_and_b64 s[2:3], s[30:31], s[28:29]
	s_and_saveexec_b64 s[0:1], s[2:3]
	s_cbranch_execz .LBB451_4
; %bb.3:
	global_load_ushort v6, v[2:3], off offset:64
	s_waitcnt vmcnt(0)
	v_cvt_f32_f16_e32 v15, v6
.LBB451_4:
	s_or_b64 exec, exec, s[0:1]
	v_add_u32_e32 v6, 64, v4
	v_cmp_gt_i32_e64 s[26:27], s42, v6
	s_and_b64 s[2:3], s[30:31], s[26:27]
	v_mov_b32_e32 v13, 0xff800000
	v_mov_b32_e32 v20, 0xff800000
	s_and_saveexec_b64 s[0:1], s[2:3]
	s_cbranch_execz .LBB451_6
; %bb.5:
	global_load_ushort v6, v[2:3], off offset:128
	s_waitcnt vmcnt(0)
	v_cvt_f32_f16_e32 v20, v6
.LBB451_6:
	s_or_b64 exec, exec, s[0:1]
	v_add_u32_e32 v6, 0x60, v4
	v_cmp_gt_i32_e64 s[24:25], s42, v6
	s_and_b64 s[2:3], s[30:31], s[24:25]
	s_and_saveexec_b64 s[0:1], s[2:3]
	s_cbranch_execz .LBB451_8
; %bb.7:
	global_load_ushort v6, v[2:3], off offset:192
	s_waitcnt vmcnt(0)
	v_cvt_f32_f16_e32 v13, v6
.LBB451_8:
	s_or_b64 exec, exec, s[0:1]
	v_add_u32_e32 v6, 0x80, v4
	v_cmp_gt_i32_e64 s[22:23], s42, v6
	s_and_b64 s[2:3], s[30:31], s[22:23]
	v_mov_b32_e32 v11, 0xff800000
	v_mov_b32_e32 v19, 0xff800000
	s_and_saveexec_b64 s[0:1], s[2:3]
	s_cbranch_execz .LBB451_10
; %bb.9:
	global_load_ushort v6, v[2:3], off offset:256
	s_waitcnt vmcnt(0)
	v_cvt_f32_f16_e32 v19, v6
.LBB451_10:
	;; [unrolled: 24-line block ×7, first 2 shown]
	s_or_b64 exec, exec, s[0:1]
	v_add_u32_e32 v4, 0x1e0, v4
	v_cmp_gt_i32_e64 s[0:1], s42, v4
	s_and_b64 s[34:35], s[30:31], s[0:1]
	s_and_saveexec_b64 s[30:31], s[34:35]
	s_cbranch_execz .LBB451_32
; %bb.31:
	global_load_ushort v2, v[2:3], off offset:960
	s_waitcnt vmcnt(0)
	v_cvt_f32_f16_e32 v7, v2
.LBB451_32:
	s_or_b64 exec, exec, s[30:31]
	v_cmp_gt_f32_e64 s[30:31], v22, v15
	v_cndmask_b32_e64 v2, v15, v22, s[30:31]
	v_cmp_gt_f32_e64 s[30:31], v2, v20
	v_cndmask_b32_e64 v2, v20, v2, s[30:31]
	;; [unrolled: 2-line block ×13, first 2 shown]
	v_mbcnt_lo_u32_b32 v3, -1, 0
	v_cmp_gt_f32_e64 s[30:31], v2, v12
	v_mbcnt_hi_u32_b32 v3, -1, v3
	v_cndmask_b32_e64 v2, v12, v2, s[30:31]
	v_and_b32_e32 v4, 0x60, v3
	v_cmp_gt_f32_e64 s[30:31], v2, v7
	v_add_u32_e32 v4, 32, v4
	v_xor_b32_e32 v21, 16, v3
	v_cndmask_b32_e64 v2, v7, v2, s[30:31]
	v_cmp_lt_i32_e64 s[30:31], v21, v4
	v_cndmask_b32_e64 v21, v3, v21, s[30:31]
	v_lshlrev_b32_e32 v21, 2, v21
	ds_bpermute_b32 v23, v21, v2
	s_mov_b32 s34, 0x3fb8aa3b
	s_mov_b32 s33, 0xc2ce8ed0
	;; [unrolled: 1-line block ×3, first 2 shown]
	v_mov_b32_e32 v29, 0x7f800000
	s_waitcnt lgkmcnt(0)
	v_cmp_lt_f32_e64 s[30:31], v2, v23
	v_cndmask_b32_e64 v2, v2, v23, s[30:31]
	v_xor_b32_e32 v23, 8, v3
	v_cmp_lt_i32_e64 s[30:31], v23, v4
	v_cndmask_b32_e64 v23, v3, v23, s[30:31]
	v_lshlrev_b32_e32 v23, 2, v23
	ds_bpermute_b32 v24, v23, v2
	s_waitcnt lgkmcnt(0)
	v_cmp_lt_f32_e64 s[30:31], v2, v24
	v_cndmask_b32_e64 v2, v2, v24, s[30:31]
	v_xor_b32_e32 v24, 4, v3
	v_cmp_lt_i32_e64 s[30:31], v24, v4
	v_cndmask_b32_e64 v24, v3, v24, s[30:31]
	v_lshlrev_b32_e32 v25, 2, v24
	ds_bpermute_b32 v24, v25, v2
	;; [unrolled: 8-line block ×4, first 2 shown]
	s_waitcnt lgkmcnt(0)
	v_cmp_lt_f32_e64 s[30:31], v2, v3
	v_cndmask_b32_e64 v2, v2, v3, s[30:31]
	v_sub_f32_e32 v3, v22, v2
	v_mul_f32_e32 v4, 0x3fb8aa3b, v3
	v_fma_f32 v22, v3, s34, -v4
	v_rndne_f32_e32 v24, v4
	v_fmac_f32_e32 v22, 0x32a5705f, v3
	v_sub_f32_e32 v4, v4, v24
	v_add_f32_e32 v4, v4, v22
	v_exp_f32_e32 v4, v4
	v_cvt_i32_f32_e32 v22, v24
	v_sub_f32_e32 v15, v15, v2
	v_cmp_ngt_f32_e64 s[30:31], s33, v3
	v_sub_f32_e32 v13, v13, v2
	v_ldexp_f32 v4, v4, v22
	v_mul_f32_e32 v22, 0x3fb8aa3b, v15
	v_fma_f32 v24, v15, s34, -v22
	v_rndne_f32_e32 v27, v22
	v_fmac_f32_e32 v24, 0x32a5705f, v15
	v_sub_f32_e32 v22, v22, v27
	v_add_f32_e32 v22, v22, v24
	v_exp_f32_e32 v22, v22
	v_cvt_i32_f32_e32 v24, v27
	v_cndmask_b32_e64 v4, 0, v4, s[30:31]
	v_cmp_nlt_f32_e64 s[30:31], s35, v3
	v_cndmask_b32_e64 v27, v29, v4, s[30:31]
	v_sub_f32_e32 v4, v20, v2
	v_mul_f32_e32 v20, 0x3fb8aa3b, v4
	v_ldexp_f32 v3, v22, v24
	v_fma_f32 v22, v4, s34, -v20
	v_rndne_f32_e32 v24, v20
	v_fmac_f32_e32 v22, 0x32a5705f, v4
	v_sub_f32_e32 v20, v20, v24
	v_add_f32_e32 v20, v20, v22
	v_exp_f32_e32 v20, v20
	v_cvt_i32_f32_e32 v22, v24
	v_cmp_ngt_f32_e64 s[30:31], s33, v15
	v_cndmask_b32_e64 v3, 0, v3, s[30:31]
	v_cmp_nlt_f32_e64 s[30:31], s35, v15
	v_ldexp_f32 v15, v20, v22
	v_mul_f32_e32 v20, 0x3fb8aa3b, v13
	v_fma_f32 v22, v13, s34, -v20
	v_rndne_f32_e32 v30, v20
	v_fmac_f32_e32 v22, 0x32a5705f, v13
	v_sub_f32_e32 v20, v20, v30
	v_add_f32_e32 v20, v20, v22
	v_cndmask_b32_e64 v24, v29, v3, s[30:31]
	v_cmp_ngt_f32_e64 s[30:31], s33, v4
	v_exp_f32_e32 v20, v20
	v_cvt_i32_f32_e32 v30, v30
	v_cndmask_b32_e64 v15, 0, v15, s[30:31]
	v_cmp_nlt_f32_e64 s[30:31], s35, v4
	v_cndmask_b32_e64 v22, v29, v15, s[30:31]
	v_sub_f32_e32 v15, v19, v2
	v_mul_f32_e32 v19, 0x3fb8aa3b, v15
	v_ldexp_f32 v4, v20, v30
	v_fma_f32 v20, v15, s34, -v19
	v_rndne_f32_e32 v30, v19
	v_fmac_f32_e32 v20, 0x32a5705f, v15
	v_sub_f32_e32 v19, v19, v30
	v_add_f32_e32 v19, v19, v20
	v_exp_f32_e32 v19, v19
	v_cvt_i32_f32_e32 v30, v30
	v_cmp_ngt_f32_e64 s[30:31], s33, v13
	v_sub_f32_e32 v11, v11, v2
	v_cndmask_b32_e64 v4, 0, v4, s[30:31]
	v_cmp_nlt_f32_e64 s[30:31], s35, v13
	v_mul_f32_e32 v13, 0x3fb8aa3b, v11
	v_cndmask_b32_e64 v20, v29, v4, s[30:31]
	v_ldexp_f32 v4, v19, v30
	v_fma_f32 v19, v11, s34, -v13
	v_rndne_f32_e32 v30, v13
	v_fmac_f32_e32 v19, 0x32a5705f, v11
	v_sub_f32_e32 v13, v13, v30
	v_add_f32_e32 v13, v13, v19
	v_exp_f32_e32 v13, v13
	v_cvt_i32_f32_e32 v30, v30
	v_cmp_ngt_f32_e64 s[30:31], s33, v15
	v_cndmask_b32_e64 v4, 0, v4, s[30:31]
	v_cmp_nlt_f32_e64 s[30:31], s35, v15
	v_cndmask_b32_e64 v19, v29, v4, s[30:31]
	v_ldexp_f32 v4, v13, v30
	v_sub_f32_e32 v13, v17, v2
	v_mul_f32_e32 v15, 0x3fb8aa3b, v13
	v_fma_f32 v17, v13, s34, -v15
	v_rndne_f32_e32 v30, v15
	v_fmac_f32_e32 v17, 0x32a5705f, v13
	v_sub_f32_e32 v15, v15, v30
	v_add_f32_e32 v15, v15, v17
	v_exp_f32_e32 v15, v15
	v_cvt_i32_f32_e32 v30, v30
	v_cmp_ngt_f32_e64 s[30:31], s33, v11
	v_sub_f32_e32 v10, v10, v2
	v_cndmask_b32_e64 v4, 0, v4, s[30:31]
	v_cmp_nlt_f32_e64 s[30:31], s35, v11
	v_mul_f32_e32 v11, 0x3fb8aa3b, v10
	v_cndmask_b32_e64 v17, v29, v4, s[30:31]
	v_ldexp_f32 v4, v15, v30
	v_fma_f32 v15, v10, s34, -v11
	v_rndne_f32_e32 v30, v11
	v_fmac_f32_e32 v15, 0x32a5705f, v10
	v_sub_f32_e32 v11, v11, v30
	v_add_f32_e32 v11, v11, v15
	v_exp_f32_e32 v11, v11
	v_cvt_i32_f32_e32 v30, v30
	v_cmp_ngt_f32_e64 s[30:31], s33, v13
	v_cndmask_b32_e64 v4, 0, v4, s[30:31]
	v_cmp_nlt_f32_e64 s[30:31], s35, v13
	v_cndmask_b32_e64 v15, v29, v4, s[30:31]
	v_ldexp_f32 v4, v11, v30
	v_sub_f32_e32 v11, v18, v2
	v_mul_f32_e32 v13, 0x3fb8aa3b, v11
	v_fma_f32 v18, v11, s34, -v13
	v_rndne_f32_e32 v30, v13
	v_fmac_f32_e32 v18, 0x32a5705f, v11
	v_sub_f32_e32 v13, v13, v30
	v_add_f32_e32 v13, v13, v18
	v_exp_f32_e32 v18, v13
	v_cvt_i32_f32_e32 v30, v30
	v_cmp_ngt_f32_e64 s[30:31], s33, v10
	v_sub_f32_e32 v9, v9, v2
	v_cndmask_b32_e64 v4, 0, v4, s[30:31]
	v_cmp_nlt_f32_e64 s[30:31], s35, v10
	v_mul_f32_e32 v10, 0x3fb8aa3b, v9
	v_cndmask_b32_e64 v13, v29, v4, s[30:31]
	v_ldexp_f32 v4, v18, v30
	v_fma_f32 v18, v9, s34, -v10
	v_rndne_f32_e32 v30, v10
	v_fmac_f32_e32 v18, 0x32a5705f, v9
	v_sub_f32_e32 v10, v10, v30
	v_add_f32_e32 v10, v10, v18
	v_exp_f32_e32 v10, v10
	v_cvt_i32_f32_e32 v18, v30
	v_cmp_ngt_f32_e64 s[30:31], s33, v11
	v_cndmask_b32_e64 v4, 0, v4, s[30:31]
	v_cmp_nlt_f32_e64 s[30:31], s35, v11
	v_sub_f32_e32 v16, v16, v2
	v_cndmask_b32_e64 v11, v29, v4, s[30:31]
	v_ldexp_f32 v4, v10, v18
	v_mul_f32_e32 v10, 0x3fb8aa3b, v16
	v_fma_f32 v18, v16, s34, -v10
	v_rndne_f32_e32 v30, v10
	v_fmac_f32_e32 v18, 0x32a5705f, v16
	v_sub_f32_e32 v10, v10, v30
	v_add_f32_e32 v10, v10, v18
	v_exp_f32_e32 v18, v10
	v_cvt_i32_f32_e32 v30, v30
	v_cmp_ngt_f32_e64 s[30:31], s33, v9
	v_sub_f32_e32 v8, v8, v2
	v_cndmask_b32_e64 v4, 0, v4, s[30:31]
	v_cmp_nlt_f32_e64 s[30:31], s35, v9
	v_mul_f32_e32 v9, 0x3fb8aa3b, v8
	v_cndmask_b32_e64 v10, v29, v4, s[30:31]
	v_ldexp_f32 v4, v18, v30
	v_fma_f32 v18, v8, s34, -v9
	v_rndne_f32_e32 v30, v9
	v_fmac_f32_e32 v18, 0x32a5705f, v8
	v_sub_f32_e32 v9, v9, v30
	v_add_f32_e32 v9, v9, v18
	v_exp_f32_e32 v18, v9
	v_cvt_i32_f32_e32 v30, v30
	v_cmp_ngt_f32_e64 s[30:31], s33, v16
	v_sub_f32_e32 v14, v14, v2
	v_cndmask_b32_e64 v4, 0, v4, s[30:31]
	v_cmp_nlt_f32_e64 s[30:31], s35, v16
	v_mul_f32_e32 v16, 0x3fb8aa3b, v14
	v_cndmask_b32_e64 v9, v29, v4, s[30:31]
	v_ldexp_f32 v4, v18, v30
	v_fma_f32 v18, v14, s34, -v16
	v_rndne_f32_e32 v30, v16
	v_fmac_f32_e32 v18, 0x32a5705f, v14
	v_sub_f32_e32 v16, v16, v30
	v_add_f32_e32 v16, v16, v18
	v_exp_f32_e32 v16, v16
	v_cvt_i32_f32_e32 v18, v30
	v_cmp_ngt_f32_e64 s[30:31], s33, v8
	v_cndmask_b32_e64 v4, 0, v4, s[30:31]
	v_cmp_nlt_f32_e64 s[30:31], s35, v8
	v_cndmask_b32_e64 v8, v29, v4, s[30:31]
	v_ldexp_f32 v4, v16, v18
	v_sub_f32_e32 v16, v6, v2
	v_mul_f32_e32 v6, 0x3fb8aa3b, v16
	v_fma_f32 v18, v16, s34, -v6
	v_rndne_f32_e32 v30, v6
	v_fmac_f32_e32 v18, 0x32a5705f, v16
	v_sub_f32_e32 v6, v6, v30
	v_add_f32_e32 v3, v27, v24
	v_add_f32_e32 v6, v6, v18
	;; [unrolled: 1-line block ×3, first 2 shown]
	v_exp_f32_e32 v18, v6
	v_cvt_i32_f32_e32 v30, v30
	v_add_f32_e32 v3, v3, v20
	v_add_f32_e32 v3, v3, v19
	v_cmp_ngt_f32_e64 s[30:31], s33, v14
	v_sub_f32_e32 v12, v12, v2
	v_add_f32_e32 v3, v3, v17
	v_cndmask_b32_e64 v4, 0, v4, s[30:31]
	v_cmp_nlt_f32_e64 s[30:31], s35, v14
	v_mul_f32_e32 v14, 0x3fb8aa3b, v12
	v_add_f32_e32 v3, v3, v15
	v_cndmask_b32_e64 v6, v29, v4, s[30:31]
	v_ldexp_f32 v4, v18, v30
	v_fma_f32 v18, v12, s34, -v14
	v_rndne_f32_e32 v30, v14
	v_add_f32_e32 v3, v3, v13
	v_fmac_f32_e32 v18, 0x32a5705f, v12
	v_sub_f32_e32 v14, v14, v30
	v_add_f32_e32 v3, v3, v11
	v_add_f32_e32 v14, v14, v18
	;; [unrolled: 1-line block ×3, first 2 shown]
	v_exp_f32_e32 v14, v14
	v_cvt_i32_f32_e32 v18, v30
	v_add_f32_e32 v3, v3, v9
	v_cmp_ngt_f32_e64 s[30:31], s33, v16
	v_add_f32_e32 v3, v3, v8
	v_cndmask_b32_e64 v4, 0, v4, s[30:31]
	v_cmp_nlt_f32_e64 s[30:31], s35, v16
	v_sub_f32_e32 v2, v7, v2
	v_add_f32_e32 v3, v3, v6
	v_cndmask_b32_e64 v4, v29, v4, s[30:31]
	v_mul_f32_e32 v7, 0x3fb8aa3b, v2
	v_add_f32_e32 v16, v3, v4
	v_ldexp_f32 v3, v14, v18
	v_fma_f32 v14, v2, s34, -v7
	v_rndne_f32_e32 v18, v7
	v_fmac_f32_e32 v14, 0x32a5705f, v2
	v_sub_f32_e32 v7, v7, v18
	v_add_f32_e32 v7, v7, v14
	v_exp_f32_e32 v7, v7
	v_cvt_i32_f32_e32 v14, v18
	v_cmp_ngt_f32_e64 s[30:31], s33, v12
	v_cndmask_b32_e64 v3, 0, v3, s[30:31]
	v_cmp_nlt_f32_e64 s[30:31], s35, v12
	v_cndmask_b32_e64 v3, v29, v3, s[30:31]
	v_ldexp_f32 v7, v7, v14
	v_cmp_ngt_f32_e64 s[30:31], s33, v2
	v_cndmask_b32_e64 v7, 0, v7, s[30:31]
	v_cmp_nlt_f32_e64 s[30:31], s35, v2
	v_add_f32_e32 v12, v16, v3
	v_cndmask_b32_e64 v2, v29, v7, s[30:31]
	v_add_f32_e32 v7, v12, v2
	ds_bpermute_b32 v12, v21, v7
	v_cmp_lt_i32_e64 s[30:31], 0, v5
	s_waitcnt lgkmcnt(0)
	v_add_f32_e32 v7, v7, v12
	ds_bpermute_b32 v12, v23, v7
	s_waitcnt lgkmcnt(0)
	v_add_f32_e32 v7, v7, v12
	ds_bpermute_b32 v12, v25, v7
	;; [unrolled: 3-line block ×4, first 2 shown]
	s_and_saveexec_b64 s[34:35], s[30:31]
	s_cbranch_execz .LBB451_50
; %bb.33:
	s_and_b64 exec, exec, vcc
	s_cbranch_execz .LBB451_50
; %bb.34:
	s_waitcnt lgkmcnt(0)
	v_add_f32_e32 v5, v7, v12
	v_div_scale_f32 v12, s[30:31], v5, v5, v27
	v_rcp_f32_e32 v14, v12
	v_lshlrev_b64 v[0:1], 2, v[0:1]
	v_mov_b32_e32 v7, s37
	v_add_co_u32_e32 v0, vcc, s36, v0
	v_addc_co_u32_e32 v1, vcc, v7, v1, vcc
	v_fma_f32 v7, -v12, v14, 1.0
	v_fmac_f32_e32 v14, v7, v14
	v_div_scale_f32 v7, vcc, v27, v5, v27
	v_mul_f32_e32 v16, v7, v14
	v_fma_f32 v18, -v12, v16, v7
	v_fmac_f32_e32 v16, v18, v14
	v_fma_f32 v7, -v12, v16, v7
	v_div_fmas_f32 v7, v7, v14, v16
	v_div_fixup_f32 v12, v7, v5, v27
	v_mov_b32_e32 v7, 0x7fc00000
	v_cmp_eq_f32_e64 s[30:31], 0, v5
	v_cndmask_b32_e64 v12, v12, v7, s[30:31]
	global_store_dword v[0:1], v12, off
	s_and_b64 exec, exec, s[28:29]
	s_cbranch_execz .LBB451_50
; %bb.35:
	v_div_scale_f32 v12, s[28:29], v5, v5, v24
	v_rcp_f32_e32 v14, v12
	v_div_scale_f32 v16, vcc, v24, v5, v24
	v_fma_f32 v18, -v12, v14, 1.0
	v_fmac_f32_e32 v14, v18, v14
	v_mul_f32_e32 v18, v16, v14
	v_fma_f32 v21, -v12, v18, v16
	v_fmac_f32_e32 v18, v21, v14
	v_fma_f32 v12, -v12, v18, v16
	v_div_fmas_f32 v12, v12, v14, v18
	v_div_fixup_f32 v12, v12, v5, v24
	v_cndmask_b32_e64 v7, v12, v7, s[30:31]
	global_store_dword v[0:1], v7, off offset:128
	s_and_b64 exec, exec, s[26:27]
	s_cbranch_execz .LBB451_50
; %bb.36:
	v_div_scale_f32 v7, s[26:27], v5, v5, v22
	v_rcp_f32_e32 v12, v7
	v_div_scale_f32 v14, vcc, v22, v5, v22
	v_fma_f32 v16, -v7, v12, 1.0
	v_fmac_f32_e32 v12, v16, v12
	v_mul_f32_e32 v16, v14, v12
	v_fma_f32 v18, -v7, v16, v14
	v_fmac_f32_e32 v16, v18, v12
	v_fma_f32 v7, -v7, v16, v14
	v_div_fmas_f32 v7, v7, v12, v16
	v_div_fixup_f32 v12, v7, v5, v22
	v_mov_b32_e32 v7, 0x7fc00000
	v_cndmask_b32_e64 v12, v12, v7, s[30:31]
	global_store_dword v[0:1], v12, off offset:256
	s_and_b64 exec, exec, s[24:25]
	s_cbranch_execz .LBB451_50
; %bb.37:
	v_div_scale_f32 v12, s[24:25], v5, v5, v20
	v_rcp_f32_e32 v14, v12
	v_div_scale_f32 v16, vcc, v20, v5, v20
	v_fma_f32 v18, -v12, v14, 1.0
	v_fmac_f32_e32 v14, v18, v14
	v_mul_f32_e32 v18, v16, v14
	v_fma_f32 v21, -v12, v18, v16
	v_fmac_f32_e32 v18, v21, v14
	v_fma_f32 v12, -v12, v18, v16
	v_div_fmas_f32 v12, v12, v14, v18
	v_div_fixup_f32 v12, v12, v5, v20
	v_cndmask_b32_e64 v7, v12, v7, s[30:31]
	global_store_dword v[0:1], v7, off offset:384
	s_and_b64 exec, exec, s[22:23]
	s_cbranch_execz .LBB451_50
; %bb.38:
	v_div_scale_f32 v7, s[22:23], v5, v5, v19
	v_rcp_f32_e32 v12, v7
	v_div_scale_f32 v14, vcc, v19, v5, v19
	v_fma_f32 v16, -v7, v12, 1.0
	v_fmac_f32_e32 v12, v16, v12
	v_mul_f32_e32 v16, v14, v12
	v_fma_f32 v18, -v7, v16, v14
	v_fmac_f32_e32 v16, v18, v12
	v_fma_f32 v7, -v7, v16, v14
	v_div_fmas_f32 v7, v7, v12, v16
	v_div_fixup_f32 v12, v7, v5, v19
	v_mov_b32_e32 v7, 0x7fc00000
	v_cndmask_b32_e64 v12, v12, v7, s[30:31]
	global_store_dword v[0:1], v12, off offset:512
	;; [unrolled: 33-line block ×7, first 2 shown]
	s_and_b64 exec, exec, s[0:1]
	s_cbranch_execz .LBB451_50
; %bb.49:
	v_div_scale_f32 v4, s[0:1], v5, v5, v2
	v_rcp_f32_e32 v6, v4
	v_div_scale_f32 v7, vcc, v2, v5, v2
	v_fma_f32 v8, -v4, v6, 1.0
	v_fmac_f32_e32 v6, v8, v6
	v_mul_f32_e32 v8, v7, v6
	v_fma_f32 v9, -v4, v8, v7
	v_fmac_f32_e32 v8, v9, v6
	v_fma_f32 v4, -v4, v8, v7
	v_div_fmas_f32 v4, v4, v6, v8
	v_div_fixup_f32 v2, v4, v5, v2
	v_cndmask_b32_e64 v2, v2, v3, s[30:31]
	global_store_dword v[0:1], v2, off offset:1920
.LBB451_50:
	s_endpgm
	.section	.rodata,"a",@progbits
	.p2align	6, 0x0
	.amdhsa_kernel _ZN12_GLOBAL__N_120softmax_warp_forwardIN3c104HalfEffLi9ELb0ELb0ELi32EEEvPT0_PKT_iiiPKbib
		.amdhsa_group_segment_fixed_size 0
		.amdhsa_private_segment_fixed_size 0
		.amdhsa_kernarg_size 304
		.amdhsa_user_sgpr_count 6
		.amdhsa_user_sgpr_private_segment_buffer 1
		.amdhsa_user_sgpr_dispatch_ptr 0
		.amdhsa_user_sgpr_queue_ptr 0
		.amdhsa_user_sgpr_kernarg_segment_ptr 1
		.amdhsa_user_sgpr_dispatch_id 0
		.amdhsa_user_sgpr_flat_scratch_init 0
		.amdhsa_user_sgpr_kernarg_preload_length 0
		.amdhsa_user_sgpr_kernarg_preload_offset 0
		.amdhsa_user_sgpr_private_segment_size 0
		.amdhsa_uses_dynamic_stack 0
		.amdhsa_system_sgpr_private_segment_wavefront_offset 0
		.amdhsa_system_sgpr_workgroup_id_x 1
		.amdhsa_system_sgpr_workgroup_id_y 0
		.amdhsa_system_sgpr_workgroup_id_z 0
		.amdhsa_system_sgpr_workgroup_info 0
		.amdhsa_system_vgpr_workitem_id 1
		.amdhsa_next_free_vgpr 31
		.amdhsa_next_free_sgpr 44
		.amdhsa_accum_offset 32
		.amdhsa_reserve_vcc 1
		.amdhsa_reserve_flat_scratch 0
		.amdhsa_float_round_mode_32 0
		.amdhsa_float_round_mode_16_64 0
		.amdhsa_float_denorm_mode_32 3
		.amdhsa_float_denorm_mode_16_64 3
		.amdhsa_dx10_clamp 1
		.amdhsa_ieee_mode 1
		.amdhsa_fp16_overflow 0
		.amdhsa_tg_split 0
		.amdhsa_exception_fp_ieee_invalid_op 0
		.amdhsa_exception_fp_denorm_src 0
		.amdhsa_exception_fp_ieee_div_zero 0
		.amdhsa_exception_fp_ieee_overflow 0
		.amdhsa_exception_fp_ieee_underflow 0
		.amdhsa_exception_fp_ieee_inexact 0
		.amdhsa_exception_int_div_zero 0
	.end_amdhsa_kernel
	.section	.text._ZN12_GLOBAL__N_120softmax_warp_forwardIN3c104HalfEffLi9ELb0ELb0ELi32EEEvPT0_PKT_iiiPKbib,"axG",@progbits,_ZN12_GLOBAL__N_120softmax_warp_forwardIN3c104HalfEffLi9ELb0ELb0ELi32EEEvPT0_PKT_iiiPKbib,comdat
.Lfunc_end451:
	.size	_ZN12_GLOBAL__N_120softmax_warp_forwardIN3c104HalfEffLi9ELb0ELb0ELi32EEEvPT0_PKT_iiiPKbib, .Lfunc_end451-_ZN12_GLOBAL__N_120softmax_warp_forwardIN3c104HalfEffLi9ELb0ELb0ELi32EEEvPT0_PKT_iiiPKbib
                                        ; -- End function
	.section	.AMDGPU.csdata,"",@progbits
; Kernel info:
; codeLenInByte = 4724
; NumSgprs: 48
; NumVgprs: 31
; NumAgprs: 0
; TotalNumVgprs: 31
; ScratchSize: 0
; MemoryBound: 0
; FloatMode: 240
; IeeeMode: 1
; LDSByteSize: 0 bytes/workgroup (compile time only)
; SGPRBlocks: 5
; VGPRBlocks: 3
; NumSGPRsForWavesPerEU: 48
; NumVGPRsForWavesPerEU: 31
; AccumOffset: 32
; Occupancy: 8
; WaveLimiterHint : 0
; COMPUTE_PGM_RSRC2:SCRATCH_EN: 0
; COMPUTE_PGM_RSRC2:USER_SGPR: 6
; COMPUTE_PGM_RSRC2:TRAP_HANDLER: 0
; COMPUTE_PGM_RSRC2:TGID_X_EN: 1
; COMPUTE_PGM_RSRC2:TGID_Y_EN: 0
; COMPUTE_PGM_RSRC2:TGID_Z_EN: 0
; COMPUTE_PGM_RSRC2:TIDIG_COMP_CNT: 1
; COMPUTE_PGM_RSRC3_GFX90A:ACCUM_OFFSET: 7
; COMPUTE_PGM_RSRC3_GFX90A:TG_SPLIT: 0
	.section	.text._ZN12_GLOBAL__N_120softmax_warp_forwardIN3c104HalfEffLi10ELb0ELb0ELi64EEEvPT0_PKT_iiiPKbib,"axG",@progbits,_ZN12_GLOBAL__N_120softmax_warp_forwardIN3c104HalfEffLi10ELb0ELb0ELi64EEEvPT0_PKT_iiiPKbib,comdat
	.globl	_ZN12_GLOBAL__N_120softmax_warp_forwardIN3c104HalfEffLi10ELb0ELb0ELi64EEEvPT0_PKT_iiiPKbib ; -- Begin function _ZN12_GLOBAL__N_120softmax_warp_forwardIN3c104HalfEffLi10ELb0ELb0ELi64EEEvPT0_PKT_iiiPKbib
	.p2align	8
	.type	_ZN12_GLOBAL__N_120softmax_warp_forwardIN3c104HalfEffLi10ELb0ELb0ELi64EEEvPT0_PKT_iiiPKbib,@function
_ZN12_GLOBAL__N_120softmax_warp_forwardIN3c104HalfEffLi10ELb0ELb0ELi64EEEvPT0_PKT_iiiPKbib: ; @_ZN12_GLOBAL__N_120softmax_warp_forwardIN3c104HalfEffLi10ELb0ELb0ELi64EEEvPT0_PKT_iiiPKbib
; %bb.0:
	s_load_dword s0, s[4:5], 0x3c
	s_load_dwordx8 s[36:43], s[4:5], 0x0
	v_bfe_u32 v1, v0, 10, 10
	v_and_b32_e32 v4, 0x3ff, v0
	v_mov_b32_e32 v16, 0xff800000
	s_waitcnt lgkmcnt(0)
	s_lshr_b32 s0, s0, 16
	s_mul_i32 s6, s6, s0
	v_add_u32_e32 v1, s6, v1
	v_sub_u32_e32 v5, s40, v1
	v_mad_u64_u32 v[0:1], s[0:1], v1, s41, v[4:5]
	v_ashrrev_i32_e32 v1, 31, v0
	v_lshlrev_b64 v[2:3], 1, v[0:1]
	v_mov_b32_e32 v6, s39
	v_add_co_u32_e32 v2, vcc, s38, v2
	v_addc_co_u32_e32 v3, vcc, v6, v3, vcc
	v_cmp_lt_i32_e64 s[30:31], 0, v5
	v_cmp_gt_i32_e32 vcc, s42, v4
	s_and_b64 s[2:3], s[30:31], vcc
	v_mov_b32_e32 v23, 0xff800000
	s_and_saveexec_b64 s[0:1], s[2:3]
	s_cbranch_execz .LBB452_2
; %bb.1:
	global_load_ushort v6, v[2:3], off
	s_waitcnt vmcnt(0)
	v_cvt_f32_f16_e32 v23, v6
.LBB452_2:
	s_or_b64 exec, exec, s[0:1]
	v_add_u32_e32 v6, 64, v4
	v_cmp_gt_i32_e64 s[28:29], s42, v6
	s_and_b64 s[2:3], s[30:31], s[28:29]
	s_and_saveexec_b64 s[0:1], s[2:3]
	s_cbranch_execz .LBB452_4
; %bb.3:
	global_load_ushort v6, v[2:3], off offset:128
	s_waitcnt vmcnt(0)
	v_cvt_f32_f16_e32 v16, v6
.LBB452_4:
	s_or_b64 exec, exec, s[0:1]
	v_add_u32_e32 v6, 0x80, v4
	v_cmp_gt_i32_e64 s[26:27], s42, v6
	s_and_b64 s[2:3], s[30:31], s[26:27]
	v_mov_b32_e32 v14, 0xff800000
	v_mov_b32_e32 v21, 0xff800000
	s_and_saveexec_b64 s[0:1], s[2:3]
	s_cbranch_execz .LBB452_6
; %bb.5:
	global_load_ushort v6, v[2:3], off offset:256
	s_waitcnt vmcnt(0)
	v_cvt_f32_f16_e32 v21, v6
.LBB452_6:
	s_or_b64 exec, exec, s[0:1]
	v_add_u32_e32 v6, 0xc0, v4
	v_cmp_gt_i32_e64 s[24:25], s42, v6
	s_and_b64 s[2:3], s[30:31], s[24:25]
	s_and_saveexec_b64 s[0:1], s[2:3]
	s_cbranch_execz .LBB452_8
; %bb.7:
	global_load_ushort v6, v[2:3], off offset:384
	s_waitcnt vmcnt(0)
	v_cvt_f32_f16_e32 v14, v6
.LBB452_8:
	s_or_b64 exec, exec, s[0:1]
	v_add_u32_e32 v6, 0x100, v4
	v_cmp_gt_i32_e64 s[22:23], s42, v6
	s_and_b64 s[2:3], s[30:31], s[22:23]
	v_mov_b32_e32 v12, 0xff800000
	v_mov_b32_e32 v19, 0xff800000
	s_and_saveexec_b64 s[0:1], s[2:3]
	s_cbranch_execz .LBB452_10
; %bb.9:
	global_load_ushort v6, v[2:3], off offset:512
	s_waitcnt vmcnt(0)
	v_cvt_f32_f16_e32 v19, v6
.LBB452_10:
	;; [unrolled: 24-line block ×7, first 2 shown]
	s_or_b64 exec, exec, s[0:1]
	v_add_u32_e32 v4, 0x3c0, v4
	v_cmp_gt_i32_e64 s[0:1], s42, v4
	s_and_b64 s[34:35], s[30:31], s[0:1]
	s_and_saveexec_b64 s[30:31], s[34:35]
	s_cbranch_execz .LBB452_32
; %bb.31:
	global_load_ushort v2, v[2:3], off offset:1920
	s_waitcnt vmcnt(0)
	v_cvt_f32_f16_e32 v6, v2
.LBB452_32:
	s_or_b64 exec, exec, s[30:31]
	v_cmp_gt_f32_e64 s[30:31], v23, v16
	v_cndmask_b32_e64 v2, v16, v23, s[30:31]
	v_cmp_gt_f32_e64 s[30:31], v2, v21
	v_cndmask_b32_e64 v2, v21, v2, s[30:31]
	;; [unrolled: 2-line block ×13, first 2 shown]
	v_mbcnt_lo_u32_b32 v3, -1, 0
	v_cmp_gt_f32_e64 s[30:31], v2, v11
	v_mbcnt_hi_u32_b32 v3, -1, v3
	v_cndmask_b32_e64 v2, v11, v2, s[30:31]
	v_and_b32_e32 v4, 64, v3
	v_cmp_gt_f32_e64 s[30:31], v2, v6
	v_add_u32_e32 v4, 64, v4
	v_xor_b32_e32 v20, 32, v3
	v_cndmask_b32_e64 v2, v6, v2, s[30:31]
	v_cmp_lt_i32_e64 s[30:31], v20, v4
	v_cndmask_b32_e64 v20, v3, v20, s[30:31]
	v_lshlrev_b32_e32 v20, 2, v20
	ds_bpermute_b32 v22, v20, v2
	s_mov_b32 s34, 0x3fb8aa3b
	s_mov_b32 s33, 0xc2ce8ed0
	;; [unrolled: 1-line block ×3, first 2 shown]
	v_mov_b32_e32 v30, 0x7f800000
	s_waitcnt lgkmcnt(0)
	v_cmp_lt_f32_e64 s[30:31], v2, v22
	v_cndmask_b32_e64 v2, v2, v22, s[30:31]
	v_xor_b32_e32 v22, 16, v3
	v_cmp_lt_i32_e64 s[30:31], v22, v4
	v_cndmask_b32_e64 v22, v3, v22, s[30:31]
	v_lshlrev_b32_e32 v22, 2, v22
	ds_bpermute_b32 v24, v22, v2
	s_waitcnt lgkmcnt(0)
	v_cmp_lt_f32_e64 s[30:31], v2, v24
	v_cndmask_b32_e64 v2, v2, v24, s[30:31]
	v_xor_b32_e32 v24, 8, v3
	v_cmp_lt_i32_e64 s[30:31], v24, v4
	v_cndmask_b32_e64 v24, v3, v24, s[30:31]
	v_lshlrev_b32_e32 v24, 2, v24
	ds_bpermute_b32 v25, v24, v2
	;; [unrolled: 8-line block ×5, first 2 shown]
	s_waitcnt lgkmcnt(0)
	v_cmp_lt_f32_e64 s[30:31], v2, v3
	v_cndmask_b32_e64 v2, v2, v3, s[30:31]
	v_sub_f32_e32 v3, v23, v2
	v_mul_f32_e32 v4, 0x3fb8aa3b, v3
	v_fma_f32 v23, v3, s34, -v4
	v_rndne_f32_e32 v25, v4
	v_fmac_f32_e32 v23, 0x32a5705f, v3
	v_sub_f32_e32 v4, v4, v25
	v_add_f32_e32 v4, v4, v23
	v_exp_f32_e32 v4, v4
	v_cvt_i32_f32_e32 v23, v25
	v_sub_f32_e32 v16, v16, v2
	v_cmp_ngt_f32_e64 s[30:31], s33, v3
	v_sub_f32_e32 v14, v14, v2
	v_ldexp_f32 v4, v4, v23
	v_mul_f32_e32 v23, 0x3fb8aa3b, v16
	v_fma_f32 v25, v16, s34, -v23
	v_rndne_f32_e32 v28, v23
	v_fmac_f32_e32 v25, 0x32a5705f, v16
	v_sub_f32_e32 v23, v23, v28
	v_add_f32_e32 v23, v23, v25
	v_exp_f32_e32 v23, v23
	v_cvt_i32_f32_e32 v25, v28
	v_cndmask_b32_e64 v4, 0, v4, s[30:31]
	v_cmp_nlt_f32_e64 s[30:31], s35, v3
	v_cndmask_b32_e64 v28, v30, v4, s[30:31]
	v_sub_f32_e32 v4, v21, v2
	v_mul_f32_e32 v21, 0x3fb8aa3b, v4
	v_ldexp_f32 v3, v23, v25
	v_fma_f32 v23, v4, s34, -v21
	v_rndne_f32_e32 v25, v21
	v_fmac_f32_e32 v23, 0x32a5705f, v4
	v_sub_f32_e32 v21, v21, v25
	v_add_f32_e32 v21, v21, v23
	v_exp_f32_e32 v21, v21
	v_cvt_i32_f32_e32 v23, v25
	v_cmp_ngt_f32_e64 s[30:31], s33, v16
	v_cndmask_b32_e64 v3, 0, v3, s[30:31]
	v_cmp_nlt_f32_e64 s[30:31], s35, v16
	v_ldexp_f32 v16, v21, v23
	v_mul_f32_e32 v21, 0x3fb8aa3b, v14
	v_fma_f32 v23, v14, s34, -v21
	v_rndne_f32_e32 v31, v21
	v_fmac_f32_e32 v23, 0x32a5705f, v14
	v_sub_f32_e32 v21, v21, v31
	v_add_f32_e32 v21, v21, v23
	v_cndmask_b32_e64 v25, v30, v3, s[30:31]
	v_cmp_ngt_f32_e64 s[30:31], s33, v4
	v_exp_f32_e32 v21, v21
	v_cvt_i32_f32_e32 v31, v31
	v_cndmask_b32_e64 v16, 0, v16, s[30:31]
	v_cmp_nlt_f32_e64 s[30:31], s35, v4
	v_cndmask_b32_e64 v23, v30, v16, s[30:31]
	v_sub_f32_e32 v16, v19, v2
	v_mul_f32_e32 v19, 0x3fb8aa3b, v16
	v_ldexp_f32 v4, v21, v31
	v_fma_f32 v21, v16, s34, -v19
	v_rndne_f32_e32 v31, v19
	v_fmac_f32_e32 v21, 0x32a5705f, v16
	v_sub_f32_e32 v19, v19, v31
	v_add_f32_e32 v19, v19, v21
	v_exp_f32_e32 v19, v19
	v_cvt_i32_f32_e32 v31, v31
	v_cmp_ngt_f32_e64 s[30:31], s33, v14
	v_sub_f32_e32 v12, v12, v2
	v_cndmask_b32_e64 v4, 0, v4, s[30:31]
	v_cmp_nlt_f32_e64 s[30:31], s35, v14
	v_mul_f32_e32 v14, 0x3fb8aa3b, v12
	v_cndmask_b32_e64 v21, v30, v4, s[30:31]
	v_ldexp_f32 v4, v19, v31
	v_fma_f32 v19, v12, s34, -v14
	v_rndne_f32_e32 v31, v14
	v_fmac_f32_e32 v19, 0x32a5705f, v12
	v_sub_f32_e32 v14, v14, v31
	v_add_f32_e32 v14, v14, v19
	v_exp_f32_e32 v14, v14
	v_cvt_i32_f32_e32 v31, v31
	v_cmp_ngt_f32_e64 s[30:31], s33, v16
	v_cndmask_b32_e64 v4, 0, v4, s[30:31]
	v_cmp_nlt_f32_e64 s[30:31], s35, v16
	v_cndmask_b32_e64 v19, v30, v4, s[30:31]
	v_ldexp_f32 v4, v14, v31
	v_sub_f32_e32 v14, v18, v2
	v_mul_f32_e32 v16, 0x3fb8aa3b, v14
	v_fma_f32 v18, v14, s34, -v16
	v_rndne_f32_e32 v31, v16
	v_fmac_f32_e32 v18, 0x32a5705f, v14
	v_sub_f32_e32 v16, v16, v31
	v_add_f32_e32 v16, v16, v18
	v_exp_f32_e32 v16, v16
	v_cvt_i32_f32_e32 v31, v31
	v_cmp_ngt_f32_e64 s[30:31], s33, v12
	v_sub_f32_e32 v10, v10, v2
	v_cndmask_b32_e64 v4, 0, v4, s[30:31]
	v_cmp_nlt_f32_e64 s[30:31], s35, v12
	v_mul_f32_e32 v12, 0x3fb8aa3b, v10
	v_cndmask_b32_e64 v18, v30, v4, s[30:31]
	v_ldexp_f32 v4, v16, v31
	v_fma_f32 v16, v10, s34, -v12
	v_rndne_f32_e32 v31, v12
	v_fmac_f32_e32 v16, 0x32a5705f, v10
	v_sub_f32_e32 v12, v12, v31
	v_add_f32_e32 v12, v12, v16
	v_exp_f32_e32 v12, v12
	v_cvt_i32_f32_e32 v31, v31
	v_cmp_ngt_f32_e64 s[30:31], s33, v14
	v_cndmask_b32_e64 v4, 0, v4, s[30:31]
	v_cmp_nlt_f32_e64 s[30:31], s35, v14
	v_cndmask_b32_e64 v16, v30, v4, s[30:31]
	v_ldexp_f32 v4, v12, v31
	v_sub_f32_e32 v12, v17, v2
	v_mul_f32_e32 v14, 0x3fb8aa3b, v12
	v_fma_f32 v17, v12, s34, -v14
	v_rndne_f32_e32 v31, v14
	v_fmac_f32_e32 v17, 0x32a5705f, v12
	v_sub_f32_e32 v14, v14, v31
	v_add_f32_e32 v14, v14, v17
	v_exp_f32_e32 v17, v14
	v_cvt_i32_f32_e32 v31, v31
	v_cmp_ngt_f32_e64 s[30:31], s33, v10
	v_sub_f32_e32 v9, v9, v2
	v_cndmask_b32_e64 v4, 0, v4, s[30:31]
	v_cmp_nlt_f32_e64 s[30:31], s35, v10
	v_mul_f32_e32 v10, 0x3fb8aa3b, v9
	v_cndmask_b32_e64 v14, v30, v4, s[30:31]
	v_ldexp_f32 v4, v17, v31
	v_fma_f32 v17, v9, s34, -v10
	v_rndne_f32_e32 v31, v10
	v_fmac_f32_e32 v17, 0x32a5705f, v9
	v_sub_f32_e32 v10, v10, v31
	v_add_f32_e32 v10, v10, v17
	v_exp_f32_e32 v10, v10
	v_cvt_i32_f32_e32 v17, v31
	v_cmp_ngt_f32_e64 s[30:31], s33, v12
	v_cndmask_b32_e64 v4, 0, v4, s[30:31]
	v_cmp_nlt_f32_e64 s[30:31], s35, v12
	v_sub_f32_e32 v15, v15, v2
	v_cndmask_b32_e64 v12, v30, v4, s[30:31]
	v_ldexp_f32 v4, v10, v17
	v_mul_f32_e32 v10, 0x3fb8aa3b, v15
	v_fma_f32 v17, v15, s34, -v10
	v_rndne_f32_e32 v31, v10
	v_fmac_f32_e32 v17, 0x32a5705f, v15
	v_sub_f32_e32 v10, v10, v31
	v_add_f32_e32 v10, v10, v17
	v_exp_f32_e32 v17, v10
	v_cvt_i32_f32_e32 v31, v31
	v_cmp_ngt_f32_e64 s[30:31], s33, v9
	v_sub_f32_e32 v8, v8, v2
	v_cndmask_b32_e64 v4, 0, v4, s[30:31]
	v_cmp_nlt_f32_e64 s[30:31], s35, v9
	v_mul_f32_e32 v9, 0x3fb8aa3b, v8
	v_cndmask_b32_e64 v10, v30, v4, s[30:31]
	v_ldexp_f32 v4, v17, v31
	v_fma_f32 v17, v8, s34, -v9
	v_rndne_f32_e32 v31, v9
	v_fmac_f32_e32 v17, 0x32a5705f, v8
	v_sub_f32_e32 v9, v9, v31
	v_add_f32_e32 v9, v9, v17
	v_exp_f32_e32 v17, v9
	v_cvt_i32_f32_e32 v31, v31
	v_cmp_ngt_f32_e64 s[30:31], s33, v15
	v_sub_f32_e32 v13, v13, v2
	v_cndmask_b32_e64 v4, 0, v4, s[30:31]
	v_cmp_nlt_f32_e64 s[30:31], s35, v15
	v_mul_f32_e32 v15, 0x3fb8aa3b, v13
	v_cndmask_b32_e64 v9, v30, v4, s[30:31]
	v_ldexp_f32 v4, v17, v31
	v_fma_f32 v17, v13, s34, -v15
	v_rndne_f32_e32 v31, v15
	v_fmac_f32_e32 v17, 0x32a5705f, v13
	v_sub_f32_e32 v15, v15, v31
	v_add_f32_e32 v15, v15, v17
	v_exp_f32_e32 v15, v15
	v_cvt_i32_f32_e32 v17, v31
	v_cmp_ngt_f32_e64 s[30:31], s33, v8
	v_cndmask_b32_e64 v4, 0, v4, s[30:31]
	v_cmp_nlt_f32_e64 s[30:31], s35, v8
	v_cndmask_b32_e64 v8, v30, v4, s[30:31]
	v_ldexp_f32 v4, v15, v17
	v_sub_f32_e32 v15, v7, v2
	v_mul_f32_e32 v7, 0x3fb8aa3b, v15
	v_fma_f32 v17, v15, s34, -v7
	v_rndne_f32_e32 v31, v7
	v_fmac_f32_e32 v17, 0x32a5705f, v15
	v_sub_f32_e32 v7, v7, v31
	v_add_f32_e32 v3, v28, v25
	v_add_f32_e32 v7, v7, v17
	;; [unrolled: 1-line block ×3, first 2 shown]
	v_exp_f32_e32 v17, v7
	v_cvt_i32_f32_e32 v31, v31
	v_add_f32_e32 v3, v3, v21
	v_add_f32_e32 v3, v3, v19
	v_cmp_ngt_f32_e64 s[30:31], s33, v13
	v_sub_f32_e32 v11, v11, v2
	v_add_f32_e32 v3, v3, v18
	v_cndmask_b32_e64 v4, 0, v4, s[30:31]
	v_cmp_nlt_f32_e64 s[30:31], s35, v13
	v_mul_f32_e32 v13, 0x3fb8aa3b, v11
	v_add_f32_e32 v3, v3, v16
	v_cndmask_b32_e64 v7, v30, v4, s[30:31]
	v_ldexp_f32 v4, v17, v31
	v_fma_f32 v17, v11, s34, -v13
	v_rndne_f32_e32 v31, v13
	v_add_f32_e32 v3, v3, v14
	v_fmac_f32_e32 v17, 0x32a5705f, v11
	v_sub_f32_e32 v13, v13, v31
	v_add_f32_e32 v3, v3, v12
	v_add_f32_e32 v13, v13, v17
	;; [unrolled: 1-line block ×3, first 2 shown]
	v_exp_f32_e32 v13, v13
	v_cvt_i32_f32_e32 v17, v31
	v_add_f32_e32 v3, v3, v9
	v_cmp_ngt_f32_e64 s[30:31], s33, v15
	v_add_f32_e32 v3, v3, v8
	v_cndmask_b32_e64 v4, 0, v4, s[30:31]
	v_cmp_nlt_f32_e64 s[30:31], s35, v15
	v_sub_f32_e32 v2, v6, v2
	v_add_f32_e32 v3, v3, v7
	v_cndmask_b32_e64 v4, v30, v4, s[30:31]
	v_mul_f32_e32 v6, 0x3fb8aa3b, v2
	v_add_f32_e32 v15, v3, v4
	v_ldexp_f32 v3, v13, v17
	v_fma_f32 v13, v2, s34, -v6
	v_rndne_f32_e32 v17, v6
	v_fmac_f32_e32 v13, 0x32a5705f, v2
	v_sub_f32_e32 v6, v6, v17
	v_add_f32_e32 v6, v6, v13
	v_exp_f32_e32 v6, v6
	v_cvt_i32_f32_e32 v13, v17
	v_cmp_ngt_f32_e64 s[30:31], s33, v11
	v_cndmask_b32_e64 v3, 0, v3, s[30:31]
	v_cmp_nlt_f32_e64 s[30:31], s35, v11
	v_cndmask_b32_e64 v3, v30, v3, s[30:31]
	v_ldexp_f32 v6, v6, v13
	v_cmp_ngt_f32_e64 s[30:31], s33, v2
	v_cndmask_b32_e64 v6, 0, v6, s[30:31]
	v_cmp_nlt_f32_e64 s[30:31], s35, v2
	v_add_f32_e32 v11, v15, v3
	v_cndmask_b32_e64 v2, v30, v6, s[30:31]
	v_add_f32_e32 v6, v11, v2
	ds_bpermute_b32 v11, v20, v6
	v_cmp_lt_i32_e64 s[30:31], 0, v5
	s_waitcnt lgkmcnt(0)
	v_add_f32_e32 v6, v6, v11
	ds_bpermute_b32 v11, v22, v6
	s_waitcnt lgkmcnt(0)
	v_add_f32_e32 v6, v6, v11
	ds_bpermute_b32 v11, v24, v6
	;; [unrolled: 3-line block ×5, first 2 shown]
	s_and_saveexec_b64 s[34:35], s[30:31]
	s_cbranch_execz .LBB452_50
; %bb.33:
	s_and_b64 exec, exec, vcc
	s_cbranch_execz .LBB452_50
; %bb.34:
	s_waitcnt lgkmcnt(0)
	v_add_f32_e32 v5, v6, v11
	v_div_scale_f32 v11, s[30:31], v5, v5, v28
	v_rcp_f32_e32 v13, v11
	v_lshlrev_b64 v[0:1], 2, v[0:1]
	v_mov_b32_e32 v6, s37
	v_add_co_u32_e32 v0, vcc, s36, v0
	v_addc_co_u32_e32 v1, vcc, v6, v1, vcc
	v_fma_f32 v6, -v11, v13, 1.0
	v_fmac_f32_e32 v13, v6, v13
	v_div_scale_f32 v6, vcc, v28, v5, v28
	v_mul_f32_e32 v15, v6, v13
	v_fma_f32 v17, -v11, v15, v6
	v_fmac_f32_e32 v15, v17, v13
	v_fma_f32 v6, -v11, v15, v6
	v_div_fmas_f32 v6, v6, v13, v15
	v_div_fixup_f32 v11, v6, v5, v28
	v_mov_b32_e32 v6, 0x7fc00000
	v_cmp_eq_f32_e64 s[30:31], 0, v5
	v_cndmask_b32_e64 v11, v11, v6, s[30:31]
	global_store_dword v[0:1], v11, off
	s_and_b64 exec, exec, s[28:29]
	s_cbranch_execz .LBB452_50
; %bb.35:
	v_div_scale_f32 v11, s[28:29], v5, v5, v25
	v_rcp_f32_e32 v13, v11
	v_div_scale_f32 v15, vcc, v25, v5, v25
	v_fma_f32 v17, -v11, v13, 1.0
	v_fmac_f32_e32 v13, v17, v13
	v_mul_f32_e32 v17, v15, v13
	v_fma_f32 v20, -v11, v17, v15
	v_fmac_f32_e32 v17, v20, v13
	v_fma_f32 v11, -v11, v17, v15
	v_div_fmas_f32 v11, v11, v13, v17
	v_div_fixup_f32 v11, v11, v5, v25
	v_cndmask_b32_e64 v6, v11, v6, s[30:31]
	global_store_dword v[0:1], v6, off offset:256
	s_and_b64 exec, exec, s[26:27]
	s_cbranch_execz .LBB452_50
; %bb.36:
	v_div_scale_f32 v6, s[26:27], v5, v5, v23
	v_rcp_f32_e32 v11, v6
	v_div_scale_f32 v13, vcc, v23, v5, v23
	v_fma_f32 v15, -v6, v11, 1.0
	v_fmac_f32_e32 v11, v15, v11
	v_mul_f32_e32 v15, v13, v11
	v_fma_f32 v17, -v6, v15, v13
	v_fmac_f32_e32 v15, v17, v11
	v_fma_f32 v6, -v6, v15, v13
	v_div_fmas_f32 v6, v6, v11, v15
	v_div_fixup_f32 v11, v6, v5, v23
	v_mov_b32_e32 v6, 0x7fc00000
	v_cndmask_b32_e64 v11, v11, v6, s[30:31]
	global_store_dword v[0:1], v11, off offset:512
	s_and_b64 exec, exec, s[24:25]
	s_cbranch_execz .LBB452_50
; %bb.37:
	v_div_scale_f32 v11, s[24:25], v5, v5, v21
	v_rcp_f32_e32 v13, v11
	v_div_scale_f32 v15, vcc, v21, v5, v21
	v_fma_f32 v17, -v11, v13, 1.0
	v_fmac_f32_e32 v13, v17, v13
	v_mul_f32_e32 v17, v15, v13
	v_fma_f32 v20, -v11, v17, v15
	v_fmac_f32_e32 v17, v20, v13
	v_fma_f32 v11, -v11, v17, v15
	v_div_fmas_f32 v11, v11, v13, v17
	v_div_fixup_f32 v11, v11, v5, v21
	v_cndmask_b32_e64 v6, v11, v6, s[30:31]
	global_store_dword v[0:1], v6, off offset:768
	s_and_b64 exec, exec, s[22:23]
	s_cbranch_execz .LBB452_50
; %bb.38:
	v_div_scale_f32 v6, s[22:23], v5, v5, v19
	v_rcp_f32_e32 v11, v6
	v_div_scale_f32 v13, vcc, v19, v5, v19
	v_fma_f32 v15, -v6, v11, 1.0
	v_fmac_f32_e32 v11, v15, v11
	v_mul_f32_e32 v15, v13, v11
	v_fma_f32 v17, -v6, v15, v13
	v_fmac_f32_e32 v15, v17, v11
	v_fma_f32 v6, -v6, v15, v13
	v_div_fmas_f32 v6, v6, v11, v15
	v_div_fixup_f32 v11, v6, v5, v19
	v_mov_b32_e32 v6, 0x7fc00000
	v_cndmask_b32_e64 v11, v11, v6, s[30:31]
	global_store_dword v[0:1], v11, off offset:1024
	;; [unrolled: 33-line block ×7, first 2 shown]
	s_and_b64 exec, exec, s[0:1]
	s_cbranch_execz .LBB452_50
; %bb.49:
	v_div_scale_f32 v4, s[0:1], v5, v5, v2
	v_rcp_f32_e32 v6, v4
	v_div_scale_f32 v7, vcc, v2, v5, v2
	v_fma_f32 v8, -v4, v6, 1.0
	v_fmac_f32_e32 v6, v8, v6
	v_mul_f32_e32 v8, v7, v6
	v_fma_f32 v9, -v4, v8, v7
	v_fmac_f32_e32 v8, v9, v6
	v_fma_f32 v4, -v4, v8, v7
	v_div_fmas_f32 v4, v4, v6, v8
	v_div_fixup_f32 v2, v4, v5, v2
	v_cndmask_b32_e64 v2, v2, v3, s[30:31]
	global_store_dword v[0:1], v2, off offset:3840
.LBB452_50:
	s_endpgm
	.section	.rodata,"a",@progbits
	.p2align	6, 0x0
	.amdhsa_kernel _ZN12_GLOBAL__N_120softmax_warp_forwardIN3c104HalfEffLi10ELb0ELb0ELi64EEEvPT0_PKT_iiiPKbib
		.amdhsa_group_segment_fixed_size 0
		.amdhsa_private_segment_fixed_size 0
		.amdhsa_kernarg_size 304
		.amdhsa_user_sgpr_count 6
		.amdhsa_user_sgpr_private_segment_buffer 1
		.amdhsa_user_sgpr_dispatch_ptr 0
		.amdhsa_user_sgpr_queue_ptr 0
		.amdhsa_user_sgpr_kernarg_segment_ptr 1
		.amdhsa_user_sgpr_dispatch_id 0
		.amdhsa_user_sgpr_flat_scratch_init 0
		.amdhsa_user_sgpr_kernarg_preload_length 0
		.amdhsa_user_sgpr_kernarg_preload_offset 0
		.amdhsa_user_sgpr_private_segment_size 0
		.amdhsa_uses_dynamic_stack 0
		.amdhsa_system_sgpr_private_segment_wavefront_offset 0
		.amdhsa_system_sgpr_workgroup_id_x 1
		.amdhsa_system_sgpr_workgroup_id_y 0
		.amdhsa_system_sgpr_workgroup_id_z 0
		.amdhsa_system_sgpr_workgroup_info 0
		.amdhsa_system_vgpr_workitem_id 1
		.amdhsa_next_free_vgpr 32
		.amdhsa_next_free_sgpr 44
		.amdhsa_accum_offset 32
		.amdhsa_reserve_vcc 1
		.amdhsa_reserve_flat_scratch 0
		.amdhsa_float_round_mode_32 0
		.amdhsa_float_round_mode_16_64 0
		.amdhsa_float_denorm_mode_32 3
		.amdhsa_float_denorm_mode_16_64 3
		.amdhsa_dx10_clamp 1
		.amdhsa_ieee_mode 1
		.amdhsa_fp16_overflow 0
		.amdhsa_tg_split 0
		.amdhsa_exception_fp_ieee_invalid_op 0
		.amdhsa_exception_fp_denorm_src 0
		.amdhsa_exception_fp_ieee_div_zero 0
		.amdhsa_exception_fp_ieee_overflow 0
		.amdhsa_exception_fp_ieee_underflow 0
		.amdhsa_exception_fp_ieee_inexact 0
		.amdhsa_exception_int_div_zero 0
	.end_amdhsa_kernel
	.section	.text._ZN12_GLOBAL__N_120softmax_warp_forwardIN3c104HalfEffLi10ELb0ELb0ELi64EEEvPT0_PKT_iiiPKbib,"axG",@progbits,_ZN12_GLOBAL__N_120softmax_warp_forwardIN3c104HalfEffLi10ELb0ELb0ELi64EEEvPT0_PKT_iiiPKbib,comdat
.Lfunc_end452:
	.size	_ZN12_GLOBAL__N_120softmax_warp_forwardIN3c104HalfEffLi10ELb0ELb0ELi64EEEvPT0_PKT_iiiPKbib, .Lfunc_end452-_ZN12_GLOBAL__N_120softmax_warp_forwardIN3c104HalfEffLi10ELb0ELb0ELi64EEEvPT0_PKT_iiiPKbib
                                        ; -- End function
	.section	.AMDGPU.csdata,"",@progbits
; Kernel info:
; codeLenInByte = 4792
; NumSgprs: 48
; NumVgprs: 32
; NumAgprs: 0
; TotalNumVgprs: 32
; ScratchSize: 0
; MemoryBound: 0
; FloatMode: 240
; IeeeMode: 1
; LDSByteSize: 0 bytes/workgroup (compile time only)
; SGPRBlocks: 5
; VGPRBlocks: 3
; NumSGPRsForWavesPerEU: 48
; NumVGPRsForWavesPerEU: 32
; AccumOffset: 32
; Occupancy: 8
; WaveLimiterHint : 0
; COMPUTE_PGM_RSRC2:SCRATCH_EN: 0
; COMPUTE_PGM_RSRC2:USER_SGPR: 6
; COMPUTE_PGM_RSRC2:TRAP_HANDLER: 0
; COMPUTE_PGM_RSRC2:TGID_X_EN: 1
; COMPUTE_PGM_RSRC2:TGID_Y_EN: 0
; COMPUTE_PGM_RSRC2:TGID_Z_EN: 0
; COMPUTE_PGM_RSRC2:TIDIG_COMP_CNT: 1
; COMPUTE_PGM_RSRC3_GFX90A:ACCUM_OFFSET: 7
; COMPUTE_PGM_RSRC3_GFX90A:TG_SPLIT: 0
	.section	.text._ZN12_GLOBAL__N_120softmax_warp_forwardIN3c104HalfEffLi10ELb0ELb0ELi32EEEvPT0_PKT_iiiPKbib,"axG",@progbits,_ZN12_GLOBAL__N_120softmax_warp_forwardIN3c104HalfEffLi10ELb0ELb0ELi32EEEvPT0_PKT_iiiPKbib,comdat
	.globl	_ZN12_GLOBAL__N_120softmax_warp_forwardIN3c104HalfEffLi10ELb0ELb0ELi32EEEvPT0_PKT_iiiPKbib ; -- Begin function _ZN12_GLOBAL__N_120softmax_warp_forwardIN3c104HalfEffLi10ELb0ELb0ELi32EEEvPT0_PKT_iiiPKbib
	.p2align	8
	.type	_ZN12_GLOBAL__N_120softmax_warp_forwardIN3c104HalfEffLi10ELb0ELb0ELi32EEEvPT0_PKT_iiiPKbib,@function
_ZN12_GLOBAL__N_120softmax_warp_forwardIN3c104HalfEffLi10ELb0ELb0ELi32EEEvPT0_PKT_iiiPKbib: ; @_ZN12_GLOBAL__N_120softmax_warp_forwardIN3c104HalfEffLi10ELb0ELb0ELi32EEEvPT0_PKT_iiiPKbib
; %bb.0:
	s_load_dword s0, s[4:5], 0x3c
	s_load_dwordx8 s[68:75], s[4:5], 0x0
	v_bfe_u32 v1, v0, 10, 10
	v_and_b32_e32 v4, 0x3ff, v0
	v_mov_b32_e32 v32, 0xff800000
	s_waitcnt lgkmcnt(0)
	s_lshr_b32 s0, s0, 16
	s_mul_i32 s6, s6, s0
	v_add_u32_e32 v1, s6, v1
	v_sub_u32_e32 v5, s72, v1
	v_mad_u64_u32 v[0:1], s[0:1], v1, s73, v[4:5]
	v_ashrrev_i32_e32 v1, 31, v0
	v_lshlrev_b64 v[2:3], 1, v[0:1]
	v_mov_b32_e32 v6, s71
	v_add_co_u32_e32 v2, vcc, s70, v2
	v_addc_co_u32_e32 v3, vcc, v6, v3, vcc
	v_cmp_lt_i32_e64 s[64:65], 0, v5
	v_cmp_gt_i32_e32 vcc, s74, v4
	s_and_b64 s[2:3], s[64:65], vcc
	v_mov_b32_e32 v37, 0xff800000
	s_and_saveexec_b64 s[0:1], s[2:3]
	s_cbranch_execz .LBB453_2
; %bb.1:
	global_load_ushort v6, v[2:3], off
	s_waitcnt vmcnt(0)
	v_cvt_f32_f16_e32 v37, v6
.LBB453_2:
	s_or_b64 exec, exec, s[0:1]
	v_add_u32_e32 v6, 32, v4
	v_cmp_gt_i32_e64 s[62:63], s74, v6
	s_and_b64 s[2:3], s[64:65], s[62:63]
	s_and_saveexec_b64 s[0:1], s[2:3]
	s_cbranch_execz .LBB453_4
; %bb.3:
	global_load_ushort v6, v[2:3], off offset:64
	s_waitcnt vmcnt(0)
	v_cvt_f32_f16_e32 v32, v6
.LBB453_4:
	s_or_b64 exec, exec, s[0:1]
	v_add_u32_e32 v6, 64, v4
	v_cmp_gt_i32_e64 s[60:61], s74, v6
	s_and_b64 s[2:3], s[64:65], s[60:61]
	v_mov_b32_e32 v29, 0xff800000
	v_mov_b32_e32 v36, 0xff800000
	s_and_saveexec_b64 s[0:1], s[2:3]
	s_cbranch_execz .LBB453_6
; %bb.5:
	global_load_ushort v6, v[2:3], off offset:128
	s_waitcnt vmcnt(0)
	v_cvt_f32_f16_e32 v36, v6
.LBB453_6:
	s_or_b64 exec, exec, s[0:1]
	v_add_u32_e32 v6, 0x60, v4
	v_cmp_gt_i32_e64 s[58:59], s74, v6
	s_and_b64 s[2:3], s[64:65], s[58:59]
	s_and_saveexec_b64 s[0:1], s[2:3]
	s_cbranch_execz .LBB453_8
; %bb.7:
	global_load_ushort v6, v[2:3], off offset:192
	s_waitcnt vmcnt(0)
	v_cvt_f32_f16_e32 v29, v6
.LBB453_8:
	s_or_b64 exec, exec, s[0:1]
	v_add_u32_e32 v6, 0x80, v4
	v_cmp_gt_i32_e64 s[56:57], s74, v6
	s_and_b64 s[2:3], s[64:65], s[56:57]
	v_mov_b32_e32 v25, 0xff800000
	v_mov_b32_e32 v35, 0xff800000
	s_and_saveexec_b64 s[0:1], s[2:3]
	s_cbranch_execz .LBB453_10
; %bb.9:
	global_load_ushort v6, v[2:3], off offset:256
	s_waitcnt vmcnt(0)
	v_cvt_f32_f16_e32 v35, v6
.LBB453_10:
	;; [unrolled: 24-line block ×15, first 2 shown]
	s_or_b64 exec, exec, s[0:1]
	v_add_u32_e32 v4, 0x3e0, v4
	v_cmp_gt_i32_e64 s[0:1], s74, v4
	s_and_b64 s[66:67], s[64:65], s[0:1]
	s_and_saveexec_b64 s[64:65], s[66:67]
	s_cbranch_execz .LBB453_64
; %bb.63:
	global_load_ushort v2, v[2:3], off offset:1984
	s_waitcnt vmcnt(0)
	v_cvt_f32_f16_e32 v18, v2
.LBB453_64:
	s_or_b64 exec, exec, s[64:65]
	v_cmp_gt_f32_e64 s[64:65], v37, v32
	v_cndmask_b32_e64 v2, v32, v37, s[64:65]
	v_cmp_gt_f32_e64 s[64:65], v2, v36
	v_cndmask_b32_e64 v2, v36, v2, s[64:65]
	;; [unrolled: 2-line block ×29, first 2 shown]
	v_mbcnt_lo_u32_b32 v3, -1, 0
	v_cmp_gt_f32_e64 s[64:65], v2, v22
	v_mbcnt_hi_u32_b32 v3, -1, v3
	v_cndmask_b32_e64 v2, v22, v2, s[64:65]
	v_and_b32_e32 v4, 0x60, v3
	v_cmp_gt_f32_e64 s[64:65], v2, v18
	v_add_u32_e32 v4, 32, v4
	v_xor_b32_e32 v38, 16, v3
	v_cndmask_b32_e64 v2, v18, v2, s[64:65]
	v_cmp_lt_i32_e64 s[64:65], v38, v4
	v_cndmask_b32_e64 v38, v3, v38, s[64:65]
	v_lshlrev_b32_e32 v38, 2, v38
	ds_bpermute_b32 v39, v38, v2
	s_mov_b32 s66, 0x3fb8aa3b
	s_mov_b32 s33, 0xc2ce8ed0
	s_mov_b32 s67, 0x42b17218
	v_mov_b32_e32 v46, 0x7f800000
	s_waitcnt lgkmcnt(0)
	v_cmp_lt_f32_e64 s[64:65], v2, v39
	v_cndmask_b32_e64 v2, v2, v39, s[64:65]
	v_xor_b32_e32 v39, 8, v3
	v_cmp_lt_i32_e64 s[64:65], v39, v4
	v_cndmask_b32_e64 v39, v3, v39, s[64:65]
	v_lshlrev_b32_e32 v40, 2, v39
	ds_bpermute_b32 v39, v40, v2
	s_waitcnt lgkmcnt(0)
	v_cmp_lt_f32_e64 s[64:65], v2, v39
	v_cndmask_b32_e64 v2, v2, v39, s[64:65]
	v_xor_b32_e32 v39, 4, v3
	v_cmp_lt_i32_e64 s[64:65], v39, v4
	v_cndmask_b32_e64 v39, v3, v39, s[64:65]
	v_lshlrev_b32_e32 v42, 2, v39
	ds_bpermute_b32 v39, v42, v2
	s_waitcnt lgkmcnt(0)
	v_cmp_lt_f32_e64 s[64:65], v2, v39
	v_cndmask_b32_e64 v2, v2, v39, s[64:65]
	v_xor_b32_e32 v39, 2, v3
	v_cmp_lt_i32_e64 s[64:65], v39, v4
	v_cndmask_b32_e64 v39, v3, v39, s[64:65]
	v_lshlrev_b32_e32 v43, 2, v39
	ds_bpermute_b32 v39, v43, v2
	s_waitcnt lgkmcnt(0)
	v_cmp_lt_f32_e64 s[64:65], v2, v39
	v_cndmask_b32_e64 v2, v2, v39, s[64:65]
	v_xor_b32_e32 v39, 1, v3
	v_cmp_lt_i32_e64 s[64:65], v39, v4
	v_cndmask_b32_e64 v3, v3, v39, s[64:65]
	v_lshlrev_b32_e32 v45, 2, v3
	ds_bpermute_b32 v3, v45, v2
	s_waitcnt lgkmcnt(0)
	v_cmp_lt_f32_e64 s[64:65], v2, v3
	v_cndmask_b32_e64 v2, v2, v3, s[64:65]
	v_sub_f32_e32 v3, v37, v2
	v_mul_f32_e32 v4, 0x3fb8aa3b, v3
	v_fma_f32 v37, v3, s66, -v4
	v_rndne_f32_e32 v39, v4
	v_fmac_f32_e32 v37, 0x32a5705f, v3
	v_sub_f32_e32 v4, v4, v39
	v_add_f32_e32 v4, v4, v37
	v_exp_f32_e32 v4, v4
	v_cvt_i32_f32_e32 v37, v39
	v_sub_f32_e32 v32, v32, v2
	v_cmp_ngt_f32_e64 s[64:65], s33, v3
	v_sub_f32_e32 v29, v29, v2
	v_ldexp_f32 v4, v4, v37
	v_mul_f32_e32 v37, 0x3fb8aa3b, v32
	v_fma_f32 v39, v32, s66, -v37
	v_rndne_f32_e32 v41, v37
	v_fmac_f32_e32 v39, 0x32a5705f, v32
	v_sub_f32_e32 v37, v37, v41
	v_add_f32_e32 v37, v37, v39
	v_exp_f32_e32 v37, v37
	v_cvt_i32_f32_e32 v39, v41
	v_cndmask_b32_e64 v4, 0, v4, s[64:65]
	v_cmp_nlt_f32_e64 s[64:65], s67, v3
	v_cndmask_b32_e64 v44, v46, v4, s[64:65]
	v_sub_f32_e32 v4, v36, v2
	v_mul_f32_e32 v36, 0x3fb8aa3b, v4
	v_ldexp_f32 v3, v37, v39
	v_fma_f32 v37, v4, s66, -v36
	v_rndne_f32_e32 v39, v36
	v_fmac_f32_e32 v37, 0x32a5705f, v4
	v_sub_f32_e32 v36, v36, v39
	v_add_f32_e32 v36, v36, v37
	v_exp_f32_e32 v36, v36
	v_cvt_i32_f32_e32 v37, v39
	v_cmp_ngt_f32_e64 s[64:65], s33, v32
	v_cndmask_b32_e64 v3, 0, v3, s[64:65]
	v_cmp_nlt_f32_e64 s[64:65], s67, v32
	v_ldexp_f32 v32, v36, v37
	v_mul_f32_e32 v36, 0x3fb8aa3b, v29
	v_fma_f32 v37, v29, s66, -v36
	v_rndne_f32_e32 v39, v36
	v_fmac_f32_e32 v37, 0x32a5705f, v29
	v_sub_f32_e32 v36, v36, v39
	v_add_f32_e32 v36, v36, v37
	v_cndmask_b32_e64 v41, v46, v3, s[64:65]
	v_cmp_ngt_f32_e64 s[64:65], s33, v4
	v_exp_f32_e32 v36, v36
	v_cvt_i32_f32_e32 v37, v39
	v_cndmask_b32_e64 v32, 0, v32, s[64:65]
	v_cmp_nlt_f32_e64 s[64:65], s67, v4
	v_cndmask_b32_e64 v39, v46, v32, s[64:65]
	v_sub_f32_e32 v32, v35, v2
	v_mul_f32_e32 v35, 0x3fb8aa3b, v32
	v_ldexp_f32 v4, v36, v37
	v_fma_f32 v36, v32, s66, -v35
	v_rndne_f32_e32 v37, v35
	v_fmac_f32_e32 v36, 0x32a5705f, v32
	v_sub_f32_e32 v35, v35, v37
	v_add_f32_e32 v35, v35, v36
	v_exp_f32_e32 v35, v35
	v_cvt_i32_f32_e32 v36, v37
	v_cmp_ngt_f32_e64 s[64:65], s33, v29
	v_sub_f32_e32 v25, v25, v2
	v_cndmask_b32_e64 v4, 0, v4, s[64:65]
	v_cmp_nlt_f32_e64 s[64:65], s67, v29
	v_mul_f32_e32 v29, 0x3fb8aa3b, v25
	v_cndmask_b32_e64 v37, v46, v4, s[64:65]
	v_ldexp_f32 v4, v35, v36
	v_fma_f32 v35, v25, s66, -v29
	v_rndne_f32_e32 v36, v29
	v_fmac_f32_e32 v35, 0x32a5705f, v25
	v_sub_f32_e32 v29, v29, v36
	v_add_f32_e32 v29, v29, v35
	v_exp_f32_e32 v29, v29
	v_cvt_i32_f32_e32 v35, v36
	v_cmp_ngt_f32_e64 s[64:65], s33, v32
	v_cndmask_b32_e64 v4, 0, v4, s[64:65]
	v_cmp_nlt_f32_e64 s[64:65], s67, v32
	v_cndmask_b32_e64 v36, v46, v4, s[64:65]
	v_ldexp_f32 v4, v29, v35
	v_sub_f32_e32 v29, v34, v2
	v_mul_f32_e32 v32, 0x3fb8aa3b, v29
	v_fma_f32 v34, v29, s66, -v32
	v_rndne_f32_e32 v35, v32
	v_fmac_f32_e32 v34, 0x32a5705f, v29
	v_sub_f32_e32 v32, v32, v35
	v_add_f32_e32 v32, v32, v34
	v_exp_f32_e32 v32, v32
	v_cvt_i32_f32_e32 v34, v35
	v_cmp_ngt_f32_e64 s[64:65], s33, v25
	v_sub_f32_e32 v21, v21, v2
	v_cndmask_b32_e64 v4, 0, v4, s[64:65]
	v_cmp_nlt_f32_e64 s[64:65], s67, v25
	v_mul_f32_e32 v25, 0x3fb8aa3b, v21
	v_cndmask_b32_e64 v35, v46, v4, s[64:65]
	v_ldexp_f32 v4, v32, v34
	v_fma_f32 v32, v21, s66, -v25
	v_rndne_f32_e32 v34, v25
	v_fmac_f32_e32 v32, 0x32a5705f, v21
	v_sub_f32_e32 v25, v25, v34
	v_add_f32_e32 v25, v25, v32
	v_exp_f32_e32 v25, v25
	v_cvt_i32_f32_e32 v32, v34
	v_cmp_ngt_f32_e64 s[64:65], s33, v29
	v_cndmask_b32_e64 v4, 0, v4, s[64:65]
	v_cmp_nlt_f32_e64 s[64:65], s67, v29
	v_cndmask_b32_e64 v34, v46, v4, s[64:65]
	v_ldexp_f32 v4, v25, v32
	v_sub_f32_e32 v25, v33, v2
	v_mul_f32_e32 v29, 0x3fb8aa3b, v25
	v_fma_f32 v32, v25, s66, -v29
	v_rndne_f32_e32 v33, v29
	v_fmac_f32_e32 v32, 0x32a5705f, v25
	v_sub_f32_e32 v29, v29, v33
	v_add_f32_e32 v29, v29, v32
	v_exp_f32_e32 v29, v29
	v_cvt_i32_f32_e32 v32, v33
	v_cmp_ngt_f32_e64 s[64:65], s33, v21
	v_sub_f32_e32 v19, v19, v2
	v_cndmask_b32_e64 v4, 0, v4, s[64:65]
	v_cmp_nlt_f32_e64 s[64:65], s67, v21
	v_mul_f32_e32 v21, 0x3fb8aa3b, v19
	v_cndmask_b32_e64 v33, v46, v4, s[64:65]
	v_ldexp_f32 v4, v29, v32
	v_fma_f32 v29, v19, s66, -v21
	v_rndne_f32_e32 v32, v21
	v_fmac_f32_e32 v29, 0x32a5705f, v19
	v_sub_f32_e32 v21, v21, v32
	v_add_f32_e32 v21, v21, v29
	v_exp_f32_e32 v21, v21
	v_cvt_i32_f32_e32 v29, v32
	v_cmp_ngt_f32_e64 s[64:65], s33, v25
	v_cndmask_b32_e64 v4, 0, v4, s[64:65]
	v_cmp_nlt_f32_e64 s[64:65], s67, v25
	v_cndmask_b32_e64 v32, v46, v4, s[64:65]
	v_ldexp_f32 v4, v21, v29
	v_sub_f32_e32 v21, v31, v2
	v_mul_f32_e32 v25, 0x3fb8aa3b, v21
	v_fma_f32 v29, v21, s66, -v25
	v_rndne_f32_e32 v31, v25
	v_fmac_f32_e32 v29, 0x32a5705f, v21
	v_sub_f32_e32 v25, v25, v31
	v_add_f32_e32 v25, v25, v29
	v_exp_f32_e32 v25, v25
	v_cvt_i32_f32_e32 v29, v31
	v_cmp_ngt_f32_e64 s[64:65], s33, v19
	v_sub_f32_e32 v16, v16, v2
	v_cndmask_b32_e64 v4, 0, v4, s[64:65]
	v_cmp_nlt_f32_e64 s[64:65], s67, v19
	v_mul_f32_e32 v19, 0x3fb8aa3b, v16
	v_cndmask_b32_e64 v31, v46, v4, s[64:65]
	v_ldexp_f32 v4, v25, v29
	v_fma_f32 v25, v16, s66, -v19
	v_rndne_f32_e32 v29, v19
	v_fmac_f32_e32 v25, 0x32a5705f, v16
	v_sub_f32_e32 v19, v19, v29
	v_add_f32_e32 v19, v19, v25
	v_exp_f32_e32 v19, v19
	v_cvt_i32_f32_e32 v25, v29
	v_cmp_ngt_f32_e64 s[64:65], s33, v21
	v_cndmask_b32_e64 v4, 0, v4, s[64:65]
	v_cmp_nlt_f32_e64 s[64:65], s67, v21
	v_cndmask_b32_e64 v29, v46, v4, s[64:65]
	v_ldexp_f32 v4, v19, v25
	v_sub_f32_e32 v19, v27, v2
	v_mul_f32_e32 v21, 0x3fb8aa3b, v19
	v_fma_f32 v25, v19, s66, -v21
	v_rndne_f32_e32 v27, v21
	v_fmac_f32_e32 v25, 0x32a5705f, v19
	v_sub_f32_e32 v21, v21, v27
	v_add_f32_e32 v21, v21, v25
	v_exp_f32_e32 v21, v21
	v_cvt_i32_f32_e32 v25, v27
	v_cmp_ngt_f32_e64 s[64:65], s33, v16
	v_sub_f32_e32 v14, v14, v2
	v_cndmask_b32_e64 v4, 0, v4, s[64:65]
	v_cmp_nlt_f32_e64 s[64:65], s67, v16
	v_mul_f32_e32 v16, 0x3fb8aa3b, v14
	v_cndmask_b32_e64 v27, v46, v4, s[64:65]
	v_ldexp_f32 v4, v21, v25
	v_fma_f32 v21, v14, s66, -v16
	v_rndne_f32_e32 v25, v16
	v_fmac_f32_e32 v21, 0x32a5705f, v14
	v_sub_f32_e32 v16, v16, v25
	v_add_f32_e32 v16, v16, v21
	v_exp_f32_e32 v16, v16
	v_cvt_i32_f32_e32 v21, v25
	v_cmp_ngt_f32_e64 s[64:65], s33, v19
	v_cndmask_b32_e64 v4, 0, v4, s[64:65]
	v_cmp_nlt_f32_e64 s[64:65], s67, v19
	v_cndmask_b32_e64 v25, v46, v4, s[64:65]
	v_ldexp_f32 v4, v16, v21
	v_sub_f32_e32 v16, v23, v2
	v_mul_f32_e32 v19, 0x3fb8aa3b, v16
	v_fma_f32 v21, v16, s66, -v19
	v_rndne_f32_e32 v23, v19
	v_fmac_f32_e32 v21, 0x32a5705f, v16
	v_sub_f32_e32 v19, v19, v23
	v_add_f32_e32 v19, v19, v21
	v_exp_f32_e32 v19, v19
	v_cvt_i32_f32_e32 v21, v23
	v_cmp_ngt_f32_e64 s[64:65], s33, v14
	v_sub_f32_e32 v13, v13, v2
	v_cndmask_b32_e64 v4, 0, v4, s[64:65]
	v_cmp_nlt_f32_e64 s[64:65], s67, v14
	v_mul_f32_e32 v14, 0x3fb8aa3b, v13
	v_cndmask_b32_e64 v23, v46, v4, s[64:65]
	v_ldexp_f32 v4, v19, v21
	v_fma_f32 v19, v13, s66, -v14
	v_rndne_f32_e32 v21, v14
	v_fmac_f32_e32 v19, 0x32a5705f, v13
	v_sub_f32_e32 v14, v14, v21
	v_add_f32_e32 v14, v14, v19
	v_exp_f32_e32 v14, v14
	v_cvt_i32_f32_e32 v19, v21
	v_cmp_ngt_f32_e64 s[64:65], s33, v16
	v_cndmask_b32_e64 v4, 0, v4, s[64:65]
	v_cmp_nlt_f32_e64 s[64:65], s67, v16
	v_cndmask_b32_e64 v21, v46, v4, s[64:65]
	v_ldexp_f32 v4, v14, v19
	v_sub_f32_e32 v14, v20, v2
	v_mul_f32_e32 v16, 0x3fb8aa3b, v14
	v_fma_f32 v19, v14, s66, -v16
	v_rndne_f32_e32 v20, v16
	v_fmac_f32_e32 v19, 0x32a5705f, v14
	v_sub_f32_e32 v16, v16, v20
	v_add_f32_e32 v16, v16, v19
	v_exp_f32_e32 v16, v16
	v_cvt_i32_f32_e32 v19, v20
	v_cmp_ngt_f32_e64 s[64:65], s33, v13
	v_sub_f32_e32 v12, v12, v2
	v_cndmask_b32_e64 v4, 0, v4, s[64:65]
	v_cmp_nlt_f32_e64 s[64:65], s67, v13
	v_mul_f32_e32 v13, 0x3fb8aa3b, v12
	v_cndmask_b32_e64 v20, v46, v4, s[64:65]
	v_ldexp_f32 v4, v16, v19
	v_fma_f32 v16, v12, s66, -v13
	v_rndne_f32_e32 v19, v13
	v_fmac_f32_e32 v16, 0x32a5705f, v12
	v_sub_f32_e32 v13, v13, v19
	v_add_f32_e32 v13, v13, v16
	v_exp_f32_e32 v13, v13
	v_cvt_i32_f32_e32 v16, v19
	v_cmp_ngt_f32_e64 s[64:65], s33, v14
	v_cndmask_b32_e64 v4, 0, v4, s[64:65]
	v_cmp_nlt_f32_e64 s[64:65], s67, v14
	v_cndmask_b32_e64 v19, v46, v4, s[64:65]
	v_ldexp_f32 v4, v13, v16
	v_sub_f32_e32 v13, v17, v2
	v_mul_f32_e32 v14, 0x3fb8aa3b, v13
	v_fma_f32 v16, v13, s66, -v14
	v_rndne_f32_e32 v17, v14
	v_fmac_f32_e32 v16, 0x32a5705f, v13
	v_sub_f32_e32 v14, v14, v17
	v_add_f32_e32 v14, v14, v16
	v_exp_f32_e32 v14, v14
	v_cvt_i32_f32_e32 v16, v17
	v_cmp_ngt_f32_e64 s[64:65], s33, v12
	v_sub_f32_e32 v11, v11, v2
	v_cndmask_b32_e64 v4, 0, v4, s[64:65]
	v_cmp_nlt_f32_e64 s[64:65], s67, v12
	v_mul_f32_e32 v12, 0x3fb8aa3b, v11
	v_cndmask_b32_e64 v17, v46, v4, s[64:65]
	v_ldexp_f32 v4, v14, v16
	v_fma_f32 v14, v11, s66, -v12
	v_rndne_f32_e32 v16, v12
	v_fmac_f32_e32 v14, 0x32a5705f, v11
	v_sub_f32_e32 v12, v12, v16
	v_add_f32_e32 v12, v12, v14
	v_exp_f32_e32 v12, v12
	v_cvt_i32_f32_e32 v14, v16
	v_cmp_ngt_f32_e64 s[64:65], s33, v13
	v_cndmask_b32_e64 v4, 0, v4, s[64:65]
	v_cmp_nlt_f32_e64 s[64:65], s67, v13
	v_cndmask_b32_e64 v16, v46, v4, s[64:65]
	v_ldexp_f32 v4, v12, v14
	v_sub_f32_e32 v12, v15, v2
	v_mul_f32_e32 v13, 0x3fb8aa3b, v12
	v_fma_f32 v14, v12, s66, -v13
	v_rndne_f32_e32 v15, v13
	v_fmac_f32_e32 v14, 0x32a5705f, v12
	v_sub_f32_e32 v13, v13, v15
	v_add_f32_e32 v13, v13, v14
	v_exp_f32_e32 v13, v13
	v_cvt_i32_f32_e32 v14, v15
	v_cmp_ngt_f32_e64 s[64:65], s33, v11
	v_sub_f32_e32 v10, v10, v2
	v_cndmask_b32_e64 v4, 0, v4, s[64:65]
	v_cmp_nlt_f32_e64 s[64:65], s67, v11
	v_mul_f32_e32 v11, 0x3fb8aa3b, v10
	v_cndmask_b32_e64 v15, v46, v4, s[64:65]
	v_ldexp_f32 v4, v13, v14
	v_fma_f32 v13, v10, s66, -v11
	v_rndne_f32_e32 v14, v11
	v_fmac_f32_e32 v13, 0x32a5705f, v10
	v_sub_f32_e32 v11, v11, v14
	v_add_f32_e32 v11, v11, v13
	v_exp_f32_e32 v11, v11
	v_cvt_i32_f32_e32 v13, v14
	v_cmp_ngt_f32_e64 s[64:65], s33, v12
	v_cndmask_b32_e64 v4, 0, v4, s[64:65]
	v_cmp_nlt_f32_e64 s[64:65], s67, v12
	v_cndmask_b32_e64 v14, v46, v4, s[64:65]
	v_ldexp_f32 v4, v11, v13
	v_sub_f32_e32 v11, v30, v2
	v_mul_f32_e32 v12, 0x3fb8aa3b, v11
	v_fma_f32 v13, v11, s66, -v12
	v_rndne_f32_e32 v30, v12
	v_fmac_f32_e32 v13, 0x32a5705f, v11
	v_sub_f32_e32 v12, v12, v30
	v_add_f32_e32 v12, v12, v13
	v_exp_f32_e32 v12, v12
	v_cvt_i32_f32_e32 v30, v30
	v_cmp_ngt_f32_e64 s[64:65], s33, v10
	v_sub_f32_e32 v9, v9, v2
	v_cndmask_b32_e64 v4, 0, v4, s[64:65]
	v_cmp_nlt_f32_e64 s[64:65], s67, v10
	v_mul_f32_e32 v10, 0x3fb8aa3b, v9
	v_cndmask_b32_e64 v13, v46, v4, s[64:65]
	v_ldexp_f32 v4, v12, v30
	v_fma_f32 v12, v9, s66, -v10
	v_rndne_f32_e32 v30, v10
	v_fmac_f32_e32 v12, 0x32a5705f, v9
	v_sub_f32_e32 v10, v10, v30
	v_add_f32_e32 v10, v10, v12
	v_exp_f32_e32 v10, v10
	v_cvt_i32_f32_e32 v30, v30
	v_cmp_ngt_f32_e64 s[64:65], s33, v11
	v_cndmask_b32_e64 v4, 0, v4, s[64:65]
	v_cmp_nlt_f32_e64 s[64:65], s67, v11
	v_cndmask_b32_e64 v12, v46, v4, s[64:65]
	v_ldexp_f32 v4, v10, v30
	v_sub_f32_e32 v10, v28, v2
	v_mul_f32_e32 v11, 0x3fb8aa3b, v10
	v_fma_f32 v28, v10, s66, -v11
	v_rndne_f32_e32 v30, v11
	v_fmac_f32_e32 v28, 0x32a5705f, v10
	v_sub_f32_e32 v11, v11, v30
	v_add_f32_e32 v11, v11, v28
	v_exp_f32_e32 v28, v11
	v_cvt_i32_f32_e32 v30, v30
	v_cmp_ngt_f32_e64 s[64:65], s33, v9
	v_sub_f32_e32 v8, v8, v2
	v_cndmask_b32_e64 v4, 0, v4, s[64:65]
	v_cmp_nlt_f32_e64 s[64:65], s67, v9
	v_mul_f32_e32 v9, 0x3fb8aa3b, v8
	v_cndmask_b32_e64 v11, v46, v4, s[64:65]
	v_ldexp_f32 v4, v28, v30
	v_fma_f32 v28, v8, s66, -v9
	v_rndne_f32_e32 v30, v9
	v_fmac_f32_e32 v28, 0x32a5705f, v8
	v_sub_f32_e32 v9, v9, v30
	v_add_f32_e32 v9, v9, v28
	v_exp_f32_e32 v9, v9
	v_cvt_i32_f32_e32 v28, v30
	v_cmp_ngt_f32_e64 s[64:65], s33, v10
	v_cndmask_b32_e64 v4, 0, v4, s[64:65]
	v_cmp_nlt_f32_e64 s[64:65], s67, v10
	v_sub_f32_e32 v26, v26, v2
	v_cndmask_b32_e64 v10, v46, v4, s[64:65]
	v_ldexp_f32 v4, v9, v28
	v_mul_f32_e32 v9, 0x3fb8aa3b, v26
	v_fma_f32 v28, v26, s66, -v9
	v_rndne_f32_e32 v30, v9
	v_fmac_f32_e32 v28, 0x32a5705f, v26
	v_sub_f32_e32 v9, v9, v30
	v_add_f32_e32 v9, v9, v28
	v_exp_f32_e32 v28, v9
	v_cvt_i32_f32_e32 v30, v30
	v_cmp_ngt_f32_e64 s[64:65], s33, v8
	v_sub_f32_e32 v7, v7, v2
	v_cndmask_b32_e64 v4, 0, v4, s[64:65]
	v_cmp_nlt_f32_e64 s[64:65], s67, v8
	v_mul_f32_e32 v8, 0x3fb8aa3b, v7
	v_cndmask_b32_e64 v9, v46, v4, s[64:65]
	v_ldexp_f32 v4, v28, v30
	v_fma_f32 v28, v7, s66, -v8
	v_rndne_f32_e32 v30, v8
	v_fmac_f32_e32 v28, 0x32a5705f, v7
	v_sub_f32_e32 v8, v8, v30
	v_add_f32_e32 v3, v44, v41
	v_add_f32_e32 v8, v8, v28
	;; [unrolled: 1-line block ×3, first 2 shown]
	v_exp_f32_e32 v28, v8
	v_cvt_i32_f32_e32 v30, v30
	v_add_f32_e32 v3, v3, v37
	v_add_f32_e32 v3, v3, v36
	v_cmp_ngt_f32_e64 s[64:65], s33, v26
	v_sub_f32_e32 v24, v24, v2
	v_add_f32_e32 v3, v3, v35
	v_cndmask_b32_e64 v4, 0, v4, s[64:65]
	v_cmp_nlt_f32_e64 s[64:65], s67, v26
	v_mul_f32_e32 v26, 0x3fb8aa3b, v24
	v_add_f32_e32 v3, v3, v34
	v_cndmask_b32_e64 v8, v46, v4, s[64:65]
	v_ldexp_f32 v4, v28, v30
	v_fma_f32 v28, v24, s66, -v26
	v_rndne_f32_e32 v30, v26
	v_add_f32_e32 v3, v3, v33
	v_fmac_f32_e32 v28, 0x32a5705f, v24
	v_sub_f32_e32 v26, v26, v30
	v_add_f32_e32 v3, v3, v32
	v_add_f32_e32 v26, v26, v28
	;; [unrolled: 1-line block ×3, first 2 shown]
	v_exp_f32_e32 v26, v26
	v_cvt_i32_f32_e32 v28, v30
	v_add_f32_e32 v3, v3, v29
	v_add_f32_e32 v3, v3, v27
	v_cmp_ngt_f32_e64 s[64:65], s33, v7
	v_add_f32_e32 v3, v3, v25
	v_cndmask_b32_e64 v4, 0, v4, s[64:65]
	v_cmp_nlt_f32_e64 s[64:65], s67, v7
	v_add_f32_e32 v3, v3, v23
	v_cndmask_b32_e64 v7, v46, v4, s[64:65]
	v_ldexp_f32 v4, v26, v28
	v_sub_f32_e32 v26, v6, v2
	v_add_f32_e32 v3, v3, v21
	v_mul_f32_e32 v6, 0x3fb8aa3b, v26
	v_add_f32_e32 v3, v3, v20
	v_fma_f32 v28, v26, s66, -v6
	v_rndne_f32_e32 v30, v6
	v_add_f32_e32 v3, v3, v19
	v_fmac_f32_e32 v28, 0x32a5705f, v26
	v_sub_f32_e32 v6, v6, v30
	v_add_f32_e32 v3, v3, v17
	v_add_f32_e32 v6, v6, v28
	;; [unrolled: 1-line block ×3, first 2 shown]
	v_exp_f32_e32 v28, v6
	v_cvt_i32_f32_e32 v30, v30
	v_add_f32_e32 v3, v3, v15
	v_add_f32_e32 v3, v3, v14
	v_cmp_ngt_f32_e64 s[64:65], s33, v24
	v_sub_f32_e32 v22, v22, v2
	v_add_f32_e32 v3, v3, v13
	v_cndmask_b32_e64 v4, 0, v4, s[64:65]
	v_cmp_nlt_f32_e64 s[64:65], s67, v24
	v_mul_f32_e32 v24, 0x3fb8aa3b, v22
	v_add_f32_e32 v3, v3, v12
	v_cndmask_b32_e64 v6, v46, v4, s[64:65]
	v_ldexp_f32 v4, v28, v30
	v_fma_f32 v28, v22, s66, -v24
	v_rndne_f32_e32 v30, v24
	v_add_f32_e32 v3, v3, v11
	v_fmac_f32_e32 v28, 0x32a5705f, v22
	v_sub_f32_e32 v24, v24, v30
	v_add_f32_e32 v3, v3, v10
	v_add_f32_e32 v24, v24, v28
	;; [unrolled: 1-line block ×3, first 2 shown]
	v_exp_f32_e32 v24, v24
	v_cvt_i32_f32_e32 v28, v30
	v_add_f32_e32 v3, v3, v8
	v_cmp_ngt_f32_e64 s[64:65], s33, v26
	v_add_f32_e32 v3, v3, v7
	v_cndmask_b32_e64 v4, 0, v4, s[64:65]
	v_cmp_nlt_f32_e64 s[64:65], s67, v26
	v_sub_f32_e32 v2, v18, v2
	v_add_f32_e32 v3, v3, v6
	v_cndmask_b32_e64 v4, v46, v4, s[64:65]
	v_mul_f32_e32 v18, 0x3fb8aa3b, v2
	v_add_f32_e32 v26, v3, v4
	v_ldexp_f32 v3, v24, v28
	v_fma_f32 v24, v2, s66, -v18
	v_rndne_f32_e32 v28, v18
	v_fmac_f32_e32 v24, 0x32a5705f, v2
	v_sub_f32_e32 v18, v18, v28
	v_add_f32_e32 v18, v18, v24
	v_exp_f32_e32 v18, v18
	v_cvt_i32_f32_e32 v24, v28
	v_cmp_ngt_f32_e64 s[64:65], s33, v22
	v_cndmask_b32_e64 v3, 0, v3, s[64:65]
	v_cmp_nlt_f32_e64 s[64:65], s67, v22
	v_cndmask_b32_e64 v3, v46, v3, s[64:65]
	v_ldexp_f32 v18, v18, v24
	v_cmp_ngt_f32_e64 s[64:65], s33, v2
	v_cndmask_b32_e64 v18, 0, v18, s[64:65]
	v_cmp_nlt_f32_e64 s[64:65], s67, v2
	v_add_f32_e32 v22, v26, v3
	v_cndmask_b32_e64 v2, v46, v18, s[64:65]
	v_add_f32_e32 v18, v22, v2
	ds_bpermute_b32 v22, v38, v18
	v_cmp_lt_i32_e64 s[64:65], 0, v5
	s_waitcnt lgkmcnt(0)
	v_add_f32_e32 v18, v18, v22
	ds_bpermute_b32 v22, v40, v18
	s_waitcnt lgkmcnt(0)
	v_add_f32_e32 v18, v18, v22
	ds_bpermute_b32 v22, v42, v18
	;; [unrolled: 3-line block ×4, first 2 shown]
	s_and_saveexec_b64 s[66:67], s[64:65]
	s_cbranch_execz .LBB453_98
; %bb.65:
	s_and_b64 exec, exec, vcc
	s_cbranch_execz .LBB453_98
; %bb.66:
	s_waitcnt lgkmcnt(0)
	v_add_f32_e32 v5, v18, v22
	v_div_scale_f32 v22, s[64:65], v5, v5, v44
	v_rcp_f32_e32 v24, v22
	v_lshlrev_b64 v[0:1], 2, v[0:1]
	v_mov_b32_e32 v18, s69
	v_add_co_u32_e32 v0, vcc, s68, v0
	v_addc_co_u32_e32 v1, vcc, v18, v1, vcc
	v_fma_f32 v18, -v22, v24, 1.0
	v_fmac_f32_e32 v24, v18, v24
	v_div_scale_f32 v18, vcc, v44, v5, v44
	v_mul_f32_e32 v26, v18, v24
	v_fma_f32 v28, -v22, v26, v18
	v_fmac_f32_e32 v26, v28, v24
	v_fma_f32 v18, -v22, v26, v18
	v_div_fmas_f32 v18, v18, v24, v26
	v_div_fixup_f32 v22, v18, v5, v44
	v_mov_b32_e32 v18, 0x7fc00000
	v_cmp_eq_f32_e64 s[64:65], 0, v5
	v_cndmask_b32_e64 v22, v22, v18, s[64:65]
	global_store_dword v[0:1], v22, off
	s_and_b64 exec, exec, s[62:63]
	s_cbranch_execz .LBB453_98
; %bb.67:
	v_div_scale_f32 v22, s[62:63], v5, v5, v41
	v_rcp_f32_e32 v24, v22
	v_div_scale_f32 v26, vcc, v41, v5, v41
	v_fma_f32 v28, -v22, v24, 1.0
	v_fmac_f32_e32 v24, v28, v24
	v_mul_f32_e32 v28, v26, v24
	v_fma_f32 v30, -v22, v28, v26
	v_fmac_f32_e32 v28, v30, v24
	v_fma_f32 v22, -v22, v28, v26
	v_div_fmas_f32 v22, v22, v24, v28
	v_div_fixup_f32 v22, v22, v5, v41
	v_cndmask_b32_e64 v18, v22, v18, s[64:65]
	global_store_dword v[0:1], v18, off offset:128
	s_and_b64 exec, exec, s[60:61]
	s_cbranch_execz .LBB453_98
; %bb.68:
	v_div_scale_f32 v18, s[60:61], v5, v5, v39
	v_rcp_f32_e32 v22, v18
	v_div_scale_f32 v24, vcc, v39, v5, v39
	v_fma_f32 v26, -v18, v22, 1.0
	v_fmac_f32_e32 v22, v26, v22
	v_mul_f32_e32 v26, v24, v22
	v_fma_f32 v28, -v18, v26, v24
	v_fmac_f32_e32 v26, v28, v22
	v_fma_f32 v18, -v18, v26, v24
	v_div_fmas_f32 v18, v18, v22, v26
	v_div_fixup_f32 v22, v18, v5, v39
	v_mov_b32_e32 v18, 0x7fc00000
	v_cndmask_b32_e64 v22, v22, v18, s[64:65]
	global_store_dword v[0:1], v22, off offset:256
	s_and_b64 exec, exec, s[58:59]
	s_cbranch_execz .LBB453_98
; %bb.69:
	v_div_scale_f32 v22, s[58:59], v5, v5, v37
	v_rcp_f32_e32 v24, v22
	v_div_scale_f32 v26, vcc, v37, v5, v37
	v_fma_f32 v28, -v22, v24, 1.0
	v_fmac_f32_e32 v24, v28, v24
	v_mul_f32_e32 v28, v26, v24
	v_fma_f32 v30, -v22, v28, v26
	v_fmac_f32_e32 v28, v30, v24
	v_fma_f32 v22, -v22, v28, v26
	v_div_fmas_f32 v22, v22, v24, v28
	v_div_fixup_f32 v22, v22, v5, v37
	v_cndmask_b32_e64 v18, v22, v18, s[64:65]
	global_store_dword v[0:1], v18, off offset:384
	s_and_b64 exec, exec, s[56:57]
	s_cbranch_execz .LBB453_98
; %bb.70:
	v_div_scale_f32 v18, s[56:57], v5, v5, v36
	v_rcp_f32_e32 v22, v18
	v_div_scale_f32 v24, vcc, v36, v5, v36
	v_fma_f32 v26, -v18, v22, 1.0
	v_fmac_f32_e32 v22, v26, v22
	v_mul_f32_e32 v26, v24, v22
	v_fma_f32 v28, -v18, v26, v24
	v_fmac_f32_e32 v26, v28, v22
	v_fma_f32 v18, -v18, v26, v24
	v_div_fmas_f32 v18, v18, v22, v26
	v_div_fixup_f32 v22, v18, v5, v36
	v_mov_b32_e32 v18, 0x7fc00000
	v_cndmask_b32_e64 v22, v22, v18, s[64:65]
	global_store_dword v[0:1], v22, off offset:512
	;; [unrolled: 33-line block ×15, first 2 shown]
	s_and_b64 exec, exec, s[0:1]
	s_cbranch_execz .LBB453_98
; %bb.97:
	v_div_scale_f32 v4, s[0:1], v5, v5, v2
	v_rcp_f32_e32 v6, v4
	v_div_scale_f32 v7, vcc, v2, v5, v2
	v_fma_f32 v8, -v4, v6, 1.0
	v_fmac_f32_e32 v6, v8, v6
	v_mul_f32_e32 v8, v7, v6
	v_fma_f32 v9, -v4, v8, v7
	v_fmac_f32_e32 v8, v9, v6
	v_fma_f32 v4, -v4, v8, v7
	v_div_fmas_f32 v4, v4, v6, v8
	v_div_fixup_f32 v2, v4, v5, v2
	v_cndmask_b32_e64 v2, v2, v3, s[64:65]
	global_store_dword v[0:1], v2, off offset:3968
.LBB453_98:
	s_endpgm
	.section	.rodata,"a",@progbits
	.p2align	6, 0x0
	.amdhsa_kernel _ZN12_GLOBAL__N_120softmax_warp_forwardIN3c104HalfEffLi10ELb0ELb0ELi32EEEvPT0_PKT_iiiPKbib
		.amdhsa_group_segment_fixed_size 0
		.amdhsa_private_segment_fixed_size 0
		.amdhsa_kernarg_size 304
		.amdhsa_user_sgpr_count 6
		.amdhsa_user_sgpr_private_segment_buffer 1
		.amdhsa_user_sgpr_dispatch_ptr 0
		.amdhsa_user_sgpr_queue_ptr 0
		.amdhsa_user_sgpr_kernarg_segment_ptr 1
		.amdhsa_user_sgpr_dispatch_id 0
		.amdhsa_user_sgpr_flat_scratch_init 0
		.amdhsa_user_sgpr_kernarg_preload_length 0
		.amdhsa_user_sgpr_kernarg_preload_offset 0
		.amdhsa_user_sgpr_private_segment_size 0
		.amdhsa_uses_dynamic_stack 0
		.amdhsa_system_sgpr_private_segment_wavefront_offset 0
		.amdhsa_system_sgpr_workgroup_id_x 1
		.amdhsa_system_sgpr_workgroup_id_y 0
		.amdhsa_system_sgpr_workgroup_id_z 0
		.amdhsa_system_sgpr_workgroup_info 0
		.amdhsa_system_vgpr_workitem_id 1
		.amdhsa_next_free_vgpr 47
		.amdhsa_next_free_sgpr 76
		.amdhsa_accum_offset 48
		.amdhsa_reserve_vcc 1
		.amdhsa_reserve_flat_scratch 0
		.amdhsa_float_round_mode_32 0
		.amdhsa_float_round_mode_16_64 0
		.amdhsa_float_denorm_mode_32 3
		.amdhsa_float_denorm_mode_16_64 3
		.amdhsa_dx10_clamp 1
		.amdhsa_ieee_mode 1
		.amdhsa_fp16_overflow 0
		.amdhsa_tg_split 0
		.amdhsa_exception_fp_ieee_invalid_op 0
		.amdhsa_exception_fp_denorm_src 0
		.amdhsa_exception_fp_ieee_div_zero 0
		.amdhsa_exception_fp_ieee_overflow 0
		.amdhsa_exception_fp_ieee_underflow 0
		.amdhsa_exception_fp_ieee_inexact 0
		.amdhsa_exception_int_div_zero 0
	.end_amdhsa_kernel
	.section	.text._ZN12_GLOBAL__N_120softmax_warp_forwardIN3c104HalfEffLi10ELb0ELb0ELi32EEEvPT0_PKT_iiiPKbib,"axG",@progbits,_ZN12_GLOBAL__N_120softmax_warp_forwardIN3c104HalfEffLi10ELb0ELb0ELi32EEEvPT0_PKT_iiiPKbib,comdat
.Lfunc_end453:
	.size	_ZN12_GLOBAL__N_120softmax_warp_forwardIN3c104HalfEffLi10ELb0ELb0ELi32EEEvPT0_PKT_iiiPKbib, .Lfunc_end453-_ZN12_GLOBAL__N_120softmax_warp_forwardIN3c104HalfEffLi10ELb0ELb0ELi32EEEvPT0_PKT_iiiPKbib
                                        ; -- End function
	.section	.AMDGPU.csdata,"",@progbits
; Kernel info:
; codeLenInByte = 8948
; NumSgprs: 80
; NumVgprs: 47
; NumAgprs: 0
; TotalNumVgprs: 47
; ScratchSize: 0
; MemoryBound: 0
; FloatMode: 240
; IeeeMode: 1
; LDSByteSize: 0 bytes/workgroup (compile time only)
; SGPRBlocks: 9
; VGPRBlocks: 5
; NumSGPRsForWavesPerEU: 80
; NumVGPRsForWavesPerEU: 47
; AccumOffset: 48
; Occupancy: 8
; WaveLimiterHint : 0
; COMPUTE_PGM_RSRC2:SCRATCH_EN: 0
; COMPUTE_PGM_RSRC2:USER_SGPR: 6
; COMPUTE_PGM_RSRC2:TRAP_HANDLER: 0
; COMPUTE_PGM_RSRC2:TGID_X_EN: 1
; COMPUTE_PGM_RSRC2:TGID_Y_EN: 0
; COMPUTE_PGM_RSRC2:TGID_Z_EN: 0
; COMPUTE_PGM_RSRC2:TIDIG_COMP_CNT: 1
; COMPUTE_PGM_RSRC3_GFX90A:ACCUM_OFFSET: 11
; COMPUTE_PGM_RSRC3_GFX90A:TG_SPLIT: 0
	.section	.text._ZN12_GLOBAL__N_120softmax_warp_forwardIN3c104HalfEffLi11ELb0ELb0ELi64EEEvPT0_PKT_iiiPKbib,"axG",@progbits,_ZN12_GLOBAL__N_120softmax_warp_forwardIN3c104HalfEffLi11ELb0ELb0ELi64EEEvPT0_PKT_iiiPKbib,comdat
	.globl	_ZN12_GLOBAL__N_120softmax_warp_forwardIN3c104HalfEffLi11ELb0ELb0ELi64EEEvPT0_PKT_iiiPKbib ; -- Begin function _ZN12_GLOBAL__N_120softmax_warp_forwardIN3c104HalfEffLi11ELb0ELb0ELi64EEEvPT0_PKT_iiiPKbib
	.p2align	8
	.type	_ZN12_GLOBAL__N_120softmax_warp_forwardIN3c104HalfEffLi11ELb0ELb0ELi64EEEvPT0_PKT_iiiPKbib,@function
_ZN12_GLOBAL__N_120softmax_warp_forwardIN3c104HalfEffLi11ELb0ELb0ELi64EEEvPT0_PKT_iiiPKbib: ; @_ZN12_GLOBAL__N_120softmax_warp_forwardIN3c104HalfEffLi11ELb0ELb0ELi64EEEvPT0_PKT_iiiPKbib
; %bb.0:
	s_load_dword s0, s[4:5], 0x3c
	s_load_dwordx8 s[68:75], s[4:5], 0x0
	v_bfe_u32 v1, v0, 10, 10
	v_and_b32_e32 v4, 0x3ff, v0
	v_mov_b32_e32 v32, 0xff800000
	s_waitcnt lgkmcnt(0)
	s_lshr_b32 s0, s0, 16
	s_mul_i32 s6, s6, s0
	v_add_u32_e32 v1, s6, v1
	v_sub_u32_e32 v5, s72, v1
	v_mad_u64_u32 v[0:1], s[0:1], v1, s73, v[4:5]
	v_ashrrev_i32_e32 v1, 31, v0
	v_lshlrev_b64 v[2:3], 1, v[0:1]
	v_mov_b32_e32 v6, s71
	v_add_co_u32_e32 v2, vcc, s70, v2
	v_addc_co_u32_e32 v3, vcc, v6, v3, vcc
	v_cmp_lt_i32_e64 s[64:65], 0, v5
	v_cmp_gt_i32_e32 vcc, s74, v4
	s_and_b64 s[2:3], s[64:65], vcc
	v_mov_b32_e32 v37, 0xff800000
	s_and_saveexec_b64 s[0:1], s[2:3]
	s_cbranch_execz .LBB454_2
; %bb.1:
	global_load_ushort v6, v[2:3], off
	s_waitcnt vmcnt(0)
	v_cvt_f32_f16_e32 v37, v6
.LBB454_2:
	s_or_b64 exec, exec, s[0:1]
	v_add_u32_e32 v6, 64, v4
	v_cmp_gt_i32_e64 s[62:63], s74, v6
	s_and_b64 s[2:3], s[64:65], s[62:63]
	s_and_saveexec_b64 s[0:1], s[2:3]
	s_cbranch_execz .LBB454_4
; %bb.3:
	global_load_ushort v6, v[2:3], off offset:128
	s_waitcnt vmcnt(0)
	v_cvt_f32_f16_e32 v32, v6
.LBB454_4:
	s_or_b64 exec, exec, s[0:1]
	v_add_u32_e32 v6, 0x80, v4
	v_cmp_gt_i32_e64 s[60:61], s74, v6
	s_and_b64 s[2:3], s[64:65], s[60:61]
	v_mov_b32_e32 v30, 0xff800000
	v_mov_b32_e32 v36, 0xff800000
	s_and_saveexec_b64 s[0:1], s[2:3]
	s_cbranch_execz .LBB454_6
; %bb.5:
	global_load_ushort v6, v[2:3], off offset:256
	s_waitcnt vmcnt(0)
	v_cvt_f32_f16_e32 v36, v6
.LBB454_6:
	s_or_b64 exec, exec, s[0:1]
	v_add_u32_e32 v6, 0xc0, v4
	v_cmp_gt_i32_e64 s[58:59], s74, v6
	s_and_b64 s[2:3], s[64:65], s[58:59]
	s_and_saveexec_b64 s[0:1], s[2:3]
	s_cbranch_execz .LBB454_8
; %bb.7:
	global_load_ushort v6, v[2:3], off offset:384
	s_waitcnt vmcnt(0)
	v_cvt_f32_f16_e32 v30, v6
.LBB454_8:
	s_or_b64 exec, exec, s[0:1]
	v_add_u32_e32 v6, 0x100, v4
	v_cmp_gt_i32_e64 s[56:57], s74, v6
	s_and_b64 s[2:3], s[64:65], s[56:57]
	v_mov_b32_e32 v27, 0xff800000
	v_mov_b32_e32 v35, 0xff800000
	s_and_saveexec_b64 s[0:1], s[2:3]
	s_cbranch_execz .LBB454_10
; %bb.9:
	global_load_ushort v6, v[2:3], off offset:512
	s_waitcnt vmcnt(0)
	v_cvt_f32_f16_e32 v35, v6
.LBB454_10:
	;; [unrolled: 24-line block ×7, first 2 shown]
	s_or_b64 exec, exec, s[0:1]
	v_add_u32_e32 v6, 0x3c0, v4
	v_cmp_gt_i32_e64 s[34:35], s74, v6
	s_and_b64 s[2:3], s[64:65], s[34:35]
	s_and_saveexec_b64 s[0:1], s[2:3]
	s_cbranch_execz .LBB454_32
; %bb.31:
	global_load_ushort v6, v[2:3], off offset:1920
	s_waitcnt vmcnt(0)
	v_cvt_f32_f16_e32 v13, v6
.LBB454_32:
	s_or_b64 exec, exec, s[0:1]
	v_or_b32_e32 v6, 0x400, v4
	v_cmp_gt_i32_e64 s[30:31], s74, v6
	s_and_b64 s[2:3], s[64:65], s[30:31]
	v_mov_b32_e32 v12, 0xff800000
	v_mov_b32_e32 v21, 0xff800000
	s_and_saveexec_b64 s[0:1], s[2:3]
	s_cbranch_execz .LBB454_34
; %bb.33:
	global_load_ushort v6, v[2:3], off offset:2048
	s_waitcnt vmcnt(0)
	v_cvt_f32_f16_e32 v21, v6
.LBB454_34:
	s_or_b64 exec, exec, s[0:1]
	v_add_u32_e32 v6, 0x440, v4
	v_cmp_gt_i32_e64 s[28:29], s74, v6
	s_and_b64 s[2:3], s[64:65], s[28:29]
	s_and_saveexec_b64 s[0:1], s[2:3]
	s_cbranch_execz .LBB454_36
; %bb.35:
	global_load_ushort v6, v[2:3], off offset:2176
	s_waitcnt vmcnt(0)
	v_cvt_f32_f16_e32 v12, v6
.LBB454_36:
	s_or_b64 exec, exec, s[0:1]
	v_add_u32_e32 v6, 0x480, v4
	v_cmp_gt_i32_e64 s[26:27], s74, v6
	s_and_b64 s[2:3], s[64:65], s[26:27]
	v_mov_b32_e32 v11, 0xff800000
	v_mov_b32_e32 v18, 0xff800000
	s_and_saveexec_b64 s[0:1], s[2:3]
	s_cbranch_execz .LBB454_38
; %bb.37:
	global_load_ushort v6, v[2:3], off offset:2304
	s_waitcnt vmcnt(0)
	v_cvt_f32_f16_e32 v18, v6
.LBB454_38:
	s_or_b64 exec, exec, s[0:1]
	v_add_u32_e32 v6, 0x4c0, v4
	v_cmp_gt_i32_e64 s[24:25], s74, v6
	s_and_b64 s[2:3], s[64:65], s[24:25]
	s_and_saveexec_b64 s[0:1], s[2:3]
	s_cbranch_execz .LBB454_40
; %bb.39:
	global_load_ushort v6, v[2:3], off offset:2432
	s_waitcnt vmcnt(0)
	v_cvt_f32_f16_e32 v11, v6
.LBB454_40:
	s_or_b64 exec, exec, s[0:1]
	v_add_u32_e32 v6, 0x500, v4
	v_cmp_gt_i32_e64 s[22:23], s74, v6
	s_and_b64 s[2:3], s[64:65], s[22:23]
	v_mov_b32_e32 v10, 0xff800000
	v_mov_b32_e32 v16, 0xff800000
	s_and_saveexec_b64 s[0:1], s[2:3]
	s_cbranch_execz .LBB454_42
; %bb.41:
	global_load_ushort v6, v[2:3], off offset:2560
	s_waitcnt vmcnt(0)
	v_cvt_f32_f16_e32 v16, v6
.LBB454_42:
	s_or_b64 exec, exec, s[0:1]
	v_add_u32_e32 v6, 0x540, v4
	v_cmp_gt_i32_e64 s[20:21], s74, v6
	s_and_b64 s[2:3], s[64:65], s[20:21]
	s_and_saveexec_b64 s[0:1], s[2:3]
	s_cbranch_execz .LBB454_44
; %bb.43:
	global_load_ushort v6, v[2:3], off offset:2688
	s_waitcnt vmcnt(0)
	v_cvt_f32_f16_e32 v10, v6
.LBB454_44:
	s_or_b64 exec, exec, s[0:1]
	v_add_u32_e32 v6, 0x580, v4
	v_cmp_gt_i32_e64 s[18:19], s74, v6
	s_and_b64 s[2:3], s[64:65], s[18:19]
	v_mov_b32_e32 v9, 0xff800000
	v_mov_b32_e32 v14, 0xff800000
	s_and_saveexec_b64 s[0:1], s[2:3]
	s_cbranch_execz .LBB454_46
; %bb.45:
	global_load_ushort v6, v[2:3], off offset:2816
	s_waitcnt vmcnt(0)
	v_cvt_f32_f16_e32 v14, v6
.LBB454_46:
	s_or_b64 exec, exec, s[0:1]
	v_add_u32_e32 v6, 0x5c0, v4
	v_cmp_gt_i32_e64 s[16:17], s74, v6
	s_and_b64 s[2:3], s[64:65], s[16:17]
	s_and_saveexec_b64 s[0:1], s[2:3]
	s_cbranch_execz .LBB454_48
; %bb.47:
	global_load_ushort v6, v[2:3], off offset:2944
	s_waitcnt vmcnt(0)
	v_cvt_f32_f16_e32 v9, v6
.LBB454_48:
	s_or_b64 exec, exec, s[0:1]
	v_add_u32_e32 v6, 0x600, v4
	v_cmp_gt_i32_e64 s[14:15], s74, v6
	s_and_b64 s[2:3], s[64:65], s[14:15]
	v_mov_b32_e32 v8, 0xff800000
	v_mov_b32_e32 v28, 0xff800000
	s_and_saveexec_b64 s[0:1], s[2:3]
	s_cbranch_execz .LBB454_50
; %bb.49:
	global_load_ushort v6, v[2:3], off offset:3072
	s_waitcnt vmcnt(0)
	v_cvt_f32_f16_e32 v28, v6
.LBB454_50:
	s_or_b64 exec, exec, s[0:1]
	v_add_u32_e32 v6, 0x640, v4
	v_cmp_gt_i32_e64 s[12:13], s74, v6
	s_and_b64 s[2:3], s[64:65], s[12:13]
	s_and_saveexec_b64 s[0:1], s[2:3]
	s_cbranch_execz .LBB454_52
; %bb.51:
	global_load_ushort v6, v[2:3], off offset:3200
	s_waitcnt vmcnt(0)
	v_cvt_f32_f16_e32 v8, v6
.LBB454_52:
	s_or_b64 exec, exec, s[0:1]
	v_add_u32_e32 v6, 0x680, v4
	v_cmp_gt_i32_e64 s[10:11], s74, v6
	s_and_b64 s[2:3], s[64:65], s[10:11]
	v_mov_b32_e32 v7, 0xff800000
	v_mov_b32_e32 v26, 0xff800000
	s_and_saveexec_b64 s[0:1], s[2:3]
	s_cbranch_execz .LBB454_54
; %bb.53:
	global_load_ushort v6, v[2:3], off offset:3328
	s_waitcnt vmcnt(0)
	v_cvt_f32_f16_e32 v26, v6
.LBB454_54:
	s_or_b64 exec, exec, s[0:1]
	v_add_u32_e32 v6, 0x6c0, v4
	v_cmp_gt_i32_e64 s[8:9], s74, v6
	s_and_b64 s[2:3], s[64:65], s[8:9]
	s_and_saveexec_b64 s[0:1], s[2:3]
	s_cbranch_execz .LBB454_56
; %bb.55:
	global_load_ushort v6, v[2:3], off offset:3456
	s_waitcnt vmcnt(0)
	v_cvt_f32_f16_e32 v7, v6
.LBB454_56:
	s_or_b64 exec, exec, s[0:1]
	v_add_u32_e32 v6, 0x700, v4
	v_cmp_gt_i32_e64 s[6:7], s74, v6
	s_and_b64 s[2:3], s[64:65], s[6:7]
	v_mov_b32_e32 v6, 0xff800000
	v_mov_b32_e32 v24, 0xff800000
	s_and_saveexec_b64 s[0:1], s[2:3]
	s_cbranch_execz .LBB454_58
; %bb.57:
	global_load_ushort v19, v[2:3], off offset:3584
	s_waitcnt vmcnt(0)
	v_cvt_f32_f16_e32 v24, v19
.LBB454_58:
	s_or_b64 exec, exec, s[0:1]
	v_add_u32_e32 v19, 0x740, v4
	v_cmp_gt_i32_e64 s[4:5], s74, v19
	s_and_b64 s[2:3], s[64:65], s[4:5]
	s_and_saveexec_b64 s[0:1], s[2:3]
	s_cbranch_execz .LBB454_60
; %bb.59:
	global_load_ushort v6, v[2:3], off offset:3712
	s_waitcnt vmcnt(0)
	v_cvt_f32_f16_e32 v6, v6
.LBB454_60:
	s_or_b64 exec, exec, s[0:1]
	v_add_u32_e32 v19, 0x780, v4
	v_cmp_gt_i32_e64 s[2:3], s74, v19
	s_and_b64 s[66:67], s[64:65], s[2:3]
	v_mov_b32_e32 v19, 0xff800000
	v_mov_b32_e32 v22, 0xff800000
	s_and_saveexec_b64 s[0:1], s[66:67]
	s_cbranch_execz .LBB454_62
; %bb.61:
	global_load_ushort v22, v[2:3], off offset:3840
	s_waitcnt vmcnt(0)
	v_cvt_f32_f16_e32 v22, v22
.LBB454_62:
	s_or_b64 exec, exec, s[0:1]
	v_add_u32_e32 v4, 0x7c0, v4
	v_cmp_gt_i32_e64 s[0:1], s74, v4
	s_and_b64 s[66:67], s[64:65], s[0:1]
	s_and_saveexec_b64 s[64:65], s[66:67]
	s_cbranch_execz .LBB454_64
; %bb.63:
	global_load_ushort v2, v[2:3], off offset:3968
	s_waitcnt vmcnt(0)
	v_cvt_f32_f16_e32 v19, v2
.LBB454_64:
	s_or_b64 exec, exec, s[64:65]
	v_cmp_gt_f32_e64 s[64:65], v37, v32
	v_cndmask_b32_e64 v2, v32, v37, s[64:65]
	v_cmp_gt_f32_e64 s[64:65], v2, v36
	v_cndmask_b32_e64 v2, v36, v2, s[64:65]
	;; [unrolled: 2-line block ×29, first 2 shown]
	v_mbcnt_lo_u32_b32 v3, -1, 0
	v_cmp_gt_f32_e64 s[64:65], v2, v22
	v_mbcnt_hi_u32_b32 v3, -1, v3
	v_cndmask_b32_e64 v2, v22, v2, s[64:65]
	v_and_b32_e32 v4, 64, v3
	v_cmp_gt_f32_e64 s[64:65], v2, v19
	v_add_u32_e32 v39, 64, v4
	v_xor_b32_e32 v4, 32, v3
	v_cndmask_b32_e64 v2, v19, v2, s[64:65]
	v_cmp_lt_i32_e64 s[64:65], v4, v39
	v_cndmask_b32_e64 v4, v3, v4, s[64:65]
	v_lshlrev_b32_e32 v4, 2, v4
	ds_bpermute_b32 v38, v4, v2
	s_mov_b32 s66, 0x3fb8aa3b
	s_mov_b32 s33, 0xc2ce8ed0
	;; [unrolled: 1-line block ×3, first 2 shown]
	v_mov_b32_e32 v46, 0x7f800000
	s_waitcnt lgkmcnt(0)
	v_cmp_lt_f32_e64 s[64:65], v2, v38
	v_cndmask_b32_e64 v2, v2, v38, s[64:65]
	v_xor_b32_e32 v38, 16, v3
	v_cmp_lt_i32_e64 s[64:65], v38, v39
	v_cndmask_b32_e64 v38, v3, v38, s[64:65]
	v_lshlrev_b32_e32 v38, 2, v38
	ds_bpermute_b32 v40, v38, v2
	s_waitcnt lgkmcnt(0)
	v_cmp_lt_f32_e64 s[64:65], v2, v40
	v_cndmask_b32_e64 v2, v2, v40, s[64:65]
	v_xor_b32_e32 v40, 8, v3
	v_cmp_lt_i32_e64 s[64:65], v40, v39
	v_cndmask_b32_e64 v40, v3, v40, s[64:65]
	v_lshlrev_b32_e32 v40, 2, v40
	ds_bpermute_b32 v41, v40, v2
	;; [unrolled: 8-line block ×5, first 2 shown]
	s_waitcnt lgkmcnt(0)
	v_cmp_lt_f32_e64 s[64:65], v2, v3
	v_cndmask_b32_e64 v2, v2, v3, s[64:65]
	v_sub_f32_e32 v3, v37, v2
	v_mul_f32_e32 v37, 0x3fb8aa3b, v3
	v_fma_f32 v39, v3, s66, -v37
	v_rndne_f32_e32 v41, v37
	v_fmac_f32_e32 v39, 0x32a5705f, v3
	v_sub_f32_e32 v37, v37, v41
	v_add_f32_e32 v37, v37, v39
	v_exp_f32_e32 v37, v37
	v_cvt_i32_f32_e32 v39, v41
	v_sub_f32_e32 v32, v32, v2
	v_cmp_ngt_f32_e64 s[64:65], s33, v3
	v_sub_f32_e32 v36, v36, v2
	v_ldexp_f32 v37, v37, v39
	v_mul_f32_e32 v39, 0x3fb8aa3b, v32
	v_fma_f32 v41, v32, s66, -v39
	v_rndne_f32_e32 v44, v39
	v_fmac_f32_e32 v41, 0x32a5705f, v32
	v_sub_f32_e32 v39, v39, v44
	v_add_f32_e32 v39, v39, v41
	v_exp_f32_e32 v39, v39
	v_cvt_i32_f32_e32 v41, v44
	v_cndmask_b32_e64 v37, 0, v37, s[64:65]
	v_cmp_nlt_f32_e64 s[64:65], s67, v3
	v_cndmask_b32_e64 v44, v46, v37, s[64:65]
	v_mul_f32_e32 v37, 0x3fb8aa3b, v36
	v_ldexp_f32 v3, v39, v41
	v_fma_f32 v39, v36, s66, -v37
	v_rndne_f32_e32 v41, v37
	v_fmac_f32_e32 v39, 0x32a5705f, v36
	v_sub_f32_e32 v37, v37, v41
	v_add_f32_e32 v37, v37, v39
	v_exp_f32_e32 v37, v37
	v_cvt_i32_f32_e32 v39, v41
	v_cmp_ngt_f32_e64 s[64:65], s33, v32
	v_sub_f32_e32 v30, v30, v2
	v_cndmask_b32_e64 v3, 0, v3, s[64:65]
	v_cmp_nlt_f32_e64 s[64:65], s67, v32
	v_ldexp_f32 v32, v37, v39
	v_mul_f32_e32 v37, 0x3fb8aa3b, v30
	v_fma_f32 v39, v30, s66, -v37
	v_rndne_f32_e32 v47, v37
	v_fmac_f32_e32 v39, 0x32a5705f, v30
	v_sub_f32_e32 v37, v37, v47
	v_add_f32_e32 v37, v37, v39
	v_exp_f32_e32 v37, v37
	v_cvt_i32_f32_e32 v47, v47
	v_cndmask_b32_e64 v41, v46, v3, s[64:65]
	v_cmp_ngt_f32_e64 s[64:65], s33, v36
	v_sub_f32_e32 v35, v35, v2
	v_cndmask_b32_e64 v32, 0, v32, s[64:65]
	v_cmp_nlt_f32_e64 s[64:65], s67, v36
	v_mul_f32_e32 v36, 0x3fb8aa3b, v35
	v_cndmask_b32_e64 v39, v46, v32, s[64:65]
	v_ldexp_f32 v32, v37, v47
	v_fma_f32 v37, v35, s66, -v36
	v_rndne_f32_e32 v47, v36
	v_fmac_f32_e32 v37, 0x32a5705f, v35
	v_sub_f32_e32 v36, v36, v47
	v_add_f32_e32 v36, v36, v37
	v_exp_f32_e32 v36, v36
	v_cvt_i32_f32_e32 v47, v47
	v_cmp_ngt_f32_e64 s[64:65], s33, v30
	v_cndmask_b32_e64 v32, 0, v32, s[64:65]
	v_cmp_nlt_f32_e64 s[64:65], s67, v30
	v_sub_f32_e32 v27, v27, v2
	v_cndmask_b32_e64 v37, v46, v32, s[64:65]
	v_mul_f32_e32 v32, 0x3fb8aa3b, v27
	v_ldexp_f32 v30, v36, v47
	v_fma_f32 v36, v27, s66, -v32
	v_rndne_f32_e32 v47, v32
	v_fmac_f32_e32 v36, 0x32a5705f, v27
	v_sub_f32_e32 v32, v32, v47
	v_add_f32_e32 v32, v32, v36
	v_exp_f32_e32 v32, v32
	v_cvt_i32_f32_e32 v47, v47
	v_cmp_ngt_f32_e64 s[64:65], s33, v35
	v_cndmask_b32_e64 v30, 0, v30, s[64:65]
	v_cmp_nlt_f32_e64 s[64:65], s67, v35
	v_cndmask_b32_e64 v36, v46, v30, s[64:65]
	v_ldexp_f32 v30, v32, v47
	v_sub_f32_e32 v32, v34, v2
	v_mul_f32_e32 v34, 0x3fb8aa3b, v32
	v_fma_f32 v35, v32, s66, -v34
	v_rndne_f32_e32 v47, v34
	v_fmac_f32_e32 v35, 0x32a5705f, v32
	v_sub_f32_e32 v34, v34, v47
	v_add_f32_e32 v34, v34, v35
	v_exp_f32_e32 v34, v34
	v_cvt_i32_f32_e32 v47, v47
	v_cmp_ngt_f32_e64 s[64:65], s33, v27
	v_cndmask_b32_e64 v30, 0, v30, s[64:65]
	v_cmp_nlt_f32_e64 s[64:65], s67, v27
	v_sub_f32_e32 v23, v23, v2
	v_cndmask_b32_e64 v35, v46, v30, s[64:65]
	v_mul_f32_e32 v30, 0x3fb8aa3b, v23
	v_ldexp_f32 v27, v34, v47
	v_fma_f32 v34, v23, s66, -v30
	v_rndne_f32_e32 v47, v30
	v_fmac_f32_e32 v34, 0x32a5705f, v23
	v_sub_f32_e32 v30, v30, v47
	v_add_f32_e32 v30, v30, v34
	v_exp_f32_e32 v30, v30
	v_cvt_i32_f32_e32 v47, v47
	v_cmp_ngt_f32_e64 s[64:65], s33, v32
	v_cndmask_b32_e64 v27, 0, v27, s[64:65]
	v_cmp_nlt_f32_e64 s[64:65], s67, v32
	v_cndmask_b32_e64 v34, v46, v27, s[64:65]
	v_ldexp_f32 v27, v30, v47
	v_sub_f32_e32 v30, v33, v2
	v_mul_f32_e32 v32, 0x3fb8aa3b, v30
	;; [unrolled: 28-line block ×10, first 2 shown]
	v_fma_f32 v28, v11, s66, -v12
	v_rndne_f32_e32 v47, v12
	v_fmac_f32_e32 v28, 0x32a5705f, v11
	v_sub_f32_e32 v12, v12, v47
	v_add_f32_e32 v12, v12, v28
	v_exp_f32_e32 v28, v12
	v_cvt_i32_f32_e32 v47, v47
	v_cmp_ngt_f32_e64 s[64:65], s33, v9
	v_cndmask_b32_e64 v10, 0, v10, s[64:65]
	v_cmp_nlt_f32_e64 s[64:65], s67, v9
	v_sub_f32_e32 v8, v8, v2
	v_cndmask_b32_e64 v12, v46, v10, s[64:65]
	v_mul_f32_e32 v10, 0x3fb8aa3b, v8
	v_ldexp_f32 v9, v28, v47
	v_fma_f32 v28, v8, s66, -v10
	v_rndne_f32_e32 v47, v10
	v_fmac_f32_e32 v28, 0x32a5705f, v8
	v_sub_f32_e32 v10, v10, v47
	v_add_f32_e32 v10, v10, v28
	v_exp_f32_e32 v10, v10
	v_cvt_i32_f32_e32 v28, v47
	v_cmp_ngt_f32_e64 s[64:65], s33, v11
	v_cndmask_b32_e64 v9, 0, v9, s[64:65]
	v_cmp_nlt_f32_e64 s[64:65], s67, v11
	v_sub_f32_e32 v26, v26, v2
	v_cndmask_b32_e64 v11, v46, v9, s[64:65]
	v_ldexp_f32 v9, v10, v28
	v_mul_f32_e32 v10, 0x3fb8aa3b, v26
	v_fma_f32 v28, v26, s66, -v10
	v_rndne_f32_e32 v47, v10
	v_fmac_f32_e32 v28, 0x32a5705f, v26
	v_sub_f32_e32 v10, v10, v47
	v_add_f32_e32 v10, v10, v28
	v_exp_f32_e32 v28, v10
	v_cvt_i32_f32_e32 v47, v47
	v_cmp_ngt_f32_e64 s[64:65], s33, v8
	v_cndmask_b32_e64 v9, 0, v9, s[64:65]
	v_cmp_nlt_f32_e64 s[64:65], s67, v8
	v_sub_f32_e32 v7, v7, v2
	v_cndmask_b32_e64 v10, v46, v9, s[64:65]
	v_mul_f32_e32 v9, 0x3fb8aa3b, v7
	v_ldexp_f32 v8, v28, v47
	v_fma_f32 v28, v7, s66, -v9
	v_rndne_f32_e32 v47, v9
	v_fmac_f32_e32 v28, 0x32a5705f, v7
	v_sub_f32_e32 v9, v9, v47
	v_add_f32_e32 v3, v44, v41
	v_add_f32_e32 v9, v9, v28
	;; [unrolled: 1-line block ×3, first 2 shown]
	v_exp_f32_e32 v28, v9
	v_cvt_i32_f32_e32 v47, v47
	v_add_f32_e32 v3, v3, v37
	v_add_f32_e32 v3, v3, v36
	v_cmp_ngt_f32_e64 s[64:65], s33, v26
	v_sub_f32_e32 v24, v24, v2
	v_add_f32_e32 v3, v3, v35
	v_cndmask_b32_e64 v8, 0, v8, s[64:65]
	v_cmp_nlt_f32_e64 s[64:65], s67, v26
	v_mul_f32_e32 v26, 0x3fb8aa3b, v24
	v_add_f32_e32 v3, v3, v34
	v_cndmask_b32_e64 v9, v46, v8, s[64:65]
	v_ldexp_f32 v8, v28, v47
	v_fma_f32 v28, v24, s66, -v26
	v_rndne_f32_e32 v47, v26
	v_add_f32_e32 v3, v3, v33
	v_fmac_f32_e32 v28, 0x32a5705f, v24
	v_sub_f32_e32 v26, v26, v47
	v_add_f32_e32 v3, v3, v32
	v_add_f32_e32 v26, v26, v28
	;; [unrolled: 1-line block ×3, first 2 shown]
	v_exp_f32_e32 v26, v26
	v_cvt_i32_f32_e32 v28, v47
	v_add_f32_e32 v3, v3, v30
	v_add_f32_e32 v3, v3, v29
	;; [unrolled: 1-line block ×3, first 2 shown]
	v_cmp_ngt_f32_e64 s[64:65], s33, v7
	v_sub_f32_e32 v6, v6, v2
	v_add_f32_e32 v3, v3, v25
	v_cndmask_b32_e64 v8, 0, v8, s[64:65]
	v_cmp_nlt_f32_e64 s[64:65], s67, v7
	v_ldexp_f32 v7, v26, v28
	v_mul_f32_e32 v26, 0x3fb8aa3b, v6
	v_add_f32_e32 v3, v3, v23
	v_fma_f32 v28, v6, s66, -v26
	v_rndne_f32_e32 v47, v26
	v_add_f32_e32 v3, v3, v21
	v_fmac_f32_e32 v28, 0x32a5705f, v6
	v_sub_f32_e32 v26, v26, v47
	v_add_f32_e32 v3, v3, v20
	v_add_f32_e32 v26, v26, v28
	;; [unrolled: 1-line block ×3, first 2 shown]
	v_exp_f32_e32 v26, v26
	v_cvt_i32_f32_e32 v28, v47
	v_add_f32_e32 v3, v3, v17
	v_add_f32_e32 v3, v3, v16
	;; [unrolled: 1-line block ×3, first 2 shown]
	v_cndmask_b32_e64 v8, v46, v8, s[64:65]
	v_cmp_ngt_f32_e64 s[64:65], s33, v24
	v_sub_f32_e32 v22, v22, v2
	v_add_f32_e32 v3, v3, v14
	v_cndmask_b32_e64 v7, 0, v7, s[64:65]
	v_cmp_nlt_f32_e64 s[64:65], s67, v24
	v_ldexp_f32 v24, v26, v28
	v_mul_f32_e32 v26, 0x3fb8aa3b, v22
	v_add_f32_e32 v3, v3, v13
	v_fma_f32 v28, v22, s66, -v26
	v_rndne_f32_e32 v47, v26
	v_add_f32_e32 v3, v3, v12
	v_fmac_f32_e32 v28, 0x32a5705f, v22
	v_sub_f32_e32 v26, v26, v47
	v_add_f32_e32 v3, v3, v11
	v_add_f32_e32 v26, v26, v28
	;; [unrolled: 1-line block ×3, first 2 shown]
	v_exp_f32_e32 v26, v26
	v_cvt_i32_f32_e32 v28, v47
	v_add_f32_e32 v3, v3, v9
	v_cndmask_b32_e64 v7, v46, v7, s[64:65]
	v_cmp_ngt_f32_e64 s[64:65], s33, v6
	v_add_f32_e32 v3, v3, v8
	v_cndmask_b32_e64 v24, 0, v24, s[64:65]
	v_cmp_nlt_f32_e64 s[64:65], s67, v6
	v_sub_f32_e32 v2, v19, v2
	v_add_f32_e32 v3, v3, v7
	v_cndmask_b32_e64 v6, v46, v24, s[64:65]
	v_mul_f32_e32 v19, 0x3fb8aa3b, v2
	v_add_f32_e32 v24, v3, v6
	v_ldexp_f32 v3, v26, v28
	v_fma_f32 v26, v2, s66, -v19
	v_rndne_f32_e32 v28, v19
	v_fmac_f32_e32 v26, 0x32a5705f, v2
	v_sub_f32_e32 v19, v19, v28
	v_add_f32_e32 v19, v19, v26
	v_exp_f32_e32 v19, v19
	v_cvt_i32_f32_e32 v26, v28
	v_cmp_ngt_f32_e64 s[64:65], s33, v22
	v_cndmask_b32_e64 v3, 0, v3, s[64:65]
	v_cmp_nlt_f32_e64 s[64:65], s67, v22
	v_cndmask_b32_e64 v3, v46, v3, s[64:65]
	v_ldexp_f32 v19, v19, v26
	v_cmp_ngt_f32_e64 s[64:65], s33, v2
	v_cndmask_b32_e64 v19, 0, v19, s[64:65]
	v_cmp_nlt_f32_e64 s[64:65], s67, v2
	v_add_f32_e32 v22, v24, v3
	v_cndmask_b32_e64 v2, v46, v19, s[64:65]
	v_add_f32_e32 v19, v22, v2
	ds_bpermute_b32 v4, v4, v19
	v_cmp_lt_i32_e64 s[64:65], 0, v5
	s_waitcnt lgkmcnt(0)
	v_add_f32_e32 v4, v19, v4
	ds_bpermute_b32 v19, v38, v4
	s_waitcnt lgkmcnt(0)
	v_add_f32_e32 v4, v4, v19
	ds_bpermute_b32 v19, v40, v4
	;; [unrolled: 3-line block ×5, first 2 shown]
	s_and_saveexec_b64 s[66:67], s[64:65]
	s_cbranch_execz .LBB454_98
; %bb.65:
	s_and_b64 exec, exec, vcc
	s_cbranch_execz .LBB454_98
; %bb.66:
	s_waitcnt lgkmcnt(0)
	v_add_f32_e32 v4, v4, v19
	v_div_scale_f32 v19, s[64:65], v4, v4, v44
	v_rcp_f32_e32 v22, v19
	v_lshlrev_b64 v[0:1], 2, v[0:1]
	v_mov_b32_e32 v5, s69
	v_add_co_u32_e32 v0, vcc, s68, v0
	v_addc_co_u32_e32 v1, vcc, v5, v1, vcc
	v_fma_f32 v5, -v19, v22, 1.0
	v_fmac_f32_e32 v22, v5, v22
	v_div_scale_f32 v5, vcc, v44, v4, v44
	v_mul_f32_e32 v24, v5, v22
	v_fma_f32 v26, -v19, v24, v5
	v_fmac_f32_e32 v24, v26, v22
	v_fma_f32 v5, -v19, v24, v5
	v_div_fmas_f32 v5, v5, v22, v24
	v_div_fixup_f32 v19, v5, v4, v44
	v_mov_b32_e32 v5, 0x7fc00000
	v_cmp_eq_f32_e64 s[64:65], 0, v4
	v_cndmask_b32_e64 v19, v19, v5, s[64:65]
	global_store_dword v[0:1], v19, off
	s_and_b64 exec, exec, s[62:63]
	s_cbranch_execz .LBB454_98
; %bb.67:
	v_div_scale_f32 v19, s[62:63], v4, v4, v41
	v_rcp_f32_e32 v22, v19
	v_div_scale_f32 v24, vcc, v41, v4, v41
	v_fma_f32 v26, -v19, v22, 1.0
	v_fmac_f32_e32 v22, v26, v22
	v_mul_f32_e32 v26, v24, v22
	v_fma_f32 v28, -v19, v26, v24
	v_fmac_f32_e32 v26, v28, v22
	v_fma_f32 v19, -v19, v26, v24
	v_div_fmas_f32 v19, v19, v22, v26
	v_div_fixup_f32 v19, v19, v4, v41
	v_cndmask_b32_e64 v5, v19, v5, s[64:65]
	global_store_dword v[0:1], v5, off offset:256
	s_and_b64 exec, exec, s[60:61]
	s_cbranch_execz .LBB454_98
; %bb.68:
	v_div_scale_f32 v5, s[60:61], v4, v4, v39
	v_rcp_f32_e32 v19, v5
	v_div_scale_f32 v22, vcc, v39, v4, v39
	v_fma_f32 v24, -v5, v19, 1.0
	v_fmac_f32_e32 v19, v24, v19
	v_mul_f32_e32 v24, v22, v19
	v_fma_f32 v26, -v5, v24, v22
	v_fmac_f32_e32 v24, v26, v19
	v_fma_f32 v5, -v5, v24, v22
	v_div_fmas_f32 v5, v5, v19, v24
	v_div_fixup_f32 v19, v5, v4, v39
	v_mov_b32_e32 v5, 0x7fc00000
	v_cndmask_b32_e64 v19, v19, v5, s[64:65]
	global_store_dword v[0:1], v19, off offset:512
	s_and_b64 exec, exec, s[58:59]
	s_cbranch_execz .LBB454_98
; %bb.69:
	v_div_scale_f32 v19, s[58:59], v4, v4, v37
	v_rcp_f32_e32 v22, v19
	v_div_scale_f32 v24, vcc, v37, v4, v37
	v_fma_f32 v26, -v19, v22, 1.0
	v_fmac_f32_e32 v22, v26, v22
	v_mul_f32_e32 v26, v24, v22
	v_fma_f32 v28, -v19, v26, v24
	v_fmac_f32_e32 v26, v28, v22
	v_fma_f32 v19, -v19, v26, v24
	v_div_fmas_f32 v19, v19, v22, v26
	v_div_fixup_f32 v19, v19, v4, v37
	v_cndmask_b32_e64 v5, v19, v5, s[64:65]
	global_store_dword v[0:1], v5, off offset:768
	s_and_b64 exec, exec, s[56:57]
	s_cbranch_execz .LBB454_98
; %bb.70:
	v_div_scale_f32 v5, s[56:57], v4, v4, v36
	v_rcp_f32_e32 v19, v5
	v_div_scale_f32 v22, vcc, v36, v4, v36
	v_fma_f32 v24, -v5, v19, 1.0
	v_fmac_f32_e32 v19, v24, v19
	v_mul_f32_e32 v24, v22, v19
	v_fma_f32 v26, -v5, v24, v22
	v_fmac_f32_e32 v24, v26, v19
	v_fma_f32 v5, -v5, v24, v22
	v_div_fmas_f32 v5, v5, v19, v24
	v_div_fixup_f32 v19, v5, v4, v36
	v_mov_b32_e32 v5, 0x7fc00000
	v_cndmask_b32_e64 v19, v19, v5, s[64:65]
	global_store_dword v[0:1], v19, off offset:1024
	;; [unrolled: 33-line block ×7, first 2 shown]
	s_and_b64 exec, exec, s[34:35]
	s_cbranch_execz .LBB454_98
; %bb.81:
	v_div_scale_f32 v19, s[34:35], v4, v4, v21
	v_rcp_f32_e32 v22, v19
	v_div_scale_f32 v23, vcc, v21, v4, v21
	v_fma_f32 v24, -v19, v22, 1.0
	v_fmac_f32_e32 v22, v24, v22
	v_mul_f32_e32 v24, v23, v22
	v_fma_f32 v25, -v19, v24, v23
	v_fmac_f32_e32 v24, v25, v22
	v_fma_f32 v19, -v19, v24, v23
	v_div_fmas_f32 v19, v19, v22, v24
	v_div_fixup_f32 v19, v19, v4, v21
	v_cndmask_b32_e64 v5, v19, v5, s[64:65]
	global_store_dword v[0:1], v5, off offset:3840
	s_and_b64 exec, exec, s[30:31]
	s_cbranch_execz .LBB454_98
; %bb.82:
	v_div_scale_f32 v5, s[30:31], v4, v4, v20
	v_rcp_f32_e32 v19, v5
	v_div_scale_f32 v21, vcc, v20, v4, v20
	v_fma_f32 v22, -v5, v19, 1.0
	v_fmac_f32_e32 v19, v22, v19
	v_mul_f32_e32 v22, v21, v19
	v_fma_f32 v23, -v5, v22, v21
	v_fmac_f32_e32 v22, v23, v19
	v_fma_f32 v5, -v5, v22, v21
	v_div_fmas_f32 v5, v5, v19, v22
	v_div_fixup_f32 v19, v5, v4, v20
	v_mov_b32_e32 v5, 0x7fc00000
	v_add_co_u32_e32 v20, vcc, 0x1000, v0
	v_cndmask_b32_e64 v19, v19, v5, s[64:65]
	v_addc_co_u32_e32 v21, vcc, 0, v1, vcc
	global_store_dword v[20:21], v19, off
	s_and_b64 exec, exec, s[28:29]
	s_cbranch_execz .LBB454_98
; %bb.83:
	v_div_scale_f32 v19, s[28:29], v4, v4, v18
	v_rcp_f32_e32 v20, v19
	v_div_scale_f32 v21, vcc, v18, v4, v18
	v_fma_f32 v22, -v19, v20, 1.0
	v_fmac_f32_e32 v20, v22, v20
	v_mul_f32_e32 v22, v21, v20
	v_fma_f32 v23, -v19, v22, v21
	v_fmac_f32_e32 v22, v23, v20
	v_fma_f32 v19, -v19, v22, v21
	v_div_fmas_f32 v19, v19, v20, v22
	v_div_fixup_f32 v18, v19, v4, v18
	v_cndmask_b32_e64 v5, v18, v5, s[64:65]
	v_add_co_u32_e32 v18, vcc, 0x1000, v0
	v_addc_co_u32_e32 v19, vcc, 0, v1, vcc
	global_store_dword v[18:19], v5, off offset:256
	s_and_b64 exec, exec, s[26:27]
	s_cbranch_execz .LBB454_98
; %bb.84:
	v_div_scale_f32 v5, s[26:27], v4, v4, v17
	v_rcp_f32_e32 v18, v5
	v_div_scale_f32 v19, vcc, v17, v4, v17
	v_fma_f32 v20, -v5, v18, 1.0
	v_fmac_f32_e32 v18, v20, v18
	v_mul_f32_e32 v20, v19, v18
	v_fma_f32 v21, -v5, v20, v19
	v_fmac_f32_e32 v20, v21, v18
	v_fma_f32 v5, -v5, v20, v19
	v_div_fmas_f32 v5, v5, v18, v20
	v_div_fixup_f32 v17, v5, v4, v17
	v_mov_b32_e32 v5, 0x7fc00000
	v_add_co_u32_e32 v18, vcc, 0x1000, v0
	v_cndmask_b32_e64 v17, v17, v5, s[64:65]
	v_addc_co_u32_e32 v19, vcc, 0, v1, vcc
	global_store_dword v[18:19], v17, off offset:512
	s_and_b64 exec, exec, s[24:25]
	s_cbranch_execz .LBB454_98
; %bb.85:
	v_div_scale_f32 v17, s[24:25], v4, v4, v16
	v_rcp_f32_e32 v18, v17
	v_div_scale_f32 v19, vcc, v16, v4, v16
	v_fma_f32 v20, -v17, v18, 1.0
	v_fmac_f32_e32 v18, v20, v18
	v_mul_f32_e32 v20, v19, v18
	v_fma_f32 v21, -v17, v20, v19
	v_fmac_f32_e32 v20, v21, v18
	v_fma_f32 v17, -v17, v20, v19
	v_div_fmas_f32 v17, v17, v18, v20
	v_div_fixup_f32 v16, v17, v4, v16
	v_cndmask_b32_e64 v5, v16, v5, s[64:65]
	v_add_co_u32_e32 v16, vcc, 0x1000, v0
	v_addc_co_u32_e32 v17, vcc, 0, v1, vcc
	global_store_dword v[16:17], v5, off offset:768
	s_and_b64 exec, exec, s[22:23]
	s_cbranch_execz .LBB454_98
; %bb.86:
	v_div_scale_f32 v5, s[22:23], v4, v4, v15
	v_rcp_f32_e32 v16, v5
	v_div_scale_f32 v17, vcc, v15, v4, v15
	v_fma_f32 v18, -v5, v16, 1.0
	v_fmac_f32_e32 v16, v18, v16
	v_mul_f32_e32 v18, v17, v16
	v_fma_f32 v19, -v5, v18, v17
	v_fmac_f32_e32 v18, v19, v16
	v_fma_f32 v5, -v5, v18, v17
	v_div_fmas_f32 v5, v5, v16, v18
	v_div_fixup_f32 v15, v5, v4, v15
	v_mov_b32_e32 v5, 0x7fc00000
	v_add_co_u32_e32 v16, vcc, 0x1000, v0
	v_cndmask_b32_e64 v15, v15, v5, s[64:65]
	v_addc_co_u32_e32 v17, vcc, 0, v1, vcc
	global_store_dword v[16:17], v15, off offset:1024
	;; [unrolled: 37-line block ×7, first 2 shown]
	s_and_b64 exec, exec, s[0:1]
	s_cbranch_execz .LBB454_98
; %bb.97:
	v_div_scale_f32 v5, s[0:1], v4, v4, v2
	v_rcp_f32_e32 v6, v5
	v_div_scale_f32 v7, vcc, v2, v4, v2
	v_fma_f32 v8, -v5, v6, 1.0
	v_fmac_f32_e32 v6, v8, v6
	v_mul_f32_e32 v8, v7, v6
	v_fma_f32 v9, -v5, v8, v7
	v_fmac_f32_e32 v8, v9, v6
	v_fma_f32 v5, -v5, v8, v7
	v_div_fmas_f32 v5, v5, v6, v8
	v_div_fixup_f32 v2, v5, v4, v2
	v_add_co_u32_e32 v0, vcc, 0x1000, v0
	v_cndmask_b32_e64 v2, v2, v3, s[64:65]
	v_addc_co_u32_e32 v1, vcc, 0, v1, vcc
	global_store_dword v[0:1], v2, off offset:3840
.LBB454_98:
	s_endpgm
	.section	.rodata,"a",@progbits
	.p2align	6, 0x0
	.amdhsa_kernel _ZN12_GLOBAL__N_120softmax_warp_forwardIN3c104HalfEffLi11ELb0ELb0ELi64EEEvPT0_PKT_iiiPKbib
		.amdhsa_group_segment_fixed_size 0
		.amdhsa_private_segment_fixed_size 0
		.amdhsa_kernarg_size 304
		.amdhsa_user_sgpr_count 6
		.amdhsa_user_sgpr_private_segment_buffer 1
		.amdhsa_user_sgpr_dispatch_ptr 0
		.amdhsa_user_sgpr_queue_ptr 0
		.amdhsa_user_sgpr_kernarg_segment_ptr 1
		.amdhsa_user_sgpr_dispatch_id 0
		.amdhsa_user_sgpr_flat_scratch_init 0
		.amdhsa_user_sgpr_kernarg_preload_length 0
		.amdhsa_user_sgpr_kernarg_preload_offset 0
		.amdhsa_user_sgpr_private_segment_size 0
		.amdhsa_uses_dynamic_stack 0
		.amdhsa_system_sgpr_private_segment_wavefront_offset 0
		.amdhsa_system_sgpr_workgroup_id_x 1
		.amdhsa_system_sgpr_workgroup_id_y 0
		.amdhsa_system_sgpr_workgroup_id_z 0
		.amdhsa_system_sgpr_workgroup_info 0
		.amdhsa_system_vgpr_workitem_id 1
		.amdhsa_next_free_vgpr 48
		.amdhsa_next_free_sgpr 76
		.amdhsa_accum_offset 48
		.amdhsa_reserve_vcc 1
		.amdhsa_reserve_flat_scratch 0
		.amdhsa_float_round_mode_32 0
		.amdhsa_float_round_mode_16_64 0
		.amdhsa_float_denorm_mode_32 3
		.amdhsa_float_denorm_mode_16_64 3
		.amdhsa_dx10_clamp 1
		.amdhsa_ieee_mode 1
		.amdhsa_fp16_overflow 0
		.amdhsa_tg_split 0
		.amdhsa_exception_fp_ieee_invalid_op 0
		.amdhsa_exception_fp_denorm_src 0
		.amdhsa_exception_fp_ieee_div_zero 0
		.amdhsa_exception_fp_ieee_overflow 0
		.amdhsa_exception_fp_ieee_underflow 0
		.amdhsa_exception_fp_ieee_inexact 0
		.amdhsa_exception_int_div_zero 0
	.end_amdhsa_kernel
	.section	.text._ZN12_GLOBAL__N_120softmax_warp_forwardIN3c104HalfEffLi11ELb0ELb0ELi64EEEvPT0_PKT_iiiPKbib,"axG",@progbits,_ZN12_GLOBAL__N_120softmax_warp_forwardIN3c104HalfEffLi11ELb0ELb0ELi64EEEvPT0_PKT_iiiPKbib,comdat
.Lfunc_end454:
	.size	_ZN12_GLOBAL__N_120softmax_warp_forwardIN3c104HalfEffLi11ELb0ELb0ELi64EEEvPT0_PKT_iiiPKbib, .Lfunc_end454-_ZN12_GLOBAL__N_120softmax_warp_forwardIN3c104HalfEffLi11ELb0ELb0ELi64EEEvPT0_PKT_iiiPKbib
                                        ; -- End function
	.section	.AMDGPU.csdata,"",@progbits
; Kernel info:
; codeLenInByte = 9208
; NumSgprs: 80
; NumVgprs: 48
; NumAgprs: 0
; TotalNumVgprs: 48
; ScratchSize: 0
; MemoryBound: 0
; FloatMode: 240
; IeeeMode: 1
; LDSByteSize: 0 bytes/workgroup (compile time only)
; SGPRBlocks: 9
; VGPRBlocks: 5
; NumSGPRsForWavesPerEU: 80
; NumVGPRsForWavesPerEU: 48
; AccumOffset: 48
; Occupancy: 8
; WaveLimiterHint : 0
; COMPUTE_PGM_RSRC2:SCRATCH_EN: 0
; COMPUTE_PGM_RSRC2:USER_SGPR: 6
; COMPUTE_PGM_RSRC2:TRAP_HANDLER: 0
; COMPUTE_PGM_RSRC2:TGID_X_EN: 1
; COMPUTE_PGM_RSRC2:TGID_Y_EN: 0
; COMPUTE_PGM_RSRC2:TGID_Z_EN: 0
; COMPUTE_PGM_RSRC2:TIDIG_COMP_CNT: 1
; COMPUTE_PGM_RSRC3_GFX90A:ACCUM_OFFSET: 11
; COMPUTE_PGM_RSRC3_GFX90A:TG_SPLIT: 0
	.section	.text._ZN12_GLOBAL__N_120softmax_warp_forwardIN3c104HalfEffLi11ELb0ELb0ELi32EEEvPT0_PKT_iiiPKbib,"axG",@progbits,_ZN12_GLOBAL__N_120softmax_warp_forwardIN3c104HalfEffLi11ELb0ELb0ELi32EEEvPT0_PKT_iiiPKbib,comdat
	.globl	_ZN12_GLOBAL__N_120softmax_warp_forwardIN3c104HalfEffLi11ELb0ELb0ELi32EEEvPT0_PKT_iiiPKbib ; -- Begin function _ZN12_GLOBAL__N_120softmax_warp_forwardIN3c104HalfEffLi11ELb0ELb0ELi32EEEvPT0_PKT_iiiPKbib
	.p2align	8
	.type	_ZN12_GLOBAL__N_120softmax_warp_forwardIN3c104HalfEffLi11ELb0ELb0ELi32EEEvPT0_PKT_iiiPKbib,@function
_ZN12_GLOBAL__N_120softmax_warp_forwardIN3c104HalfEffLi11ELb0ELb0ELi32EEEvPT0_PKT_iiiPKbib: ; @_ZN12_GLOBAL__N_120softmax_warp_forwardIN3c104HalfEffLi11ELb0ELb0ELi32EEEvPT0_PKT_iiiPKbib
; %bb.0:
	s_load_dword s0, s[4:5], 0x3c
	s_load_dwordx8 s[36:43], s[4:5], 0x0
	v_bfe_u32 v1, v0, 10, 10
	v_and_b32_e32 v4, 0x3ff, v0
	v_mov_b32_e32 v31, 0xff800000
	s_waitcnt lgkmcnt(0)
	s_lshr_b32 s0, s0, 16
	s_mul_i32 s6, s6, s0
	v_add_u32_e32 v1, s6, v1
	v_sub_u32_e32 v5, s40, v1
	v_mad_u64_u32 v[0:1], s[0:1], v1, s41, v[4:5]
	v_ashrrev_i32_e32 v1, 31, v0
	v_lshlrev_b64 v[2:3], 1, v[0:1]
	v_mov_b32_e32 v6, s39
	v_add_co_u32_e32 v2, vcc, s38, v2
	v_addc_co_u32_e32 v3, vcc, v6, v3, vcc
	v_cmp_lt_i32_e32 vcc, 0, v5
	v_cmp_gt_i32_e64 s[34:35], s42, v4
	s_and_b64 s[2:3], vcc, s[34:35]
	v_mov_b32_e32 v6, 0xff800000
	s_and_saveexec_b64 s[0:1], s[2:3]
	s_cbranch_execz .LBB455_2
; %bb.1:
	global_load_ushort v7, v[2:3], off
	s_waitcnt vmcnt(0)
	v_cvt_f32_f16_e32 v31, v7
.LBB455_2:
	s_or_b64 exec, exec, s[0:1]
	v_add_u32_e32 v7, 32, v4
	v_cmp_gt_i32_e64 s[30:31], s42, v7
	s_and_b64 s[2:3], vcc, s[30:31]
	s_and_saveexec_b64 s[0:1], s[2:3]
	s_cbranch_execz .LBB455_4
; %bb.3:
	global_load_ushort v6, v[2:3], off offset:64
	s_waitcnt vmcnt(0)
	v_cvt_f32_f16_e32 v6, v6
.LBB455_4:
	s_or_b64 exec, exec, s[0:1]
	v_add_u32_e32 v7, 64, v4
	v_cmp_gt_i32_e64 s[28:29], s42, v7
	s_and_b64 s[2:3], vcc, s[28:29]
	v_mov_b32_e32 v11, 0xff800000
	v_mov_b32_e32 v9, 0xff800000
	s_and_saveexec_b64 s[0:1], s[2:3]
	s_cbranch_execz .LBB455_6
; %bb.5:
	global_load_ushort v7, v[2:3], off offset:128
	s_waitcnt vmcnt(0)
	v_cvt_f32_f16_e32 v9, v7
.LBB455_6:
	s_or_b64 exec, exec, s[0:1]
	v_add_u32_e32 v7, 0x60, v4
	v_cmp_gt_i32_e64 s[26:27], s42, v7
	s_and_b64 s[2:3], vcc, s[26:27]
	s_and_saveexec_b64 s[0:1], s[2:3]
	s_cbranch_execz .LBB455_8
; %bb.7:
	global_load_ushort v7, v[2:3], off offset:192
	s_waitcnt vmcnt(0)
	v_cvt_f32_f16_e32 v11, v7
.LBB455_8:
	s_or_b64 exec, exec, s[0:1]
	v_add_u32_e32 v7, 0x80, v4
	v_cmp_gt_i32_e64 s[24:25], s42, v7
	s_and_b64 s[2:3], vcc, s[24:25]
	v_mov_b32_e32 v13, 0xff800000
	v_mov_b32_e32 v12, 0xff800000
	s_and_saveexec_b64 s[0:1], s[2:3]
	s_cbranch_execz .LBB455_10
; %bb.9:
	global_load_ushort v7, v[2:3], off offset:256
	s_waitcnt vmcnt(0)
	v_cvt_f32_f16_e32 v12, v7
.LBB455_10:
	;; [unrolled: 24-line block ×15, first 2 shown]
	s_or_b64 exec, exec, s[38:39]
	v_add_u32_e32 v7, 0x3e0, v4
	v_cmp_gt_i32_e64 s[66:67], s42, v7
	s_and_b64 s[40:41], vcc, s[66:67]
	s_and_saveexec_b64 s[38:39], s[40:41]
	s_cbranch_execz .LBB455_64
; %bb.63:
	global_load_ushort v7, v[2:3], off offset:1984
	s_waitcnt vmcnt(0)
	v_cvt_f32_f16_e32 v39, v7
.LBB455_64:
	s_or_b64 exec, exec, s[38:39]
	v_or_b32_e32 v7, 0x400, v4
	v_cmp_gt_i32_e64 s[64:65], s42, v7
	s_and_b64 s[40:41], vcc, s[64:65]
	v_mov_b32_e32 v41, 0xff800000
	v_mov_b32_e32 v40, 0xff800000
	s_and_saveexec_b64 s[38:39], s[40:41]
	s_cbranch_execz .LBB455_66
; %bb.65:
	global_load_ushort v7, v[2:3], off offset:2048
	s_waitcnt vmcnt(0)
	v_cvt_f32_f16_e32 v40, v7
.LBB455_66:
	s_or_b64 exec, exec, s[38:39]
	v_add_u32_e32 v7, 0x420, v4
	v_cmp_gt_i32_e64 s[62:63], s42, v7
	s_and_b64 s[40:41], vcc, s[62:63]
	s_and_saveexec_b64 s[38:39], s[40:41]
	s_cbranch_execz .LBB455_68
; %bb.67:
	global_load_ushort v7, v[2:3], off offset:2112
	s_waitcnt vmcnt(0)
	v_cvt_f32_f16_e32 v41, v7
.LBB455_68:
	s_or_b64 exec, exec, s[38:39]
	v_add_u32_e32 v7, 0x440, v4
	v_cmp_gt_i32_e64 s[60:61], s42, v7
	s_and_b64 s[40:41], vcc, s[60:61]
	v_mov_b32_e32 v43, 0xff800000
	v_mov_b32_e32 v42, 0xff800000
	s_and_saveexec_b64 s[38:39], s[40:41]
	s_cbranch_execz .LBB455_70
; %bb.69:
	global_load_ushort v7, v[2:3], off offset:2176
	s_waitcnt vmcnt(0)
	v_cvt_f32_f16_e32 v42, v7
.LBB455_70:
	s_or_b64 exec, exec, s[38:39]
	v_add_u32_e32 v7, 0x460, v4
	v_cmp_gt_i32_e64 s[58:59], s42, v7
	s_and_b64 s[40:41], vcc, s[58:59]
	s_and_saveexec_b64 s[38:39], s[40:41]
	s_cbranch_execz .LBB455_72
; %bb.71:
	global_load_ushort v7, v[2:3], off offset:2240
	s_waitcnt vmcnt(0)
	v_cvt_f32_f16_e32 v43, v7
.LBB455_72:
	s_or_b64 exec, exec, s[38:39]
	v_add_u32_e32 v7, 0x480, v4
	v_cmp_gt_i32_e64 s[56:57], s42, v7
	s_and_b64 s[40:41], vcc, s[56:57]
	v_mov_b32_e32 v45, 0xff800000
	v_mov_b32_e32 v44, 0xff800000
	s_and_saveexec_b64 s[38:39], s[40:41]
	s_cbranch_execz .LBB455_74
; %bb.73:
	global_load_ushort v7, v[2:3], off offset:2304
	s_waitcnt vmcnt(0)
	v_cvt_f32_f16_e32 v44, v7
.LBB455_74:
	s_or_b64 exec, exec, s[38:39]
	v_add_u32_e32 v7, 0x4a0, v4
	v_cmp_gt_i32_e64 s[54:55], s42, v7
	s_and_b64 s[40:41], vcc, s[54:55]
	s_and_saveexec_b64 s[38:39], s[40:41]
	s_cbranch_execz .LBB455_76
; %bb.75:
	global_load_ushort v7, v[2:3], off offset:2368
	s_waitcnt vmcnt(0)
	v_cvt_f32_f16_e32 v45, v7
.LBB455_76:
	s_or_b64 exec, exec, s[38:39]
	v_add_u32_e32 v7, 0x4c0, v4
	v_cmp_gt_i32_e64 s[52:53], s42, v7
	s_and_b64 s[40:41], vcc, s[52:53]
	v_mov_b32_e32 v47, 0xff800000
	v_mov_b32_e32 v46, 0xff800000
	s_and_saveexec_b64 s[38:39], s[40:41]
	s_cbranch_execz .LBB455_78
; %bb.77:
	global_load_ushort v7, v[2:3], off offset:2432
	s_waitcnt vmcnt(0)
	v_cvt_f32_f16_e32 v46, v7
.LBB455_78:
	s_or_b64 exec, exec, s[38:39]
	v_add_u32_e32 v7, 0x4e0, v4
	v_cmp_gt_i32_e64 s[50:51], s42, v7
	s_and_b64 s[40:41], vcc, s[50:51]
	s_and_saveexec_b64 s[38:39], s[40:41]
	s_cbranch_execz .LBB455_80
; %bb.79:
	global_load_ushort v7, v[2:3], off offset:2496
	s_waitcnt vmcnt(0)
	v_cvt_f32_f16_e32 v47, v7
.LBB455_80:
	s_or_b64 exec, exec, s[38:39]
	v_add_u32_e32 v7, 0x500, v4
	v_cmp_gt_i32_e64 s[48:49], s42, v7
	s_and_b64 s[40:41], vcc, s[48:49]
	v_mov_b32_e32 v49, 0xff800000
	v_mov_b32_e32 v48, 0xff800000
	s_and_saveexec_b64 s[38:39], s[40:41]
	s_cbranch_execz .LBB455_82
; %bb.81:
	global_load_ushort v7, v[2:3], off offset:2560
	s_waitcnt vmcnt(0)
	v_cvt_f32_f16_e32 v48, v7
.LBB455_82:
	s_or_b64 exec, exec, s[38:39]
	v_add_u32_e32 v7, 0x520, v4
	v_cmp_gt_i32_e64 s[46:47], s42, v7
	s_and_b64 s[40:41], vcc, s[46:47]
	s_and_saveexec_b64 s[38:39], s[40:41]
	s_cbranch_execz .LBB455_84
; %bb.83:
	global_load_ushort v7, v[2:3], off offset:2624
	s_waitcnt vmcnt(0)
	v_cvt_f32_f16_e32 v49, v7
.LBB455_84:
	s_or_b64 exec, exec, s[38:39]
	v_add_u32_e32 v7, 0x540, v4
	v_cmp_gt_i32_e64 s[44:45], s42, v7
	s_and_b64 s[40:41], vcc, s[44:45]
	v_mov_b32_e32 v52, 0xff800000
	v_mov_b32_e32 v51, 0xff800000
	s_and_saveexec_b64 s[38:39], s[40:41]
	s_cbranch_execz .LBB455_86
; %bb.85:
	global_load_ushort v7, v[2:3], off offset:2688
	s_waitcnt vmcnt(0)
	v_cvt_f32_f16_e32 v51, v7
.LBB455_86:
	s_or_b64 exec, exec, s[38:39]
	v_add_u32_e32 v7, 0x560, v4
	v_cmp_gt_i32_e64 s[38:39], s42, v7
                                        ; implicit-def: $vgpr78 : SGPR spill to VGPR lane
	v_writelane_b32 v78, s38, 0
	s_and_b64 s[40:41], vcc, s[38:39]
	v_writelane_b32 v78, s39, 1
	s_and_saveexec_b64 s[38:39], s[40:41]
	s_cbranch_execz .LBB455_88
; %bb.87:
	global_load_ushort v7, v[2:3], off offset:2752
	s_waitcnt vmcnt(0)
	v_cvt_f32_f16_e32 v52, v7
.LBB455_88:
	s_or_b64 exec, exec, s[38:39]
	v_add_u32_e32 v7, 0x580, v4
	v_cmp_gt_i32_e64 s[38:39], s42, v7
	v_writelane_b32 v78, s38, 2
	s_and_b64 s[40:41], vcc, s[38:39]
	v_mov_b32_e32 v54, 0xff800000
	v_mov_b32_e32 v53, 0xff800000
	v_writelane_b32 v78, s39, 3
	s_and_saveexec_b64 s[38:39], s[40:41]
	s_cbranch_execz .LBB455_90
; %bb.89:
	global_load_ushort v7, v[2:3], off offset:2816
	s_waitcnt vmcnt(0)
	v_cvt_f32_f16_e32 v53, v7
.LBB455_90:
	s_or_b64 exec, exec, s[38:39]
	v_add_u32_e32 v7, 0x5a0, v4
	v_cmp_gt_i32_e64 s[38:39], s42, v7
	v_writelane_b32 v78, s38, 4
	s_and_b64 s[40:41], vcc, s[38:39]
	v_writelane_b32 v78, s39, 5
	s_and_saveexec_b64 s[38:39], s[40:41]
	s_cbranch_execz .LBB455_92
; %bb.91:
	global_load_ushort v7, v[2:3], off offset:2880
	s_waitcnt vmcnt(0)
	v_cvt_f32_f16_e32 v54, v7
.LBB455_92:
	s_or_b64 exec, exec, s[38:39]
	v_add_u32_e32 v7, 0x5c0, v4
	v_cmp_gt_i32_e64 s[38:39], s42, v7
	v_writelane_b32 v78, s38, 6
	s_and_b64 s[40:41], vcc, s[38:39]
	v_mov_b32_e32 v56, 0xff800000
	v_mov_b32_e32 v55, 0xff800000
	v_writelane_b32 v78, s39, 7
	s_and_saveexec_b64 s[38:39], s[40:41]
	s_cbranch_execz .LBB455_94
; %bb.93:
	global_load_ushort v7, v[2:3], off offset:2944
	s_waitcnt vmcnt(0)
	v_cvt_f32_f16_e32 v55, v7
.LBB455_94:
	s_or_b64 exec, exec, s[38:39]
	v_add_u32_e32 v7, 0x5e0, v4
	v_cmp_gt_i32_e64 s[38:39], s42, v7
	;; [unrolled: 28-line block ×10, first 2 shown]
	s_and_b64 s[40:41], vcc, s[42:43]
	s_and_saveexec_b64 s[38:39], s[40:41]
	s_cbranch_execz .LBB455_128
; %bb.127:
	global_load_ushort v2, v[2:3], off offset:4032
	s_waitcnt vmcnt(0)
	v_cvt_f32_f16_e32 v67, v2
.LBB455_128:
	s_or_b64 exec, exec, s[38:39]
	v_cmp_gt_f32_e32 vcc, v31, v6
	v_cndmask_b32_e32 v2, v6, v31, vcc
	v_cmp_gt_f32_e32 vcc, v2, v9
	v_cndmask_b32_e32 v2, v9, v2, vcc
	;; [unrolled: 2-line block ×63, first 2 shown]
	v_mbcnt_lo_u32_b32 v2, -1, 0
	v_mbcnt_hi_u32_b32 v10, -1, v2
	v_and_b32_e32 v2, 0x60, v10
	v_add_u32_e32 v50, 32, v2
	v_xor_b32_e32 v2, 16, v10
	v_cmp_lt_i32_e32 vcc, v2, v50
	v_cndmask_b32_e32 v2, v10, v2, vcc
	v_lshlrev_b32_e32 v2, 2, v2
	ds_bpermute_b32 v4, v2, v3
	s_mov_b32 s39, 0x3fb8aa3b
	s_mov_b32 s38, 0xc2ce8ed0
	;; [unrolled: 1-line block ×3, first 2 shown]
	s_waitcnt lgkmcnt(0)
	v_cmp_lt_f32_e32 vcc, v3, v4
	v_cndmask_b32_e32 v3, v3, v4, vcc
	v_xor_b32_e32 v4, 8, v10
	v_cmp_lt_i32_e32 vcc, v4, v50
	v_cndmask_b32_e32 v4, v10, v4, vcc
	v_lshlrev_b32_e32 v4, 2, v4
	ds_bpermute_b32 v7, v4, v3
	s_waitcnt lgkmcnt(0)
	v_cmp_lt_f32_e32 vcc, v3, v7
	v_cndmask_b32_e32 v3, v3, v7, vcc
	v_xor_b32_e32 v7, 4, v10
	v_cmp_lt_i32_e32 vcc, v7, v50
	v_cndmask_b32_e32 v7, v10, v7, vcc
	v_lshlrev_b32_e32 v7, 2, v7
	ds_bpermute_b32 v8, v7, v3
	;; [unrolled: 8-line block ×4, first 2 shown]
	s_waitcnt lgkmcnt(0)
	v_cmp_lt_f32_e32 vcc, v3, v50
	v_cndmask_b32_e32 v72, v3, v50, vcc
	v_sub_f32_e32 v3, v31, v72
	v_mul_f32_e32 v31, 0x3fb8aa3b, v3
	v_fma_f32 v50, v3, s39, -v31
	v_rndne_f32_e32 v75, v31
	v_fmac_f32_e32 v50, 0x32a5705f, v3
	v_sub_f32_e32 v31, v31, v75
	v_add_f32_e32 v31, v31, v50
	v_exp_f32_e32 v31, v31
	v_cvt_i32_f32_e32 v50, v75
	v_cmp_ngt_f32_e32 vcc, s38, v3
	v_sub_f32_e32 v6, v6, v72
	v_sub_f32_e32 v9, v9, v72
	v_ldexp_f32 v31, v31, v50
	v_cndmask_b32_e32 v31, 0, v31, vcc
	v_cmp_nlt_f32_e32 vcc, s33, v3
	v_mov_b32_e32 v50, 0x7f800000
	v_cndmask_b32_e32 v3, v50, v31, vcc
	v_mul_f32_e32 v31, 0x3fb8aa3b, v6
	v_fma_f32 v75, v6, s39, -v31
	v_rndne_f32_e32 v76, v31
	v_fmac_f32_e32 v75, 0x32a5705f, v6
	v_sub_f32_e32 v31, v31, v76
	v_add_f32_e32 v31, v31, v75
	v_exp_f32_e32 v31, v31
	v_cvt_i32_f32_e32 v75, v76
	v_cmp_ngt_f32_e32 vcc, s38, v6
	v_sub_f32_e32 v11, v11, v72
	v_sub_f32_e32 v12, v12, v72
	v_ldexp_f32 v31, v31, v75
	v_mul_f32_e32 v75, 0x3fb8aa3b, v9
	v_fma_f32 v76, v9, s39, -v75
	v_rndne_f32_e32 v77, v75
	v_fmac_f32_e32 v76, 0x32a5705f, v9
	v_sub_f32_e32 v75, v75, v77
	v_add_f32_e32 v75, v75, v76
	v_exp_f32_e32 v75, v75
	v_cvt_i32_f32_e32 v76, v77
	v_cndmask_b32_e32 v31, 0, v31, vcc
	v_cmp_nlt_f32_e32 vcc, s33, v6
	v_cndmask_b32_e32 v6, v50, v31, vcc
	v_ldexp_f32 v75, v75, v76
	v_cmp_ngt_f32_e32 vcc, s38, v9
	v_cndmask_b32_e32 v75, 0, v75, vcc
	v_cmp_nlt_f32_e32 vcc, s33, v9
	v_cndmask_b32_e32 v9, v50, v75, vcc
	v_mul_f32_e32 v75, 0x3fb8aa3b, v11
	v_fma_f32 v76, v11, s39, -v75
	v_rndne_f32_e32 v77, v75
	v_fmac_f32_e32 v76, 0x32a5705f, v11
	v_sub_f32_e32 v75, v75, v77
	v_add_f32_e32 v75, v75, v76
	v_exp_f32_e32 v75, v75
	v_cvt_i32_f32_e32 v76, v77
	v_cmp_ngt_f32_e32 vcc, s38, v11
	v_sub_f32_e32 v13, v13, v72
	v_sub_f32_e32 v14, v14, v72
	v_ldexp_f32 v75, v75, v76
	v_cndmask_b32_e32 v75, 0, v75, vcc
	v_cmp_nlt_f32_e32 vcc, s33, v11
	v_cndmask_b32_e32 v11, v50, v75, vcc
	v_mul_f32_e32 v75, 0x3fb8aa3b, v12
	v_fma_f32 v76, v12, s39, -v75
	v_rndne_f32_e32 v77, v75
	v_fmac_f32_e32 v76, 0x32a5705f, v12
	v_sub_f32_e32 v75, v75, v77
	v_add_f32_e32 v75, v75, v76
	v_exp_f32_e32 v75, v75
	v_cvt_i32_f32_e32 v76, v77
	v_cmp_ngt_f32_e32 vcc, s38, v12
	v_sub_f32_e32 v15, v15, v72
	v_sub_f32_e32 v16, v16, v72
	v_ldexp_f32 v75, v75, v76
	;; [unrolled: 15-line block ×6, first 2 shown]
	v_cndmask_b32_e32 v75, 0, v75, vcc
	v_cmp_nlt_f32_e32 vcc, s33, v16
	v_cndmask_b32_e32 v16, v50, v75, vcc
	v_mul_f32_e32 v75, 0x3fb8aa3b, v17
	v_fma_f32 v76, v17, s39, -v75
	v_rndne_f32_e32 v77, v75
	v_fmac_f32_e32 v76, 0x32a5705f, v17
	v_sub_f32_e32 v75, v75, v77
	v_add_f32_e32 v75, v75, v76
	v_exp_f32_e32 v75, v75
	v_cvt_i32_f32_e32 v76, v77
	v_cmp_ngt_f32_e32 vcc, s38, v17
	v_sub_f32_e32 v25, v25, v72
	v_add_f32_e32 v31, v3, v6
	v_ldexp_f32 v75, v75, v76
	v_cndmask_b32_e32 v75, 0, v75, vcc
	v_cmp_nlt_f32_e32 vcc, s33, v17
	v_cndmask_b32_e32 v17, v50, v75, vcc
	v_mul_f32_e32 v75, 0x3fb8aa3b, v18
	v_fma_f32 v76, v18, s39, -v75
	v_rndne_f32_e32 v77, v75
	v_fmac_f32_e32 v76, 0x32a5705f, v18
	v_sub_f32_e32 v75, v75, v77
	v_add_f32_e32 v75, v75, v76
	v_exp_f32_e32 v75, v75
	v_cvt_i32_f32_e32 v76, v77
	v_cmp_ngt_f32_e32 vcc, s38, v18
	v_add_f32_e32 v31, v31, v9
	v_add_f32_e32 v31, v31, v11
	v_ldexp_f32 v75, v75, v76
	v_cndmask_b32_e32 v75, 0, v75, vcc
	v_cmp_nlt_f32_e32 vcc, s33, v18
	v_cndmask_b32_e32 v18, v50, v75, vcc
	v_mul_f32_e32 v75, 0x3fb8aa3b, v19
	v_fma_f32 v76, v19, s39, -v75
	v_rndne_f32_e32 v77, v75
	v_fmac_f32_e32 v76, 0x32a5705f, v19
	v_sub_f32_e32 v75, v75, v77
	v_add_f32_e32 v75, v75, v76
	v_exp_f32_e32 v75, v75
	v_cvt_i32_f32_e32 v76, v77
	v_cmp_ngt_f32_e32 vcc, s38, v19
	v_add_f32_e32 v31, v31, v12
	;; [unrolled: 15-line block ×3, first 2 shown]
	v_sub_f32_e32 v26, v26, v72
	v_ldexp_f32 v75, v75, v76
	v_cndmask_b32_e32 v75, 0, v75, vcc
	v_cmp_nlt_f32_e32 vcc, s33, v20
	v_cndmask_b32_e32 v20, v50, v75, vcc
	v_mul_f32_e32 v75, 0x3fb8aa3b, v21
	v_fma_f32 v76, v21, s39, -v75
	v_rndne_f32_e32 v77, v75
	v_fmac_f32_e32 v76, 0x32a5705f, v21
	v_sub_f32_e32 v75, v75, v77
	v_add_f32_e32 v75, v75, v76
	v_exp_f32_e32 v75, v75
	v_cvt_i32_f32_e32 v76, v77
	v_cmp_ngt_f32_e32 vcc, s38, v21
	v_add_f32_e32 v31, v31, v15
	v_add_f32_e32 v31, v31, v16
	v_ldexp_f32 v75, v75, v76
	v_cndmask_b32_e32 v75, 0, v75, vcc
	v_cmp_nlt_f32_e32 vcc, s33, v21
	v_cndmask_b32_e32 v21, v50, v75, vcc
	v_mul_f32_e32 v75, 0x3fb8aa3b, v22
	v_fma_f32 v76, v22, s39, -v75
	v_rndne_f32_e32 v77, v75
	v_fmac_f32_e32 v76, 0x32a5705f, v22
	v_sub_f32_e32 v75, v75, v77
	v_add_f32_e32 v75, v75, v76
	v_exp_f32_e32 v75, v75
	v_cvt_i32_f32_e32 v76, v77
	v_cmp_ngt_f32_e32 vcc, s38, v22
	v_add_f32_e32 v31, v31, v17
	v_add_f32_e32 v31, v31, v18
	v_ldexp_f32 v75, v75, v76
	v_cndmask_b32_e32 v75, 0, v75, vcc
	v_cmp_nlt_f32_e32 vcc, s33, v22
	v_cndmask_b32_e32 v22, v50, v75, vcc
	v_mul_f32_e32 v75, 0x3fb8aa3b, v23
	v_fma_f32 v76, v23, s39, -v75
	v_rndne_f32_e32 v77, v75
	v_fmac_f32_e32 v76, 0x32a5705f, v23
	v_sub_f32_e32 v75, v75, v77
	v_add_f32_e32 v75, v75, v76
	v_exp_f32_e32 v75, v75
	v_cvt_i32_f32_e32 v76, v77
	v_cmp_ngt_f32_e32 vcc, s38, v23
	v_add_f32_e32 v31, v31, v19
	v_add_f32_e32 v31, v31, v20
	v_ldexp_f32 v75, v75, v76
	v_cndmask_b32_e32 v75, 0, v75, vcc
	v_cmp_nlt_f32_e32 vcc, s33, v23
	v_cndmask_b32_e32 v23, v50, v75, vcc
	v_mul_f32_e32 v75, 0x3fb8aa3b, v24
	v_fma_f32 v76, v24, s39, -v75
	v_rndne_f32_e32 v77, v75
	v_fmac_f32_e32 v76, 0x32a5705f, v24
	v_sub_f32_e32 v75, v75, v77
	v_add_f32_e32 v75, v75, v76
	v_exp_f32_e32 v75, v75
	v_cvt_i32_f32_e32 v76, v77
	v_cmp_ngt_f32_e32 vcc, s38, v24
	v_add_f32_e32 v31, v31, v21
	v_add_f32_e32 v31, v31, v22
	v_ldexp_f32 v75, v75, v76
	v_cndmask_b32_e32 v75, 0, v75, vcc
	v_cmp_nlt_f32_e32 vcc, s33, v24
	v_cndmask_b32_e32 v24, v50, v75, vcc
	v_mul_f32_e32 v75, 0x3fb8aa3b, v25
	v_fma_f32 v76, v25, s39, -v75
	v_rndne_f32_e32 v77, v75
	v_fmac_f32_e32 v76, 0x32a5705f, v25
	v_sub_f32_e32 v75, v75, v77
	v_add_f32_e32 v75, v75, v76
	v_exp_f32_e32 v75, v75
	v_cvt_i32_f32_e32 v76, v77
	v_cmp_ngt_f32_e32 vcc, s38, v25
	v_add_f32_e32 v31, v31, v23
	v_add_f32_e32 v31, v31, v24
	v_ldexp_f32 v75, v75, v76
	v_cndmask_b32_e32 v75, 0, v75, vcc
	v_cmp_nlt_f32_e32 vcc, s33, v25
	v_cndmask_b32_e32 v25, v50, v75, vcc
	v_mul_f32_e32 v75, 0x3fb8aa3b, v26
	v_fma_f32 v76, v26, s39, -v75
	v_rndne_f32_e32 v77, v75
	v_fmac_f32_e32 v76, 0x32a5705f, v26
	v_sub_f32_e32 v75, v75, v77
	v_add_f32_e32 v75, v75, v76
	v_exp_f32_e32 v75, v75
	v_cvt_i32_f32_e32 v76, v77
	v_cmp_ngt_f32_e32 vcc, s38, v26
	v_add_f32_e32 v31, v31, v25
	v_sub_f32_e32 v27, v27, v72
	v_ldexp_f32 v75, v75, v76
	v_cndmask_b32_e32 v75, 0, v75, vcc
	v_cmp_nlt_f32_e32 vcc, s33, v26
	v_cndmask_b32_e32 v26, v50, v75, vcc
	v_add_f32_e32 v75, v31, v26
	v_mul_f32_e32 v31, 0x3fb8aa3b, v27
	v_fma_f32 v76, v27, s39, -v31
	v_rndne_f32_e32 v77, v31
	v_fmac_f32_e32 v76, 0x32a5705f, v27
	v_sub_f32_e32 v31, v31, v77
	v_add_f32_e32 v31, v31, v76
	v_exp_f32_e32 v31, v31
	v_cvt_i32_f32_e32 v76, v77
	v_cmp_ngt_f32_e32 vcc, s38, v27
	v_sub_f32_e32 v28, v28, v72
	v_sub_f32_e32 v29, v29, v72
	v_ldexp_f32 v31, v31, v76
	v_cndmask_b32_e32 v31, 0, v31, vcc
	v_cmp_nlt_f32_e32 vcc, s33, v27
	v_sub_f32_e32 v27, v74, v72
	v_mul_f32_e32 v74, 0x3fb8aa3b, v27
	v_fma_f32 v76, v27, s39, -v74
	v_rndne_f32_e32 v77, v74
	v_fmac_f32_e32 v76, 0x32a5705f, v27
	v_sub_f32_e32 v74, v74, v77
	v_add_f32_e32 v74, v74, v76
	v_exp_f32_e32 v74, v74
	v_cvt_i32_f32_e32 v76, v77
	v_cndmask_b32_e32 v31, v50, v31, vcc
	v_cmp_ngt_f32_e32 vcc, s38, v27
	v_add_f32_e32 v75, v75, v31
	v_ldexp_f32 v74, v74, v76
	v_cndmask_b32_e32 v74, 0, v74, vcc
	v_cmp_nlt_f32_e32 vcc, s33, v27
	v_cndmask_b32_e32 v27, v50, v74, vcc
	v_add_f32_e32 v74, v75, v27
	v_mul_f32_e32 v75, 0x3fb8aa3b, v28
	v_fma_f32 v76, v28, s39, -v75
	v_rndne_f32_e32 v77, v75
	v_fmac_f32_e32 v76, 0x32a5705f, v28
	v_sub_f32_e32 v75, v75, v77
	v_add_f32_e32 v75, v75, v76
	v_exp_f32_e32 v75, v75
	v_cvt_i32_f32_e32 v76, v77
	v_cmp_ngt_f32_e32 vcc, s38, v28
	v_sub_f32_e32 v30, v30, v72
	v_sub_f32_e32 v32, v32, v72
	v_ldexp_f32 v75, v75, v76
	v_cndmask_b32_e32 v75, 0, v75, vcc
	v_cmp_nlt_f32_e32 vcc, s33, v28
	v_cndmask_b32_e32 v28, v50, v75, vcc
	v_mul_f32_e32 v75, 0x3fb8aa3b, v29
	v_fma_f32 v76, v29, s39, -v75
	v_rndne_f32_e32 v77, v75
	v_fmac_f32_e32 v76, 0x32a5705f, v29
	v_sub_f32_e32 v75, v75, v77
	v_add_f32_e32 v75, v75, v76
	v_exp_f32_e32 v75, v75
	v_cvt_i32_f32_e32 v76, v77
	v_cmp_ngt_f32_e32 vcc, s38, v29
	v_sub_f32_e32 v33, v33, v72
	v_sub_f32_e32 v34, v34, v72
	v_ldexp_f32 v75, v75, v76
	v_cndmask_b32_e32 v75, 0, v75, vcc
	v_cmp_nlt_f32_e32 vcc, s33, v29
	v_cndmask_b32_e32 v29, v50, v75, vcc
	;; [unrolled: 15-line block ×18, first 2 shown]
	v_mul_f32_e32 v75, 0x3fb8aa3b, v47
	v_fma_f32 v76, v47, s39, -v75
	v_rndne_f32_e32 v77, v75
	v_fmac_f32_e32 v76, 0x32a5705f, v47
	v_sub_f32_e32 v75, v75, v77
	v_add_f32_e32 v75, v75, v76
	v_exp_f32_e32 v75, v75
	v_cvt_i32_f32_e32 v76, v77
	v_cmp_ngt_f32_e32 vcc, s38, v47
	v_sub_f32_e32 v69, v69, v72
	v_add_f32_e32 v74, v74, v28
	v_ldexp_f32 v75, v75, v76
	v_cndmask_b32_e32 v75, 0, v75, vcc
	v_cmp_nlt_f32_e32 vcc, s33, v47
	v_cndmask_b32_e32 v47, v50, v75, vcc
	v_mul_f32_e32 v75, 0x3fb8aa3b, v48
	v_fma_f32 v76, v48, s39, -v75
	v_rndne_f32_e32 v77, v75
	v_fmac_f32_e32 v76, 0x32a5705f, v48
	v_sub_f32_e32 v75, v75, v77
	v_add_f32_e32 v75, v75, v76
	v_exp_f32_e32 v75, v75
	v_cvt_i32_f32_e32 v76, v77
	v_cmp_ngt_f32_e32 vcc, s38, v48
	v_add_f32_e32 v74, v74, v29
	v_sub_f32_e32 v70, v70, v72
	v_ldexp_f32 v75, v75, v76
	v_cndmask_b32_e32 v75, 0, v75, vcc
	v_cmp_nlt_f32_e32 vcc, s33, v48
	v_cndmask_b32_e32 v48, v50, v75, vcc
	v_mul_f32_e32 v75, 0x3fb8aa3b, v49
	v_fma_f32 v76, v49, s39, -v75
	v_rndne_f32_e32 v77, v75
	v_fmac_f32_e32 v76, 0x32a5705f, v49
	v_sub_f32_e32 v75, v75, v77
	v_add_f32_e32 v75, v75, v76
	v_exp_f32_e32 v75, v75
	v_cvt_i32_f32_e32 v76, v77
	v_cmp_ngt_f32_e32 vcc, s38, v49
	v_add_f32_e32 v74, v74, v30
	v_add_f32_e32 v74, v74, v32
	v_ldexp_f32 v75, v75, v76
	v_cndmask_b32_e32 v75, 0, v75, vcc
	v_cmp_nlt_f32_e32 vcc, s33, v49
	v_cndmask_b32_e32 v49, v50, v75, vcc
	v_mul_f32_e32 v75, 0x3fb8aa3b, v51
	v_fma_f32 v76, v51, s39, -v75
	v_rndne_f32_e32 v77, v75
	v_fmac_f32_e32 v76, 0x32a5705f, v51
	v_sub_f32_e32 v75, v75, v77
	v_add_f32_e32 v75, v75, v76
	v_exp_f32_e32 v75, v75
	v_cvt_i32_f32_e32 v76, v77
	v_cmp_ngt_f32_e32 vcc, s38, v51
	v_add_f32_e32 v74, v74, v33
	v_add_f32_e32 v74, v74, v34
	;; [unrolled: 15-line block ×5, first 2 shown]
	v_ldexp_f32 v75, v75, v76
	v_cndmask_b32_e32 v75, 0, v75, vcc
	v_cmp_nlt_f32_e32 vcc, s33, v54
	v_cndmask_b32_e32 v54, v50, v75, vcc
	v_mul_f32_e32 v75, 0x3fb8aa3b, v55
	v_fma_f32 v76, v55, s39, -v75
	v_rndne_f32_e32 v77, v75
	v_fmac_f32_e32 v76, 0x32a5705f, v55
	v_sub_f32_e32 v75, v75, v77
	v_add_f32_e32 v75, v75, v76
	v_exp_f32_e32 v75, v75
	v_cvt_i32_f32_e32 v76, v77
	v_cmp_ngt_f32_e32 vcc, s38, v55
	v_sub_f32_e32 v71, v71, v72
	v_add_f32_e32 v74, v74, v41
	v_ldexp_f32 v75, v75, v76
	v_cndmask_b32_e32 v75, 0, v75, vcc
	v_cmp_nlt_f32_e32 vcc, s33, v55
	v_cndmask_b32_e32 v55, v50, v75, vcc
	v_mul_f32_e32 v75, 0x3fb8aa3b, v56
	v_fma_f32 v76, v56, s39, -v75
	v_rndne_f32_e32 v77, v75
	v_fmac_f32_e32 v76, 0x32a5705f, v56
	v_sub_f32_e32 v75, v75, v77
	v_add_f32_e32 v75, v75, v76
	v_exp_f32_e32 v75, v75
	v_cvt_i32_f32_e32 v76, v77
	v_cmp_ngt_f32_e32 vcc, s38, v56
	v_add_f32_e32 v74, v74, v42
	v_add_f32_e32 v74, v74, v43
	v_ldexp_f32 v75, v75, v76
	v_cndmask_b32_e32 v75, 0, v75, vcc
	v_cmp_nlt_f32_e32 vcc, s33, v56
	v_cndmask_b32_e32 v56, v50, v75, vcc
	v_mul_f32_e32 v75, 0x3fb8aa3b, v57
	v_fma_f32 v76, v57, s39, -v75
	v_rndne_f32_e32 v77, v75
	v_fmac_f32_e32 v76, 0x32a5705f, v57
	v_sub_f32_e32 v75, v75, v77
	v_add_f32_e32 v75, v75, v76
	v_exp_f32_e32 v75, v75
	v_cvt_i32_f32_e32 v76, v77
	v_cmp_ngt_f32_e32 vcc, s38, v57
	v_add_f32_e32 v74, v74, v44
	;; [unrolled: 15-line block ×5, first 2 shown]
	v_sub_f32_e32 v73, v73, v72
	v_ldexp_f32 v75, v75, v76
	v_cndmask_b32_e32 v75, 0, v75, vcc
	v_cmp_nlt_f32_e32 vcc, s33, v60
	v_cndmask_b32_e32 v60, v50, v75, vcc
	v_mul_f32_e32 v75, 0x3fb8aa3b, v61
	v_fma_f32 v76, v61, s39, -v75
	v_rndne_f32_e32 v77, v75
	v_fmac_f32_e32 v76, 0x32a5705f, v61
	v_sub_f32_e32 v75, v75, v77
	v_add_f32_e32 v75, v75, v76
	v_exp_f32_e32 v75, v75
	v_cvt_i32_f32_e32 v76, v77
	v_cmp_ngt_f32_e32 vcc, s38, v61
	v_add_f32_e32 v74, v74, v52
	v_add_f32_e32 v74, v74, v53
	v_ldexp_f32 v75, v75, v76
	v_cndmask_b32_e32 v75, 0, v75, vcc
	v_cmp_nlt_f32_e32 vcc, s33, v61
	v_cndmask_b32_e32 v61, v50, v75, vcc
	v_mul_f32_e32 v75, 0x3fb8aa3b, v62
	v_fma_f32 v76, v62, s39, -v75
	v_rndne_f32_e32 v77, v75
	v_fmac_f32_e32 v76, 0x32a5705f, v62
	v_sub_f32_e32 v75, v75, v77
	v_add_f32_e32 v75, v75, v76
	v_exp_f32_e32 v75, v75
	v_cvt_i32_f32_e32 v76, v77
	v_cmp_ngt_f32_e32 vcc, s38, v62
	v_add_f32_e32 v74, v74, v54
	v_add_f32_e32 v74, v74, v55
	;; [unrolled: 15-line block ×4, first 2 shown]
	v_ldexp_f32 v75, v75, v76
	v_cndmask_b32_e32 v75, 0, v75, vcc
	v_cmp_nlt_f32_e32 vcc, s33, v64
	v_cndmask_b32_e32 v64, v50, v75, vcc
	v_mul_f32_e32 v75, 0x3fb8aa3b, v65
	v_fma_f32 v76, v65, s39, -v75
	v_rndne_f32_e32 v77, v75
	v_fmac_f32_e32 v76, 0x32a5705f, v65
	v_sub_f32_e32 v75, v75, v77
	v_add_f32_e32 v75, v75, v76
	v_exp_f32_e32 v75, v75
	v_cvt_i32_f32_e32 v76, v77
	v_cmp_ngt_f32_e32 vcc, s38, v65
	v_add_f32_e32 v74, v74, v60
	v_sub_f32_e32 v67, v67, v72
	v_ldexp_f32 v75, v75, v76
	v_cndmask_b32_e32 v75, 0, v75, vcc
	v_cmp_nlt_f32_e32 vcc, s33, v65
	v_cndmask_b32_e32 v65, v50, v75, vcc
	v_mul_f32_e32 v75, 0x3fb8aa3b, v66
	v_fma_f32 v76, v66, s39, -v75
	v_rndne_f32_e32 v77, v75
	v_fmac_f32_e32 v76, 0x32a5705f, v66
	v_sub_f32_e32 v75, v75, v77
	v_add_f32_e32 v75, v75, v76
	v_exp_f32_e32 v75, v75
	v_cvt_i32_f32_e32 v76, v77
	v_cmp_ngt_f32_e32 vcc, s38, v66
	v_add_f32_e32 v74, v74, v61
	v_mul_f32_e32 v72, 0x3fb8aa3b, v67
	v_ldexp_f32 v75, v75, v76
	v_cndmask_b32_e32 v75, 0, v75, vcc
	v_cmp_nlt_f32_e32 vcc, s33, v66
	v_cndmask_b32_e32 v66, v50, v75, vcc
	v_mul_f32_e32 v75, 0x3fb8aa3b, v68
	v_fma_f32 v76, v68, s39, -v75
	v_rndne_f32_e32 v77, v75
	v_fmac_f32_e32 v76, 0x32a5705f, v68
	v_sub_f32_e32 v75, v75, v77
	v_add_f32_e32 v75, v75, v76
	v_exp_f32_e32 v75, v75
	v_cvt_i32_f32_e32 v76, v77
	v_cmp_ngt_f32_e32 vcc, s38, v68
	v_add_f32_e32 v74, v74, v62
	v_add_f32_e32 v74, v74, v63
	v_ldexp_f32 v75, v75, v76
	v_cndmask_b32_e32 v75, 0, v75, vcc
	v_cmp_nlt_f32_e32 vcc, s33, v68
	v_cndmask_b32_e32 v68, v50, v75, vcc
	v_mul_f32_e32 v75, 0x3fb8aa3b, v69
	v_fma_f32 v76, v69, s39, -v75
	v_rndne_f32_e32 v77, v75
	v_fmac_f32_e32 v76, 0x32a5705f, v69
	v_sub_f32_e32 v75, v75, v77
	v_add_f32_e32 v75, v75, v76
	v_exp_f32_e32 v75, v75
	v_cvt_i32_f32_e32 v76, v77
	v_cmp_ngt_f32_e32 vcc, s38, v69
	v_add_f32_e32 v74, v74, v64
	v_add_f32_e32 v74, v74, v65
	;; [unrolled: 15-line block ×4, first 2 shown]
	v_ldexp_f32 v75, v75, v76
	v_cndmask_b32_e32 v75, 0, v75, vcc
	v_cmp_nlt_f32_e32 vcc, s33, v71
	v_cndmask_b32_e32 v71, v50, v75, vcc
	v_mul_f32_e32 v75, 0x3fb8aa3b, v73
	v_fma_f32 v76, v73, s39, -v75
	v_rndne_f32_e32 v77, v75
	v_fmac_f32_e32 v76, 0x32a5705f, v73
	v_sub_f32_e32 v75, v75, v77
	v_add_f32_e32 v75, v75, v76
	v_exp_f32_e32 v75, v75
	v_cvt_i32_f32_e32 v76, v77
	v_cmp_ngt_f32_e32 vcc, s38, v73
	v_add_f32_e32 v74, v74, v71
	v_ldexp_f32 v75, v75, v76
	v_cndmask_b32_e32 v75, 0, v75, vcc
	v_cmp_nlt_f32_e32 vcc, s33, v73
	v_cndmask_b32_e32 v73, v50, v75, vcc
	v_fma_f32 v75, v67, s39, -v72
	v_rndne_f32_e32 v76, v72
	v_fmac_f32_e32 v75, 0x32a5705f, v67
	v_sub_f32_e32 v72, v72, v76
	v_add_f32_e32 v72, v72, v75
	v_exp_f32_e32 v72, v72
	v_cvt_i32_f32_e32 v75, v76
	v_cmp_ngt_f32_e32 vcc, s38, v67
	v_add_f32_e32 v74, v74, v73
	v_ldexp_f32 v72, v72, v75
	v_cndmask_b32_e32 v72, 0, v72, vcc
	v_cmp_nlt_f32_e32 vcc, s33, v67
	v_cndmask_b32_e32 v50, v50, v72, vcc
	v_add_f32_e32 v67, v74, v50
	ds_bpermute_b32 v2, v2, v67
	v_cmp_lt_i32_e32 vcc, 0, v5
	s_waitcnt lgkmcnt(0)
	v_add_f32_e32 v2, v67, v2
	ds_bpermute_b32 v4, v4, v2
	s_waitcnt lgkmcnt(0)
	v_add_f32_e32 v2, v2, v4
	ds_bpermute_b32 v4, v7, v2
	;; [unrolled: 3-line block ×4, first 2 shown]
	s_and_saveexec_b64 s[38:39], vcc
	s_cbranch_execz .LBB455_194
; %bb.129:
	s_and_b64 exec, exec, s[34:35]
	s_cbranch_execz .LBB455_194
; %bb.130:
	s_waitcnt lgkmcnt(0)
	v_add_f32_e32 v2, v2, v4
	v_div_scale_f32 v5, s[34:35], v2, v2, v3
	v_rcp_f32_e32 v7, v5
	v_lshlrev_b64 v[0:1], 2, v[0:1]
	v_mov_b32_e32 v4, s37
	v_add_co_u32_e32 v0, vcc, s36, v0
	v_addc_co_u32_e32 v1, vcc, v4, v1, vcc
	v_fma_f32 v4, -v5, v7, 1.0
	v_fmac_f32_e32 v7, v4, v7
	v_div_scale_f32 v4, vcc, v3, v2, v3
	v_mul_f32_e32 v8, v4, v7
	v_fma_f32 v10, -v5, v8, v4
	v_fmac_f32_e32 v8, v10, v7
	v_fma_f32 v4, -v5, v8, v4
	v_div_fmas_f32 v4, v4, v7, v8
	v_div_fixup_f32 v4, v4, v2, v3
	v_mov_b32_e32 v3, 0x7fc00000
	v_cmp_eq_f32_e64 s[34:35], 0, v2
	v_cndmask_b32_e64 v4, v4, v3, s[34:35]
	global_store_dword v[0:1], v4, off
	s_and_b64 exec, exec, s[30:31]
	s_cbranch_execz .LBB455_194
; %bb.131:
	v_div_scale_f32 v4, s[30:31], v2, v2, v6
	v_rcp_f32_e32 v5, v4
	v_div_scale_f32 v7, vcc, v6, v2, v6
	v_fma_f32 v8, -v4, v5, 1.0
	v_fmac_f32_e32 v5, v8, v5
	v_mul_f32_e32 v8, v7, v5
	v_fma_f32 v10, -v4, v8, v7
	v_fmac_f32_e32 v8, v10, v5
	v_fma_f32 v4, -v4, v8, v7
	v_div_fmas_f32 v4, v4, v5, v8
	v_div_fixup_f32 v4, v4, v2, v6
	v_cndmask_b32_e64 v3, v4, v3, s[34:35]
	global_store_dword v[0:1], v3, off offset:128
	s_and_b64 exec, exec, s[28:29]
	s_cbranch_execz .LBB455_194
; %bb.132:
	v_div_scale_f32 v3, s[28:29], v2, v2, v9
	v_rcp_f32_e32 v4, v3
	v_div_scale_f32 v5, vcc, v9, v2, v9
	v_fma_f32 v6, -v3, v4, 1.0
	v_fmac_f32_e32 v4, v6, v4
	v_mul_f32_e32 v6, v5, v4
	v_fma_f32 v7, -v3, v6, v5
	v_fmac_f32_e32 v6, v7, v4
	v_fma_f32 v3, -v3, v6, v5
	v_div_fmas_f32 v3, v3, v4, v6
	v_div_fixup_f32 v4, v3, v2, v9
	v_mov_b32_e32 v3, 0x7fc00000
	v_cndmask_b32_e64 v4, v4, v3, s[34:35]
	global_store_dword v[0:1], v4, off offset:256
	s_and_b64 exec, exec, s[26:27]
	s_cbranch_execz .LBB455_194
; %bb.133:
	v_div_scale_f32 v4, s[26:27], v2, v2, v11
	v_rcp_f32_e32 v5, v4
	v_div_scale_f32 v6, vcc, v11, v2, v11
	v_fma_f32 v7, -v4, v5, 1.0
	v_fmac_f32_e32 v5, v7, v5
	v_mul_f32_e32 v7, v6, v5
	v_fma_f32 v8, -v4, v7, v6
	v_fmac_f32_e32 v7, v8, v5
	v_fma_f32 v4, -v4, v7, v6
	v_div_fmas_f32 v4, v4, v5, v7
	v_div_fixup_f32 v4, v4, v2, v11
	v_cndmask_b32_e64 v3, v4, v3, s[34:35]
	global_store_dword v[0:1], v3, off offset:384
	s_and_b64 exec, exec, s[24:25]
	s_cbranch_execz .LBB455_194
; %bb.134:
	v_div_scale_f32 v3, s[24:25], v2, v2, v12
	v_rcp_f32_e32 v4, v3
	v_div_scale_f32 v5, vcc, v12, v2, v12
	v_fma_f32 v6, -v3, v4, 1.0
	v_fmac_f32_e32 v4, v6, v4
	v_mul_f32_e32 v6, v5, v4
	v_fma_f32 v7, -v3, v6, v5
	v_fmac_f32_e32 v6, v7, v4
	v_fma_f32 v3, -v3, v6, v5
	v_div_fmas_f32 v3, v3, v4, v6
	v_div_fixup_f32 v4, v3, v2, v12
	v_mov_b32_e32 v3, 0x7fc00000
	v_cndmask_b32_e64 v4, v4, v3, s[34:35]
	global_store_dword v[0:1], v4, off offset:512
	;; [unrolled: 33-line block ×15, first 2 shown]
	s_and_b64 exec, exec, s[66:67]
	s_cbranch_execz .LBB455_194
; %bb.161:
	v_div_scale_f32 v4, s[0:1], v2, v2, v39
	v_rcp_f32_e32 v5, v4
	v_div_scale_f32 v6, vcc, v39, v2, v39
	v_fma_f32 v7, -v4, v5, 1.0
	v_fmac_f32_e32 v5, v7, v5
	v_mul_f32_e32 v7, v6, v5
	v_fma_f32 v8, -v4, v7, v6
	v_fmac_f32_e32 v7, v8, v5
	v_fma_f32 v4, -v4, v7, v6
	v_div_fmas_f32 v4, v4, v5, v7
	v_div_fixup_f32 v4, v4, v2, v39
	v_cndmask_b32_e64 v3, v4, v3, s[34:35]
	global_store_dword v[0:1], v3, off offset:3968
	s_and_b64 exec, exec, s[64:65]
	s_cbranch_execz .LBB455_194
; %bb.162:
	v_div_scale_f32 v3, s[0:1], v2, v2, v40
	v_rcp_f32_e32 v4, v3
	v_div_scale_f32 v5, vcc, v40, v2, v40
	v_fma_f32 v6, -v3, v4, 1.0
	v_fmac_f32_e32 v4, v6, v4
	v_mul_f32_e32 v6, v5, v4
	v_fma_f32 v7, -v3, v6, v5
	v_fmac_f32_e32 v6, v7, v4
	v_fma_f32 v3, -v3, v6, v5
	v_div_fmas_f32 v3, v3, v4, v6
	v_div_fixup_f32 v4, v3, v2, v40
	v_mov_b32_e32 v3, 0x7fc00000
	v_cndmask_b32_e64 v6, v4, v3, s[34:35]
	v_add_co_u32_e32 v4, vcc, 0x1000, v0
	v_addc_co_u32_e32 v5, vcc, 0, v1, vcc
	global_store_dword v[4:5], v6, off
	s_and_b64 exec, exec, s[62:63]
	s_cbranch_execz .LBB455_194
; %bb.163:
	v_div_scale_f32 v4, s[0:1], v2, v2, v41
	v_rcp_f32_e32 v5, v4
	v_div_scale_f32 v6, vcc, v41, v2, v41
	v_fma_f32 v7, -v4, v5, 1.0
	v_fmac_f32_e32 v5, v7, v5
	v_mul_f32_e32 v7, v6, v5
	v_fma_f32 v8, -v4, v7, v6
	v_fmac_f32_e32 v7, v8, v5
	v_fma_f32 v4, -v4, v7, v6
	v_div_fmas_f32 v4, v4, v5, v7
	v_div_fixup_f32 v4, v4, v2, v41
	v_cndmask_b32_e64 v3, v4, v3, s[34:35]
	v_add_co_u32_e32 v4, vcc, 0x1000, v0
	v_addc_co_u32_e32 v5, vcc, 0, v1, vcc
	global_store_dword v[4:5], v3, off offset:128
	s_and_b64 exec, exec, s[60:61]
	s_cbranch_execz .LBB455_194
; %bb.164:
	v_div_scale_f32 v3, s[0:1], v2, v2, v42
	v_rcp_f32_e32 v4, v3
	v_div_scale_f32 v5, vcc, v42, v2, v42
	v_fma_f32 v6, -v3, v4, 1.0
	v_fmac_f32_e32 v4, v6, v4
	v_mul_f32_e32 v6, v5, v4
	v_fma_f32 v7, -v3, v6, v5
	v_fmac_f32_e32 v6, v7, v4
	v_fma_f32 v3, -v3, v6, v5
	v_div_fmas_f32 v3, v3, v4, v6
	v_div_fixup_f32 v4, v3, v2, v42
	v_mov_b32_e32 v3, 0x7fc00000
	v_cndmask_b32_e64 v6, v4, v3, s[34:35]
	v_add_co_u32_e32 v4, vcc, 0x1000, v0
	v_addc_co_u32_e32 v5, vcc, 0, v1, vcc
	global_store_dword v[4:5], v6, off offset:256
	s_and_b64 exec, exec, s[58:59]
	s_cbranch_execz .LBB455_194
; %bb.165:
	v_div_scale_f32 v4, s[0:1], v2, v2, v43
	v_rcp_f32_e32 v5, v4
	v_div_scale_f32 v6, vcc, v43, v2, v43
	v_fma_f32 v7, -v4, v5, 1.0
	v_fmac_f32_e32 v5, v7, v5
	v_mul_f32_e32 v7, v6, v5
	v_fma_f32 v8, -v4, v7, v6
	v_fmac_f32_e32 v7, v8, v5
	v_fma_f32 v4, -v4, v7, v6
	v_div_fmas_f32 v4, v4, v5, v7
	v_div_fixup_f32 v4, v4, v2, v43
	v_cndmask_b32_e64 v3, v4, v3, s[34:35]
	v_add_co_u32_e32 v4, vcc, 0x1000, v0
	v_addc_co_u32_e32 v5, vcc, 0, v1, vcc
	global_store_dword v[4:5], v3, off offset:384
	s_and_b64 exec, exec, s[56:57]
	s_cbranch_execz .LBB455_194
; %bb.166:
	v_div_scale_f32 v3, s[0:1], v2, v2, v44
	v_rcp_f32_e32 v4, v3
	v_div_scale_f32 v5, vcc, v44, v2, v44
	v_fma_f32 v6, -v3, v4, 1.0
	v_fmac_f32_e32 v4, v6, v4
	v_mul_f32_e32 v6, v5, v4
	v_fma_f32 v7, -v3, v6, v5
	v_fmac_f32_e32 v6, v7, v4
	v_fma_f32 v3, -v3, v6, v5
	v_div_fmas_f32 v3, v3, v4, v6
	v_div_fixup_f32 v4, v3, v2, v44
	v_mov_b32_e32 v3, 0x7fc00000
	v_cndmask_b32_e64 v6, v4, v3, s[34:35]
	v_add_co_u32_e32 v4, vcc, 0x1000, v0
	v_addc_co_u32_e32 v5, vcc, 0, v1, vcc
	global_store_dword v[4:5], v6, off offset:512
	;; [unrolled: 37-line block ×4, first 2 shown]
	s_and_b64 exec, exec, s[46:47]
	s_cbranch_execz .LBB455_194
; %bb.171:
	v_div_scale_f32 v4, s[0:1], v2, v2, v49
	v_rcp_f32_e32 v5, v4
	v_div_scale_f32 v6, vcc, v49, v2, v49
	v_fma_f32 v7, -v4, v5, 1.0
	v_fmac_f32_e32 v5, v7, v5
	v_mul_f32_e32 v7, v6, v5
	v_fma_f32 v8, -v4, v7, v6
	v_fmac_f32_e32 v7, v8, v5
	v_fma_f32 v4, -v4, v7, v6
	v_div_fmas_f32 v4, v4, v5, v7
	v_div_fixup_f32 v4, v4, v2, v49
	v_cndmask_b32_e64 v3, v4, v3, s[34:35]
	v_add_co_u32_e32 v4, vcc, 0x1000, v0
	v_addc_co_u32_e32 v5, vcc, 0, v1, vcc
	global_store_dword v[4:5], v3, off offset:1152
	s_and_b64 exec, exec, s[44:45]
	s_cbranch_execz .LBB455_194
; %bb.172:
	v_div_scale_f32 v3, s[0:1], v2, v2, v51
	v_rcp_f32_e32 v4, v3
	v_div_scale_f32 v5, vcc, v51, v2, v51
	v_readlane_b32 s0, v78, 0
	v_fma_f32 v6, -v3, v4, 1.0
	v_fmac_f32_e32 v4, v6, v4
	v_mul_f32_e32 v6, v5, v4
	v_fma_f32 v7, -v3, v6, v5
	v_fmac_f32_e32 v6, v7, v4
	v_fma_f32 v3, -v3, v6, v5
	v_div_fmas_f32 v3, v3, v4, v6
	v_div_fixup_f32 v4, v3, v2, v51
	v_mov_b32_e32 v3, 0x7fc00000
	v_cndmask_b32_e64 v6, v4, v3, s[34:35]
	v_add_co_u32_e32 v4, vcc, 0x1000, v0
	v_addc_co_u32_e32 v5, vcc, 0, v1, vcc
	v_readlane_b32 s1, v78, 1
	global_store_dword v[4:5], v6, off offset:1280
	s_and_b64 exec, exec, s[0:1]
	s_cbranch_execz .LBB455_194
; %bb.173:
	v_div_scale_f32 v4, s[0:1], v2, v2, v52
	v_rcp_f32_e32 v5, v4
	v_div_scale_f32 v6, vcc, v52, v2, v52
	v_readlane_b32 s0, v78, 2
	v_fma_f32 v7, -v4, v5, 1.0
	v_fmac_f32_e32 v5, v7, v5
	v_mul_f32_e32 v7, v6, v5
	v_fma_f32 v8, -v4, v7, v6
	v_fmac_f32_e32 v7, v8, v5
	v_fma_f32 v4, -v4, v7, v6
	v_div_fmas_f32 v4, v4, v5, v7
	v_div_fixup_f32 v4, v4, v2, v52
	v_cndmask_b32_e64 v3, v4, v3, s[34:35]
	v_add_co_u32_e32 v4, vcc, 0x1000, v0
	v_addc_co_u32_e32 v5, vcc, 0, v1, vcc
	v_readlane_b32 s1, v78, 3
	global_store_dword v[4:5], v3, off offset:1408
	s_and_b64 exec, exec, s[0:1]
	s_cbranch_execz .LBB455_194
; %bb.174:
	v_div_scale_f32 v3, s[0:1], v2, v2, v53
	v_rcp_f32_e32 v4, v3
	v_div_scale_f32 v5, vcc, v53, v2, v53
	v_readlane_b32 s0, v78, 4
	v_fma_f32 v6, -v3, v4, 1.0
	v_fmac_f32_e32 v4, v6, v4
	v_mul_f32_e32 v6, v5, v4
	v_fma_f32 v7, -v3, v6, v5
	v_fmac_f32_e32 v6, v7, v4
	v_fma_f32 v3, -v3, v6, v5
	v_div_fmas_f32 v3, v3, v4, v6
	v_div_fixup_f32 v4, v3, v2, v53
	v_mov_b32_e32 v3, 0x7fc00000
	v_cndmask_b32_e64 v6, v4, v3, s[34:35]
	v_add_co_u32_e32 v4, vcc, 0x1000, v0
	v_addc_co_u32_e32 v5, vcc, 0, v1, vcc
	v_readlane_b32 s1, v78, 5
	global_store_dword v[4:5], v6, off offset:1536
	s_and_b64 exec, exec, s[0:1]
	s_cbranch_execz .LBB455_194
; %bb.175:
	v_div_scale_f32 v4, s[0:1], v2, v2, v54
	v_rcp_f32_e32 v5, v4
	v_div_scale_f32 v6, vcc, v54, v2, v54
	v_readlane_b32 s0, v78, 6
	v_fma_f32 v7, -v4, v5, 1.0
	v_fmac_f32_e32 v5, v7, v5
	v_mul_f32_e32 v7, v6, v5
	v_fma_f32 v8, -v4, v7, v6
	v_fmac_f32_e32 v7, v8, v5
	v_fma_f32 v4, -v4, v7, v6
	v_div_fmas_f32 v4, v4, v5, v7
	v_div_fixup_f32 v4, v4, v2, v54
	v_cndmask_b32_e64 v3, v4, v3, s[34:35]
	v_add_co_u32_e32 v4, vcc, 0x1000, v0
	v_addc_co_u32_e32 v5, vcc, 0, v1, vcc
	v_readlane_b32 s1, v78, 7
	;; [unrolled: 41-line block ×10, first 2 shown]
	global_store_dword v[4:5], v3, off offset:3712
	s_and_b64 exec, exec, s[0:1]
	s_cbranch_execz .LBB455_194
; %bb.192:
	v_div_scale_f32 v3, s[0:1], v2, v2, v73
	v_rcp_f32_e32 v4, v3
	v_div_scale_f32 v5, vcc, v73, v2, v73
	v_fma_f32 v6, -v3, v4, 1.0
	v_fmac_f32_e32 v4, v6, v4
	v_mul_f32_e32 v6, v5, v4
	v_fma_f32 v7, -v3, v6, v5
	v_fmac_f32_e32 v6, v7, v4
	v_fma_f32 v3, -v3, v6, v5
	v_div_fmas_f32 v3, v3, v4, v6
	v_div_fixup_f32 v4, v3, v2, v73
	v_mov_b32_e32 v3, 0x7fc00000
	v_cndmask_b32_e64 v6, v4, v3, s[34:35]
	v_add_co_u32_e32 v4, vcc, 0x1000, v0
	v_addc_co_u32_e32 v5, vcc, 0, v1, vcc
	global_store_dword v[4:5], v6, off offset:3840
	s_and_b64 exec, exec, s[42:43]
	s_cbranch_execz .LBB455_194
; %bb.193:
	v_div_scale_f32 v4, s[0:1], v2, v2, v50
	v_rcp_f32_e32 v5, v4
	v_div_scale_f32 v6, vcc, v50, v2, v50
	v_fma_f32 v7, -v4, v5, 1.0
	v_fmac_f32_e32 v5, v7, v5
	v_mul_f32_e32 v7, v6, v5
	v_fma_f32 v8, -v4, v7, v6
	v_fmac_f32_e32 v7, v8, v5
	v_fma_f32 v4, -v4, v7, v6
	v_div_fmas_f32 v4, v4, v5, v7
	v_div_fixup_f32 v2, v4, v2, v50
	v_add_co_u32_e32 v0, vcc, 0x1000, v0
	v_cndmask_b32_e64 v2, v2, v3, s[34:35]
	v_addc_co_u32_e32 v1, vcc, 0, v1, vcc
	global_store_dword v[0:1], v2, off offset:3968
.LBB455_194:
	s_endpgm
	.section	.rodata,"a",@progbits
	.p2align	6, 0x0
	.amdhsa_kernel _ZN12_GLOBAL__N_120softmax_warp_forwardIN3c104HalfEffLi11ELb0ELb0ELi32EEEvPT0_PKT_iiiPKbib
		.amdhsa_group_segment_fixed_size 0
		.amdhsa_private_segment_fixed_size 0
		.amdhsa_kernarg_size 304
		.amdhsa_user_sgpr_count 6
		.amdhsa_user_sgpr_private_segment_buffer 1
		.amdhsa_user_sgpr_dispatch_ptr 0
		.amdhsa_user_sgpr_queue_ptr 0
		.amdhsa_user_sgpr_kernarg_segment_ptr 1
		.amdhsa_user_sgpr_dispatch_id 0
		.amdhsa_user_sgpr_flat_scratch_init 0
		.amdhsa_user_sgpr_kernarg_preload_length 0
		.amdhsa_user_sgpr_kernarg_preload_offset 0
		.amdhsa_user_sgpr_private_segment_size 0
		.amdhsa_uses_dynamic_stack 0
		.amdhsa_system_sgpr_private_segment_wavefront_offset 0
		.amdhsa_system_sgpr_workgroup_id_x 1
		.amdhsa_system_sgpr_workgroup_id_y 0
		.amdhsa_system_sgpr_workgroup_id_z 0
		.amdhsa_system_sgpr_workgroup_info 0
		.amdhsa_system_vgpr_workitem_id 1
		.amdhsa_next_free_vgpr 79
		.amdhsa_next_free_sgpr 96
		.amdhsa_accum_offset 80
		.amdhsa_reserve_vcc 1
		.amdhsa_reserve_flat_scratch 0
		.amdhsa_float_round_mode_32 0
		.amdhsa_float_round_mode_16_64 0
		.amdhsa_float_denorm_mode_32 3
		.amdhsa_float_denorm_mode_16_64 3
		.amdhsa_dx10_clamp 1
		.amdhsa_ieee_mode 1
		.amdhsa_fp16_overflow 0
		.amdhsa_tg_split 0
		.amdhsa_exception_fp_ieee_invalid_op 0
		.amdhsa_exception_fp_denorm_src 0
		.amdhsa_exception_fp_ieee_div_zero 0
		.amdhsa_exception_fp_ieee_overflow 0
		.amdhsa_exception_fp_ieee_underflow 0
		.amdhsa_exception_fp_ieee_inexact 0
		.amdhsa_exception_int_div_zero 0
	.end_amdhsa_kernel
	.section	.text._ZN12_GLOBAL__N_120softmax_warp_forwardIN3c104HalfEffLi11ELb0ELb0ELi32EEEvPT0_PKT_iiiPKbib,"axG",@progbits,_ZN12_GLOBAL__N_120softmax_warp_forwardIN3c104HalfEffLi11ELb0ELb0ELi32EEEvPT0_PKT_iiiPKbib,comdat
.Lfunc_end455:
	.size	_ZN12_GLOBAL__N_120softmax_warp_forwardIN3c104HalfEffLi11ELb0ELb0ELi32EEEvPT0_PKT_iiiPKbib, .Lfunc_end455-_ZN12_GLOBAL__N_120softmax_warp_forwardIN3c104HalfEffLi11ELb0ELb0ELi32EEEvPT0_PKT_iiiPKbib
                                        ; -- End function
	.section	.AMDGPU.csdata,"",@progbits
; Kernel info:
; codeLenInByte = 16808
; NumSgprs: 100
; NumVgprs: 79
; NumAgprs: 0
; TotalNumVgprs: 79
; ScratchSize: 0
; MemoryBound: 0
; FloatMode: 240
; IeeeMode: 1
; LDSByteSize: 0 bytes/workgroup (compile time only)
; SGPRBlocks: 12
; VGPRBlocks: 9
; NumSGPRsForWavesPerEU: 100
; NumVGPRsForWavesPerEU: 79
; AccumOffset: 80
; Occupancy: 6
; WaveLimiterHint : 0
; COMPUTE_PGM_RSRC2:SCRATCH_EN: 0
; COMPUTE_PGM_RSRC2:USER_SGPR: 6
; COMPUTE_PGM_RSRC2:TRAP_HANDLER: 0
; COMPUTE_PGM_RSRC2:TGID_X_EN: 1
; COMPUTE_PGM_RSRC2:TGID_Y_EN: 0
; COMPUTE_PGM_RSRC2:TGID_Z_EN: 0
; COMPUTE_PGM_RSRC2:TIDIG_COMP_CNT: 1
; COMPUTE_PGM_RSRC3_GFX90A:ACCUM_OFFSET: 19
; COMPUTE_PGM_RSRC3_GFX90A:TG_SPLIT: 0
	.section	.text._ZN2at6native12_GLOBAL__N_123cunn_SoftMaxForwardGmemILi8EN3c104HalfEffNS1_29SoftMaxForwardWithMulEpilogueElEEvPT2_PKT0_T4_,"axG",@progbits,_ZN2at6native12_GLOBAL__N_123cunn_SoftMaxForwardGmemILi8EN3c104HalfEffNS1_29SoftMaxForwardWithMulEpilogueElEEvPT2_PKT0_T4_,comdat
	.globl	_ZN2at6native12_GLOBAL__N_123cunn_SoftMaxForwardGmemILi8EN3c104HalfEffNS1_29SoftMaxForwardWithMulEpilogueElEEvPT2_PKT0_T4_ ; -- Begin function _ZN2at6native12_GLOBAL__N_123cunn_SoftMaxForwardGmemILi8EN3c104HalfEffNS1_29SoftMaxForwardWithMulEpilogueElEEvPT2_PKT0_T4_
	.p2align	8
	.type	_ZN2at6native12_GLOBAL__N_123cunn_SoftMaxForwardGmemILi8EN3c104HalfEffNS1_29SoftMaxForwardWithMulEpilogueElEEvPT2_PKT0_T4_,@function
_ZN2at6native12_GLOBAL__N_123cunn_SoftMaxForwardGmemILi8EN3c104HalfEffNS1_29SoftMaxForwardWithMulEpilogueElEEvPT2_PKT0_T4_: ; @_ZN2at6native12_GLOBAL__N_123cunn_SoftMaxForwardGmemILi8EN3c104HalfEffNS1_29SoftMaxForwardWithMulEpilogueElEEvPT2_PKT0_T4_
; %bb.0:
	s_load_dwordx4 s[12:15], s[4:5], 0x0
	s_load_dwordx2 s[10:11], s[4:5], 0x10
	v_mov_b32_e32 v1, 0
	v_lshlrev_b32_e32 v2, 3, v0
	v_mov_b32_e32 v3, v1
	s_mov_b32 s18, 0
	s_waitcnt lgkmcnt(0)
	v_cmp_gt_i64_e64 s[0:1], s[10:11], v[2:3]
	v_mov_b32_e32 v8, 0xff7fffff
	s_mul_i32 s22, s11, s6
	s_mul_hi_u32 s23, s10, s6
	s_mul_i32 s16, s10, s6
	v_lshlrev_b32_e32 v6, 4, v0
	s_and_saveexec_b64 s[2:3], s[0:1]
	s_cbranch_execz .LBB456_4
; %bb.1:
	s_load_dword s8, s[4:5], 0x24
	s_add_i32 s17, s23, s22
	s_lshl_b64 s[6:7], s[16:17], 1
	v_mov_b32_e32 v8, 0xff7fffff
	v_mov_b32_e32 v7, s18
	s_waitcnt lgkmcnt(0)
	s_and_b32 s8, s8, 0xffff
	s_add_u32 s6, s14, s6
	s_addc_u32 s7, s15, s7
	v_mov_b32_e32 v2, s7
	v_add_co_u32_e32 v3, vcc, s6, v6
	v_addc_co_u32_e32 v4, vcc, 0, v2, vcc
	v_add_co_u32_e32 v2, vcc, 14, v3
	v_addc_co_u32_e32 v3, vcc, 0, v4, vcc
	s_lshl_b32 s9, s8, 4
	s_mov_b64 s[6:7], 0
	v_mov_b32_e32 v9, s18
	v_pk_mov_b32 v[4:5], v[0:1], v[0:1] op_sel:[0,1]
	s_mov_b32 s17, s18
.LBB456_2:                              ; =>This Inner Loop Header: Depth=1
	global_load_dwordx4 v[10:13], v[2:3], off offset:-14
	v_add_co_u32_e32 v4, vcc, s8, v4
	v_addc_co_u32_e32 v5, vcc, v5, v7, vcc
	v_add_co_u32_e32 v2, vcc, s9, v2
	v_addc_co_u32_e32 v3, vcc, v3, v9, vcc
	v_lshlrev_b64 v[14:15], 3, v[4:5]
	v_cmp_le_i64_e32 vcc, s[10:11], v[14:15]
	s_or_b64 s[6:7], vcc, s[6:7]
	s_waitcnt vmcnt(0)
	v_cvt_f32_f16_e32 v14, v10
	v_cvt_f32_f16_sdwa v10, v10 dst_sel:DWORD dst_unused:UNUSED_PAD src0_sel:WORD_1
	v_cvt_f32_f16_e32 v15, v11
	v_cvt_f32_f16_sdwa v11, v11 dst_sel:DWORD dst_unused:UNUSED_PAD src0_sel:WORD_1
	;; [unrolled: 2-line block ×4, first 2 shown]
	v_max3_f32 v8, v8, v14, v10
	v_max3_f32 v8, v8, v15, v11
	;; [unrolled: 1-line block ×4, first 2 shown]
	s_andn2_b64 exec, exec, s[6:7]
	s_cbranch_execnz .LBB456_2
; %bb.3:
	s_or_b64 exec, exec, s[6:7]
.LBB456_4:
	s_or_b64 exec, exec, s[2:3]
	v_mbcnt_lo_u32_b32 v2, -1, 0
	v_mbcnt_hi_u32_b32 v4, -1, v2
	v_and_b32_e32 v5, 63, v4
	v_cmp_gt_u32_e32 vcc, 32, v5
	v_cndmask_b32_e64 v2, 0, 1, vcc
	v_lshlrev_b32_e32 v2, 5, v2
	v_add_lshl_u32 v7, v2, v4, 2
	ds_bpermute_b32 v2, v7, v8
	v_cmp_gt_u32_e32 vcc, 48, v5
	v_cndmask_b32_e64 v3, 0, 1, vcc
	v_lshlrev_b32_e32 v3, 4, v3
	v_add_lshl_u32 v9, v3, v4, 2
	s_waitcnt lgkmcnt(0)
	v_cmp_lt_f32_e32 vcc, v8, v2
	v_cndmask_b32_e32 v2, v8, v2, vcc
	ds_bpermute_b32 v3, v9, v2
	v_lshrrev_b32_e32 v14, 4, v0
	s_waitcnt lgkmcnt(0)
	s_barrier
	v_cmp_lt_f32_e32 vcc, v2, v3
	v_cndmask_b32_e32 v2, v2, v3, vcc
	v_cmp_gt_u32_e32 vcc, 56, v5
	v_cndmask_b32_e64 v3, 0, 1, vcc
	v_lshlrev_b32_e32 v3, 3, v3
	v_add_lshl_u32 v10, v3, v4, 2
	ds_bpermute_b32 v3, v10, v2
	s_waitcnt lgkmcnt(0)
	v_cmp_lt_f32_e32 vcc, v2, v3
	v_cndmask_b32_e32 v2, v2, v3, vcc
	v_cmp_gt_u32_e32 vcc, 60, v5
	v_cndmask_b32_e64 v3, 0, 1, vcc
	v_lshlrev_b32_e32 v3, 2, v3
	v_add_lshl_u32 v11, v3, v4, 2
	ds_bpermute_b32 v3, v11, v2
	s_waitcnt lgkmcnt(0)
	v_cmp_lt_f32_e32 vcc, v2, v3
	v_cndmask_b32_e32 v2, v2, v3, vcc
	v_cmp_gt_u32_e32 vcc, 62, v5
	v_cndmask_b32_e64 v3, 0, 1, vcc
	v_lshlrev_b32_e32 v3, 1, v3
	v_add_lshl_u32 v12, v3, v4, 2
	ds_bpermute_b32 v8, v12, v2
	v_and_b32_e32 v3, 63, v0
	s_waitcnt lgkmcnt(0)
	v_cmp_lt_f32_e32 vcc, v2, v8
	v_cndmask_b32_e32 v2, v2, v8, vcc
	v_cmp_ne_u32_e32 vcc, 63, v5
	v_addc_co_u32_e32 v4, vcc, 0, v4, vcc
	v_lshlrev_b32_e32 v13, 2, v4
	ds_bpermute_b32 v4, v13, v2
	v_cmp_eq_u32_e32 vcc, 0, v3
	s_and_saveexec_b64 s[6:7], vcc
	s_cbranch_execz .LBB456_6
; %bb.5:
	s_waitcnt lgkmcnt(0)
	v_cmp_lt_f32_e64 s[2:3], v2, v4
	v_add_u32_e32 v5, 0, v14
	v_cndmask_b32_e64 v2, v2, v4, s[2:3]
	ds_write_b32 v5, v2
.LBB456_6:
	s_or_b64 exec, exec, s[6:7]
	s_waitcnt lgkmcnt(0)
	s_barrier
	s_load_dword s24, s[4:5], 0x24
	v_mov_b32_e32 v2, 0xff7fffff
	v_lshl_add_u32 v15, v3, 2, 0
	s_waitcnt lgkmcnt(0)
	s_bfe_u32 s2, s24, 0xa0006
	v_cmp_gt_u32_e64 s[2:3], s2, v0
	s_and_saveexec_b64 s[4:5], s[2:3]
	s_cbranch_execnz .LBB456_24
; %bb.7:
	s_or_b64 exec, exec, s[4:5]
	v_cmp_gt_u32_e64 s[4:5], 64, v0
	s_and_saveexec_b64 s[8:9], s[4:5]
	s_cbranch_execnz .LBB456_25
.LBB456_8:
	s_or_b64 exec, exec, s[8:9]
	v_cmp_eq_u32_e64 s[6:7], 0, v0
	s_and_saveexec_b64 s[8:9], s[6:7]
	s_cbranch_execz .LBB456_10
.LBB456_9:
	v_mov_b32_e32 v3, 0
	s_waitcnt lgkmcnt(0)
	ds_write_b32 v3, v2
.LBB456_10:
	s_or_b64 exec, exec, s[8:9]
	v_mov_b32_e32 v16, 0
	s_waitcnt lgkmcnt(0)
	s_barrier
	ds_read_b32 v8, v16
	s_mov_b32 s26, 0
	s_and_saveexec_b64 s[18:19], s[0:1]
	s_cbranch_execz .LBB456_14
; %bb.11:
	s_add_i32 s17, s23, s22
	s_and_b32 s25, s24, 0xffff
	s_lshl_b64 s[8:9], s[16:17], 1
	s_add_u32 s8, s14, s8
	s_addc_u32 s9, s15, s9
	v_mov_b32_e32 v2, s9
	v_add_co_u32_e64 v3, s[8:9], s8, v6
	v_addc_co_u32_e64 v4, s[8:9], 0, v2, s[8:9]
	v_add_co_u32_e64 v2, s[8:9], 14, v3
	v_addc_co_u32_e64 v3, s[8:9], 0, v4, s[8:9]
	s_lshl_b32 s17, s25, 4
	s_mov_b64 s[20:21], 0
	v_mov_b32_e32 v16, 0
	v_mov_b32_e32 v17, s26
	;; [unrolled: 1-line block ×3, first 2 shown]
	v_pk_mov_b32 v[4:5], v[0:1], v[0:1] op_sel:[0,1]
.LBB456_12:                             ; =>This Inner Loop Header: Depth=1
	global_load_dwordx4 v[20:23], v[2:3], off offset:-14
	v_add_co_u32_e64 v4, s[8:9], s25, v4
	v_addc_co_u32_e64 v5, s[8:9], v5, v17, s[8:9]
	v_add_co_u32_e64 v2, s[8:9], s17, v2
	v_addc_co_u32_e64 v3, s[8:9], v3, v18, s[8:9]
	v_lshlrev_b64 v[24:25], 3, v[4:5]
	v_cmp_le_i64_e64 s[8:9], s[10:11], v[24:25]
	s_or_b64 s[20:21], s[8:9], s[20:21]
	s_waitcnt vmcnt(0)
	v_cvt_f32_f16_e32 v19, v20
	v_cvt_f32_f16_sdwa v20, v20 dst_sel:DWORD dst_unused:UNUSED_PAD src0_sel:WORD_1
	v_cvt_f32_f16_e32 v24, v21
	v_cvt_f32_f16_sdwa v21, v21 dst_sel:DWORD dst_unused:UNUSED_PAD src0_sel:WORD_1
	v_cvt_f32_f16_e32 v25, v22
	s_waitcnt lgkmcnt(0)
	v_sub_f32_e32 v19, v19, v8
	v_cvt_f32_f16_sdwa v22, v22 dst_sel:DWORD dst_unused:UNUSED_PAD src0_sel:WORD_1
	v_sub_f32_e32 v20, v20, v8
	v_mul_f32_e32 v19, 0x3fb8aa3b, v19
	v_cvt_f32_f16_e32 v26, v23
	v_sub_f32_e32 v24, v24, v8
	v_mul_f32_e32 v20, 0x3fb8aa3b, v20
	v_exp_f32_e32 v19, v19
	v_cvt_f32_f16_sdwa v23, v23 dst_sel:DWORD dst_unused:UNUSED_PAD src0_sel:WORD_1
	v_sub_f32_e32 v21, v21, v8
	v_mul_f32_e32 v24, 0x3fb8aa3b, v24
	v_exp_f32_e32 v20, v20
	v_sub_f32_e32 v25, v25, v8
	v_mul_f32_e32 v21, 0x3fb8aa3b, v21
	v_exp_f32_e32 v24, v24
	;; [unrolled: 3-line block ×4, first 2 shown]
	v_add_f32_e32 v16, v16, v19
	v_sub_f32_e32 v23, v23, v8
	v_mul_f32_e32 v26, 0x3fb8aa3b, v26
	v_exp_f32_e32 v22, v22
	v_add_f32_e32 v16, v16, v20
	v_mul_f32_e32 v23, 0x3fb8aa3b, v23
	v_exp_f32_e32 v26, v26
	v_add_f32_e32 v16, v16, v24
	v_exp_f32_e32 v23, v23
	v_add_f32_e32 v16, v16, v21
	v_add_f32_e32 v16, v16, v25
	;; [unrolled: 1-line block ×5, first 2 shown]
	s_andn2_b64 exec, exec, s[20:21]
	s_cbranch_execnz .LBB456_12
; %bb.13:
	s_or_b64 exec, exec, s[20:21]
.LBB456_14:
	s_or_b64 exec, exec, s[18:19]
	ds_bpermute_b32 v2, v7, v16
	s_waitcnt lgkmcnt(0)
	s_barrier
	v_add_f32_e32 v2, v16, v2
	ds_bpermute_b32 v3, v9, v2
	s_waitcnt lgkmcnt(0)
	v_add_f32_e32 v2, v2, v3
	ds_bpermute_b32 v3, v10, v2
	s_waitcnt lgkmcnt(0)
	;; [unrolled: 3-line block ×4, first 2 shown]
	v_add_f32_e32 v2, v2, v3
	ds_bpermute_b32 v3, v13, v2
	s_and_saveexec_b64 s[8:9], vcc
	s_cbranch_execz .LBB456_16
; %bb.15:
	v_add_u32_e32 v4, 0, v14
	s_waitcnt lgkmcnt(0)
	v_add_f32_e32 v2, v2, v3
	ds_write_b32 v4, v2
.LBB456_16:
	s_or_b64 exec, exec, s[8:9]
	v_mov_b32_e32 v2, 0
	s_waitcnt lgkmcnt(0)
	s_barrier
	s_and_saveexec_b64 s[8:9], s[2:3]
	s_cbranch_execnz .LBB456_26
; %bb.17:
	s_or_b64 exec, exec, s[8:9]
	s_and_saveexec_b64 s[2:3], s[4:5]
	s_cbranch_execnz .LBB456_27
.LBB456_18:
	s_or_b64 exec, exec, s[2:3]
	s_and_saveexec_b64 s[2:3], s[6:7]
	s_cbranch_execz .LBB456_20
.LBB456_19:
	s_waitcnt lgkmcnt(0)
	v_div_scale_f32 v3, s[4:5], v2, v2, 1.0
	v_rcp_f32_e32 v4, v3
	v_div_scale_f32 v5, vcc, 1.0, v2, 1.0
	v_fma_f32 v7, -v3, v4, 1.0
	v_fmac_f32_e32 v4, v7, v4
	v_mul_f32_e32 v7, v5, v4
	v_fma_f32 v9, -v3, v7, v5
	v_fmac_f32_e32 v7, v9, v4
	v_fma_f32 v3, -v3, v7, v5
	v_div_fmas_f32 v3, v3, v4, v7
	v_div_fixup_f32 v2, v3, v2, 1.0
	v_mov_b32_e32 v3, 0
	ds_write_b32 v3, v2
.LBB456_20:
	s_or_b64 exec, exec, s[2:3]
	s_waitcnt lgkmcnt(0)
	s_barrier
	s_and_saveexec_b64 s[2:3], s[0:1]
	s_cbranch_execz .LBB456_23
; %bb.21:
	s_add_i32 s17, s23, s22
	s_and_b32 s2, s24, 0xffff
	s_lshl_b64 s[0:1], s[16:17], 1
	s_add_u32 s0, s14, s0
	s_addc_u32 s1, s15, s1
	v_mov_b32_e32 v4, s1
	v_add_co_u32_e32 v5, vcc, s0, v6
	v_mov_b32_e32 v2, 0
	v_addc_co_u32_e32 v6, vcc, 0, v4, vcc
	s_lshl_b32 s3, s2, 4
	s_lshl_b64 s[0:1], s[16:17], 2
	ds_read_b32 v2, v2
	v_add_co_u32_e32 v4, vcc, 14, v5
	s_add_u32 s0, s12, s0
	v_addc_co_u32_e32 v5, vcc, 0, v6, vcc
	v_lshlrev_b32_e32 v6, 5, v0
	s_addc_u32 s1, s13, s1
	v_mov_b32_e32 v7, s1
	v_add_co_u32_e32 v6, vcc, s0, v6
	v_addc_co_u32_e32 v7, vcc, 0, v7, vcc
	s_mov_b32 s5, 0
	v_add_co_u32_e32 v6, vcc, 16, v6
	s_waitcnt lgkmcnt(0)
	v_mov_b32_e32 v3, v2
	v_addc_co_u32_e32 v7, vcc, 0, v7, vcc
	s_lshl_b32 s4, s2, 5
	s_mov_b64 s[0:1], 0
	v_mov_b32_e32 v9, s5
	v_mov_b32_e32 v10, s5
	;; [unrolled: 1-line block ×3, first 2 shown]
.LBB456_22:                             ; =>This Inner Loop Header: Depth=1
	global_load_dwordx4 v[12:15], v[4:5], off offset:-14
	v_add_co_u32_e32 v0, vcc, s2, v0
	v_addc_co_u32_e32 v1, vcc, v1, v9, vcc
	v_add_co_u32_e32 v4, vcc, s3, v4
	v_addc_co_u32_e32 v5, vcc, v5, v10, vcc
	v_lshlrev_b64 v[16:17], 3, v[0:1]
	v_cmp_le_i64_e32 vcc, s[10:11], v[16:17]
	s_or_b64 s[0:1], vcc, s[0:1]
	s_waitcnt vmcnt(0)
	v_cvt_f32_f16_e32 v16, v12
	v_cvt_f32_f16_sdwa v12, v12 dst_sel:DWORD dst_unused:UNUSED_PAD src0_sel:WORD_1
	v_cvt_f32_f16_e32 v17, v13
	v_cvt_f32_f16_sdwa v13, v13 dst_sel:DWORD dst_unused:UNUSED_PAD src0_sel:WORD_1
	;; [unrolled: 2-line block ×4, first 2 shown]
	v_sub_f32_e32 v16, v16, v8
	v_sub_f32_e32 v12, v12, v8
	;; [unrolled: 1-line block ×8, first 2 shown]
	v_mul_f32_e32 v16, 0x3fb8aa3b, v16
	v_mul_f32_e32 v20, 0x3fb8aa3b, v12
	;; [unrolled: 1-line block ×8, first 2 shown]
	v_exp_f32_e32 v12, v16
	v_exp_f32_e32 v13, v20
	;; [unrolled: 1-line block ×8, first 2 shown]
	v_pk_mul_f32 v[12:13], v[2:3], v[12:13]
	v_pk_mul_f32 v[14:15], v[2:3], v[14:15]
	v_pk_mul_f32 v[16:17], v[2:3], v[16:17]
	v_pk_mul_f32 v[18:19], v[2:3], v[18:19]
	global_store_dwordx4 v[6:7], v[12:15], off offset:-16
	global_store_dwordx4 v[6:7], v[16:19], off
	v_add_co_u32_e32 v6, vcc, s4, v6
	v_addc_co_u32_e32 v7, vcc, v7, v11, vcc
	s_andn2_b64 exec, exec, s[0:1]
	s_cbranch_execnz .LBB456_22
.LBB456_23:
	s_endpgm
.LBB456_24:
	ds_read_b32 v2, v15
	s_or_b64 exec, exec, s[4:5]
	v_cmp_gt_u32_e64 s[4:5], 64, v0
	s_and_saveexec_b64 s[8:9], s[4:5]
	s_cbranch_execz .LBB456_8
.LBB456_25:
	s_waitcnt lgkmcnt(0)
	ds_bpermute_b32 v3, v7, v2
	s_waitcnt lgkmcnt(0)
	v_cmp_lt_f32_e64 s[6:7], v2, v3
	v_cndmask_b32_e64 v2, v2, v3, s[6:7]
	ds_bpermute_b32 v3, v9, v2
	s_waitcnt lgkmcnt(0)
	v_cmp_lt_f32_e64 s[6:7], v2, v3
	v_cndmask_b32_e64 v2, v2, v3, s[6:7]
	;; [unrolled: 4-line block ×6, first 2 shown]
	s_or_b64 exec, exec, s[8:9]
	v_cmp_eq_u32_e64 s[6:7], 0, v0
	s_and_saveexec_b64 s[8:9], s[6:7]
	s_cbranch_execnz .LBB456_9
	s_branch .LBB456_10
.LBB456_26:
	ds_read_b32 v2, v15
	s_or_b64 exec, exec, s[8:9]
	s_and_saveexec_b64 s[2:3], s[4:5]
	s_cbranch_execz .LBB456_18
.LBB456_27:
	s_waitcnt lgkmcnt(0)
	ds_bpermute_b32 v3, v7, v2
	s_waitcnt lgkmcnt(0)
	v_add_f32_e32 v2, v2, v3
	ds_bpermute_b32 v3, v9, v2
	s_waitcnt lgkmcnt(0)
	v_add_f32_e32 v2, v2, v3
	;; [unrolled: 3-line block ×6, first 2 shown]
	s_or_b64 exec, exec, s[2:3]
	s_and_saveexec_b64 s[2:3], s[6:7]
	s_cbranch_execnz .LBB456_19
	s_branch .LBB456_20
	.section	.rodata,"a",@progbits
	.p2align	6, 0x0
	.amdhsa_kernel _ZN2at6native12_GLOBAL__N_123cunn_SoftMaxForwardGmemILi8EN3c104HalfEffNS1_29SoftMaxForwardWithMulEpilogueElEEvPT2_PKT0_T4_
		.amdhsa_group_segment_fixed_size 0
		.amdhsa_private_segment_fixed_size 0
		.amdhsa_kernarg_size 280
		.amdhsa_user_sgpr_count 6
		.amdhsa_user_sgpr_private_segment_buffer 1
		.amdhsa_user_sgpr_dispatch_ptr 0
		.amdhsa_user_sgpr_queue_ptr 0
		.amdhsa_user_sgpr_kernarg_segment_ptr 1
		.amdhsa_user_sgpr_dispatch_id 0
		.amdhsa_user_sgpr_flat_scratch_init 0
		.amdhsa_user_sgpr_kernarg_preload_length 0
		.amdhsa_user_sgpr_kernarg_preload_offset 0
		.amdhsa_user_sgpr_private_segment_size 0
		.amdhsa_uses_dynamic_stack 0
		.amdhsa_system_sgpr_private_segment_wavefront_offset 0
		.amdhsa_system_sgpr_workgroup_id_x 1
		.amdhsa_system_sgpr_workgroup_id_y 0
		.amdhsa_system_sgpr_workgroup_id_z 0
		.amdhsa_system_sgpr_workgroup_info 0
		.amdhsa_system_vgpr_workitem_id 0
		.amdhsa_next_free_vgpr 27
		.amdhsa_next_free_sgpr 27
		.amdhsa_accum_offset 28
		.amdhsa_reserve_vcc 1
		.amdhsa_reserve_flat_scratch 0
		.amdhsa_float_round_mode_32 0
		.amdhsa_float_round_mode_16_64 0
		.amdhsa_float_denorm_mode_32 3
		.amdhsa_float_denorm_mode_16_64 3
		.amdhsa_dx10_clamp 1
		.amdhsa_ieee_mode 1
		.amdhsa_fp16_overflow 0
		.amdhsa_tg_split 0
		.amdhsa_exception_fp_ieee_invalid_op 0
		.amdhsa_exception_fp_denorm_src 0
		.amdhsa_exception_fp_ieee_div_zero 0
		.amdhsa_exception_fp_ieee_overflow 0
		.amdhsa_exception_fp_ieee_underflow 0
		.amdhsa_exception_fp_ieee_inexact 0
		.amdhsa_exception_int_div_zero 0
	.end_amdhsa_kernel
	.section	.text._ZN2at6native12_GLOBAL__N_123cunn_SoftMaxForwardGmemILi8EN3c104HalfEffNS1_29SoftMaxForwardWithMulEpilogueElEEvPT2_PKT0_T4_,"axG",@progbits,_ZN2at6native12_GLOBAL__N_123cunn_SoftMaxForwardGmemILi8EN3c104HalfEffNS1_29SoftMaxForwardWithMulEpilogueElEEvPT2_PKT0_T4_,comdat
.Lfunc_end456:
	.size	_ZN2at6native12_GLOBAL__N_123cunn_SoftMaxForwardGmemILi8EN3c104HalfEffNS1_29SoftMaxForwardWithMulEpilogueElEEvPT2_PKT0_T4_, .Lfunc_end456-_ZN2at6native12_GLOBAL__N_123cunn_SoftMaxForwardGmemILi8EN3c104HalfEffNS1_29SoftMaxForwardWithMulEpilogueElEEvPT2_PKT0_T4_
                                        ; -- End function
	.section	.AMDGPU.csdata,"",@progbits
; Kernel info:
; codeLenInByte = 2212
; NumSgprs: 31
; NumVgprs: 27
; NumAgprs: 0
; TotalNumVgprs: 27
; ScratchSize: 0
; MemoryBound: 0
; FloatMode: 240
; IeeeMode: 1
; LDSByteSize: 0 bytes/workgroup (compile time only)
; SGPRBlocks: 3
; VGPRBlocks: 3
; NumSGPRsForWavesPerEU: 31
; NumVGPRsForWavesPerEU: 27
; AccumOffset: 28
; Occupancy: 8
; WaveLimiterHint : 0
; COMPUTE_PGM_RSRC2:SCRATCH_EN: 0
; COMPUTE_PGM_RSRC2:USER_SGPR: 6
; COMPUTE_PGM_RSRC2:TRAP_HANDLER: 0
; COMPUTE_PGM_RSRC2:TGID_X_EN: 1
; COMPUTE_PGM_RSRC2:TGID_Y_EN: 0
; COMPUTE_PGM_RSRC2:TGID_Z_EN: 0
; COMPUTE_PGM_RSRC2:TIDIG_COMP_CNT: 0
; COMPUTE_PGM_RSRC3_GFX90A:ACCUM_OFFSET: 6
; COMPUTE_PGM_RSRC3_GFX90A:TG_SPLIT: 0
	.section	.text._ZN2at6native12_GLOBAL__N_123cunn_SoftMaxForwardFastILi8EN3c104HalfEffNS1_29SoftMaxForwardWithMulEpilogueEEEvPT2_PKT0_i,"axG",@progbits,_ZN2at6native12_GLOBAL__N_123cunn_SoftMaxForwardFastILi8EN3c104HalfEffNS1_29SoftMaxForwardWithMulEpilogueEEEvPT2_PKT0_i,comdat
	.globl	_ZN2at6native12_GLOBAL__N_123cunn_SoftMaxForwardFastILi8EN3c104HalfEffNS1_29SoftMaxForwardWithMulEpilogueEEEvPT2_PKT0_i ; -- Begin function _ZN2at6native12_GLOBAL__N_123cunn_SoftMaxForwardFastILi8EN3c104HalfEffNS1_29SoftMaxForwardWithMulEpilogueEEEvPT2_PKT0_i
	.p2align	8
	.type	_ZN2at6native12_GLOBAL__N_123cunn_SoftMaxForwardFastILi8EN3c104HalfEffNS1_29SoftMaxForwardWithMulEpilogueEEEvPT2_PKT0_i,@function
_ZN2at6native12_GLOBAL__N_123cunn_SoftMaxForwardFastILi8EN3c104HalfEffNS1_29SoftMaxForwardWithMulEpilogueEEEvPT2_PKT0_i: ; @_ZN2at6native12_GLOBAL__N_123cunn_SoftMaxForwardFastILi8EN3c104HalfEffNS1_29SoftMaxForwardWithMulEpilogueEEEvPT2_PKT0_i
; %bb.0:
	s_load_dword s24, s[4:5], 0x10
	s_load_dwordx4 s[12:15], s[4:5], 0x0
	s_mov_b32 s11, 0
	s_waitcnt lgkmcnt(0)
	s_ashr_i32 s0, s24, 31
	s_mul_hi_u32 s1, s24, s6
	s_mul_i32 s0, s0, s6
	s_add_i32 s17, s1, s0
	s_mul_i32 s16, s24, s6
	s_lshl_b64 s[0:1], s[16:17], 1
	s_add_u32 s14, s14, s0
	s_addc_u32 s15, s15, s1
	s_bfe_u32 s10, s14, 0x30001
	s_cmp_lg_u32 s10, 0
	s_cselect_b64 s[18:19], -1, 0
	s_and_b64 vcc, exec, s[18:19]
	v_cmp_le_u32_e64 s[0:1], s10, v0
	s_cbranch_vccz .LBB457_25
; %bb.1:
	s_lshl_b64 s[2:3], s[10:11], 1
	s_sub_u32 s8, s14, s2
	s_subb_u32 s9, s15, s3
	s_add_i32 s7, s10, s24
	v_cmp_gt_i32_e32 vcc, s7, v0
	s_and_b64 s[2:3], s[0:1], vcc
	v_mov_b32_e32 v4, 0xff7fffff
	s_and_saveexec_b64 s[0:1], s[2:3]
	s_cbranch_execz .LBB457_3
; %bb.2:
	v_lshlrev_b32_e32 v1, 1, v0
	global_load_ushort v1, v1, s[8:9]
	s_waitcnt vmcnt(0)
	v_cvt_f32_f16_e32 v1, v1
	v_max_f32_e32 v4, 0xff7fffff, v1
.LBB457_3:
	s_or_b64 exec, exec, s[0:1]
	s_load_dword s0, s[4:5], 0x24
	s_add_u32 s2, s4, 24
	s_addc_u32 s3, s5, 0
	s_waitcnt lgkmcnt(0)
	s_and_b32 s0, s0, 0xffff
	v_mov_b32_e32 v1, s0
	s_lshl_b32 s0, s0, 1
	v_sub_u32_e64 v1, s7, v1 clamp
	s_add_u32 s0, s8, s0
	v_readfirstlane_b32 s7, v1
	s_addc_u32 s1, s9, 0
	s_branch .LBB457_5
.LBB457_4:
	s_add_u32 s2, s4, 24
	s_addc_u32 s3, s5, 0
	v_mov_b32_e32 v4, 0xff7fffff
	s_mov_b32 s7, s24
	s_mov_b64 s[0:1], s[14:15]
.LBB457_5:
	s_load_dword s8, s[2:3], 0x0
	v_mov_b32_e32 v1, 0
	v_lshlrev_b32_e32 v12, 3, v0
	s_waitcnt lgkmcnt(0)
	s_cmp_lt_u32 s6, s8
	s_cselect_b32 s8, 12, 18
	s_add_u32 s2, s2, s8
	s_addc_u32 s3, s3, 0
	global_load_ushort v1, v1, s[2:3]
	s_waitcnt vmcnt(0)
	v_readfirstlane_b32 s2, v1
	s_lshl_b32 s2, s2, 3
	v_cvt_f32_u32_e32 v2, s2
	s_sub_i32 s3, 0, s2
	v_rcp_iflag_f32_e32 v2, v2
	v_mul_f32_e32 v2, 0x4f7ffffe, v2
	v_cvt_u32_f32_e32 v2, v2
	v_readfirstlane_b32 s8, v2
	s_mul_i32 s3, s3, s8
	s_mul_hi_u32 s3, s8, s3
	s_add_i32 s8, s8, s3
	s_mul_hi_u32 s3, s7, s8
	s_mul_i32 s3, s3, s2
	s_sub_i32 s3, s7, s3
	s_sub_i32 s8, s3, s2
	s_cmp_ge_u32 s3, s2
	s_cselect_b32 s3, s8, s3
	s_sub_i32 s8, s3, s2
	s_cmp_ge_u32 s3, s2
	s_cselect_b32 s2, s8, s3
	s_sub_i32 s11, s7, s2
	v_cmp_gt_i32_e32 vcc, s11, v12
	s_and_saveexec_b64 s[2:3], vcc
	s_cbranch_execz .LBB457_9
; %bb.6:
	s_mov_b64 s[8:9], 0
	v_mov_b32_e32 v5, s1
	v_mov_b32_e32 v2, v0
.LBB457_7:                              ; =>This Inner Loop Header: Depth=1
	v_ashrrev_i32_e32 v3, 31, v2
	v_lshlrev_b64 v[6:7], 4, v[2:3]
	v_add_co_u32_e32 v6, vcc, s0, v6
	v_addc_co_u32_e32 v7, vcc, v5, v7, vcc
	global_load_dwordx4 v[6:9], v[6:7], off
	v_add_u32_e32 v2, v2, v1
	v_lshlrev_b32_e32 v3, 3, v2
	v_cmp_le_i32_e32 vcc, s11, v3
	s_or_b64 s[8:9], vcc, s[8:9]
	s_waitcnt vmcnt(0)
	v_cvt_f32_f16_e32 v3, v6
	v_cvt_f32_f16_sdwa v6, v6 dst_sel:DWORD dst_unused:UNUSED_PAD src0_sel:WORD_1
	v_cvt_f32_f16_e32 v10, v7
	v_cvt_f32_f16_sdwa v7, v7 dst_sel:DWORD dst_unused:UNUSED_PAD src0_sel:WORD_1
	;; [unrolled: 2-line block ×4, first 2 shown]
	v_max3_f32 v3, v4, v3, v6
	v_max3_f32 v3, v3, v10, v7
	;; [unrolled: 1-line block ×4, first 2 shown]
	s_andn2_b64 exec, exec, s[8:9]
	s_cbranch_execnz .LBB457_7
; %bb.8:
	s_or_b64 exec, exec, s[8:9]
.LBB457_9:
	s_or_b64 exec, exec, s[2:3]
	v_add_u32_e32 v2, s11, v0
	v_cmp_gt_i32_e32 vcc, s7, v2
	s_and_saveexec_b64 s[2:3], vcc
	s_cbranch_execz .LBB457_13
; %bb.10:
	s_mov_b64 s[8:9], 0
	v_mov_b32_e32 v5, s1
.LBB457_11:                             ; =>This Inner Loop Header: Depth=1
	v_ashrrev_i32_e32 v3, 31, v2
	v_lshlrev_b64 v[6:7], 1, v[2:3]
	v_add_co_u32_e32 v6, vcc, s0, v6
	v_addc_co_u32_e32 v7, vcc, v5, v7, vcc
	global_load_ushort v3, v[6:7], off
	v_add_u32_e32 v2, v2, v1
	v_max_f32_e32 v4, v4, v4
	v_cmp_le_i32_e32 vcc, s7, v2
	s_or_b64 s[8:9], vcc, s[8:9]
	s_waitcnt vmcnt(0)
	v_cvt_f32_f16_e32 v3, v3
	v_max_f32_e32 v4, v4, v3
	s_andn2_b64 exec, exec, s[8:9]
	s_cbranch_execnz .LBB457_11
; %bb.12:
	s_or_b64 exec, exec, s[8:9]
.LBB457_13:
	s_or_b64 exec, exec, s[2:3]
	v_mbcnt_lo_u32_b32 v1, -1, 0
	v_mbcnt_hi_u32_b32 v8, -1, v1
	v_and_b32_e32 v9, 63, v8
	v_cmp_gt_u32_e32 vcc, 32, v9
	v_cndmask_b32_e64 v1, 0, 1, vcc
	v_lshlrev_b32_e32 v1, 5, v1
	v_add_lshl_u32 v1, v1, v8, 2
	ds_bpermute_b32 v2, v1, v4
	v_cmp_gt_u32_e32 vcc, 48, v9
	v_cndmask_b32_e64 v3, 0, 1, vcc
	v_lshlrev_b32_e32 v3, 4, v3
	s_waitcnt lgkmcnt(0)
	v_cmp_lt_f32_e32 vcc, v4, v2
	v_cndmask_b32_e32 v2, v4, v2, vcc
	v_add_lshl_u32 v4, v3, v8, 2
	ds_bpermute_b32 v3, v4, v2
	s_barrier
	s_waitcnt lgkmcnt(0)
	v_cmp_lt_f32_e32 vcc, v2, v3
	v_cndmask_b32_e32 v2, v2, v3, vcc
	v_cmp_gt_u32_e32 vcc, 56, v9
	v_cndmask_b32_e64 v3, 0, 1, vcc
	v_lshlrev_b32_e32 v3, 3, v3
	v_add_lshl_u32 v5, v3, v8, 2
	ds_bpermute_b32 v3, v5, v2
	s_waitcnt lgkmcnt(0)
	v_cmp_lt_f32_e32 vcc, v2, v3
	v_cndmask_b32_e32 v2, v2, v3, vcc
	v_cmp_gt_u32_e32 vcc, 60, v9
	v_cndmask_b32_e64 v3, 0, 1, vcc
	v_lshlrev_b32_e32 v3, 2, v3
	v_add_lshl_u32 v6, v3, v8, 2
	ds_bpermute_b32 v3, v6, v2
	;; [unrolled: 8-line block ×3, first 2 shown]
	v_and_b32_e32 v3, 63, v0
	v_cmp_eq_u32_e64 s[0:1], 0, v3
	s_waitcnt lgkmcnt(0)
	v_cmp_lt_f32_e32 vcc, v2, v10
	v_cndmask_b32_e32 v2, v2, v10, vcc
	v_cmp_ne_u32_e32 vcc, 63, v9
	v_addc_co_u32_e32 v8, vcc, 0, v8, vcc
	v_lshlrev_b32_e32 v9, 2, v8
	ds_bpermute_b32 v8, v9, v2
	v_lshrrev_b32_e32 v10, 4, v0
	s_and_saveexec_b64 s[2:3], s[0:1]
	s_cbranch_execz .LBB457_15
; %bb.14:
	s_waitcnt lgkmcnt(0)
	v_cmp_lt_f32_e32 vcc, v2, v8
	v_add_u32_e32 v11, 0, v10
	v_cndmask_b32_e32 v2, v2, v8, vcc
	ds_write_b32 v11, v2
.LBB457_15:
	s_or_b64 exec, exec, s[2:3]
	s_waitcnt lgkmcnt(0)
	s_barrier
	s_load_dword s7, s[4:5], 0x24
	s_add_u32 s20, s4, 24
	s_addc_u32 s21, s5, 0
	v_mov_b32_e32 v2, 0xff7fffff
	v_lshl_add_u32 v11, v3, 2, 0
	s_waitcnt lgkmcnt(0)
	s_bfe_u32 s2, s7, 0xa0006
	v_cmp_gt_u32_e64 s[2:3], s2, v0
	s_and_saveexec_b64 s[4:5], s[2:3]
	s_cbranch_execnz .LBB457_23
; %bb.16:
	s_or_b64 exec, exec, s[4:5]
	v_cmp_gt_u32_e64 s[4:5], 64, v0
	s_and_saveexec_b64 s[8:9], s[4:5]
	s_cbranch_execnz .LBB457_24
.LBB457_17:
	s_or_b64 exec, exec, s[8:9]
	v_cmp_eq_u32_e64 s[8:9], 0, v0
	s_and_saveexec_b64 s[22:23], s[8:9]
	s_cbranch_execz .LBB457_19
.LBB457_18:
	v_mov_b32_e32 v3, 0
	s_waitcnt lgkmcnt(0)
	ds_write_b32 v3, v2
.LBB457_19:
	s_or_b64 exec, exec, s[22:23]
	v_mov_b32_e32 v13, 0
	s_waitcnt lgkmcnt(0)
	s_barrier
	ds_read_b32 v8, v13
	s_and_b32 s22, s7, 0xffff
	s_andn2_b64 vcc, exec, s[18:19]
	s_mov_b32 s11, 0
	s_cbranch_vccnz .LBB457_26
; %bb.20:
	s_lshl_b64 s[18:19], s[10:11], 1
	s_sub_u32 s18, s14, s18
	s_subb_u32 s19, s15, s19
	s_add_i32 s7, s10, s24
	v_cmp_le_u32_e32 vcc, s10, v0
	v_cmp_gt_i32_e64 s[10:11], s7, v0
	s_and_b64 s[26:27], vcc, s[10:11]
	v_mov_b32_e32 v13, 0
	s_and_saveexec_b64 s[10:11], s[26:27]
	s_cbranch_execz .LBB457_22
; %bb.21:
	v_lshlrev_b32_e32 v2, 1, v0
	global_load_ushort v2, v2, s[18:19]
	s_waitcnt vmcnt(0)
	v_cvt_f32_f16_e32 v2, v2
	s_waitcnt lgkmcnt(0)
	v_sub_f32_e32 v2, v2, v8
	v_mul_f32_e32 v2, 0x3fb8aa3b, v2
	v_exp_f32_e32 v2, v2
	v_add_f32_e32 v13, 0, v2
.LBB457_22:
	s_or_b64 exec, exec, s[10:11]
	v_mov_b32_e32 v2, s22
	v_sub_u32_e64 v2, s7, v2 clamp
	s_lshl_b32 s7, s22, 1
	s_add_u32 s10, s18, s7
	v_readfirstlane_b32 s23, v2
	s_addc_u32 s11, s19, 0
	s_branch .LBB457_27
.LBB457_23:
	ds_read_b32 v2, v11
	s_or_b64 exec, exec, s[4:5]
	v_cmp_gt_u32_e64 s[4:5], 64, v0
	s_and_saveexec_b64 s[8:9], s[4:5]
	s_cbranch_execz .LBB457_17
.LBB457_24:
	s_waitcnt lgkmcnt(0)
	ds_bpermute_b32 v3, v1, v2
	s_waitcnt lgkmcnt(0)
	v_cmp_lt_f32_e32 vcc, v2, v3
	v_cndmask_b32_e32 v2, v2, v3, vcc
	ds_bpermute_b32 v3, v4, v2
	s_waitcnt lgkmcnt(0)
	v_cmp_lt_f32_e32 vcc, v2, v3
	v_cndmask_b32_e32 v2, v2, v3, vcc
	;; [unrolled: 4-line block ×6, first 2 shown]
	s_or_b64 exec, exec, s[8:9]
	v_cmp_eq_u32_e64 s[8:9], 0, v0
	s_and_saveexec_b64 s[22:23], s[8:9]
	s_cbranch_execnz .LBB457_18
	s_branch .LBB457_19
.LBB457_25:
                                        ; implicit-def: $sgpr0_sgpr1
                                        ; implicit-def: $sgpr7
                                        ; implicit-def: $vgpr4
                                        ; implicit-def: $sgpr2_sgpr3
	s_cbranch_execnz .LBB457_4
	s_branch .LBB457_5
.LBB457_26:
	s_mov_b64 s[10:11], s[14:15]
	s_mov_b32 s23, s24
.LBB457_27:
	s_load_dword s7, s[20:21], 0x0
	v_mov_b32_e32 v2, 0
	s_waitcnt lgkmcnt(0)
	s_cmp_lt_u32 s6, s7
	s_cselect_b32 s6, 12, 18
	s_add_u32 s6, s20, s6
	s_addc_u32 s7, s21, 0
	global_load_ushort v14, v2, s[6:7]
	s_waitcnt vmcnt(0)
	v_readfirstlane_b32 s6, v14
	s_lshl_b32 s6, s6, 3
	v_cvt_f32_u32_e32 v2, s6
	s_sub_i32 s7, 0, s6
	v_rcp_iflag_f32_e32 v2, v2
	v_mul_f32_e32 v2, 0x4f7ffffe, v2
	v_cvt_u32_f32_e32 v2, v2
	v_readfirstlane_b32 s18, v2
	s_mul_i32 s7, s7, s18
	s_mul_hi_u32 s7, s18, s7
	s_add_i32 s18, s18, s7
	s_mul_hi_u32 s7, s23, s18
	s_mul_i32 s7, s7, s6
	s_sub_i32 s7, s23, s7
	s_sub_i32 s18, s7, s6
	s_cmp_ge_u32 s7, s6
	s_cselect_b32 s7, s18, s7
	s_sub_i32 s18, s7, s6
	s_cmp_ge_u32 s7, s6
	s_cselect_b32 s6, s18, s7
	s_sub_i32 s20, s23, s6
	v_cmp_gt_i32_e32 vcc, s20, v12
	s_and_saveexec_b64 s[6:7], vcc
	s_cbranch_execz .LBB457_31
; %bb.28:
	s_mov_b64 s[18:19], 0
	v_mov_b32_e32 v12, s11
	v_mov_b32_e32 v2, v0
.LBB457_29:                             ; =>This Inner Loop Header: Depth=1
	v_ashrrev_i32_e32 v3, 31, v2
	v_lshlrev_b64 v[16:17], 4, v[2:3]
	v_add_co_u32_e32 v16, vcc, s10, v16
	v_addc_co_u32_e32 v17, vcc, v12, v17, vcc
	global_load_dwordx4 v[16:19], v[16:17], off
	v_add_u32_e32 v2, v2, v14
	v_lshlrev_b32_e32 v3, 3, v2
	v_cmp_le_i32_e32 vcc, s20, v3
	s_or_b64 s[18:19], vcc, s[18:19]
	s_waitcnt vmcnt(0)
	v_cvt_f32_f16_e32 v3, v16
	v_cvt_f32_f16_sdwa v15, v16 dst_sel:DWORD dst_unused:UNUSED_PAD src0_sel:WORD_1
	v_cvt_f32_f16_e32 v16, v17
	v_cvt_f32_f16_sdwa v17, v17 dst_sel:DWORD dst_unused:UNUSED_PAD src0_sel:WORD_1
	v_cvt_f32_f16_e32 v20, v18
	v_sub_f32_e32 v3, v3, v8
	v_cvt_f32_f16_sdwa v18, v18 dst_sel:DWORD dst_unused:UNUSED_PAD src0_sel:WORD_1
	v_sub_f32_e32 v15, v15, v8
	v_mul_f32_e32 v3, 0x3fb8aa3b, v3
	v_cvt_f32_f16_e32 v21, v19
	v_sub_f32_e32 v16, v16, v8
	v_mul_f32_e32 v15, 0x3fb8aa3b, v15
	v_exp_f32_e32 v3, v3
	v_cvt_f32_f16_sdwa v19, v19 dst_sel:DWORD dst_unused:UNUSED_PAD src0_sel:WORD_1
	v_sub_f32_e32 v17, v17, v8
	v_mul_f32_e32 v16, 0x3fb8aa3b, v16
	v_exp_f32_e32 v15, v15
	v_sub_f32_e32 v20, v20, v8
	v_mul_f32_e32 v17, 0x3fb8aa3b, v17
	v_exp_f32_e32 v16, v16
	;; [unrolled: 3-line block ×4, first 2 shown]
	v_add_f32_e32 v3, v13, v3
	v_sub_f32_e32 v19, v19, v8
	v_mul_f32_e32 v21, 0x3fb8aa3b, v21
	v_exp_f32_e32 v18, v18
	v_add_f32_e32 v3, v3, v15
	v_mul_f32_e32 v19, 0x3fb8aa3b, v19
	v_exp_f32_e32 v21, v21
	v_add_f32_e32 v3, v3, v16
	v_exp_f32_e32 v19, v19
	v_add_f32_e32 v3, v3, v17
	v_add_f32_e32 v3, v3, v20
	v_add_f32_e32 v3, v3, v18
	v_add_f32_e32 v3, v3, v21
	v_add_f32_e32 v13, v3, v19
	s_andn2_b64 exec, exec, s[18:19]
	s_cbranch_execnz .LBB457_29
; %bb.30:
	s_or_b64 exec, exec, s[18:19]
.LBB457_31:
	s_or_b64 exec, exec, s[6:7]
	v_add_u32_e32 v2, s20, v0
	v_cmp_gt_i32_e32 vcc, s23, v2
	s_and_saveexec_b64 s[6:7], vcc
	s_cbranch_execz .LBB457_35
; %bb.32:
	s_mov_b64 s[18:19], 0
	v_mov_b32_e32 v12, s11
.LBB457_33:                             ; =>This Inner Loop Header: Depth=1
	v_ashrrev_i32_e32 v3, 31, v2
	v_lshlrev_b64 v[16:17], 1, v[2:3]
	v_add_co_u32_e32 v16, vcc, s10, v16
	v_addc_co_u32_e32 v17, vcc, v12, v17, vcc
	global_load_ushort v3, v[16:17], off
	v_add_u32_e32 v2, v2, v14
	v_cmp_le_i32_e32 vcc, s23, v2
	s_or_b64 s[18:19], vcc, s[18:19]
	s_waitcnt vmcnt(0)
	v_cvt_f32_f16_e32 v3, v3
	v_sub_f32_e32 v3, v3, v8
	v_mul_f32_e32 v3, 0x3fb8aa3b, v3
	v_exp_f32_e32 v3, v3
	v_add_f32_e32 v13, v13, v3
	s_andn2_b64 exec, exec, s[18:19]
	s_cbranch_execnz .LBB457_33
; %bb.34:
	s_or_b64 exec, exec, s[18:19]
.LBB457_35:
	s_or_b64 exec, exec, s[6:7]
	ds_bpermute_b32 v2, v1, v13
	s_waitcnt lgkmcnt(0)
	s_barrier
	v_add_f32_e32 v2, v13, v2
	ds_bpermute_b32 v3, v4, v2
	s_waitcnt lgkmcnt(0)
	v_add_f32_e32 v2, v2, v3
	ds_bpermute_b32 v3, v5, v2
	s_waitcnt lgkmcnt(0)
	;; [unrolled: 3-line block ×4, first 2 shown]
	v_add_f32_e32 v2, v2, v3
	ds_bpermute_b32 v3, v9, v2
	s_and_saveexec_b64 s[6:7], s[0:1]
	s_cbranch_execz .LBB457_37
; %bb.36:
	v_add_u32_e32 v10, 0, v10
	s_waitcnt lgkmcnt(0)
	v_add_f32_e32 v2, v2, v3
	ds_write_b32 v10, v2
.LBB457_37:
	s_or_b64 exec, exec, s[6:7]
	v_mov_b32_e32 v2, 0
	s_waitcnt lgkmcnt(0)
	s_barrier
	s_and_saveexec_b64 s[0:1], s[2:3]
	s_cbranch_execnz .LBB457_45
; %bb.38:
	s_or_b64 exec, exec, s[0:1]
	s_and_saveexec_b64 s[0:1], s[4:5]
	s_cbranch_execnz .LBB457_46
.LBB457_39:
	s_or_b64 exec, exec, s[0:1]
	s_and_saveexec_b64 s[0:1], s[8:9]
	s_cbranch_execz .LBB457_41
.LBB457_40:
	s_waitcnt lgkmcnt(0)
	v_div_scale_f32 v1, s[2:3], v2, v2, 1.0
	v_rcp_f32_e32 v3, v1
	v_div_scale_f32 v4, vcc, 1.0, v2, 1.0
	v_fma_f32 v5, -v1, v3, 1.0
	v_fmac_f32_e32 v3, v5, v3
	v_mul_f32_e32 v5, v4, v3
	v_fma_f32 v6, -v1, v5, v4
	v_fmac_f32_e32 v5, v6, v3
	v_fma_f32 v1, -v1, v5, v4
	v_div_fmas_f32 v1, v1, v3, v5
	v_div_fixup_f32 v1, v1, v2, 1.0
	v_mov_b32_e32 v2, 0
	ds_write_b32 v2, v1
.LBB457_41:
	s_or_b64 exec, exec, s[0:1]
	v_cmp_gt_i32_e32 vcc, s24, v0
	s_waitcnt lgkmcnt(0)
	s_barrier
	s_and_saveexec_b64 s[0:1], vcc
	s_cbranch_execz .LBB457_44
; %bb.42:
	v_mov_b32_e32 v1, 0
	ds_read_b32 v2, v1
	s_lshl_b64 s[0:1], s[16:17], 2
	s_add_u32 s2, s12, s0
	s_addc_u32 s3, s13, s1
	s_mov_b64 s[0:1], 0
	v_mov_b32_e32 v3, s15
	v_mov_b32_e32 v4, s3
.LBB457_43:                             ; =>This Inner Loop Header: Depth=1
	v_ashrrev_i32_e32 v1, 31, v0
	v_lshlrev_b64 v[6:7], 1, v[0:1]
	v_add_co_u32_e32 v6, vcc, s14, v6
	v_addc_co_u32_e32 v7, vcc, v3, v7, vcc
	global_load_ushort v5, v[6:7], off
	v_lshlrev_b64 v[6:7], 2, v[0:1]
	v_add_co_u32_e32 v6, vcc, s2, v6
	v_add_u32_e32 v0, s22, v0
	v_addc_co_u32_e32 v7, vcc, v4, v7, vcc
	v_cmp_le_i32_e32 vcc, s24, v0
	s_or_b64 s[0:1], vcc, s[0:1]
	s_waitcnt vmcnt(0)
	v_cvt_f32_f16_e32 v5, v5
	v_sub_f32_e32 v1, v5, v8
	v_mul_f32_e32 v1, 0x3fb8aa3b, v1
	v_exp_f32_e32 v1, v1
	s_waitcnt lgkmcnt(0)
	v_mul_f32_e32 v1, v2, v1
	global_store_dword v[6:7], v1, off
	s_andn2_b64 exec, exec, s[0:1]
	s_cbranch_execnz .LBB457_43
.LBB457_44:
	s_endpgm
.LBB457_45:
	ds_read_b32 v2, v11
	s_or_b64 exec, exec, s[0:1]
	s_and_saveexec_b64 s[0:1], s[4:5]
	s_cbranch_execz .LBB457_39
.LBB457_46:
	s_waitcnt lgkmcnt(0)
	ds_bpermute_b32 v1, v1, v2
	s_waitcnt lgkmcnt(0)
	v_add_f32_e32 v1, v2, v1
	ds_bpermute_b32 v2, v4, v1
	s_waitcnt lgkmcnt(0)
	v_add_f32_e32 v1, v1, v2
	;; [unrolled: 3-line block ×6, first 2 shown]
	s_or_b64 exec, exec, s[0:1]
	s_and_saveexec_b64 s[0:1], s[8:9]
	s_cbranch_execnz .LBB457_40
	s_branch .LBB457_41
	.section	.rodata,"a",@progbits
	.p2align	6, 0x0
	.amdhsa_kernel _ZN2at6native12_GLOBAL__N_123cunn_SoftMaxForwardFastILi8EN3c104HalfEffNS1_29SoftMaxForwardWithMulEpilogueEEEvPT2_PKT0_i
		.amdhsa_group_segment_fixed_size 0
		.amdhsa_private_segment_fixed_size 0
		.amdhsa_kernarg_size 280
		.amdhsa_user_sgpr_count 6
		.amdhsa_user_sgpr_private_segment_buffer 1
		.amdhsa_user_sgpr_dispatch_ptr 0
		.amdhsa_user_sgpr_queue_ptr 0
		.amdhsa_user_sgpr_kernarg_segment_ptr 1
		.amdhsa_user_sgpr_dispatch_id 0
		.amdhsa_user_sgpr_flat_scratch_init 0
		.amdhsa_user_sgpr_kernarg_preload_length 0
		.amdhsa_user_sgpr_kernarg_preload_offset 0
		.amdhsa_user_sgpr_private_segment_size 0
		.amdhsa_uses_dynamic_stack 0
		.amdhsa_system_sgpr_private_segment_wavefront_offset 0
		.amdhsa_system_sgpr_workgroup_id_x 1
		.amdhsa_system_sgpr_workgroup_id_y 0
		.amdhsa_system_sgpr_workgroup_id_z 0
		.amdhsa_system_sgpr_workgroup_info 0
		.amdhsa_system_vgpr_workitem_id 0
		.amdhsa_next_free_vgpr 22
		.amdhsa_next_free_sgpr 28
		.amdhsa_accum_offset 24
		.amdhsa_reserve_vcc 1
		.amdhsa_reserve_flat_scratch 0
		.amdhsa_float_round_mode_32 0
		.amdhsa_float_round_mode_16_64 0
		.amdhsa_float_denorm_mode_32 3
		.amdhsa_float_denorm_mode_16_64 3
		.amdhsa_dx10_clamp 1
		.amdhsa_ieee_mode 1
		.amdhsa_fp16_overflow 0
		.amdhsa_tg_split 0
		.amdhsa_exception_fp_ieee_invalid_op 0
		.amdhsa_exception_fp_denorm_src 0
		.amdhsa_exception_fp_ieee_div_zero 0
		.amdhsa_exception_fp_ieee_overflow 0
		.amdhsa_exception_fp_ieee_underflow 0
		.amdhsa_exception_fp_ieee_inexact 0
		.amdhsa_exception_int_div_zero 0
	.end_amdhsa_kernel
	.section	.text._ZN2at6native12_GLOBAL__N_123cunn_SoftMaxForwardFastILi8EN3c104HalfEffNS1_29SoftMaxForwardWithMulEpilogueEEEvPT2_PKT0_i,"axG",@progbits,_ZN2at6native12_GLOBAL__N_123cunn_SoftMaxForwardFastILi8EN3c104HalfEffNS1_29SoftMaxForwardWithMulEpilogueEEEvPT2_PKT0_i,comdat
.Lfunc_end457:
	.size	_ZN2at6native12_GLOBAL__N_123cunn_SoftMaxForwardFastILi8EN3c104HalfEffNS1_29SoftMaxForwardWithMulEpilogueEEEvPT2_PKT0_i, .Lfunc_end457-_ZN2at6native12_GLOBAL__N_123cunn_SoftMaxForwardFastILi8EN3c104HalfEffNS1_29SoftMaxForwardWithMulEpilogueEEEvPT2_PKT0_i
                                        ; -- End function
	.section	.AMDGPU.csdata,"",@progbits
; Kernel info:
; codeLenInByte = 2540
; NumSgprs: 32
; NumVgprs: 22
; NumAgprs: 0
; TotalNumVgprs: 22
; ScratchSize: 0
; MemoryBound: 0
; FloatMode: 240
; IeeeMode: 1
; LDSByteSize: 0 bytes/workgroup (compile time only)
; SGPRBlocks: 3
; VGPRBlocks: 2
; NumSGPRsForWavesPerEU: 32
; NumVGPRsForWavesPerEU: 22
; AccumOffset: 24
; Occupancy: 8
; WaveLimiterHint : 0
; COMPUTE_PGM_RSRC2:SCRATCH_EN: 0
; COMPUTE_PGM_RSRC2:USER_SGPR: 6
; COMPUTE_PGM_RSRC2:TRAP_HANDLER: 0
; COMPUTE_PGM_RSRC2:TGID_X_EN: 1
; COMPUTE_PGM_RSRC2:TGID_Y_EN: 0
; COMPUTE_PGM_RSRC2:TGID_Z_EN: 0
; COMPUTE_PGM_RSRC2:TIDIG_COMP_CNT: 0
; COMPUTE_PGM_RSRC3_GFX90A:ACCUM_OFFSET: 5
; COMPUTE_PGM_RSRC3_GFX90A:TG_SPLIT: 0
	.section	.text._ZN12_GLOBAL__N_120softmax_warp_forwardIN3c108BFloat16ES2_fLi0ELb0ELb0ELi64EEEvPT0_PKT_iiiPKbib,"axG",@progbits,_ZN12_GLOBAL__N_120softmax_warp_forwardIN3c108BFloat16ES2_fLi0ELb0ELb0ELi64EEEvPT0_PKT_iiiPKbib,comdat
	.globl	_ZN12_GLOBAL__N_120softmax_warp_forwardIN3c108BFloat16ES2_fLi0ELb0ELb0ELi64EEEvPT0_PKT_iiiPKbib ; -- Begin function _ZN12_GLOBAL__N_120softmax_warp_forwardIN3c108BFloat16ES2_fLi0ELb0ELb0ELi64EEEvPT0_PKT_iiiPKbib
	.p2align	8
	.type	_ZN12_GLOBAL__N_120softmax_warp_forwardIN3c108BFloat16ES2_fLi0ELb0ELb0ELi64EEEvPT0_PKT_iiiPKbib,@function
_ZN12_GLOBAL__N_120softmax_warp_forwardIN3c108BFloat16ES2_fLi0ELb0ELb0ELi64EEEvPT0_PKT_iiiPKbib: ; @_ZN12_GLOBAL__N_120softmax_warp_forwardIN3c108BFloat16ES2_fLi0ELb0ELb0ELi64EEEvPT0_PKT_iiiPKbib
; %bb.0:
	s_load_dword s0, s[4:5], 0x3c
	s_load_dwordx8 s[8:15], s[4:5], 0x0
	v_bfe_u32 v1, v0, 10, 10
	v_and_b32_e32 v2, 0x3ff, v0
	s_waitcnt lgkmcnt(0)
	s_lshr_b32 s0, s0, 16
	s_mul_i32 s6, s6, s0
	v_add_lshl_u32 v1, s6, v1, 1
	v_sub_u32_e32 v6, s12, v1
	v_mad_u64_u32 v[0:1], s[0:1], v1, s13, v[2:3]
	v_ashrrev_i32_e32 v1, 31, v0
	v_lshlrev_b64 v[0:1], 1, v[0:1]
	v_mov_b32_e32 v3, s11
	v_add_co_u32_e32 v4, vcc, s10, v0
	v_addc_co_u32_e32 v5, vcc, v3, v1, vcc
	v_cmp_gt_i32_e64 s[0:1], s14, v2
	v_cmp_lt_i32_e32 vcc, 0, v6
	s_and_b64 s[4:5], s[0:1], vcc
	v_mov_b32_e32 v3, 0xff800000
	v_mov_b32_e32 v2, 0xff800000
	s_and_saveexec_b64 s[2:3], s[4:5]
	s_cbranch_execz .LBB458_2
; %bb.1:
	global_load_ushort v2, v[4:5], off
	s_waitcnt vmcnt(0)
	v_lshlrev_b32_e32 v2, 16, v2
.LBB458_2:
	s_or_b64 exec, exec, s[2:3]
	v_cmp_lt_i32_e64 s[2:3], 1, v6
	s_and_b64 s[2:3], s[0:1], s[2:3]
	s_and_saveexec_b64 s[4:5], s[2:3]
	s_cbranch_execz .LBB458_4
; %bb.3:
	s_mov_b32 s15, 0
	s_lshl_b64 s[2:3], s[14:15], 1
	v_mov_b32_e32 v3, s3
	v_add_co_u32_e64 v4, s[2:3], s2, v4
	v_addc_co_u32_e64 v5, s[2:3], v5, v3, s[2:3]
	global_load_ushort v3, v[4:5], off
	s_waitcnt vmcnt(0)
	v_lshlrev_b32_e32 v3, 16, v3
.LBB458_4:
	s_or_b64 exec, exec, s[4:5]
	s_and_saveexec_b64 s[2:3], vcc
	s_cbranch_execz .LBB458_12
; %bb.5:
	v_pk_add_f32 v[4:5], v[2:3], v[2:3] neg_lo:[0,1] neg_hi:[0,1]
	s_mov_b32 s2, 0x3fb8aa3b
	v_mul_f32_e32 v2, 0x3fb8aa3b, v5
	v_fma_f32 v3, v5, s2, -v2
	v_rndne_f32_e32 v7, v2
	v_fmac_f32_e32 v3, 0x32a5705f, v5
	v_sub_f32_e32 v2, v2, v7
	v_add_f32_e32 v2, v2, v3
	v_exp_f32_e32 v2, v2
	v_cvt_i32_f32_e32 v3, v7
	s_mov_b32 s3, 0xc2ce8ed0
	v_cmp_ngt_f32_e32 vcc, s3, v5
	s_mov_b32 s4, 0x42b17218
	v_ldexp_f32 v2, v2, v3
	v_mul_f32_e32 v3, 0x3fb8aa3b, v4
	v_fma_f32 v7, v4, s2, -v3
	v_rndne_f32_e32 v8, v3
	v_fmac_f32_e32 v7, 0x32a5705f, v4
	v_sub_f32_e32 v3, v3, v8
	v_add_f32_e32 v3, v3, v7
	v_exp_f32_e32 v3, v3
	v_cvt_i32_f32_e32 v7, v8
	v_cndmask_b32_e32 v2, 0, v2, vcc
	v_mov_b32_e32 v8, 0x7f800000
	v_cmp_nlt_f32_e32 vcc, s4, v5
	v_cndmask_b32_e32 v2, v8, v2, vcc
	v_ldexp_f32 v3, v3, v7
	v_cmp_ngt_f32_e32 vcc, s3, v4
	v_cndmask_b32_e32 v3, 0, v3, vcc
	v_cmp_nlt_f32_e32 vcc, s4, v4
	v_cndmask_b32_e32 v3, v8, v3, vcc
	v_mov_b32_e32 v4, s9
	v_add_co_u32_e32 v0, vcc, s8, v0
	v_addc_co_u32_e32 v1, vcc, v4, v1, vcc
	s_and_saveexec_b64 s[2:3], s[0:1]
	s_cbranch_execz .LBB458_9
; %bb.6:
	v_cmp_neq_f32_e32 vcc, 0, v3
	v_mov_b32_e32 v4, 0x7fc0
	s_and_saveexec_b64 s[4:5], vcc
	s_cbranch_execz .LBB458_8
; %bb.7:
	v_div_scale_f32 v4, vcc, v3, v3, v3
	v_rcp_f32_e32 v5, v4
	s_movk_i32 s6, 0x7fff
	v_fma_f32 v7, -v4, v5, 1.0
	v_fmac_f32_e32 v5, v7, v5
	v_mul_f32_e32 v7, v4, v5
	v_fma_f32 v8, -v4, v7, v4
	v_fmac_f32_e32 v7, v8, v5
	v_fma_f32 v4, -v4, v7, v4
	v_div_fmas_f32 v4, v4, v5, v7
	v_div_fixup_f32 v3, v4, v3, v3
	v_bfe_u32 v4, v3, 16, 1
	v_add3_u32 v4, v3, v4, s6
	v_lshrrev_b32_e32 v4, 16, v4
	v_mov_b32_e32 v5, 0x7fc0
	v_cmp_o_f32_e32 vcc, v3, v3
	v_cndmask_b32_e32 v4, v5, v4, vcc
.LBB458_8:
	s_or_b64 exec, exec, s[4:5]
	global_store_short v[0:1], v4, off
.LBB458_9:
	s_or_b64 exec, exec, s[2:3]
	v_cmp_ne_u32_e32 vcc, 1, v6
	s_and_b64 exec, exec, vcc
	s_cbranch_execz .LBB458_12
; %bb.10:
	s_and_b64 exec, exec, s[0:1]
	s_cbranch_execz .LBB458_12
; %bb.11:
	v_div_scale_f32 v3, vcc, v2, v2, v2
	v_rcp_f32_e32 v4, v3
	v_cmp_eq_f32_e64 s[0:1], 0, v2
	s_mov_b32 s15, 0
	s_movk_i32 s2, 0x7fff
	v_fma_f32 v5, -v3, v4, 1.0
	v_fmac_f32_e32 v4, v5, v4
	v_mul_f32_e32 v5, v3, v4
	v_fma_f32 v6, -v3, v5, v3
	v_fmac_f32_e32 v5, v6, v4
	v_fma_f32 v3, -v3, v5, v3
	v_div_fmas_f32 v3, v3, v4, v5
	v_div_fixup_f32 v2, v3, v2, v2
	v_bfe_u32 v3, v2, 16, 1
	v_cmp_u_f32_e32 vcc, v2, v2
	v_add3_u32 v2, v2, v3, s2
	s_lshl_b64 s[2:3], s[14:15], 1
	v_mov_b32_e32 v3, s3
	v_add_co_u32_e64 v0, s[2:3], s2, v0
	v_lshrrev_b32_e32 v2, 16, v2
	v_addc_co_u32_e64 v1, s[2:3], v1, v3, s[2:3]
	v_mov_b32_e32 v3, 0x7fc0
	s_or_b64 vcc, s[0:1], vcc
	v_cndmask_b32_e32 v2, v2, v3, vcc
	global_store_short v[0:1], v2, off
.LBB458_12:
	s_endpgm
	.section	.rodata,"a",@progbits
	.p2align	6, 0x0
	.amdhsa_kernel _ZN12_GLOBAL__N_120softmax_warp_forwardIN3c108BFloat16ES2_fLi0ELb0ELb0ELi64EEEvPT0_PKT_iiiPKbib
		.amdhsa_group_segment_fixed_size 0
		.amdhsa_private_segment_fixed_size 0
		.amdhsa_kernarg_size 304
		.amdhsa_user_sgpr_count 6
		.amdhsa_user_sgpr_private_segment_buffer 1
		.amdhsa_user_sgpr_dispatch_ptr 0
		.amdhsa_user_sgpr_queue_ptr 0
		.amdhsa_user_sgpr_kernarg_segment_ptr 1
		.amdhsa_user_sgpr_dispatch_id 0
		.amdhsa_user_sgpr_flat_scratch_init 0
		.amdhsa_user_sgpr_kernarg_preload_length 0
		.amdhsa_user_sgpr_kernarg_preload_offset 0
		.amdhsa_user_sgpr_private_segment_size 0
		.amdhsa_uses_dynamic_stack 0
		.amdhsa_system_sgpr_private_segment_wavefront_offset 0
		.amdhsa_system_sgpr_workgroup_id_x 1
		.amdhsa_system_sgpr_workgroup_id_y 0
		.amdhsa_system_sgpr_workgroup_id_z 0
		.amdhsa_system_sgpr_workgroup_info 0
		.amdhsa_system_vgpr_workitem_id 1
		.amdhsa_next_free_vgpr 9
		.amdhsa_next_free_sgpr 16
		.amdhsa_accum_offset 12
		.amdhsa_reserve_vcc 1
		.amdhsa_reserve_flat_scratch 0
		.amdhsa_float_round_mode_32 0
		.amdhsa_float_round_mode_16_64 0
		.amdhsa_float_denorm_mode_32 3
		.amdhsa_float_denorm_mode_16_64 3
		.amdhsa_dx10_clamp 1
		.amdhsa_ieee_mode 1
		.amdhsa_fp16_overflow 0
		.amdhsa_tg_split 0
		.amdhsa_exception_fp_ieee_invalid_op 0
		.amdhsa_exception_fp_denorm_src 0
		.amdhsa_exception_fp_ieee_div_zero 0
		.amdhsa_exception_fp_ieee_overflow 0
		.amdhsa_exception_fp_ieee_underflow 0
		.amdhsa_exception_fp_ieee_inexact 0
		.amdhsa_exception_int_div_zero 0
	.end_amdhsa_kernel
	.section	.text._ZN12_GLOBAL__N_120softmax_warp_forwardIN3c108BFloat16ES2_fLi0ELb0ELb0ELi64EEEvPT0_PKT_iiiPKbib,"axG",@progbits,_ZN12_GLOBAL__N_120softmax_warp_forwardIN3c108BFloat16ES2_fLi0ELb0ELb0ELi64EEEvPT0_PKT_iiiPKbib,comdat
.Lfunc_end458:
	.size	_ZN12_GLOBAL__N_120softmax_warp_forwardIN3c108BFloat16ES2_fLi0ELb0ELb0ELi64EEEvPT0_PKT_iiiPKbib, .Lfunc_end458-_ZN12_GLOBAL__N_120softmax_warp_forwardIN3c108BFloat16ES2_fLi0ELb0ELb0ELi64EEEvPT0_PKT_iiiPKbib
                                        ; -- End function
	.section	.AMDGPU.csdata,"",@progbits
; Kernel info:
; codeLenInByte = 736
; NumSgprs: 20
; NumVgprs: 9
; NumAgprs: 0
; TotalNumVgprs: 9
; ScratchSize: 0
; MemoryBound: 0
; FloatMode: 240
; IeeeMode: 1
; LDSByteSize: 0 bytes/workgroup (compile time only)
; SGPRBlocks: 2
; VGPRBlocks: 1
; NumSGPRsForWavesPerEU: 20
; NumVGPRsForWavesPerEU: 9
; AccumOffset: 12
; Occupancy: 8
; WaveLimiterHint : 0
; COMPUTE_PGM_RSRC2:SCRATCH_EN: 0
; COMPUTE_PGM_RSRC2:USER_SGPR: 6
; COMPUTE_PGM_RSRC2:TRAP_HANDLER: 0
; COMPUTE_PGM_RSRC2:TGID_X_EN: 1
; COMPUTE_PGM_RSRC2:TGID_Y_EN: 0
; COMPUTE_PGM_RSRC2:TGID_Z_EN: 0
; COMPUTE_PGM_RSRC2:TIDIG_COMP_CNT: 1
; COMPUTE_PGM_RSRC3_GFX90A:ACCUM_OFFSET: 2
; COMPUTE_PGM_RSRC3_GFX90A:TG_SPLIT: 0
	.section	.text._ZN12_GLOBAL__N_120softmax_warp_forwardIN3c108BFloat16ES2_fLi0ELb0ELb0ELi32EEEvPT0_PKT_iiiPKbib,"axG",@progbits,_ZN12_GLOBAL__N_120softmax_warp_forwardIN3c108BFloat16ES2_fLi0ELb0ELb0ELi32EEEvPT0_PKT_iiiPKbib,comdat
	.globl	_ZN12_GLOBAL__N_120softmax_warp_forwardIN3c108BFloat16ES2_fLi0ELb0ELb0ELi32EEEvPT0_PKT_iiiPKbib ; -- Begin function _ZN12_GLOBAL__N_120softmax_warp_forwardIN3c108BFloat16ES2_fLi0ELb0ELb0ELi32EEEvPT0_PKT_iiiPKbib
	.p2align	8
	.type	_ZN12_GLOBAL__N_120softmax_warp_forwardIN3c108BFloat16ES2_fLi0ELb0ELb0ELi32EEEvPT0_PKT_iiiPKbib,@function
_ZN12_GLOBAL__N_120softmax_warp_forwardIN3c108BFloat16ES2_fLi0ELb0ELb0ELi32EEEvPT0_PKT_iiiPKbib: ; @_ZN12_GLOBAL__N_120softmax_warp_forwardIN3c108BFloat16ES2_fLi0ELb0ELb0ELi32EEEvPT0_PKT_iiiPKbib
; %bb.0:
	s_load_dword s0, s[4:5], 0x3c
	s_load_dwordx8 s[8:15], s[4:5], 0x0
	v_bfe_u32 v1, v0, 10, 10
	v_and_b32_e32 v2, 0x3ff, v0
	s_waitcnt lgkmcnt(0)
	s_lshr_b32 s0, s0, 16
	s_mul_i32 s6, s6, s0
	v_add_lshl_u32 v1, s6, v1, 1
	v_sub_u32_e32 v6, s12, v1
	v_mad_u64_u32 v[0:1], s[0:1], v1, s13, v[2:3]
	v_ashrrev_i32_e32 v1, 31, v0
	v_lshlrev_b64 v[0:1], 1, v[0:1]
	v_mov_b32_e32 v3, s11
	v_add_co_u32_e32 v4, vcc, s10, v0
	v_addc_co_u32_e32 v5, vcc, v3, v1, vcc
	v_cmp_gt_i32_e64 s[0:1], s14, v2
	v_cmp_lt_i32_e32 vcc, 0, v6
	s_and_b64 s[4:5], s[0:1], vcc
	v_mov_b32_e32 v3, 0xff800000
	v_mov_b32_e32 v2, 0xff800000
	s_and_saveexec_b64 s[2:3], s[4:5]
	s_cbranch_execz .LBB459_2
; %bb.1:
	global_load_ushort v2, v[4:5], off
	s_waitcnt vmcnt(0)
	v_lshlrev_b32_e32 v2, 16, v2
.LBB459_2:
	s_or_b64 exec, exec, s[2:3]
	v_cmp_lt_i32_e64 s[2:3], 1, v6
	s_and_b64 s[2:3], s[0:1], s[2:3]
	s_and_saveexec_b64 s[4:5], s[2:3]
	s_cbranch_execz .LBB459_4
; %bb.3:
	s_mov_b32 s15, 0
	s_lshl_b64 s[2:3], s[14:15], 1
	v_mov_b32_e32 v3, s3
	v_add_co_u32_e64 v4, s[2:3], s2, v4
	v_addc_co_u32_e64 v5, s[2:3], v5, v3, s[2:3]
	global_load_ushort v3, v[4:5], off
	s_waitcnt vmcnt(0)
	v_lshlrev_b32_e32 v3, 16, v3
.LBB459_4:
	s_or_b64 exec, exec, s[4:5]
	s_and_saveexec_b64 s[2:3], vcc
	s_cbranch_execz .LBB459_12
; %bb.5:
	v_pk_add_f32 v[4:5], v[2:3], v[2:3] neg_lo:[0,1] neg_hi:[0,1]
	s_mov_b32 s2, 0x3fb8aa3b
	v_mul_f32_e32 v2, 0x3fb8aa3b, v5
	v_fma_f32 v3, v5, s2, -v2
	v_rndne_f32_e32 v7, v2
	v_fmac_f32_e32 v3, 0x32a5705f, v5
	v_sub_f32_e32 v2, v2, v7
	v_add_f32_e32 v2, v2, v3
	v_exp_f32_e32 v2, v2
	v_cvt_i32_f32_e32 v3, v7
	s_mov_b32 s3, 0xc2ce8ed0
	v_cmp_ngt_f32_e32 vcc, s3, v5
	s_mov_b32 s4, 0x42b17218
	v_ldexp_f32 v2, v2, v3
	v_mul_f32_e32 v3, 0x3fb8aa3b, v4
	v_fma_f32 v7, v4, s2, -v3
	v_rndne_f32_e32 v8, v3
	v_fmac_f32_e32 v7, 0x32a5705f, v4
	v_sub_f32_e32 v3, v3, v8
	v_add_f32_e32 v3, v3, v7
	v_exp_f32_e32 v3, v3
	v_cvt_i32_f32_e32 v7, v8
	v_cndmask_b32_e32 v2, 0, v2, vcc
	v_mov_b32_e32 v8, 0x7f800000
	v_cmp_nlt_f32_e32 vcc, s4, v5
	v_cndmask_b32_e32 v2, v8, v2, vcc
	v_ldexp_f32 v3, v3, v7
	v_cmp_ngt_f32_e32 vcc, s3, v4
	v_cndmask_b32_e32 v3, 0, v3, vcc
	v_cmp_nlt_f32_e32 vcc, s4, v4
	v_cndmask_b32_e32 v3, v8, v3, vcc
	v_mov_b32_e32 v4, s9
	v_add_co_u32_e32 v0, vcc, s8, v0
	v_addc_co_u32_e32 v1, vcc, v4, v1, vcc
	s_and_saveexec_b64 s[2:3], s[0:1]
	s_cbranch_execz .LBB459_9
; %bb.6:
	v_cmp_neq_f32_e32 vcc, 0, v3
	v_mov_b32_e32 v4, 0x7fc0
	s_and_saveexec_b64 s[4:5], vcc
	s_cbranch_execz .LBB459_8
; %bb.7:
	v_div_scale_f32 v4, vcc, v3, v3, v3
	v_rcp_f32_e32 v5, v4
	s_movk_i32 s6, 0x7fff
	v_fma_f32 v7, -v4, v5, 1.0
	v_fmac_f32_e32 v5, v7, v5
	v_mul_f32_e32 v7, v4, v5
	v_fma_f32 v8, -v4, v7, v4
	v_fmac_f32_e32 v7, v8, v5
	v_fma_f32 v4, -v4, v7, v4
	v_div_fmas_f32 v4, v4, v5, v7
	v_div_fixup_f32 v3, v4, v3, v3
	v_bfe_u32 v4, v3, 16, 1
	v_add3_u32 v4, v3, v4, s6
	v_lshrrev_b32_e32 v4, 16, v4
	v_mov_b32_e32 v5, 0x7fc0
	v_cmp_o_f32_e32 vcc, v3, v3
	v_cndmask_b32_e32 v4, v5, v4, vcc
.LBB459_8:
	s_or_b64 exec, exec, s[4:5]
	global_store_short v[0:1], v4, off
.LBB459_9:
	s_or_b64 exec, exec, s[2:3]
	v_cmp_ne_u32_e32 vcc, 1, v6
	s_and_b64 exec, exec, vcc
	s_cbranch_execz .LBB459_12
; %bb.10:
	s_and_b64 exec, exec, s[0:1]
	s_cbranch_execz .LBB459_12
; %bb.11:
	v_div_scale_f32 v3, vcc, v2, v2, v2
	v_rcp_f32_e32 v4, v3
	v_cmp_eq_f32_e64 s[0:1], 0, v2
	s_mov_b32 s15, 0
	s_movk_i32 s2, 0x7fff
	v_fma_f32 v5, -v3, v4, 1.0
	v_fmac_f32_e32 v4, v5, v4
	v_mul_f32_e32 v5, v3, v4
	v_fma_f32 v6, -v3, v5, v3
	v_fmac_f32_e32 v5, v6, v4
	v_fma_f32 v3, -v3, v5, v3
	v_div_fmas_f32 v3, v3, v4, v5
	v_div_fixup_f32 v2, v3, v2, v2
	v_bfe_u32 v3, v2, 16, 1
	v_cmp_u_f32_e32 vcc, v2, v2
	v_add3_u32 v2, v2, v3, s2
	s_lshl_b64 s[2:3], s[14:15], 1
	v_mov_b32_e32 v3, s3
	v_add_co_u32_e64 v0, s[2:3], s2, v0
	v_lshrrev_b32_e32 v2, 16, v2
	v_addc_co_u32_e64 v1, s[2:3], v1, v3, s[2:3]
	v_mov_b32_e32 v3, 0x7fc0
	s_or_b64 vcc, s[0:1], vcc
	v_cndmask_b32_e32 v2, v2, v3, vcc
	global_store_short v[0:1], v2, off
.LBB459_12:
	s_endpgm
	.section	.rodata,"a",@progbits
	.p2align	6, 0x0
	.amdhsa_kernel _ZN12_GLOBAL__N_120softmax_warp_forwardIN3c108BFloat16ES2_fLi0ELb0ELb0ELi32EEEvPT0_PKT_iiiPKbib
		.amdhsa_group_segment_fixed_size 0
		.amdhsa_private_segment_fixed_size 0
		.amdhsa_kernarg_size 304
		.amdhsa_user_sgpr_count 6
		.amdhsa_user_sgpr_private_segment_buffer 1
		.amdhsa_user_sgpr_dispatch_ptr 0
		.amdhsa_user_sgpr_queue_ptr 0
		.amdhsa_user_sgpr_kernarg_segment_ptr 1
		.amdhsa_user_sgpr_dispatch_id 0
		.amdhsa_user_sgpr_flat_scratch_init 0
		.amdhsa_user_sgpr_kernarg_preload_length 0
		.amdhsa_user_sgpr_kernarg_preload_offset 0
		.amdhsa_user_sgpr_private_segment_size 0
		.amdhsa_uses_dynamic_stack 0
		.amdhsa_system_sgpr_private_segment_wavefront_offset 0
		.amdhsa_system_sgpr_workgroup_id_x 1
		.amdhsa_system_sgpr_workgroup_id_y 0
		.amdhsa_system_sgpr_workgroup_id_z 0
		.amdhsa_system_sgpr_workgroup_info 0
		.amdhsa_system_vgpr_workitem_id 1
		.amdhsa_next_free_vgpr 9
		.amdhsa_next_free_sgpr 16
		.amdhsa_accum_offset 12
		.amdhsa_reserve_vcc 1
		.amdhsa_reserve_flat_scratch 0
		.amdhsa_float_round_mode_32 0
		.amdhsa_float_round_mode_16_64 0
		.amdhsa_float_denorm_mode_32 3
		.amdhsa_float_denorm_mode_16_64 3
		.amdhsa_dx10_clamp 1
		.amdhsa_ieee_mode 1
		.amdhsa_fp16_overflow 0
		.amdhsa_tg_split 0
		.amdhsa_exception_fp_ieee_invalid_op 0
		.amdhsa_exception_fp_denorm_src 0
		.amdhsa_exception_fp_ieee_div_zero 0
		.amdhsa_exception_fp_ieee_overflow 0
		.amdhsa_exception_fp_ieee_underflow 0
		.amdhsa_exception_fp_ieee_inexact 0
		.amdhsa_exception_int_div_zero 0
	.end_amdhsa_kernel
	.section	.text._ZN12_GLOBAL__N_120softmax_warp_forwardIN3c108BFloat16ES2_fLi0ELb0ELb0ELi32EEEvPT0_PKT_iiiPKbib,"axG",@progbits,_ZN12_GLOBAL__N_120softmax_warp_forwardIN3c108BFloat16ES2_fLi0ELb0ELb0ELi32EEEvPT0_PKT_iiiPKbib,comdat
.Lfunc_end459:
	.size	_ZN12_GLOBAL__N_120softmax_warp_forwardIN3c108BFloat16ES2_fLi0ELb0ELb0ELi32EEEvPT0_PKT_iiiPKbib, .Lfunc_end459-_ZN12_GLOBAL__N_120softmax_warp_forwardIN3c108BFloat16ES2_fLi0ELb0ELb0ELi32EEEvPT0_PKT_iiiPKbib
                                        ; -- End function
	.section	.AMDGPU.csdata,"",@progbits
; Kernel info:
; codeLenInByte = 736
; NumSgprs: 20
; NumVgprs: 9
; NumAgprs: 0
; TotalNumVgprs: 9
; ScratchSize: 0
; MemoryBound: 0
; FloatMode: 240
; IeeeMode: 1
; LDSByteSize: 0 bytes/workgroup (compile time only)
; SGPRBlocks: 2
; VGPRBlocks: 1
; NumSGPRsForWavesPerEU: 20
; NumVGPRsForWavesPerEU: 9
; AccumOffset: 12
; Occupancy: 8
; WaveLimiterHint : 0
; COMPUTE_PGM_RSRC2:SCRATCH_EN: 0
; COMPUTE_PGM_RSRC2:USER_SGPR: 6
; COMPUTE_PGM_RSRC2:TRAP_HANDLER: 0
; COMPUTE_PGM_RSRC2:TGID_X_EN: 1
; COMPUTE_PGM_RSRC2:TGID_Y_EN: 0
; COMPUTE_PGM_RSRC2:TGID_Z_EN: 0
; COMPUTE_PGM_RSRC2:TIDIG_COMP_CNT: 1
; COMPUTE_PGM_RSRC3_GFX90A:ACCUM_OFFSET: 2
; COMPUTE_PGM_RSRC3_GFX90A:TG_SPLIT: 0
	.section	.text._ZN12_GLOBAL__N_120softmax_warp_forwardIN3c108BFloat16ES2_fLi1ELb0ELb0ELi64EEEvPT0_PKT_iiiPKbib,"axG",@progbits,_ZN12_GLOBAL__N_120softmax_warp_forwardIN3c108BFloat16ES2_fLi1ELb0ELb0ELi64EEEvPT0_PKT_iiiPKbib,comdat
	.globl	_ZN12_GLOBAL__N_120softmax_warp_forwardIN3c108BFloat16ES2_fLi1ELb0ELb0ELi64EEEvPT0_PKT_iiiPKbib ; -- Begin function _ZN12_GLOBAL__N_120softmax_warp_forwardIN3c108BFloat16ES2_fLi1ELb0ELb0ELi64EEEvPT0_PKT_iiiPKbib
	.p2align	8
	.type	_ZN12_GLOBAL__N_120softmax_warp_forwardIN3c108BFloat16ES2_fLi1ELb0ELb0ELi64EEEvPT0_PKT_iiiPKbib,@function
_ZN12_GLOBAL__N_120softmax_warp_forwardIN3c108BFloat16ES2_fLi1ELb0ELb0ELi64EEEvPT0_PKT_iiiPKbib: ; @_ZN12_GLOBAL__N_120softmax_warp_forwardIN3c108BFloat16ES2_fLi1ELb0ELb0ELi64EEEvPT0_PKT_iiiPKbib
; %bb.0:
	s_load_dword s0, s[4:5], 0x3c
	s_load_dwordx8 s[8:15], s[4:5], 0x0
	v_bfe_u32 v1, v0, 10, 10
	v_and_b32_e32 v2, 0x3ff, v0
	s_waitcnt lgkmcnt(0)
	s_lshr_b32 s0, s0, 16
	s_mul_i32 s6, s6, s0
	v_add_lshl_u32 v1, s6, v1, 1
	v_sub_u32_e32 v6, s12, v1
	v_mad_u64_u32 v[0:1], s[0:1], v1, s13, v[2:3]
	v_ashrrev_i32_e32 v1, 31, v0
	v_lshlrev_b64 v[0:1], 1, v[0:1]
	v_mov_b32_e32 v3, s11
	v_add_co_u32_e32 v4, vcc, s10, v0
	v_addc_co_u32_e32 v5, vcc, v3, v1, vcc
	v_cmp_gt_i32_e64 s[0:1], s14, v2
	v_cmp_lt_i32_e32 vcc, 0, v6
	s_and_b64 s[4:5], s[0:1], vcc
	v_mov_b32_e32 v3, 0xff800000
	v_mov_b32_e32 v2, 0xff800000
	s_and_saveexec_b64 s[2:3], s[4:5]
	s_cbranch_execz .LBB460_2
; %bb.1:
	global_load_ushort v2, v[4:5], off
	s_waitcnt vmcnt(0)
	v_lshlrev_b32_e32 v2, 16, v2
.LBB460_2:
	s_or_b64 exec, exec, s[2:3]
	v_cmp_lt_i32_e64 s[2:3], 1, v6
	s_and_b64 s[2:3], s[0:1], s[2:3]
	s_and_saveexec_b64 s[4:5], s[2:3]
	s_cbranch_execz .LBB460_4
; %bb.3:
	s_mov_b32 s15, 0
	s_lshl_b64 s[2:3], s[14:15], 1
	v_mov_b32_e32 v3, s3
	v_add_co_u32_e64 v4, s[2:3], s2, v4
	v_addc_co_u32_e64 v5, s[2:3], v5, v3, s[2:3]
	global_load_ushort v3, v[4:5], off
	s_waitcnt vmcnt(0)
	v_lshlrev_b32_e32 v3, 16, v3
.LBB460_4:
	s_or_b64 exec, exec, s[4:5]
	v_mbcnt_lo_u32_b32 v4, -1, 0
	v_mbcnt_hi_u32_b32 v4, -1, v4
	v_and_b32_e32 v7, 0x7e, v4
	v_xor_b32_e32 v5, 1, v4
	v_add_u32_e32 v7, 2, v7
	v_cmp_lt_i32_e64 s[2:3], v5, v7
	v_cndmask_b32_e64 v4, v4, v5, s[2:3]
	v_lshlrev_b32_e32 v7, 2, v4
	ds_bpermute_b32 v4, v7, v3
	ds_bpermute_b32 v8, v7, v2
	s_mov_b32 s4, 0x3fb8aa3b
	s_mov_b32 s5, 0xc2ce8ed0
	s_mov_b32 s6, 0x42b17218
	s_waitcnt lgkmcnt(1)
	v_cmp_lt_f32_e64 s[2:3], v3, v4
	v_cndmask_b32_e64 v5, v3, v4, s[2:3]
	s_waitcnt lgkmcnt(0)
	v_cmp_lt_f32_e64 s[2:3], v2, v8
	v_cndmask_b32_e64 v4, v2, v8, s[2:3]
	v_pk_add_f32 v[2:3], v[2:3], v[4:5] neg_lo:[0,1] neg_hi:[0,1]
	v_mul_f32_e32 v4, 0x3fb8aa3b, v3
	v_fma_f32 v5, v3, s4, -v4
	v_rndne_f32_e32 v8, v4
	v_fmac_f32_e32 v5, 0x32a5705f, v3
	v_sub_f32_e32 v4, v4, v8
	v_add_f32_e32 v4, v4, v5
	v_exp_f32_e32 v4, v4
	v_cvt_i32_f32_e32 v5, v8
	v_cmp_ngt_f32_e64 s[2:3], s5, v3
	v_ldexp_f32 v4, v4, v5
	v_mul_f32_e32 v5, 0x3fb8aa3b, v2
	v_fma_f32 v8, v2, s4, -v5
	v_rndne_f32_e32 v9, v5
	v_fmac_f32_e32 v8, 0x32a5705f, v2
	v_sub_f32_e32 v5, v5, v9
	v_add_f32_e32 v5, v5, v8
	v_exp_f32_e32 v5, v5
	v_cvt_i32_f32_e32 v8, v9
	v_cndmask_b32_e64 v4, 0, v4, s[2:3]
	v_mov_b32_e32 v9, 0x7f800000
	v_cmp_nlt_f32_e64 s[2:3], s6, v3
	v_cndmask_b32_e64 v3, v9, v4, s[2:3]
	v_ldexp_f32 v4, v5, v8
	v_cmp_ngt_f32_e64 s[2:3], s5, v2
	v_cndmask_b32_e64 v4, 0, v4, s[2:3]
	v_cmp_nlt_f32_e64 s[2:3], s6, v2
	v_cndmask_b32_e64 v2, v9, v4, s[2:3]
	ds_bpermute_b32 v4, v7, v2
	ds_bpermute_b32 v5, v7, v3
	s_and_saveexec_b64 s[2:3], vcc
	s_cbranch_execz .LBB460_12
; %bb.5:
	v_mov_b32_e32 v7, s9
	v_add_co_u32_e32 v0, vcc, s8, v0
	v_addc_co_u32_e32 v1, vcc, v7, v1, vcc
	s_waitcnt lgkmcnt(0)
	v_pk_add_f32 v[4:5], v[2:3], v[4:5]
	s_and_saveexec_b64 s[2:3], s[0:1]
	s_cbranch_execz .LBB460_9
; %bb.6:
	v_cmp_neq_f32_e32 vcc, 0, v4
	v_mov_b32_e32 v7, 0x7fc0
	s_and_saveexec_b64 s[4:5], vcc
	s_cbranch_execz .LBB460_8
; %bb.7:
	v_div_scale_f32 v7, s[6:7], v4, v4, v2
	v_rcp_f32_e32 v8, v7
	v_div_scale_f32 v9, vcc, v2, v4, v2
	s_movk_i32 s6, 0x7fff
	v_fma_f32 v10, -v7, v8, 1.0
	v_fmac_f32_e32 v8, v10, v8
	v_mul_f32_e32 v10, v9, v8
	v_fma_f32 v11, -v7, v10, v9
	v_fmac_f32_e32 v10, v11, v8
	v_fma_f32 v7, -v7, v10, v9
	v_div_fmas_f32 v7, v7, v8, v10
	v_div_fixup_f32 v2, v7, v4, v2
	v_bfe_u32 v4, v2, 16, 1
	v_add3_u32 v4, v2, v4, s6
	v_lshrrev_b32_e32 v4, 16, v4
	v_mov_b32_e32 v7, 0x7fc0
	v_cmp_o_f32_e32 vcc, v2, v2
	v_cndmask_b32_e32 v7, v7, v4, vcc
.LBB460_8:
	s_or_b64 exec, exec, s[4:5]
	global_store_short v[0:1], v7, off
.LBB460_9:
	s_or_b64 exec, exec, s[2:3]
	v_cmp_ne_u32_e32 vcc, 1, v6
	s_and_b64 exec, exec, vcc
	s_cbranch_execz .LBB460_12
; %bb.10:
	s_and_b64 exec, exec, s[0:1]
	s_cbranch_execz .LBB460_12
; %bb.11:
	v_div_scale_f32 v2, s[0:1], v5, v5, v3
	v_rcp_f32_e32 v4, v2
	s_mov_b32 s15, 0
	s_movk_i32 s2, 0x7fff
	v_cmp_eq_f32_e64 s[0:1], 0, v5
	v_fma_f32 v6, -v2, v4, 1.0
	v_fmac_f32_e32 v4, v6, v4
	v_div_scale_f32 v6, vcc, v3, v5, v3
	v_mul_f32_e32 v7, v6, v4
	v_fma_f32 v8, -v2, v7, v6
	v_fmac_f32_e32 v7, v8, v4
	v_fma_f32 v2, -v2, v7, v6
	v_div_fmas_f32 v2, v2, v4, v7
	v_div_fixup_f32 v2, v2, v5, v3
	v_bfe_u32 v3, v2, 16, 1
	v_cmp_u_f32_e32 vcc, v2, v2
	v_add3_u32 v2, v2, v3, s2
	s_lshl_b64 s[2:3], s[14:15], 1
	v_mov_b32_e32 v3, s3
	v_add_co_u32_e64 v0, s[2:3], s2, v0
	v_lshrrev_b32_e32 v2, 16, v2
	v_addc_co_u32_e64 v1, s[2:3], v1, v3, s[2:3]
	v_mov_b32_e32 v3, 0x7fc0
	s_or_b64 vcc, s[0:1], vcc
	v_cndmask_b32_e32 v2, v2, v3, vcc
	global_store_short v[0:1], v2, off
.LBB460_12:
	s_endpgm
	.section	.rodata,"a",@progbits
	.p2align	6, 0x0
	.amdhsa_kernel _ZN12_GLOBAL__N_120softmax_warp_forwardIN3c108BFloat16ES2_fLi1ELb0ELb0ELi64EEEvPT0_PKT_iiiPKbib
		.amdhsa_group_segment_fixed_size 0
		.amdhsa_private_segment_fixed_size 0
		.amdhsa_kernarg_size 304
		.amdhsa_user_sgpr_count 6
		.amdhsa_user_sgpr_private_segment_buffer 1
		.amdhsa_user_sgpr_dispatch_ptr 0
		.amdhsa_user_sgpr_queue_ptr 0
		.amdhsa_user_sgpr_kernarg_segment_ptr 1
		.amdhsa_user_sgpr_dispatch_id 0
		.amdhsa_user_sgpr_flat_scratch_init 0
		.amdhsa_user_sgpr_kernarg_preload_length 0
		.amdhsa_user_sgpr_kernarg_preload_offset 0
		.amdhsa_user_sgpr_private_segment_size 0
		.amdhsa_uses_dynamic_stack 0
		.amdhsa_system_sgpr_private_segment_wavefront_offset 0
		.amdhsa_system_sgpr_workgroup_id_x 1
		.amdhsa_system_sgpr_workgroup_id_y 0
		.amdhsa_system_sgpr_workgroup_id_z 0
		.amdhsa_system_sgpr_workgroup_info 0
		.amdhsa_system_vgpr_workitem_id 1
		.amdhsa_next_free_vgpr 12
		.amdhsa_next_free_sgpr 16
		.amdhsa_accum_offset 12
		.amdhsa_reserve_vcc 1
		.amdhsa_reserve_flat_scratch 0
		.amdhsa_float_round_mode_32 0
		.amdhsa_float_round_mode_16_64 0
		.amdhsa_float_denorm_mode_32 3
		.amdhsa_float_denorm_mode_16_64 3
		.amdhsa_dx10_clamp 1
		.amdhsa_ieee_mode 1
		.amdhsa_fp16_overflow 0
		.amdhsa_tg_split 0
		.amdhsa_exception_fp_ieee_invalid_op 0
		.amdhsa_exception_fp_denorm_src 0
		.amdhsa_exception_fp_ieee_div_zero 0
		.amdhsa_exception_fp_ieee_overflow 0
		.amdhsa_exception_fp_ieee_underflow 0
		.amdhsa_exception_fp_ieee_inexact 0
		.amdhsa_exception_int_div_zero 0
	.end_amdhsa_kernel
	.section	.text._ZN12_GLOBAL__N_120softmax_warp_forwardIN3c108BFloat16ES2_fLi1ELb0ELb0ELi64EEEvPT0_PKT_iiiPKbib,"axG",@progbits,_ZN12_GLOBAL__N_120softmax_warp_forwardIN3c108BFloat16ES2_fLi1ELb0ELb0ELi64EEEvPT0_PKT_iiiPKbib,comdat
.Lfunc_end460:
	.size	_ZN12_GLOBAL__N_120softmax_warp_forwardIN3c108BFloat16ES2_fLi1ELb0ELb0ELi64EEEvPT0_PKT_iiiPKbib, .Lfunc_end460-_ZN12_GLOBAL__N_120softmax_warp_forwardIN3c108BFloat16ES2_fLi1ELb0ELb0ELi64EEEvPT0_PKT_iiiPKbib
                                        ; -- End function
	.section	.AMDGPU.csdata,"",@progbits
; Kernel info:
; codeLenInByte = 920
; NumSgprs: 20
; NumVgprs: 12
; NumAgprs: 0
; TotalNumVgprs: 12
; ScratchSize: 0
; MemoryBound: 0
; FloatMode: 240
; IeeeMode: 1
; LDSByteSize: 0 bytes/workgroup (compile time only)
; SGPRBlocks: 2
; VGPRBlocks: 1
; NumSGPRsForWavesPerEU: 20
; NumVGPRsForWavesPerEU: 12
; AccumOffset: 12
; Occupancy: 8
; WaveLimiterHint : 0
; COMPUTE_PGM_RSRC2:SCRATCH_EN: 0
; COMPUTE_PGM_RSRC2:USER_SGPR: 6
; COMPUTE_PGM_RSRC2:TRAP_HANDLER: 0
; COMPUTE_PGM_RSRC2:TGID_X_EN: 1
; COMPUTE_PGM_RSRC2:TGID_Y_EN: 0
; COMPUTE_PGM_RSRC2:TGID_Z_EN: 0
; COMPUTE_PGM_RSRC2:TIDIG_COMP_CNT: 1
; COMPUTE_PGM_RSRC3_GFX90A:ACCUM_OFFSET: 2
; COMPUTE_PGM_RSRC3_GFX90A:TG_SPLIT: 0
	.section	.text._ZN12_GLOBAL__N_120softmax_warp_forwardIN3c108BFloat16ES2_fLi1ELb0ELb0ELi32EEEvPT0_PKT_iiiPKbib,"axG",@progbits,_ZN12_GLOBAL__N_120softmax_warp_forwardIN3c108BFloat16ES2_fLi1ELb0ELb0ELi32EEEvPT0_PKT_iiiPKbib,comdat
	.globl	_ZN12_GLOBAL__N_120softmax_warp_forwardIN3c108BFloat16ES2_fLi1ELb0ELb0ELi32EEEvPT0_PKT_iiiPKbib ; -- Begin function _ZN12_GLOBAL__N_120softmax_warp_forwardIN3c108BFloat16ES2_fLi1ELb0ELb0ELi32EEEvPT0_PKT_iiiPKbib
	.p2align	8
	.type	_ZN12_GLOBAL__N_120softmax_warp_forwardIN3c108BFloat16ES2_fLi1ELb0ELb0ELi32EEEvPT0_PKT_iiiPKbib,@function
_ZN12_GLOBAL__N_120softmax_warp_forwardIN3c108BFloat16ES2_fLi1ELb0ELb0ELi32EEEvPT0_PKT_iiiPKbib: ; @_ZN12_GLOBAL__N_120softmax_warp_forwardIN3c108BFloat16ES2_fLi1ELb0ELb0ELi32EEEvPT0_PKT_iiiPKbib
; %bb.0:
	s_load_dword s0, s[4:5], 0x3c
	s_load_dwordx8 s[8:15], s[4:5], 0x0
	v_bfe_u32 v1, v0, 10, 10
	v_and_b32_e32 v2, 0x3ff, v0
	s_waitcnt lgkmcnt(0)
	s_lshr_b32 s0, s0, 16
	s_mul_i32 s6, s6, s0
	v_add_lshl_u32 v1, s6, v1, 1
	v_sub_u32_e32 v6, s12, v1
	v_mad_u64_u32 v[0:1], s[0:1], v1, s13, v[2:3]
	v_ashrrev_i32_e32 v1, 31, v0
	v_lshlrev_b64 v[0:1], 1, v[0:1]
	v_mov_b32_e32 v3, s11
	v_add_co_u32_e32 v4, vcc, s10, v0
	v_addc_co_u32_e32 v5, vcc, v3, v1, vcc
	v_cmp_gt_i32_e64 s[0:1], s14, v2
	v_cmp_lt_i32_e32 vcc, 0, v6
	s_and_b64 s[4:5], s[0:1], vcc
	v_mov_b32_e32 v3, 0xff800000
	v_mov_b32_e32 v2, 0xff800000
	s_and_saveexec_b64 s[2:3], s[4:5]
	s_cbranch_execz .LBB461_2
; %bb.1:
	global_load_ushort v2, v[4:5], off
	s_waitcnt vmcnt(0)
	v_lshlrev_b32_e32 v2, 16, v2
.LBB461_2:
	s_or_b64 exec, exec, s[2:3]
	v_cmp_lt_i32_e64 s[2:3], 1, v6
	s_and_b64 s[2:3], s[0:1], s[2:3]
	s_and_saveexec_b64 s[4:5], s[2:3]
	s_cbranch_execz .LBB461_4
; %bb.3:
	s_mov_b32 s15, 0
	s_lshl_b64 s[2:3], s[14:15], 1
	v_mov_b32_e32 v3, s3
	v_add_co_u32_e64 v4, s[2:3], s2, v4
	v_addc_co_u32_e64 v5, s[2:3], v5, v3, s[2:3]
	global_load_ushort v3, v[4:5], off
	s_waitcnt vmcnt(0)
	v_lshlrev_b32_e32 v3, 16, v3
.LBB461_4:
	s_or_b64 exec, exec, s[4:5]
	v_mbcnt_lo_u32_b32 v4, -1, 0
	v_mbcnt_hi_u32_b32 v4, -1, v4
	v_and_b32_e32 v7, 0x7e, v4
	v_xor_b32_e32 v5, 1, v4
	v_add_u32_e32 v7, 2, v7
	v_cmp_lt_i32_e64 s[2:3], v5, v7
	v_cndmask_b32_e64 v4, v4, v5, s[2:3]
	v_lshlrev_b32_e32 v7, 2, v4
	ds_bpermute_b32 v4, v7, v3
	ds_bpermute_b32 v8, v7, v2
	s_mov_b32 s4, 0x3fb8aa3b
	s_mov_b32 s5, 0xc2ce8ed0
	;; [unrolled: 1-line block ×3, first 2 shown]
	s_waitcnt lgkmcnt(1)
	v_cmp_lt_f32_e64 s[2:3], v3, v4
	v_cndmask_b32_e64 v5, v3, v4, s[2:3]
	s_waitcnt lgkmcnt(0)
	v_cmp_lt_f32_e64 s[2:3], v2, v8
	v_cndmask_b32_e64 v4, v2, v8, s[2:3]
	v_pk_add_f32 v[2:3], v[2:3], v[4:5] neg_lo:[0,1] neg_hi:[0,1]
	v_mul_f32_e32 v4, 0x3fb8aa3b, v3
	v_fma_f32 v5, v3, s4, -v4
	v_rndne_f32_e32 v8, v4
	v_fmac_f32_e32 v5, 0x32a5705f, v3
	v_sub_f32_e32 v4, v4, v8
	v_add_f32_e32 v4, v4, v5
	v_exp_f32_e32 v4, v4
	v_cvt_i32_f32_e32 v5, v8
	v_cmp_ngt_f32_e64 s[2:3], s5, v3
	v_ldexp_f32 v4, v4, v5
	v_mul_f32_e32 v5, 0x3fb8aa3b, v2
	v_fma_f32 v8, v2, s4, -v5
	v_rndne_f32_e32 v9, v5
	v_fmac_f32_e32 v8, 0x32a5705f, v2
	v_sub_f32_e32 v5, v5, v9
	v_add_f32_e32 v5, v5, v8
	v_exp_f32_e32 v5, v5
	v_cvt_i32_f32_e32 v8, v9
	v_cndmask_b32_e64 v4, 0, v4, s[2:3]
	v_mov_b32_e32 v9, 0x7f800000
	v_cmp_nlt_f32_e64 s[2:3], s6, v3
	v_cndmask_b32_e64 v3, v9, v4, s[2:3]
	v_ldexp_f32 v4, v5, v8
	v_cmp_ngt_f32_e64 s[2:3], s5, v2
	v_cndmask_b32_e64 v4, 0, v4, s[2:3]
	v_cmp_nlt_f32_e64 s[2:3], s6, v2
	v_cndmask_b32_e64 v2, v9, v4, s[2:3]
	ds_bpermute_b32 v4, v7, v2
	ds_bpermute_b32 v5, v7, v3
	s_and_saveexec_b64 s[2:3], vcc
	s_cbranch_execz .LBB461_12
; %bb.5:
	v_mov_b32_e32 v7, s9
	v_add_co_u32_e32 v0, vcc, s8, v0
	v_addc_co_u32_e32 v1, vcc, v7, v1, vcc
	s_waitcnt lgkmcnt(0)
	v_pk_add_f32 v[4:5], v[2:3], v[4:5]
	s_and_saveexec_b64 s[2:3], s[0:1]
	s_cbranch_execz .LBB461_9
; %bb.6:
	v_cmp_neq_f32_e32 vcc, 0, v4
	v_mov_b32_e32 v7, 0x7fc0
	s_and_saveexec_b64 s[4:5], vcc
	s_cbranch_execz .LBB461_8
; %bb.7:
	v_div_scale_f32 v7, s[6:7], v4, v4, v2
	v_rcp_f32_e32 v8, v7
	v_div_scale_f32 v9, vcc, v2, v4, v2
	s_movk_i32 s6, 0x7fff
	v_fma_f32 v10, -v7, v8, 1.0
	v_fmac_f32_e32 v8, v10, v8
	v_mul_f32_e32 v10, v9, v8
	v_fma_f32 v11, -v7, v10, v9
	v_fmac_f32_e32 v10, v11, v8
	v_fma_f32 v7, -v7, v10, v9
	v_div_fmas_f32 v7, v7, v8, v10
	v_div_fixup_f32 v2, v7, v4, v2
	v_bfe_u32 v4, v2, 16, 1
	v_add3_u32 v4, v2, v4, s6
	v_lshrrev_b32_e32 v4, 16, v4
	v_mov_b32_e32 v7, 0x7fc0
	v_cmp_o_f32_e32 vcc, v2, v2
	v_cndmask_b32_e32 v7, v7, v4, vcc
.LBB461_8:
	s_or_b64 exec, exec, s[4:5]
	global_store_short v[0:1], v7, off
.LBB461_9:
	s_or_b64 exec, exec, s[2:3]
	v_cmp_ne_u32_e32 vcc, 1, v6
	s_and_b64 exec, exec, vcc
	s_cbranch_execz .LBB461_12
; %bb.10:
	s_and_b64 exec, exec, s[0:1]
	s_cbranch_execz .LBB461_12
; %bb.11:
	v_div_scale_f32 v2, s[0:1], v5, v5, v3
	v_rcp_f32_e32 v4, v2
	s_mov_b32 s15, 0
	s_movk_i32 s2, 0x7fff
	v_cmp_eq_f32_e64 s[0:1], 0, v5
	v_fma_f32 v6, -v2, v4, 1.0
	v_fmac_f32_e32 v4, v6, v4
	v_div_scale_f32 v6, vcc, v3, v5, v3
	v_mul_f32_e32 v7, v6, v4
	v_fma_f32 v8, -v2, v7, v6
	v_fmac_f32_e32 v7, v8, v4
	v_fma_f32 v2, -v2, v7, v6
	v_div_fmas_f32 v2, v2, v4, v7
	v_div_fixup_f32 v2, v2, v5, v3
	v_bfe_u32 v3, v2, 16, 1
	v_cmp_u_f32_e32 vcc, v2, v2
	v_add3_u32 v2, v2, v3, s2
	s_lshl_b64 s[2:3], s[14:15], 1
	v_mov_b32_e32 v3, s3
	v_add_co_u32_e64 v0, s[2:3], s2, v0
	v_lshrrev_b32_e32 v2, 16, v2
	v_addc_co_u32_e64 v1, s[2:3], v1, v3, s[2:3]
	v_mov_b32_e32 v3, 0x7fc0
	s_or_b64 vcc, s[0:1], vcc
	v_cndmask_b32_e32 v2, v2, v3, vcc
	global_store_short v[0:1], v2, off
.LBB461_12:
	s_endpgm
	.section	.rodata,"a",@progbits
	.p2align	6, 0x0
	.amdhsa_kernel _ZN12_GLOBAL__N_120softmax_warp_forwardIN3c108BFloat16ES2_fLi1ELb0ELb0ELi32EEEvPT0_PKT_iiiPKbib
		.amdhsa_group_segment_fixed_size 0
		.amdhsa_private_segment_fixed_size 0
		.amdhsa_kernarg_size 304
		.amdhsa_user_sgpr_count 6
		.amdhsa_user_sgpr_private_segment_buffer 1
		.amdhsa_user_sgpr_dispatch_ptr 0
		.amdhsa_user_sgpr_queue_ptr 0
		.amdhsa_user_sgpr_kernarg_segment_ptr 1
		.amdhsa_user_sgpr_dispatch_id 0
		.amdhsa_user_sgpr_flat_scratch_init 0
		.amdhsa_user_sgpr_kernarg_preload_length 0
		.amdhsa_user_sgpr_kernarg_preload_offset 0
		.amdhsa_user_sgpr_private_segment_size 0
		.amdhsa_uses_dynamic_stack 0
		.amdhsa_system_sgpr_private_segment_wavefront_offset 0
		.amdhsa_system_sgpr_workgroup_id_x 1
		.amdhsa_system_sgpr_workgroup_id_y 0
		.amdhsa_system_sgpr_workgroup_id_z 0
		.amdhsa_system_sgpr_workgroup_info 0
		.amdhsa_system_vgpr_workitem_id 1
		.amdhsa_next_free_vgpr 12
		.amdhsa_next_free_sgpr 16
		.amdhsa_accum_offset 12
		.amdhsa_reserve_vcc 1
		.amdhsa_reserve_flat_scratch 0
		.amdhsa_float_round_mode_32 0
		.amdhsa_float_round_mode_16_64 0
		.amdhsa_float_denorm_mode_32 3
		.amdhsa_float_denorm_mode_16_64 3
		.amdhsa_dx10_clamp 1
		.amdhsa_ieee_mode 1
		.amdhsa_fp16_overflow 0
		.amdhsa_tg_split 0
		.amdhsa_exception_fp_ieee_invalid_op 0
		.amdhsa_exception_fp_denorm_src 0
		.amdhsa_exception_fp_ieee_div_zero 0
		.amdhsa_exception_fp_ieee_overflow 0
		.amdhsa_exception_fp_ieee_underflow 0
		.amdhsa_exception_fp_ieee_inexact 0
		.amdhsa_exception_int_div_zero 0
	.end_amdhsa_kernel
	.section	.text._ZN12_GLOBAL__N_120softmax_warp_forwardIN3c108BFloat16ES2_fLi1ELb0ELb0ELi32EEEvPT0_PKT_iiiPKbib,"axG",@progbits,_ZN12_GLOBAL__N_120softmax_warp_forwardIN3c108BFloat16ES2_fLi1ELb0ELb0ELi32EEEvPT0_PKT_iiiPKbib,comdat
.Lfunc_end461:
	.size	_ZN12_GLOBAL__N_120softmax_warp_forwardIN3c108BFloat16ES2_fLi1ELb0ELb0ELi32EEEvPT0_PKT_iiiPKbib, .Lfunc_end461-_ZN12_GLOBAL__N_120softmax_warp_forwardIN3c108BFloat16ES2_fLi1ELb0ELb0ELi32EEEvPT0_PKT_iiiPKbib
                                        ; -- End function
	.section	.AMDGPU.csdata,"",@progbits
; Kernel info:
; codeLenInByte = 920
; NumSgprs: 20
; NumVgprs: 12
; NumAgprs: 0
; TotalNumVgprs: 12
; ScratchSize: 0
; MemoryBound: 0
; FloatMode: 240
; IeeeMode: 1
; LDSByteSize: 0 bytes/workgroup (compile time only)
; SGPRBlocks: 2
; VGPRBlocks: 1
; NumSGPRsForWavesPerEU: 20
; NumVGPRsForWavesPerEU: 12
; AccumOffset: 12
; Occupancy: 8
; WaveLimiterHint : 0
; COMPUTE_PGM_RSRC2:SCRATCH_EN: 0
; COMPUTE_PGM_RSRC2:USER_SGPR: 6
; COMPUTE_PGM_RSRC2:TRAP_HANDLER: 0
; COMPUTE_PGM_RSRC2:TGID_X_EN: 1
; COMPUTE_PGM_RSRC2:TGID_Y_EN: 0
; COMPUTE_PGM_RSRC2:TGID_Z_EN: 0
; COMPUTE_PGM_RSRC2:TIDIG_COMP_CNT: 1
; COMPUTE_PGM_RSRC3_GFX90A:ACCUM_OFFSET: 2
; COMPUTE_PGM_RSRC3_GFX90A:TG_SPLIT: 0
	.section	.text._ZN12_GLOBAL__N_120softmax_warp_forwardIN3c108BFloat16ES2_fLi2ELb0ELb0ELi64EEEvPT0_PKT_iiiPKbib,"axG",@progbits,_ZN12_GLOBAL__N_120softmax_warp_forwardIN3c108BFloat16ES2_fLi2ELb0ELb0ELi64EEEvPT0_PKT_iiiPKbib,comdat
	.globl	_ZN12_GLOBAL__N_120softmax_warp_forwardIN3c108BFloat16ES2_fLi2ELb0ELb0ELi64EEEvPT0_PKT_iiiPKbib ; -- Begin function _ZN12_GLOBAL__N_120softmax_warp_forwardIN3c108BFloat16ES2_fLi2ELb0ELb0ELi64EEEvPT0_PKT_iiiPKbib
	.p2align	8
	.type	_ZN12_GLOBAL__N_120softmax_warp_forwardIN3c108BFloat16ES2_fLi2ELb0ELb0ELi64EEEvPT0_PKT_iiiPKbib,@function
_ZN12_GLOBAL__N_120softmax_warp_forwardIN3c108BFloat16ES2_fLi2ELb0ELb0ELi64EEEvPT0_PKT_iiiPKbib: ; @_ZN12_GLOBAL__N_120softmax_warp_forwardIN3c108BFloat16ES2_fLi2ELb0ELb0ELi64EEEvPT0_PKT_iiiPKbib
; %bb.0:
	s_load_dword s0, s[4:5], 0x3c
	s_load_dwordx8 s[8:15], s[4:5], 0x0
	v_bfe_u32 v1, v0, 10, 10
	v_and_b32_e32 v2, 0x3ff, v0
	s_waitcnt lgkmcnt(0)
	s_lshr_b32 s0, s0, 16
	s_mul_i32 s6, s6, s0
	v_add_lshl_u32 v1, s6, v1, 1
	v_sub_u32_e32 v8, s12, v1
	v_mad_u64_u32 v[0:1], s[0:1], v1, s13, v[2:3]
	v_ashrrev_i32_e32 v1, 31, v0
	v_lshlrev_b64 v[0:1], 1, v[0:1]
	v_mov_b32_e32 v3, s11
	v_add_co_u32_e32 v4, vcc, s10, v0
	v_addc_co_u32_e32 v5, vcc, v3, v1, vcc
	v_cmp_gt_i32_e64 s[0:1], s14, v2
	v_cmp_lt_i32_e32 vcc, 0, v8
	s_and_b64 s[4:5], s[0:1], vcc
	v_mov_b32_e32 v3, 0xff800000
	v_mov_b32_e32 v2, 0xff800000
	s_and_saveexec_b64 s[2:3], s[4:5]
	s_cbranch_execz .LBB462_2
; %bb.1:
	global_load_ushort v2, v[4:5], off
	s_waitcnt vmcnt(0)
	v_lshlrev_b32_e32 v2, 16, v2
.LBB462_2:
	s_or_b64 exec, exec, s[2:3]
	v_cmp_lt_i32_e64 s[2:3], 1, v8
	s_and_b64 s[2:3], s[0:1], s[2:3]
	s_and_saveexec_b64 s[4:5], s[2:3]
	s_cbranch_execz .LBB462_4
; %bb.3:
	s_mov_b32 s15, 0
	s_lshl_b64 s[2:3], s[14:15], 1
	v_mov_b32_e32 v3, s3
	v_add_co_u32_e64 v4, s[2:3], s2, v4
	v_addc_co_u32_e64 v5, s[2:3], v5, v3, s[2:3]
	global_load_ushort v3, v[4:5], off
	s_waitcnt vmcnt(0)
	v_lshlrev_b32_e32 v3, 16, v3
.LBB462_4:
	s_or_b64 exec, exec, s[4:5]
	v_mbcnt_lo_u32_b32 v4, -1, 0
	v_mbcnt_hi_u32_b32 v4, -1, v4
	v_and_b32_e32 v5, 0x7c, v4
	v_add_u32_e32 v5, 4, v5
	v_xor_b32_e32 v6, 2, v4
	v_cmp_lt_i32_e64 s[2:3], v6, v5
	v_cndmask_b32_e64 v6, v4, v6, s[2:3]
	v_lshlrev_b32_e32 v6, 2, v6
	ds_bpermute_b32 v9, v6, v3
	ds_bpermute_b32 v7, v6, v2
	v_xor_b32_e32 v10, 1, v4
	v_cmp_lt_i32_e64 s[2:3], v10, v5
	v_cndmask_b32_e64 v4, v4, v10, s[2:3]
	s_waitcnt lgkmcnt(1)
	v_cmp_lt_f32_e64 s[2:3], v3, v9
	v_lshlrev_b32_e32 v10, 2, v4
	v_cndmask_b32_e64 v4, v3, v9, s[2:3]
	s_waitcnt lgkmcnt(0)
	v_cmp_lt_f32_e64 s[2:3], v2, v7
	ds_bpermute_b32 v5, v10, v4
	v_cndmask_b32_e64 v7, v2, v7, s[2:3]
	ds_bpermute_b32 v9, v10, v7
	s_mov_b32 s4, 0x3fb8aa3b
	s_mov_b32 s5, 0xc2ce8ed0
	s_waitcnt lgkmcnt(1)
	v_cmp_lt_f32_e64 s[2:3], v4, v5
	v_cndmask_b32_e64 v5, v4, v5, s[2:3]
	s_waitcnt lgkmcnt(0)
	v_cmp_lt_f32_e64 s[2:3], v7, v9
	v_cndmask_b32_e64 v4, v7, v9, s[2:3]
	v_pk_add_f32 v[2:3], v[2:3], v[4:5] neg_lo:[0,1] neg_hi:[0,1]
	v_mul_f32_e32 v4, 0x3fb8aa3b, v3
	v_fma_f32 v5, v3, s4, -v4
	v_rndne_f32_e32 v7, v4
	v_fmac_f32_e32 v5, 0x32a5705f, v3
	v_sub_f32_e32 v4, v4, v7
	v_add_f32_e32 v4, v4, v5
	v_exp_f32_e32 v4, v4
	v_cvt_i32_f32_e32 v5, v7
	v_cmp_ngt_f32_e64 s[2:3], s5, v3
	s_mov_b32 s6, 0x42b17218
	v_ldexp_f32 v4, v4, v5
	v_mul_f32_e32 v5, 0x3fb8aa3b, v2
	v_fma_f32 v7, v2, s4, -v5
	v_rndne_f32_e32 v9, v5
	v_fmac_f32_e32 v7, 0x32a5705f, v2
	v_sub_f32_e32 v5, v5, v9
	v_add_f32_e32 v5, v5, v7
	v_exp_f32_e32 v5, v5
	v_cvt_i32_f32_e32 v7, v9
	v_cndmask_b32_e64 v4, 0, v4, s[2:3]
	v_mov_b32_e32 v9, 0x7f800000
	v_cmp_nlt_f32_e64 s[2:3], s6, v3
	v_cndmask_b32_e64 v3, v9, v4, s[2:3]
	v_ldexp_f32 v4, v5, v7
	v_cmp_ngt_f32_e64 s[2:3], s5, v2
	v_cndmask_b32_e64 v4, 0, v4, s[2:3]
	v_cmp_nlt_f32_e64 s[2:3], s6, v2
	v_cndmask_b32_e64 v2, v9, v4, s[2:3]
	ds_bpermute_b32 v4, v6, v2
	ds_bpermute_b32 v5, v6, v3
	s_waitcnt lgkmcnt(0)
	v_pk_add_f32 v[4:5], v[2:3], v[4:5]
	ds_bpermute_b32 v6, v10, v4
	ds_bpermute_b32 v7, v10, v5
	s_and_saveexec_b64 s[2:3], vcc
	s_cbranch_execz .LBB462_12
; %bb.5:
	v_mov_b32_e32 v9, s9
	v_add_co_u32_e32 v0, vcc, s8, v0
	v_addc_co_u32_e32 v1, vcc, v9, v1, vcc
	s_waitcnt lgkmcnt(0)
	v_pk_add_f32 v[4:5], v[4:5], v[6:7]
	s_and_saveexec_b64 s[2:3], s[0:1]
	s_cbranch_execz .LBB462_9
; %bb.6:
	v_cmp_neq_f32_e32 vcc, 0, v4
	v_mov_b32_e32 v6, 0x7fc0
	s_and_saveexec_b64 s[4:5], vcc
	s_cbranch_execz .LBB462_8
; %bb.7:
	v_div_scale_f32 v6, s[6:7], v4, v4, v2
	v_rcp_f32_e32 v7, v6
	v_div_scale_f32 v9, vcc, v2, v4, v2
	s_movk_i32 s6, 0x7fff
	v_fma_f32 v10, -v6, v7, 1.0
	v_fmac_f32_e32 v7, v10, v7
	v_mul_f32_e32 v10, v9, v7
	v_fma_f32 v11, -v6, v10, v9
	v_fmac_f32_e32 v10, v11, v7
	v_fma_f32 v6, -v6, v10, v9
	v_div_fmas_f32 v6, v6, v7, v10
	v_div_fixup_f32 v2, v6, v4, v2
	v_bfe_u32 v4, v2, 16, 1
	v_add3_u32 v4, v2, v4, s6
	v_lshrrev_b32_e32 v4, 16, v4
	v_mov_b32_e32 v6, 0x7fc0
	v_cmp_o_f32_e32 vcc, v2, v2
	v_cndmask_b32_e32 v6, v6, v4, vcc
.LBB462_8:
	s_or_b64 exec, exec, s[4:5]
	global_store_short v[0:1], v6, off
.LBB462_9:
	s_or_b64 exec, exec, s[2:3]
	v_cmp_ne_u32_e32 vcc, 1, v8
	s_and_b64 exec, exec, vcc
	s_cbranch_execz .LBB462_12
; %bb.10:
	s_and_b64 exec, exec, s[0:1]
	s_cbranch_execz .LBB462_12
; %bb.11:
	v_div_scale_f32 v2, s[0:1], v5, v5, v3
	v_rcp_f32_e32 v4, v2
	s_mov_b32 s15, 0
	s_movk_i32 s2, 0x7fff
	v_cmp_eq_f32_e64 s[0:1], 0, v5
	v_fma_f32 v6, -v2, v4, 1.0
	v_fmac_f32_e32 v4, v6, v4
	v_div_scale_f32 v6, vcc, v3, v5, v3
	v_mul_f32_e32 v7, v6, v4
	v_fma_f32 v8, -v2, v7, v6
	v_fmac_f32_e32 v7, v8, v4
	v_fma_f32 v2, -v2, v7, v6
	v_div_fmas_f32 v2, v2, v4, v7
	v_div_fixup_f32 v2, v2, v5, v3
	v_bfe_u32 v3, v2, 16, 1
	v_cmp_u_f32_e32 vcc, v2, v2
	v_add3_u32 v2, v2, v3, s2
	s_lshl_b64 s[2:3], s[14:15], 1
	v_mov_b32_e32 v3, s3
	v_add_co_u32_e64 v0, s[2:3], s2, v0
	v_lshrrev_b32_e32 v2, 16, v2
	v_addc_co_u32_e64 v1, s[2:3], v1, v3, s[2:3]
	v_mov_b32_e32 v3, 0x7fc0
	s_or_b64 vcc, s[0:1], vcc
	v_cndmask_b32_e32 v2, v2, v3, vcc
	global_store_short v[0:1], v2, off
.LBB462_12:
	s_endpgm
	.section	.rodata,"a",@progbits
	.p2align	6, 0x0
	.amdhsa_kernel _ZN12_GLOBAL__N_120softmax_warp_forwardIN3c108BFloat16ES2_fLi2ELb0ELb0ELi64EEEvPT0_PKT_iiiPKbib
		.amdhsa_group_segment_fixed_size 0
		.amdhsa_private_segment_fixed_size 0
		.amdhsa_kernarg_size 304
		.amdhsa_user_sgpr_count 6
		.amdhsa_user_sgpr_private_segment_buffer 1
		.amdhsa_user_sgpr_dispatch_ptr 0
		.amdhsa_user_sgpr_queue_ptr 0
		.amdhsa_user_sgpr_kernarg_segment_ptr 1
		.amdhsa_user_sgpr_dispatch_id 0
		.amdhsa_user_sgpr_flat_scratch_init 0
		.amdhsa_user_sgpr_kernarg_preload_length 0
		.amdhsa_user_sgpr_kernarg_preload_offset 0
		.amdhsa_user_sgpr_private_segment_size 0
		.amdhsa_uses_dynamic_stack 0
		.amdhsa_system_sgpr_private_segment_wavefront_offset 0
		.amdhsa_system_sgpr_workgroup_id_x 1
		.amdhsa_system_sgpr_workgroup_id_y 0
		.amdhsa_system_sgpr_workgroup_id_z 0
		.amdhsa_system_sgpr_workgroup_info 0
		.amdhsa_system_vgpr_workitem_id 1
		.amdhsa_next_free_vgpr 12
		.amdhsa_next_free_sgpr 16
		.amdhsa_accum_offset 12
		.amdhsa_reserve_vcc 1
		.amdhsa_reserve_flat_scratch 0
		.amdhsa_float_round_mode_32 0
		.amdhsa_float_round_mode_16_64 0
		.amdhsa_float_denorm_mode_32 3
		.amdhsa_float_denorm_mode_16_64 3
		.amdhsa_dx10_clamp 1
		.amdhsa_ieee_mode 1
		.amdhsa_fp16_overflow 0
		.amdhsa_tg_split 0
		.amdhsa_exception_fp_ieee_invalid_op 0
		.amdhsa_exception_fp_denorm_src 0
		.amdhsa_exception_fp_ieee_div_zero 0
		.amdhsa_exception_fp_ieee_overflow 0
		.amdhsa_exception_fp_ieee_underflow 0
		.amdhsa_exception_fp_ieee_inexact 0
		.amdhsa_exception_int_div_zero 0
	.end_amdhsa_kernel
	.section	.text._ZN12_GLOBAL__N_120softmax_warp_forwardIN3c108BFloat16ES2_fLi2ELb0ELb0ELi64EEEvPT0_PKT_iiiPKbib,"axG",@progbits,_ZN12_GLOBAL__N_120softmax_warp_forwardIN3c108BFloat16ES2_fLi2ELb0ELb0ELi64EEEvPT0_PKT_iiiPKbib,comdat
.Lfunc_end462:
	.size	_ZN12_GLOBAL__N_120softmax_warp_forwardIN3c108BFloat16ES2_fLi2ELb0ELb0ELi64EEEvPT0_PKT_iiiPKbib, .Lfunc_end462-_ZN12_GLOBAL__N_120softmax_warp_forwardIN3c108BFloat16ES2_fLi2ELb0ELb0ELi64EEEvPT0_PKT_iiiPKbib
                                        ; -- End function
	.section	.AMDGPU.csdata,"",@progbits
; Kernel info:
; codeLenInByte = 1028
; NumSgprs: 20
; NumVgprs: 12
; NumAgprs: 0
; TotalNumVgprs: 12
; ScratchSize: 0
; MemoryBound: 0
; FloatMode: 240
; IeeeMode: 1
; LDSByteSize: 0 bytes/workgroup (compile time only)
; SGPRBlocks: 2
; VGPRBlocks: 1
; NumSGPRsForWavesPerEU: 20
; NumVGPRsForWavesPerEU: 12
; AccumOffset: 12
; Occupancy: 8
; WaveLimiterHint : 0
; COMPUTE_PGM_RSRC2:SCRATCH_EN: 0
; COMPUTE_PGM_RSRC2:USER_SGPR: 6
; COMPUTE_PGM_RSRC2:TRAP_HANDLER: 0
; COMPUTE_PGM_RSRC2:TGID_X_EN: 1
; COMPUTE_PGM_RSRC2:TGID_Y_EN: 0
; COMPUTE_PGM_RSRC2:TGID_Z_EN: 0
; COMPUTE_PGM_RSRC2:TIDIG_COMP_CNT: 1
; COMPUTE_PGM_RSRC3_GFX90A:ACCUM_OFFSET: 2
; COMPUTE_PGM_RSRC3_GFX90A:TG_SPLIT: 0
	.section	.text._ZN12_GLOBAL__N_120softmax_warp_forwardIN3c108BFloat16ES2_fLi2ELb0ELb0ELi32EEEvPT0_PKT_iiiPKbib,"axG",@progbits,_ZN12_GLOBAL__N_120softmax_warp_forwardIN3c108BFloat16ES2_fLi2ELb0ELb0ELi32EEEvPT0_PKT_iiiPKbib,comdat
	.globl	_ZN12_GLOBAL__N_120softmax_warp_forwardIN3c108BFloat16ES2_fLi2ELb0ELb0ELi32EEEvPT0_PKT_iiiPKbib ; -- Begin function _ZN12_GLOBAL__N_120softmax_warp_forwardIN3c108BFloat16ES2_fLi2ELb0ELb0ELi32EEEvPT0_PKT_iiiPKbib
	.p2align	8
	.type	_ZN12_GLOBAL__N_120softmax_warp_forwardIN3c108BFloat16ES2_fLi2ELb0ELb0ELi32EEEvPT0_PKT_iiiPKbib,@function
_ZN12_GLOBAL__N_120softmax_warp_forwardIN3c108BFloat16ES2_fLi2ELb0ELb0ELi32EEEvPT0_PKT_iiiPKbib: ; @_ZN12_GLOBAL__N_120softmax_warp_forwardIN3c108BFloat16ES2_fLi2ELb0ELb0ELi32EEEvPT0_PKT_iiiPKbib
; %bb.0:
	s_load_dword s0, s[4:5], 0x3c
	s_load_dwordx8 s[8:15], s[4:5], 0x0
	v_bfe_u32 v1, v0, 10, 10
	v_and_b32_e32 v2, 0x3ff, v0
	s_waitcnt lgkmcnt(0)
	s_lshr_b32 s0, s0, 16
	s_mul_i32 s6, s6, s0
	v_add_lshl_u32 v1, s6, v1, 1
	v_sub_u32_e32 v8, s12, v1
	v_mad_u64_u32 v[0:1], s[0:1], v1, s13, v[2:3]
	v_ashrrev_i32_e32 v1, 31, v0
	v_lshlrev_b64 v[0:1], 1, v[0:1]
	v_mov_b32_e32 v3, s11
	v_add_co_u32_e32 v4, vcc, s10, v0
	v_addc_co_u32_e32 v5, vcc, v3, v1, vcc
	v_cmp_gt_i32_e64 s[0:1], s14, v2
	v_cmp_lt_i32_e32 vcc, 0, v8
	s_and_b64 s[4:5], s[0:1], vcc
	v_mov_b32_e32 v3, 0xff800000
	v_mov_b32_e32 v2, 0xff800000
	s_and_saveexec_b64 s[2:3], s[4:5]
	s_cbranch_execz .LBB463_2
; %bb.1:
	global_load_ushort v2, v[4:5], off
	s_waitcnt vmcnt(0)
	v_lshlrev_b32_e32 v2, 16, v2
.LBB463_2:
	s_or_b64 exec, exec, s[2:3]
	v_cmp_lt_i32_e64 s[2:3], 1, v8
	s_and_b64 s[2:3], s[0:1], s[2:3]
	s_and_saveexec_b64 s[4:5], s[2:3]
	s_cbranch_execz .LBB463_4
; %bb.3:
	s_mov_b32 s15, 0
	s_lshl_b64 s[2:3], s[14:15], 1
	v_mov_b32_e32 v3, s3
	v_add_co_u32_e64 v4, s[2:3], s2, v4
	v_addc_co_u32_e64 v5, s[2:3], v5, v3, s[2:3]
	global_load_ushort v3, v[4:5], off
	s_waitcnt vmcnt(0)
	v_lshlrev_b32_e32 v3, 16, v3
.LBB463_4:
	s_or_b64 exec, exec, s[4:5]
	v_mbcnt_lo_u32_b32 v4, -1, 0
	v_mbcnt_hi_u32_b32 v4, -1, v4
	v_and_b32_e32 v5, 0x7c, v4
	v_add_u32_e32 v5, 4, v5
	v_xor_b32_e32 v6, 2, v4
	v_cmp_lt_i32_e64 s[2:3], v6, v5
	v_cndmask_b32_e64 v6, v4, v6, s[2:3]
	v_lshlrev_b32_e32 v6, 2, v6
	ds_bpermute_b32 v9, v6, v3
	ds_bpermute_b32 v7, v6, v2
	v_xor_b32_e32 v10, 1, v4
	v_cmp_lt_i32_e64 s[2:3], v10, v5
	v_cndmask_b32_e64 v4, v4, v10, s[2:3]
	s_waitcnt lgkmcnt(1)
	v_cmp_lt_f32_e64 s[2:3], v3, v9
	v_lshlrev_b32_e32 v10, 2, v4
	v_cndmask_b32_e64 v4, v3, v9, s[2:3]
	s_waitcnt lgkmcnt(0)
	v_cmp_lt_f32_e64 s[2:3], v2, v7
	ds_bpermute_b32 v5, v10, v4
	v_cndmask_b32_e64 v7, v2, v7, s[2:3]
	ds_bpermute_b32 v9, v10, v7
	s_mov_b32 s4, 0x3fb8aa3b
	s_mov_b32 s5, 0xc2ce8ed0
	s_waitcnt lgkmcnt(1)
	v_cmp_lt_f32_e64 s[2:3], v4, v5
	v_cndmask_b32_e64 v5, v4, v5, s[2:3]
	s_waitcnt lgkmcnt(0)
	v_cmp_lt_f32_e64 s[2:3], v7, v9
	v_cndmask_b32_e64 v4, v7, v9, s[2:3]
	v_pk_add_f32 v[2:3], v[2:3], v[4:5] neg_lo:[0,1] neg_hi:[0,1]
	v_mul_f32_e32 v4, 0x3fb8aa3b, v3
	v_fma_f32 v5, v3, s4, -v4
	v_rndne_f32_e32 v7, v4
	v_fmac_f32_e32 v5, 0x32a5705f, v3
	v_sub_f32_e32 v4, v4, v7
	v_add_f32_e32 v4, v4, v5
	v_exp_f32_e32 v4, v4
	v_cvt_i32_f32_e32 v5, v7
	v_cmp_ngt_f32_e64 s[2:3], s5, v3
	s_mov_b32 s6, 0x42b17218
	v_ldexp_f32 v4, v4, v5
	v_mul_f32_e32 v5, 0x3fb8aa3b, v2
	v_fma_f32 v7, v2, s4, -v5
	v_rndne_f32_e32 v9, v5
	v_fmac_f32_e32 v7, 0x32a5705f, v2
	v_sub_f32_e32 v5, v5, v9
	v_add_f32_e32 v5, v5, v7
	v_exp_f32_e32 v5, v5
	v_cvt_i32_f32_e32 v7, v9
	v_cndmask_b32_e64 v4, 0, v4, s[2:3]
	v_mov_b32_e32 v9, 0x7f800000
	v_cmp_nlt_f32_e64 s[2:3], s6, v3
	v_cndmask_b32_e64 v3, v9, v4, s[2:3]
	v_ldexp_f32 v4, v5, v7
	v_cmp_ngt_f32_e64 s[2:3], s5, v2
	v_cndmask_b32_e64 v4, 0, v4, s[2:3]
	v_cmp_nlt_f32_e64 s[2:3], s6, v2
	v_cndmask_b32_e64 v2, v9, v4, s[2:3]
	ds_bpermute_b32 v4, v6, v2
	ds_bpermute_b32 v5, v6, v3
	s_waitcnt lgkmcnt(0)
	v_pk_add_f32 v[4:5], v[2:3], v[4:5]
	ds_bpermute_b32 v6, v10, v4
	ds_bpermute_b32 v7, v10, v5
	s_and_saveexec_b64 s[2:3], vcc
	s_cbranch_execz .LBB463_12
; %bb.5:
	v_mov_b32_e32 v9, s9
	v_add_co_u32_e32 v0, vcc, s8, v0
	v_addc_co_u32_e32 v1, vcc, v9, v1, vcc
	s_waitcnt lgkmcnt(0)
	v_pk_add_f32 v[4:5], v[4:5], v[6:7]
	s_and_saveexec_b64 s[2:3], s[0:1]
	s_cbranch_execz .LBB463_9
; %bb.6:
	v_cmp_neq_f32_e32 vcc, 0, v4
	v_mov_b32_e32 v6, 0x7fc0
	s_and_saveexec_b64 s[4:5], vcc
	s_cbranch_execz .LBB463_8
; %bb.7:
	v_div_scale_f32 v6, s[6:7], v4, v4, v2
	v_rcp_f32_e32 v7, v6
	v_div_scale_f32 v9, vcc, v2, v4, v2
	s_movk_i32 s6, 0x7fff
	v_fma_f32 v10, -v6, v7, 1.0
	v_fmac_f32_e32 v7, v10, v7
	v_mul_f32_e32 v10, v9, v7
	v_fma_f32 v11, -v6, v10, v9
	v_fmac_f32_e32 v10, v11, v7
	v_fma_f32 v6, -v6, v10, v9
	v_div_fmas_f32 v6, v6, v7, v10
	v_div_fixup_f32 v2, v6, v4, v2
	v_bfe_u32 v4, v2, 16, 1
	v_add3_u32 v4, v2, v4, s6
	v_lshrrev_b32_e32 v4, 16, v4
	v_mov_b32_e32 v6, 0x7fc0
	v_cmp_o_f32_e32 vcc, v2, v2
	v_cndmask_b32_e32 v6, v6, v4, vcc
.LBB463_8:
	s_or_b64 exec, exec, s[4:5]
	global_store_short v[0:1], v6, off
.LBB463_9:
	s_or_b64 exec, exec, s[2:3]
	v_cmp_ne_u32_e32 vcc, 1, v8
	s_and_b64 exec, exec, vcc
	s_cbranch_execz .LBB463_12
; %bb.10:
	s_and_b64 exec, exec, s[0:1]
	s_cbranch_execz .LBB463_12
; %bb.11:
	v_div_scale_f32 v2, s[0:1], v5, v5, v3
	v_rcp_f32_e32 v4, v2
	s_mov_b32 s15, 0
	s_movk_i32 s2, 0x7fff
	v_cmp_eq_f32_e64 s[0:1], 0, v5
	v_fma_f32 v6, -v2, v4, 1.0
	v_fmac_f32_e32 v4, v6, v4
	v_div_scale_f32 v6, vcc, v3, v5, v3
	v_mul_f32_e32 v7, v6, v4
	v_fma_f32 v8, -v2, v7, v6
	v_fmac_f32_e32 v7, v8, v4
	v_fma_f32 v2, -v2, v7, v6
	v_div_fmas_f32 v2, v2, v4, v7
	v_div_fixup_f32 v2, v2, v5, v3
	v_bfe_u32 v3, v2, 16, 1
	v_cmp_u_f32_e32 vcc, v2, v2
	v_add3_u32 v2, v2, v3, s2
	s_lshl_b64 s[2:3], s[14:15], 1
	v_mov_b32_e32 v3, s3
	v_add_co_u32_e64 v0, s[2:3], s2, v0
	v_lshrrev_b32_e32 v2, 16, v2
	v_addc_co_u32_e64 v1, s[2:3], v1, v3, s[2:3]
	v_mov_b32_e32 v3, 0x7fc0
	s_or_b64 vcc, s[0:1], vcc
	v_cndmask_b32_e32 v2, v2, v3, vcc
	global_store_short v[0:1], v2, off
.LBB463_12:
	s_endpgm
	.section	.rodata,"a",@progbits
	.p2align	6, 0x0
	.amdhsa_kernel _ZN12_GLOBAL__N_120softmax_warp_forwardIN3c108BFloat16ES2_fLi2ELb0ELb0ELi32EEEvPT0_PKT_iiiPKbib
		.amdhsa_group_segment_fixed_size 0
		.amdhsa_private_segment_fixed_size 0
		.amdhsa_kernarg_size 304
		.amdhsa_user_sgpr_count 6
		.amdhsa_user_sgpr_private_segment_buffer 1
		.amdhsa_user_sgpr_dispatch_ptr 0
		.amdhsa_user_sgpr_queue_ptr 0
		.amdhsa_user_sgpr_kernarg_segment_ptr 1
		.amdhsa_user_sgpr_dispatch_id 0
		.amdhsa_user_sgpr_flat_scratch_init 0
		.amdhsa_user_sgpr_kernarg_preload_length 0
		.amdhsa_user_sgpr_kernarg_preload_offset 0
		.amdhsa_user_sgpr_private_segment_size 0
		.amdhsa_uses_dynamic_stack 0
		.amdhsa_system_sgpr_private_segment_wavefront_offset 0
		.amdhsa_system_sgpr_workgroup_id_x 1
		.amdhsa_system_sgpr_workgroup_id_y 0
		.amdhsa_system_sgpr_workgroup_id_z 0
		.amdhsa_system_sgpr_workgroup_info 0
		.amdhsa_system_vgpr_workitem_id 1
		.amdhsa_next_free_vgpr 12
		.amdhsa_next_free_sgpr 16
		.amdhsa_accum_offset 12
		.amdhsa_reserve_vcc 1
		.amdhsa_reserve_flat_scratch 0
		.amdhsa_float_round_mode_32 0
		.amdhsa_float_round_mode_16_64 0
		.amdhsa_float_denorm_mode_32 3
		.amdhsa_float_denorm_mode_16_64 3
		.amdhsa_dx10_clamp 1
		.amdhsa_ieee_mode 1
		.amdhsa_fp16_overflow 0
		.amdhsa_tg_split 0
		.amdhsa_exception_fp_ieee_invalid_op 0
		.amdhsa_exception_fp_denorm_src 0
		.amdhsa_exception_fp_ieee_div_zero 0
		.amdhsa_exception_fp_ieee_overflow 0
		.amdhsa_exception_fp_ieee_underflow 0
		.amdhsa_exception_fp_ieee_inexact 0
		.amdhsa_exception_int_div_zero 0
	.end_amdhsa_kernel
	.section	.text._ZN12_GLOBAL__N_120softmax_warp_forwardIN3c108BFloat16ES2_fLi2ELb0ELb0ELi32EEEvPT0_PKT_iiiPKbib,"axG",@progbits,_ZN12_GLOBAL__N_120softmax_warp_forwardIN3c108BFloat16ES2_fLi2ELb0ELb0ELi32EEEvPT0_PKT_iiiPKbib,comdat
.Lfunc_end463:
	.size	_ZN12_GLOBAL__N_120softmax_warp_forwardIN3c108BFloat16ES2_fLi2ELb0ELb0ELi32EEEvPT0_PKT_iiiPKbib, .Lfunc_end463-_ZN12_GLOBAL__N_120softmax_warp_forwardIN3c108BFloat16ES2_fLi2ELb0ELb0ELi32EEEvPT0_PKT_iiiPKbib
                                        ; -- End function
	.section	.AMDGPU.csdata,"",@progbits
; Kernel info:
; codeLenInByte = 1028
; NumSgprs: 20
; NumVgprs: 12
; NumAgprs: 0
; TotalNumVgprs: 12
; ScratchSize: 0
; MemoryBound: 0
; FloatMode: 240
; IeeeMode: 1
; LDSByteSize: 0 bytes/workgroup (compile time only)
; SGPRBlocks: 2
; VGPRBlocks: 1
; NumSGPRsForWavesPerEU: 20
; NumVGPRsForWavesPerEU: 12
; AccumOffset: 12
; Occupancy: 8
; WaveLimiterHint : 0
; COMPUTE_PGM_RSRC2:SCRATCH_EN: 0
; COMPUTE_PGM_RSRC2:USER_SGPR: 6
; COMPUTE_PGM_RSRC2:TRAP_HANDLER: 0
; COMPUTE_PGM_RSRC2:TGID_X_EN: 1
; COMPUTE_PGM_RSRC2:TGID_Y_EN: 0
; COMPUTE_PGM_RSRC2:TGID_Z_EN: 0
; COMPUTE_PGM_RSRC2:TIDIG_COMP_CNT: 1
; COMPUTE_PGM_RSRC3_GFX90A:ACCUM_OFFSET: 2
; COMPUTE_PGM_RSRC3_GFX90A:TG_SPLIT: 0
	.section	.text._ZN12_GLOBAL__N_120softmax_warp_forwardIN3c108BFloat16ES2_fLi3ELb0ELb0ELi64EEEvPT0_PKT_iiiPKbib,"axG",@progbits,_ZN12_GLOBAL__N_120softmax_warp_forwardIN3c108BFloat16ES2_fLi3ELb0ELb0ELi64EEEvPT0_PKT_iiiPKbib,comdat
	.globl	_ZN12_GLOBAL__N_120softmax_warp_forwardIN3c108BFloat16ES2_fLi3ELb0ELb0ELi64EEEvPT0_PKT_iiiPKbib ; -- Begin function _ZN12_GLOBAL__N_120softmax_warp_forwardIN3c108BFloat16ES2_fLi3ELb0ELb0ELi64EEEvPT0_PKT_iiiPKbib
	.p2align	8
	.type	_ZN12_GLOBAL__N_120softmax_warp_forwardIN3c108BFloat16ES2_fLi3ELb0ELb0ELi64EEEvPT0_PKT_iiiPKbib,@function
_ZN12_GLOBAL__N_120softmax_warp_forwardIN3c108BFloat16ES2_fLi3ELb0ELb0ELi64EEEvPT0_PKT_iiiPKbib: ; @_ZN12_GLOBAL__N_120softmax_warp_forwardIN3c108BFloat16ES2_fLi3ELb0ELb0ELi64EEEvPT0_PKT_iiiPKbib
; %bb.0:
	s_load_dword s0, s[4:5], 0x3c
	s_load_dwordx8 s[8:15], s[4:5], 0x0
	v_bfe_u32 v1, v0, 10, 10
	v_and_b32_e32 v2, 0x3ff, v0
	s_waitcnt lgkmcnt(0)
	s_lshr_b32 s0, s0, 16
	s_mul_i32 s6, s6, s0
	v_add_lshl_u32 v1, s6, v1, 1
	v_sub_u32_e32 v8, s12, v1
	v_mad_u64_u32 v[0:1], s[0:1], v1, s13, v[2:3]
	v_ashrrev_i32_e32 v1, 31, v0
	v_lshlrev_b64 v[0:1], 1, v[0:1]
	v_mov_b32_e32 v3, s11
	v_add_co_u32_e32 v4, vcc, s10, v0
	v_addc_co_u32_e32 v5, vcc, v3, v1, vcc
	v_cmp_gt_i32_e64 s[0:1], s14, v2
	v_cmp_lt_i32_e32 vcc, 0, v8
	s_and_b64 s[4:5], s[0:1], vcc
	v_mov_b32_e32 v3, 0xff800000
	v_mov_b32_e32 v2, 0xff800000
	s_and_saveexec_b64 s[2:3], s[4:5]
	s_cbranch_execz .LBB464_2
; %bb.1:
	global_load_ushort v2, v[4:5], off
	s_waitcnt vmcnt(0)
	v_lshlrev_b32_e32 v2, 16, v2
.LBB464_2:
	s_or_b64 exec, exec, s[2:3]
	v_cmp_lt_i32_e64 s[2:3], 1, v8
	s_and_b64 s[2:3], s[0:1], s[2:3]
	s_and_saveexec_b64 s[4:5], s[2:3]
	s_cbranch_execz .LBB464_4
; %bb.3:
	s_mov_b32 s15, 0
	s_lshl_b64 s[2:3], s[14:15], 1
	v_mov_b32_e32 v3, s3
	v_add_co_u32_e64 v4, s[2:3], s2, v4
	v_addc_co_u32_e64 v5, s[2:3], v5, v3, s[2:3]
	global_load_ushort v3, v[4:5], off
	s_waitcnt vmcnt(0)
	v_lshlrev_b32_e32 v3, 16, v3
.LBB464_4:
	s_or_b64 exec, exec, s[4:5]
	v_mbcnt_lo_u32_b32 v4, -1, 0
	v_mbcnt_hi_u32_b32 v4, -1, v4
	v_and_b32_e32 v5, 0x78, v4
	v_add_u32_e32 v5, 8, v5
	v_xor_b32_e32 v6, 4, v4
	v_cmp_lt_i32_e64 s[2:3], v6, v5
	v_cndmask_b32_e64 v6, v4, v6, s[2:3]
	v_lshlrev_b32_e32 v6, 2, v6
	ds_bpermute_b32 v9, v6, v3
	ds_bpermute_b32 v7, v6, v2
	v_xor_b32_e32 v10, 2, v4
	v_cmp_lt_i32_e64 s[2:3], v10, v5
	v_xor_b32_e32 v11, 1, v4
	v_cndmask_b32_e64 v10, v4, v10, s[2:3]
	v_cmp_lt_i32_e64 s[2:3], v11, v5
	v_cndmask_b32_e64 v4, v4, v11, s[2:3]
	s_waitcnt lgkmcnt(1)
	v_cmp_lt_f32_e64 s[2:3], v3, v9
	v_lshlrev_b32_e32 v10, 2, v10
	v_cndmask_b32_e64 v5, v3, v9, s[2:3]
	s_waitcnt lgkmcnt(0)
	v_cmp_lt_f32_e64 s[2:3], v2, v7
	ds_bpermute_b32 v9, v10, v5
	v_cndmask_b32_e64 v7, v2, v7, s[2:3]
	ds_bpermute_b32 v11, v10, v7
	v_lshlrev_b32_e32 v12, 2, v4
	s_mov_b32 s4, 0x3fb8aa3b
	s_waitcnt lgkmcnt(1)
	v_cmp_lt_f32_e64 s[2:3], v5, v9
	v_cndmask_b32_e64 v4, v5, v9, s[2:3]
	s_waitcnt lgkmcnt(0)
	v_cmp_lt_f32_e64 s[2:3], v7, v11
	ds_bpermute_b32 v5, v12, v4
	v_cndmask_b32_e64 v7, v7, v11, s[2:3]
	ds_bpermute_b32 v9, v12, v7
	s_mov_b32 s5, 0xc2ce8ed0
	s_mov_b32 s6, 0x42b17218
	s_waitcnt lgkmcnt(1)
	v_cmp_lt_f32_e64 s[2:3], v4, v5
	v_cndmask_b32_e64 v5, v4, v5, s[2:3]
	s_waitcnt lgkmcnt(0)
	v_cmp_lt_f32_e64 s[2:3], v7, v9
	v_cndmask_b32_e64 v4, v7, v9, s[2:3]
	v_pk_add_f32 v[2:3], v[2:3], v[4:5] neg_lo:[0,1] neg_hi:[0,1]
	v_mul_f32_e32 v4, 0x3fb8aa3b, v3
	v_fma_f32 v5, v3, s4, -v4
	v_rndne_f32_e32 v7, v4
	v_fmac_f32_e32 v5, 0x32a5705f, v3
	v_sub_f32_e32 v4, v4, v7
	v_add_f32_e32 v4, v4, v5
	v_exp_f32_e32 v4, v4
	v_cvt_i32_f32_e32 v5, v7
	v_cmp_ngt_f32_e64 s[2:3], s5, v3
	v_ldexp_f32 v4, v4, v5
	v_mul_f32_e32 v5, 0x3fb8aa3b, v2
	v_fma_f32 v7, v2, s4, -v5
	v_rndne_f32_e32 v9, v5
	v_fmac_f32_e32 v7, 0x32a5705f, v2
	v_sub_f32_e32 v5, v5, v9
	v_add_f32_e32 v5, v5, v7
	v_exp_f32_e32 v5, v5
	v_cvt_i32_f32_e32 v7, v9
	v_cndmask_b32_e64 v4, 0, v4, s[2:3]
	v_mov_b32_e32 v9, 0x7f800000
	v_cmp_nlt_f32_e64 s[2:3], s6, v3
	v_cndmask_b32_e64 v3, v9, v4, s[2:3]
	v_ldexp_f32 v4, v5, v7
	v_cmp_ngt_f32_e64 s[2:3], s5, v2
	v_cndmask_b32_e64 v4, 0, v4, s[2:3]
	v_cmp_nlt_f32_e64 s[2:3], s6, v2
	v_cndmask_b32_e64 v2, v9, v4, s[2:3]
	ds_bpermute_b32 v4, v6, v2
	ds_bpermute_b32 v5, v6, v3
	s_waitcnt lgkmcnt(0)
	v_pk_add_f32 v[4:5], v[2:3], v[4:5]
	ds_bpermute_b32 v6, v10, v4
	ds_bpermute_b32 v7, v10, v5
	s_waitcnt lgkmcnt(0)
	v_pk_add_f32 v[4:5], v[4:5], v[6:7]
	ds_bpermute_b32 v6, v12, v4
	ds_bpermute_b32 v7, v12, v5
	s_and_saveexec_b64 s[2:3], vcc
	s_cbranch_execz .LBB464_12
; %bb.5:
	v_mov_b32_e32 v9, s9
	v_add_co_u32_e32 v0, vcc, s8, v0
	v_addc_co_u32_e32 v1, vcc, v9, v1, vcc
	s_waitcnt lgkmcnt(0)
	v_pk_add_f32 v[4:5], v[4:5], v[6:7]
	s_and_saveexec_b64 s[2:3], s[0:1]
	s_cbranch_execz .LBB464_9
; %bb.6:
	v_cmp_neq_f32_e32 vcc, 0, v4
	v_mov_b32_e32 v6, 0x7fc0
	s_and_saveexec_b64 s[4:5], vcc
	s_cbranch_execz .LBB464_8
; %bb.7:
	v_div_scale_f32 v6, s[6:7], v4, v4, v2
	v_rcp_f32_e32 v7, v6
	v_div_scale_f32 v9, vcc, v2, v4, v2
	s_movk_i32 s6, 0x7fff
	v_fma_f32 v10, -v6, v7, 1.0
	v_fmac_f32_e32 v7, v10, v7
	v_mul_f32_e32 v10, v9, v7
	v_fma_f32 v11, -v6, v10, v9
	v_fmac_f32_e32 v10, v11, v7
	v_fma_f32 v6, -v6, v10, v9
	v_div_fmas_f32 v6, v6, v7, v10
	v_div_fixup_f32 v2, v6, v4, v2
	v_bfe_u32 v4, v2, 16, 1
	v_add3_u32 v4, v2, v4, s6
	v_lshrrev_b32_e32 v4, 16, v4
	v_mov_b32_e32 v6, 0x7fc0
	v_cmp_o_f32_e32 vcc, v2, v2
	v_cndmask_b32_e32 v6, v6, v4, vcc
.LBB464_8:
	s_or_b64 exec, exec, s[4:5]
	global_store_short v[0:1], v6, off
.LBB464_9:
	s_or_b64 exec, exec, s[2:3]
	v_cmp_ne_u32_e32 vcc, 1, v8
	s_and_b64 exec, exec, vcc
	s_cbranch_execz .LBB464_12
; %bb.10:
	s_and_b64 exec, exec, s[0:1]
	s_cbranch_execz .LBB464_12
; %bb.11:
	v_div_scale_f32 v2, s[0:1], v5, v5, v3
	v_rcp_f32_e32 v4, v2
	s_mov_b32 s15, 0
	s_movk_i32 s2, 0x7fff
	v_cmp_eq_f32_e64 s[0:1], 0, v5
	v_fma_f32 v6, -v2, v4, 1.0
	v_fmac_f32_e32 v4, v6, v4
	v_div_scale_f32 v6, vcc, v3, v5, v3
	v_mul_f32_e32 v7, v6, v4
	v_fma_f32 v8, -v2, v7, v6
	v_fmac_f32_e32 v7, v8, v4
	v_fma_f32 v2, -v2, v7, v6
	v_div_fmas_f32 v2, v2, v4, v7
	v_div_fixup_f32 v2, v2, v5, v3
	v_bfe_u32 v3, v2, 16, 1
	v_cmp_u_f32_e32 vcc, v2, v2
	v_add3_u32 v2, v2, v3, s2
	s_lshl_b64 s[2:3], s[14:15], 1
	v_mov_b32_e32 v3, s3
	v_add_co_u32_e64 v0, s[2:3], s2, v0
	v_lshrrev_b32_e32 v2, 16, v2
	v_addc_co_u32_e64 v1, s[2:3], v1, v3, s[2:3]
	v_mov_b32_e32 v3, 0x7fc0
	s_or_b64 vcc, s[0:1], vcc
	v_cndmask_b32_e32 v2, v2, v3, vcc
	global_store_short v[0:1], v2, off
.LBB464_12:
	s_endpgm
	.section	.rodata,"a",@progbits
	.p2align	6, 0x0
	.amdhsa_kernel _ZN12_GLOBAL__N_120softmax_warp_forwardIN3c108BFloat16ES2_fLi3ELb0ELb0ELi64EEEvPT0_PKT_iiiPKbib
		.amdhsa_group_segment_fixed_size 0
		.amdhsa_private_segment_fixed_size 0
		.amdhsa_kernarg_size 304
		.amdhsa_user_sgpr_count 6
		.amdhsa_user_sgpr_private_segment_buffer 1
		.amdhsa_user_sgpr_dispatch_ptr 0
		.amdhsa_user_sgpr_queue_ptr 0
		.amdhsa_user_sgpr_kernarg_segment_ptr 1
		.amdhsa_user_sgpr_dispatch_id 0
		.amdhsa_user_sgpr_flat_scratch_init 0
		.amdhsa_user_sgpr_kernarg_preload_length 0
		.amdhsa_user_sgpr_kernarg_preload_offset 0
		.amdhsa_user_sgpr_private_segment_size 0
		.amdhsa_uses_dynamic_stack 0
		.amdhsa_system_sgpr_private_segment_wavefront_offset 0
		.amdhsa_system_sgpr_workgroup_id_x 1
		.amdhsa_system_sgpr_workgroup_id_y 0
		.amdhsa_system_sgpr_workgroup_id_z 0
		.amdhsa_system_sgpr_workgroup_info 0
		.amdhsa_system_vgpr_workitem_id 1
		.amdhsa_next_free_vgpr 13
		.amdhsa_next_free_sgpr 16
		.amdhsa_accum_offset 16
		.amdhsa_reserve_vcc 1
		.amdhsa_reserve_flat_scratch 0
		.amdhsa_float_round_mode_32 0
		.amdhsa_float_round_mode_16_64 0
		.amdhsa_float_denorm_mode_32 3
		.amdhsa_float_denorm_mode_16_64 3
		.amdhsa_dx10_clamp 1
		.amdhsa_ieee_mode 1
		.amdhsa_fp16_overflow 0
		.amdhsa_tg_split 0
		.amdhsa_exception_fp_ieee_invalid_op 0
		.amdhsa_exception_fp_denorm_src 0
		.amdhsa_exception_fp_ieee_div_zero 0
		.amdhsa_exception_fp_ieee_overflow 0
		.amdhsa_exception_fp_ieee_underflow 0
		.amdhsa_exception_fp_ieee_inexact 0
		.amdhsa_exception_int_div_zero 0
	.end_amdhsa_kernel
	.section	.text._ZN12_GLOBAL__N_120softmax_warp_forwardIN3c108BFloat16ES2_fLi3ELb0ELb0ELi64EEEvPT0_PKT_iiiPKbib,"axG",@progbits,_ZN12_GLOBAL__N_120softmax_warp_forwardIN3c108BFloat16ES2_fLi3ELb0ELb0ELi64EEEvPT0_PKT_iiiPKbib,comdat
.Lfunc_end464:
	.size	_ZN12_GLOBAL__N_120softmax_warp_forwardIN3c108BFloat16ES2_fLi3ELb0ELb0ELi64EEEvPT0_PKT_iiiPKbib, .Lfunc_end464-_ZN12_GLOBAL__N_120softmax_warp_forwardIN3c108BFloat16ES2_fLi3ELb0ELb0ELi64EEEvPT0_PKT_iiiPKbib
                                        ; -- End function
	.section	.AMDGPU.csdata,"",@progbits
; Kernel info:
; codeLenInByte = 1136
; NumSgprs: 20
; NumVgprs: 13
; NumAgprs: 0
; TotalNumVgprs: 13
; ScratchSize: 0
; MemoryBound: 0
; FloatMode: 240
; IeeeMode: 1
; LDSByteSize: 0 bytes/workgroup (compile time only)
; SGPRBlocks: 2
; VGPRBlocks: 1
; NumSGPRsForWavesPerEU: 20
; NumVGPRsForWavesPerEU: 13
; AccumOffset: 16
; Occupancy: 8
; WaveLimiterHint : 0
; COMPUTE_PGM_RSRC2:SCRATCH_EN: 0
; COMPUTE_PGM_RSRC2:USER_SGPR: 6
; COMPUTE_PGM_RSRC2:TRAP_HANDLER: 0
; COMPUTE_PGM_RSRC2:TGID_X_EN: 1
; COMPUTE_PGM_RSRC2:TGID_Y_EN: 0
; COMPUTE_PGM_RSRC2:TGID_Z_EN: 0
; COMPUTE_PGM_RSRC2:TIDIG_COMP_CNT: 1
; COMPUTE_PGM_RSRC3_GFX90A:ACCUM_OFFSET: 3
; COMPUTE_PGM_RSRC3_GFX90A:TG_SPLIT: 0
	.section	.text._ZN12_GLOBAL__N_120softmax_warp_forwardIN3c108BFloat16ES2_fLi3ELb0ELb0ELi32EEEvPT0_PKT_iiiPKbib,"axG",@progbits,_ZN12_GLOBAL__N_120softmax_warp_forwardIN3c108BFloat16ES2_fLi3ELb0ELb0ELi32EEEvPT0_PKT_iiiPKbib,comdat
	.globl	_ZN12_GLOBAL__N_120softmax_warp_forwardIN3c108BFloat16ES2_fLi3ELb0ELb0ELi32EEEvPT0_PKT_iiiPKbib ; -- Begin function _ZN12_GLOBAL__N_120softmax_warp_forwardIN3c108BFloat16ES2_fLi3ELb0ELb0ELi32EEEvPT0_PKT_iiiPKbib
	.p2align	8
	.type	_ZN12_GLOBAL__N_120softmax_warp_forwardIN3c108BFloat16ES2_fLi3ELb0ELb0ELi32EEEvPT0_PKT_iiiPKbib,@function
_ZN12_GLOBAL__N_120softmax_warp_forwardIN3c108BFloat16ES2_fLi3ELb0ELb0ELi32EEEvPT0_PKT_iiiPKbib: ; @_ZN12_GLOBAL__N_120softmax_warp_forwardIN3c108BFloat16ES2_fLi3ELb0ELb0ELi32EEEvPT0_PKT_iiiPKbib
; %bb.0:
	s_load_dword s0, s[4:5], 0x3c
	s_load_dwordx8 s[8:15], s[4:5], 0x0
	v_bfe_u32 v1, v0, 10, 10
	v_and_b32_e32 v2, 0x3ff, v0
	s_waitcnt lgkmcnt(0)
	s_lshr_b32 s0, s0, 16
	s_mul_i32 s6, s6, s0
	v_add_lshl_u32 v1, s6, v1, 1
	v_sub_u32_e32 v8, s12, v1
	v_mad_u64_u32 v[0:1], s[0:1], v1, s13, v[2:3]
	v_ashrrev_i32_e32 v1, 31, v0
	v_lshlrev_b64 v[0:1], 1, v[0:1]
	v_mov_b32_e32 v3, s11
	v_add_co_u32_e32 v4, vcc, s10, v0
	v_addc_co_u32_e32 v5, vcc, v3, v1, vcc
	v_cmp_gt_i32_e64 s[0:1], s14, v2
	v_cmp_lt_i32_e32 vcc, 0, v8
	s_and_b64 s[4:5], s[0:1], vcc
	v_mov_b32_e32 v3, 0xff800000
	v_mov_b32_e32 v2, 0xff800000
	s_and_saveexec_b64 s[2:3], s[4:5]
	s_cbranch_execz .LBB465_2
; %bb.1:
	global_load_ushort v2, v[4:5], off
	s_waitcnt vmcnt(0)
	v_lshlrev_b32_e32 v2, 16, v2
.LBB465_2:
	s_or_b64 exec, exec, s[2:3]
	v_cmp_lt_i32_e64 s[2:3], 1, v8
	s_and_b64 s[2:3], s[0:1], s[2:3]
	s_and_saveexec_b64 s[4:5], s[2:3]
	s_cbranch_execz .LBB465_4
; %bb.3:
	s_mov_b32 s15, 0
	s_lshl_b64 s[2:3], s[14:15], 1
	v_mov_b32_e32 v3, s3
	v_add_co_u32_e64 v4, s[2:3], s2, v4
	v_addc_co_u32_e64 v5, s[2:3], v5, v3, s[2:3]
	global_load_ushort v3, v[4:5], off
	s_waitcnt vmcnt(0)
	v_lshlrev_b32_e32 v3, 16, v3
.LBB465_4:
	s_or_b64 exec, exec, s[4:5]
	v_mbcnt_lo_u32_b32 v4, -1, 0
	v_mbcnt_hi_u32_b32 v4, -1, v4
	v_and_b32_e32 v5, 0x78, v4
	v_add_u32_e32 v5, 8, v5
	v_xor_b32_e32 v6, 4, v4
	v_cmp_lt_i32_e64 s[2:3], v6, v5
	v_cndmask_b32_e64 v6, v4, v6, s[2:3]
	v_lshlrev_b32_e32 v6, 2, v6
	ds_bpermute_b32 v9, v6, v3
	ds_bpermute_b32 v7, v6, v2
	v_xor_b32_e32 v10, 2, v4
	v_cmp_lt_i32_e64 s[2:3], v10, v5
	v_xor_b32_e32 v11, 1, v4
	v_cndmask_b32_e64 v10, v4, v10, s[2:3]
	v_cmp_lt_i32_e64 s[2:3], v11, v5
	v_cndmask_b32_e64 v4, v4, v11, s[2:3]
	s_waitcnt lgkmcnt(1)
	v_cmp_lt_f32_e64 s[2:3], v3, v9
	v_lshlrev_b32_e32 v10, 2, v10
	v_cndmask_b32_e64 v5, v3, v9, s[2:3]
	s_waitcnt lgkmcnt(0)
	v_cmp_lt_f32_e64 s[2:3], v2, v7
	ds_bpermute_b32 v9, v10, v5
	v_cndmask_b32_e64 v7, v2, v7, s[2:3]
	ds_bpermute_b32 v11, v10, v7
	v_lshlrev_b32_e32 v12, 2, v4
	s_mov_b32 s4, 0x3fb8aa3b
	s_waitcnt lgkmcnt(1)
	v_cmp_lt_f32_e64 s[2:3], v5, v9
	v_cndmask_b32_e64 v4, v5, v9, s[2:3]
	s_waitcnt lgkmcnt(0)
	v_cmp_lt_f32_e64 s[2:3], v7, v11
	ds_bpermute_b32 v5, v12, v4
	v_cndmask_b32_e64 v7, v7, v11, s[2:3]
	ds_bpermute_b32 v9, v12, v7
	s_mov_b32 s5, 0xc2ce8ed0
	s_mov_b32 s6, 0x42b17218
	s_waitcnt lgkmcnt(1)
	v_cmp_lt_f32_e64 s[2:3], v4, v5
	v_cndmask_b32_e64 v5, v4, v5, s[2:3]
	s_waitcnt lgkmcnt(0)
	v_cmp_lt_f32_e64 s[2:3], v7, v9
	v_cndmask_b32_e64 v4, v7, v9, s[2:3]
	v_pk_add_f32 v[2:3], v[2:3], v[4:5] neg_lo:[0,1] neg_hi:[0,1]
	v_mul_f32_e32 v4, 0x3fb8aa3b, v3
	v_fma_f32 v5, v3, s4, -v4
	v_rndne_f32_e32 v7, v4
	v_fmac_f32_e32 v5, 0x32a5705f, v3
	v_sub_f32_e32 v4, v4, v7
	v_add_f32_e32 v4, v4, v5
	v_exp_f32_e32 v4, v4
	v_cvt_i32_f32_e32 v5, v7
	v_cmp_ngt_f32_e64 s[2:3], s5, v3
	v_ldexp_f32 v4, v4, v5
	v_mul_f32_e32 v5, 0x3fb8aa3b, v2
	v_fma_f32 v7, v2, s4, -v5
	v_rndne_f32_e32 v9, v5
	v_fmac_f32_e32 v7, 0x32a5705f, v2
	v_sub_f32_e32 v5, v5, v9
	v_add_f32_e32 v5, v5, v7
	v_exp_f32_e32 v5, v5
	v_cvt_i32_f32_e32 v7, v9
	v_cndmask_b32_e64 v4, 0, v4, s[2:3]
	v_mov_b32_e32 v9, 0x7f800000
	v_cmp_nlt_f32_e64 s[2:3], s6, v3
	v_cndmask_b32_e64 v3, v9, v4, s[2:3]
	v_ldexp_f32 v4, v5, v7
	v_cmp_ngt_f32_e64 s[2:3], s5, v2
	v_cndmask_b32_e64 v4, 0, v4, s[2:3]
	v_cmp_nlt_f32_e64 s[2:3], s6, v2
	v_cndmask_b32_e64 v2, v9, v4, s[2:3]
	ds_bpermute_b32 v4, v6, v2
	ds_bpermute_b32 v5, v6, v3
	s_waitcnt lgkmcnt(0)
	v_pk_add_f32 v[4:5], v[2:3], v[4:5]
	ds_bpermute_b32 v6, v10, v4
	ds_bpermute_b32 v7, v10, v5
	s_waitcnt lgkmcnt(0)
	v_pk_add_f32 v[4:5], v[4:5], v[6:7]
	ds_bpermute_b32 v6, v12, v4
	ds_bpermute_b32 v7, v12, v5
	s_and_saveexec_b64 s[2:3], vcc
	s_cbranch_execz .LBB465_12
; %bb.5:
	v_mov_b32_e32 v9, s9
	v_add_co_u32_e32 v0, vcc, s8, v0
	v_addc_co_u32_e32 v1, vcc, v9, v1, vcc
	s_waitcnt lgkmcnt(0)
	v_pk_add_f32 v[4:5], v[4:5], v[6:7]
	s_and_saveexec_b64 s[2:3], s[0:1]
	s_cbranch_execz .LBB465_9
; %bb.6:
	v_cmp_neq_f32_e32 vcc, 0, v4
	v_mov_b32_e32 v6, 0x7fc0
	s_and_saveexec_b64 s[4:5], vcc
	s_cbranch_execz .LBB465_8
; %bb.7:
	v_div_scale_f32 v6, s[6:7], v4, v4, v2
	v_rcp_f32_e32 v7, v6
	v_div_scale_f32 v9, vcc, v2, v4, v2
	s_movk_i32 s6, 0x7fff
	v_fma_f32 v10, -v6, v7, 1.0
	v_fmac_f32_e32 v7, v10, v7
	v_mul_f32_e32 v10, v9, v7
	v_fma_f32 v11, -v6, v10, v9
	v_fmac_f32_e32 v10, v11, v7
	v_fma_f32 v6, -v6, v10, v9
	v_div_fmas_f32 v6, v6, v7, v10
	v_div_fixup_f32 v2, v6, v4, v2
	v_bfe_u32 v4, v2, 16, 1
	v_add3_u32 v4, v2, v4, s6
	v_lshrrev_b32_e32 v4, 16, v4
	v_mov_b32_e32 v6, 0x7fc0
	v_cmp_o_f32_e32 vcc, v2, v2
	v_cndmask_b32_e32 v6, v6, v4, vcc
.LBB465_8:
	s_or_b64 exec, exec, s[4:5]
	global_store_short v[0:1], v6, off
.LBB465_9:
	s_or_b64 exec, exec, s[2:3]
	v_cmp_ne_u32_e32 vcc, 1, v8
	s_and_b64 exec, exec, vcc
	s_cbranch_execz .LBB465_12
; %bb.10:
	s_and_b64 exec, exec, s[0:1]
	s_cbranch_execz .LBB465_12
; %bb.11:
	v_div_scale_f32 v2, s[0:1], v5, v5, v3
	v_rcp_f32_e32 v4, v2
	s_mov_b32 s15, 0
	s_movk_i32 s2, 0x7fff
	v_cmp_eq_f32_e64 s[0:1], 0, v5
	v_fma_f32 v6, -v2, v4, 1.0
	v_fmac_f32_e32 v4, v6, v4
	v_div_scale_f32 v6, vcc, v3, v5, v3
	v_mul_f32_e32 v7, v6, v4
	v_fma_f32 v8, -v2, v7, v6
	v_fmac_f32_e32 v7, v8, v4
	v_fma_f32 v2, -v2, v7, v6
	v_div_fmas_f32 v2, v2, v4, v7
	v_div_fixup_f32 v2, v2, v5, v3
	v_bfe_u32 v3, v2, 16, 1
	v_cmp_u_f32_e32 vcc, v2, v2
	v_add3_u32 v2, v2, v3, s2
	s_lshl_b64 s[2:3], s[14:15], 1
	v_mov_b32_e32 v3, s3
	v_add_co_u32_e64 v0, s[2:3], s2, v0
	v_lshrrev_b32_e32 v2, 16, v2
	v_addc_co_u32_e64 v1, s[2:3], v1, v3, s[2:3]
	v_mov_b32_e32 v3, 0x7fc0
	s_or_b64 vcc, s[0:1], vcc
	v_cndmask_b32_e32 v2, v2, v3, vcc
	global_store_short v[0:1], v2, off
.LBB465_12:
	s_endpgm
	.section	.rodata,"a",@progbits
	.p2align	6, 0x0
	.amdhsa_kernel _ZN12_GLOBAL__N_120softmax_warp_forwardIN3c108BFloat16ES2_fLi3ELb0ELb0ELi32EEEvPT0_PKT_iiiPKbib
		.amdhsa_group_segment_fixed_size 0
		.amdhsa_private_segment_fixed_size 0
		.amdhsa_kernarg_size 304
		.amdhsa_user_sgpr_count 6
		.amdhsa_user_sgpr_private_segment_buffer 1
		.amdhsa_user_sgpr_dispatch_ptr 0
		.amdhsa_user_sgpr_queue_ptr 0
		.amdhsa_user_sgpr_kernarg_segment_ptr 1
		.amdhsa_user_sgpr_dispatch_id 0
		.amdhsa_user_sgpr_flat_scratch_init 0
		.amdhsa_user_sgpr_kernarg_preload_length 0
		.amdhsa_user_sgpr_kernarg_preload_offset 0
		.amdhsa_user_sgpr_private_segment_size 0
		.amdhsa_uses_dynamic_stack 0
		.amdhsa_system_sgpr_private_segment_wavefront_offset 0
		.amdhsa_system_sgpr_workgroup_id_x 1
		.amdhsa_system_sgpr_workgroup_id_y 0
		.amdhsa_system_sgpr_workgroup_id_z 0
		.amdhsa_system_sgpr_workgroup_info 0
		.amdhsa_system_vgpr_workitem_id 1
		.amdhsa_next_free_vgpr 13
		.amdhsa_next_free_sgpr 16
		.amdhsa_accum_offset 16
		.amdhsa_reserve_vcc 1
		.amdhsa_reserve_flat_scratch 0
		.amdhsa_float_round_mode_32 0
		.amdhsa_float_round_mode_16_64 0
		.amdhsa_float_denorm_mode_32 3
		.amdhsa_float_denorm_mode_16_64 3
		.amdhsa_dx10_clamp 1
		.amdhsa_ieee_mode 1
		.amdhsa_fp16_overflow 0
		.amdhsa_tg_split 0
		.amdhsa_exception_fp_ieee_invalid_op 0
		.amdhsa_exception_fp_denorm_src 0
		.amdhsa_exception_fp_ieee_div_zero 0
		.amdhsa_exception_fp_ieee_overflow 0
		.amdhsa_exception_fp_ieee_underflow 0
		.amdhsa_exception_fp_ieee_inexact 0
		.amdhsa_exception_int_div_zero 0
	.end_amdhsa_kernel
	.section	.text._ZN12_GLOBAL__N_120softmax_warp_forwardIN3c108BFloat16ES2_fLi3ELb0ELb0ELi32EEEvPT0_PKT_iiiPKbib,"axG",@progbits,_ZN12_GLOBAL__N_120softmax_warp_forwardIN3c108BFloat16ES2_fLi3ELb0ELb0ELi32EEEvPT0_PKT_iiiPKbib,comdat
.Lfunc_end465:
	.size	_ZN12_GLOBAL__N_120softmax_warp_forwardIN3c108BFloat16ES2_fLi3ELb0ELb0ELi32EEEvPT0_PKT_iiiPKbib, .Lfunc_end465-_ZN12_GLOBAL__N_120softmax_warp_forwardIN3c108BFloat16ES2_fLi3ELb0ELb0ELi32EEEvPT0_PKT_iiiPKbib
                                        ; -- End function
	.section	.AMDGPU.csdata,"",@progbits
; Kernel info:
; codeLenInByte = 1136
; NumSgprs: 20
; NumVgprs: 13
; NumAgprs: 0
; TotalNumVgprs: 13
; ScratchSize: 0
; MemoryBound: 0
; FloatMode: 240
; IeeeMode: 1
; LDSByteSize: 0 bytes/workgroup (compile time only)
; SGPRBlocks: 2
; VGPRBlocks: 1
; NumSGPRsForWavesPerEU: 20
; NumVGPRsForWavesPerEU: 13
; AccumOffset: 16
; Occupancy: 8
; WaveLimiterHint : 0
; COMPUTE_PGM_RSRC2:SCRATCH_EN: 0
; COMPUTE_PGM_RSRC2:USER_SGPR: 6
; COMPUTE_PGM_RSRC2:TRAP_HANDLER: 0
; COMPUTE_PGM_RSRC2:TGID_X_EN: 1
; COMPUTE_PGM_RSRC2:TGID_Y_EN: 0
; COMPUTE_PGM_RSRC2:TGID_Z_EN: 0
; COMPUTE_PGM_RSRC2:TIDIG_COMP_CNT: 1
; COMPUTE_PGM_RSRC3_GFX90A:ACCUM_OFFSET: 3
; COMPUTE_PGM_RSRC3_GFX90A:TG_SPLIT: 0
	.section	.text._ZN12_GLOBAL__N_120softmax_warp_forwardIN3c108BFloat16ES2_fLi4ELb0ELb0ELi64EEEvPT0_PKT_iiiPKbib,"axG",@progbits,_ZN12_GLOBAL__N_120softmax_warp_forwardIN3c108BFloat16ES2_fLi4ELb0ELb0ELi64EEEvPT0_PKT_iiiPKbib,comdat
	.globl	_ZN12_GLOBAL__N_120softmax_warp_forwardIN3c108BFloat16ES2_fLi4ELb0ELb0ELi64EEEvPT0_PKT_iiiPKbib ; -- Begin function _ZN12_GLOBAL__N_120softmax_warp_forwardIN3c108BFloat16ES2_fLi4ELb0ELb0ELi64EEEvPT0_PKT_iiiPKbib
	.p2align	8
	.type	_ZN12_GLOBAL__N_120softmax_warp_forwardIN3c108BFloat16ES2_fLi4ELb0ELb0ELi64EEEvPT0_PKT_iiiPKbib,@function
_ZN12_GLOBAL__N_120softmax_warp_forwardIN3c108BFloat16ES2_fLi4ELb0ELb0ELi64EEEvPT0_PKT_iiiPKbib: ; @_ZN12_GLOBAL__N_120softmax_warp_forwardIN3c108BFloat16ES2_fLi4ELb0ELb0ELi64EEEvPT0_PKT_iiiPKbib
; %bb.0:
	s_load_dword s0, s[4:5], 0x3c
	s_load_dwordx8 s[8:15], s[4:5], 0x0
	v_bfe_u32 v1, v0, 10, 10
	v_and_b32_e32 v2, 0x3ff, v0
	s_waitcnt lgkmcnt(0)
	s_lshr_b32 s0, s0, 16
	s_mul_i32 s6, s6, s0
	v_add_lshl_u32 v1, s6, v1, 1
	v_sub_u32_e32 v8, s12, v1
	v_mad_u64_u32 v[0:1], s[0:1], v1, s13, v[2:3]
	v_ashrrev_i32_e32 v1, 31, v0
	v_lshlrev_b64 v[0:1], 1, v[0:1]
	v_mov_b32_e32 v3, s11
	v_add_co_u32_e32 v4, vcc, s10, v0
	v_addc_co_u32_e32 v5, vcc, v3, v1, vcc
	v_cmp_gt_i32_e64 s[0:1], s14, v2
	v_cmp_lt_i32_e32 vcc, 0, v8
	s_and_b64 s[4:5], s[0:1], vcc
	v_mov_b32_e32 v3, 0xff800000
	v_mov_b32_e32 v2, 0xff800000
	s_and_saveexec_b64 s[2:3], s[4:5]
	s_cbranch_execz .LBB466_2
; %bb.1:
	global_load_ushort v2, v[4:5], off
	s_waitcnt vmcnt(0)
	v_lshlrev_b32_e32 v2, 16, v2
.LBB466_2:
	s_or_b64 exec, exec, s[2:3]
	v_cmp_lt_i32_e64 s[2:3], 1, v8
	s_and_b64 s[2:3], s[0:1], s[2:3]
	s_and_saveexec_b64 s[4:5], s[2:3]
	s_cbranch_execz .LBB466_4
; %bb.3:
	s_mov_b32 s15, 0
	s_lshl_b64 s[2:3], s[14:15], 1
	v_mov_b32_e32 v3, s3
	v_add_co_u32_e64 v4, s[2:3], s2, v4
	v_addc_co_u32_e64 v5, s[2:3], v5, v3, s[2:3]
	global_load_ushort v3, v[4:5], off
	s_waitcnt vmcnt(0)
	v_lshlrev_b32_e32 v3, 16, v3
.LBB466_4:
	s_or_b64 exec, exec, s[4:5]
	v_mbcnt_lo_u32_b32 v4, -1, 0
	v_mbcnt_hi_u32_b32 v4, -1, v4
	v_and_b32_e32 v5, 0x70, v4
	v_add_u32_e32 v5, 16, v5
	v_xor_b32_e32 v6, 8, v4
	v_cmp_lt_i32_e64 s[2:3], v6, v5
	v_cndmask_b32_e64 v6, v4, v6, s[2:3]
	v_lshlrev_b32_e32 v6, 2, v6
	ds_bpermute_b32 v9, v6, v3
	ds_bpermute_b32 v7, v6, v2
	v_xor_b32_e32 v10, 4, v4
	v_cmp_lt_i32_e64 s[2:3], v10, v5
	v_xor_b32_e32 v11, 2, v4
	v_cndmask_b32_e64 v10, v4, v10, s[2:3]
	v_cmp_lt_i32_e64 s[2:3], v11, v5
	v_cndmask_b32_e64 v11, v4, v11, s[2:3]
	s_waitcnt lgkmcnt(1)
	v_cmp_lt_f32_e64 s[2:3], v3, v9
	v_lshlrev_b32_e32 v10, 2, v10
	v_cndmask_b32_e64 v9, v3, v9, s[2:3]
	s_waitcnt lgkmcnt(0)
	v_cmp_lt_f32_e64 s[2:3], v2, v7
	ds_bpermute_b32 v13, v10, v9
	v_cndmask_b32_e64 v7, v2, v7, s[2:3]
	ds_bpermute_b32 v14, v10, v7
	v_xor_b32_e32 v12, 1, v4
	v_cmp_lt_i32_e64 s[2:3], v12, v5
	v_cndmask_b32_e64 v4, v4, v12, s[2:3]
	s_waitcnt lgkmcnt(1)
	v_cmp_lt_f32_e64 s[2:3], v9, v13
	v_lshlrev_b32_e32 v11, 2, v11
	v_cndmask_b32_e64 v5, v9, v13, s[2:3]
	s_waitcnt lgkmcnt(0)
	v_cmp_lt_f32_e64 s[2:3], v7, v14
	ds_bpermute_b32 v9, v11, v5
	v_cndmask_b32_e64 v7, v7, v14, s[2:3]
	ds_bpermute_b32 v12, v11, v7
	v_lshlrev_b32_e32 v13, 2, v4
	s_mov_b32 s4, 0x3fb8aa3b
	s_waitcnt lgkmcnt(1)
	v_cmp_lt_f32_e64 s[2:3], v5, v9
	v_cndmask_b32_e64 v4, v5, v9, s[2:3]
	s_waitcnt lgkmcnt(0)
	v_cmp_lt_f32_e64 s[2:3], v7, v12
	ds_bpermute_b32 v5, v13, v4
	v_cndmask_b32_e64 v7, v7, v12, s[2:3]
	ds_bpermute_b32 v9, v13, v7
	s_mov_b32 s5, 0xc2ce8ed0
	s_mov_b32 s6, 0x42b17218
	s_waitcnt lgkmcnt(1)
	v_cmp_lt_f32_e64 s[2:3], v4, v5
	v_cndmask_b32_e64 v5, v4, v5, s[2:3]
	s_waitcnt lgkmcnt(0)
	v_cmp_lt_f32_e64 s[2:3], v7, v9
	v_cndmask_b32_e64 v4, v7, v9, s[2:3]
	v_pk_add_f32 v[2:3], v[2:3], v[4:5] neg_lo:[0,1] neg_hi:[0,1]
	v_mul_f32_e32 v4, 0x3fb8aa3b, v3
	v_fma_f32 v5, v3, s4, -v4
	v_rndne_f32_e32 v7, v4
	v_fmac_f32_e32 v5, 0x32a5705f, v3
	v_sub_f32_e32 v4, v4, v7
	v_add_f32_e32 v4, v4, v5
	v_exp_f32_e32 v4, v4
	v_cvt_i32_f32_e32 v5, v7
	v_cmp_ngt_f32_e64 s[2:3], s5, v3
	v_ldexp_f32 v4, v4, v5
	v_mul_f32_e32 v5, 0x3fb8aa3b, v2
	v_fma_f32 v7, v2, s4, -v5
	v_rndne_f32_e32 v9, v5
	v_fmac_f32_e32 v7, 0x32a5705f, v2
	v_sub_f32_e32 v5, v5, v9
	v_add_f32_e32 v5, v5, v7
	v_exp_f32_e32 v5, v5
	v_cvt_i32_f32_e32 v7, v9
	v_cndmask_b32_e64 v4, 0, v4, s[2:3]
	v_mov_b32_e32 v9, 0x7f800000
	v_cmp_nlt_f32_e64 s[2:3], s6, v3
	v_cndmask_b32_e64 v3, v9, v4, s[2:3]
	v_ldexp_f32 v4, v5, v7
	v_cmp_ngt_f32_e64 s[2:3], s5, v2
	v_cndmask_b32_e64 v4, 0, v4, s[2:3]
	v_cmp_nlt_f32_e64 s[2:3], s6, v2
	v_cndmask_b32_e64 v2, v9, v4, s[2:3]
	ds_bpermute_b32 v4, v6, v2
	ds_bpermute_b32 v5, v6, v3
	s_waitcnt lgkmcnt(0)
	v_pk_add_f32 v[4:5], v[2:3], v[4:5]
	ds_bpermute_b32 v6, v10, v4
	ds_bpermute_b32 v7, v10, v5
	s_waitcnt lgkmcnt(0)
	v_pk_add_f32 v[4:5], v[4:5], v[6:7]
	;; [unrolled: 4-line block ×3, first 2 shown]
	ds_bpermute_b32 v6, v13, v4
	ds_bpermute_b32 v7, v13, v5
	s_and_saveexec_b64 s[2:3], vcc
	s_cbranch_execz .LBB466_12
; %bb.5:
	v_mov_b32_e32 v9, s9
	v_add_co_u32_e32 v0, vcc, s8, v0
	v_addc_co_u32_e32 v1, vcc, v9, v1, vcc
	s_waitcnt lgkmcnt(0)
	v_pk_add_f32 v[4:5], v[4:5], v[6:7]
	s_and_saveexec_b64 s[2:3], s[0:1]
	s_cbranch_execz .LBB466_9
; %bb.6:
	v_cmp_neq_f32_e32 vcc, 0, v4
	v_mov_b32_e32 v6, 0x7fc0
	s_and_saveexec_b64 s[4:5], vcc
	s_cbranch_execz .LBB466_8
; %bb.7:
	v_div_scale_f32 v6, s[6:7], v4, v4, v2
	v_rcp_f32_e32 v7, v6
	v_div_scale_f32 v9, vcc, v2, v4, v2
	s_movk_i32 s6, 0x7fff
	v_fma_f32 v10, -v6, v7, 1.0
	v_fmac_f32_e32 v7, v10, v7
	v_mul_f32_e32 v10, v9, v7
	v_fma_f32 v11, -v6, v10, v9
	v_fmac_f32_e32 v10, v11, v7
	v_fma_f32 v6, -v6, v10, v9
	v_div_fmas_f32 v6, v6, v7, v10
	v_div_fixup_f32 v2, v6, v4, v2
	v_bfe_u32 v4, v2, 16, 1
	v_add3_u32 v4, v2, v4, s6
	v_lshrrev_b32_e32 v4, 16, v4
	v_mov_b32_e32 v6, 0x7fc0
	v_cmp_o_f32_e32 vcc, v2, v2
	v_cndmask_b32_e32 v6, v6, v4, vcc
.LBB466_8:
	s_or_b64 exec, exec, s[4:5]
	global_store_short v[0:1], v6, off
.LBB466_9:
	s_or_b64 exec, exec, s[2:3]
	v_cmp_ne_u32_e32 vcc, 1, v8
	s_and_b64 exec, exec, vcc
	s_cbranch_execz .LBB466_12
; %bb.10:
	s_and_b64 exec, exec, s[0:1]
	s_cbranch_execz .LBB466_12
; %bb.11:
	v_div_scale_f32 v2, s[0:1], v5, v5, v3
	v_rcp_f32_e32 v4, v2
	s_mov_b32 s15, 0
	s_movk_i32 s2, 0x7fff
	v_cmp_eq_f32_e64 s[0:1], 0, v5
	v_fma_f32 v6, -v2, v4, 1.0
	v_fmac_f32_e32 v4, v6, v4
	v_div_scale_f32 v6, vcc, v3, v5, v3
	v_mul_f32_e32 v7, v6, v4
	v_fma_f32 v8, -v2, v7, v6
	v_fmac_f32_e32 v7, v8, v4
	v_fma_f32 v2, -v2, v7, v6
	v_div_fmas_f32 v2, v2, v4, v7
	v_div_fixup_f32 v2, v2, v5, v3
	v_bfe_u32 v3, v2, 16, 1
	v_cmp_u_f32_e32 vcc, v2, v2
	v_add3_u32 v2, v2, v3, s2
	s_lshl_b64 s[2:3], s[14:15], 1
	v_mov_b32_e32 v3, s3
	v_add_co_u32_e64 v0, s[2:3], s2, v0
	v_lshrrev_b32_e32 v2, 16, v2
	v_addc_co_u32_e64 v1, s[2:3], v1, v3, s[2:3]
	v_mov_b32_e32 v3, 0x7fc0
	s_or_b64 vcc, s[0:1], vcc
	v_cndmask_b32_e32 v2, v2, v3, vcc
	global_store_short v[0:1], v2, off
.LBB466_12:
	s_endpgm
	.section	.rodata,"a",@progbits
	.p2align	6, 0x0
	.amdhsa_kernel _ZN12_GLOBAL__N_120softmax_warp_forwardIN3c108BFloat16ES2_fLi4ELb0ELb0ELi64EEEvPT0_PKT_iiiPKbib
		.amdhsa_group_segment_fixed_size 0
		.amdhsa_private_segment_fixed_size 0
		.amdhsa_kernarg_size 304
		.amdhsa_user_sgpr_count 6
		.amdhsa_user_sgpr_private_segment_buffer 1
		.amdhsa_user_sgpr_dispatch_ptr 0
		.amdhsa_user_sgpr_queue_ptr 0
		.amdhsa_user_sgpr_kernarg_segment_ptr 1
		.amdhsa_user_sgpr_dispatch_id 0
		.amdhsa_user_sgpr_flat_scratch_init 0
		.amdhsa_user_sgpr_kernarg_preload_length 0
		.amdhsa_user_sgpr_kernarg_preload_offset 0
		.amdhsa_user_sgpr_private_segment_size 0
		.amdhsa_uses_dynamic_stack 0
		.amdhsa_system_sgpr_private_segment_wavefront_offset 0
		.amdhsa_system_sgpr_workgroup_id_x 1
		.amdhsa_system_sgpr_workgroup_id_y 0
		.amdhsa_system_sgpr_workgroup_id_z 0
		.amdhsa_system_sgpr_workgroup_info 0
		.amdhsa_system_vgpr_workitem_id 1
		.amdhsa_next_free_vgpr 15
		.amdhsa_next_free_sgpr 16
		.amdhsa_accum_offset 16
		.amdhsa_reserve_vcc 1
		.amdhsa_reserve_flat_scratch 0
		.amdhsa_float_round_mode_32 0
		.amdhsa_float_round_mode_16_64 0
		.amdhsa_float_denorm_mode_32 3
		.amdhsa_float_denorm_mode_16_64 3
		.amdhsa_dx10_clamp 1
		.amdhsa_ieee_mode 1
		.amdhsa_fp16_overflow 0
		.amdhsa_tg_split 0
		.amdhsa_exception_fp_ieee_invalid_op 0
		.amdhsa_exception_fp_denorm_src 0
		.amdhsa_exception_fp_ieee_div_zero 0
		.amdhsa_exception_fp_ieee_overflow 0
		.amdhsa_exception_fp_ieee_underflow 0
		.amdhsa_exception_fp_ieee_inexact 0
		.amdhsa_exception_int_div_zero 0
	.end_amdhsa_kernel
	.section	.text._ZN12_GLOBAL__N_120softmax_warp_forwardIN3c108BFloat16ES2_fLi4ELb0ELb0ELi64EEEvPT0_PKT_iiiPKbib,"axG",@progbits,_ZN12_GLOBAL__N_120softmax_warp_forwardIN3c108BFloat16ES2_fLi4ELb0ELb0ELi64EEEvPT0_PKT_iiiPKbib,comdat
.Lfunc_end466:
	.size	_ZN12_GLOBAL__N_120softmax_warp_forwardIN3c108BFloat16ES2_fLi4ELb0ELb0ELi64EEEvPT0_PKT_iiiPKbib, .Lfunc_end466-_ZN12_GLOBAL__N_120softmax_warp_forwardIN3c108BFloat16ES2_fLi4ELb0ELb0ELi64EEEvPT0_PKT_iiiPKbib
                                        ; -- End function
	.section	.AMDGPU.csdata,"",@progbits
; Kernel info:
; codeLenInByte = 1244
; NumSgprs: 20
; NumVgprs: 15
; NumAgprs: 0
; TotalNumVgprs: 15
; ScratchSize: 0
; MemoryBound: 0
; FloatMode: 240
; IeeeMode: 1
; LDSByteSize: 0 bytes/workgroup (compile time only)
; SGPRBlocks: 2
; VGPRBlocks: 1
; NumSGPRsForWavesPerEU: 20
; NumVGPRsForWavesPerEU: 15
; AccumOffset: 16
; Occupancy: 8
; WaveLimiterHint : 0
; COMPUTE_PGM_RSRC2:SCRATCH_EN: 0
; COMPUTE_PGM_RSRC2:USER_SGPR: 6
; COMPUTE_PGM_RSRC2:TRAP_HANDLER: 0
; COMPUTE_PGM_RSRC2:TGID_X_EN: 1
; COMPUTE_PGM_RSRC2:TGID_Y_EN: 0
; COMPUTE_PGM_RSRC2:TGID_Z_EN: 0
; COMPUTE_PGM_RSRC2:TIDIG_COMP_CNT: 1
; COMPUTE_PGM_RSRC3_GFX90A:ACCUM_OFFSET: 3
; COMPUTE_PGM_RSRC3_GFX90A:TG_SPLIT: 0
	.section	.text._ZN12_GLOBAL__N_120softmax_warp_forwardIN3c108BFloat16ES2_fLi4ELb0ELb0ELi32EEEvPT0_PKT_iiiPKbib,"axG",@progbits,_ZN12_GLOBAL__N_120softmax_warp_forwardIN3c108BFloat16ES2_fLi4ELb0ELb0ELi32EEEvPT0_PKT_iiiPKbib,comdat
	.globl	_ZN12_GLOBAL__N_120softmax_warp_forwardIN3c108BFloat16ES2_fLi4ELb0ELb0ELi32EEEvPT0_PKT_iiiPKbib ; -- Begin function _ZN12_GLOBAL__N_120softmax_warp_forwardIN3c108BFloat16ES2_fLi4ELb0ELb0ELi32EEEvPT0_PKT_iiiPKbib
	.p2align	8
	.type	_ZN12_GLOBAL__N_120softmax_warp_forwardIN3c108BFloat16ES2_fLi4ELb0ELb0ELi32EEEvPT0_PKT_iiiPKbib,@function
_ZN12_GLOBAL__N_120softmax_warp_forwardIN3c108BFloat16ES2_fLi4ELb0ELb0ELi32EEEvPT0_PKT_iiiPKbib: ; @_ZN12_GLOBAL__N_120softmax_warp_forwardIN3c108BFloat16ES2_fLi4ELb0ELb0ELi32EEEvPT0_PKT_iiiPKbib
; %bb.0:
	s_load_dword s0, s[4:5], 0x3c
	s_load_dwordx8 s[8:15], s[4:5], 0x0
	v_bfe_u32 v1, v0, 10, 10
	v_and_b32_e32 v2, 0x3ff, v0
	s_waitcnt lgkmcnt(0)
	s_lshr_b32 s0, s0, 16
	s_mul_i32 s6, s6, s0
	v_add_lshl_u32 v1, s6, v1, 1
	v_sub_u32_e32 v8, s12, v1
	v_mad_u64_u32 v[0:1], s[0:1], v1, s13, v[2:3]
	v_ashrrev_i32_e32 v1, 31, v0
	v_lshlrev_b64 v[0:1], 1, v[0:1]
	v_mov_b32_e32 v3, s11
	v_add_co_u32_e32 v4, vcc, s10, v0
	v_addc_co_u32_e32 v5, vcc, v3, v1, vcc
	v_cmp_gt_i32_e64 s[0:1], s14, v2
	v_cmp_lt_i32_e32 vcc, 0, v8
	s_and_b64 s[4:5], s[0:1], vcc
	v_mov_b32_e32 v3, 0xff800000
	v_mov_b32_e32 v2, 0xff800000
	s_and_saveexec_b64 s[2:3], s[4:5]
	s_cbranch_execz .LBB467_2
; %bb.1:
	global_load_ushort v2, v[4:5], off
	s_waitcnt vmcnt(0)
	v_lshlrev_b32_e32 v2, 16, v2
.LBB467_2:
	s_or_b64 exec, exec, s[2:3]
	v_cmp_lt_i32_e64 s[2:3], 1, v8
	s_and_b64 s[2:3], s[0:1], s[2:3]
	s_and_saveexec_b64 s[4:5], s[2:3]
	s_cbranch_execz .LBB467_4
; %bb.3:
	s_mov_b32 s15, 0
	s_lshl_b64 s[2:3], s[14:15], 1
	v_mov_b32_e32 v3, s3
	v_add_co_u32_e64 v4, s[2:3], s2, v4
	v_addc_co_u32_e64 v5, s[2:3], v5, v3, s[2:3]
	global_load_ushort v3, v[4:5], off
	s_waitcnt vmcnt(0)
	v_lshlrev_b32_e32 v3, 16, v3
.LBB467_4:
	s_or_b64 exec, exec, s[4:5]
	v_mbcnt_lo_u32_b32 v4, -1, 0
	v_mbcnt_hi_u32_b32 v4, -1, v4
	v_and_b32_e32 v5, 0x70, v4
	v_add_u32_e32 v5, 16, v5
	v_xor_b32_e32 v6, 8, v4
	v_cmp_lt_i32_e64 s[2:3], v6, v5
	v_cndmask_b32_e64 v6, v4, v6, s[2:3]
	v_lshlrev_b32_e32 v6, 2, v6
	ds_bpermute_b32 v9, v6, v3
	ds_bpermute_b32 v7, v6, v2
	v_xor_b32_e32 v10, 4, v4
	v_cmp_lt_i32_e64 s[2:3], v10, v5
	v_xor_b32_e32 v11, 2, v4
	v_cndmask_b32_e64 v10, v4, v10, s[2:3]
	v_cmp_lt_i32_e64 s[2:3], v11, v5
	v_cndmask_b32_e64 v11, v4, v11, s[2:3]
	s_waitcnt lgkmcnt(1)
	v_cmp_lt_f32_e64 s[2:3], v3, v9
	v_lshlrev_b32_e32 v10, 2, v10
	v_cndmask_b32_e64 v9, v3, v9, s[2:3]
	s_waitcnt lgkmcnt(0)
	v_cmp_lt_f32_e64 s[2:3], v2, v7
	ds_bpermute_b32 v13, v10, v9
	v_cndmask_b32_e64 v7, v2, v7, s[2:3]
	ds_bpermute_b32 v14, v10, v7
	v_xor_b32_e32 v12, 1, v4
	v_cmp_lt_i32_e64 s[2:3], v12, v5
	v_cndmask_b32_e64 v4, v4, v12, s[2:3]
	s_waitcnt lgkmcnt(1)
	v_cmp_lt_f32_e64 s[2:3], v9, v13
	v_lshlrev_b32_e32 v11, 2, v11
	v_cndmask_b32_e64 v5, v9, v13, s[2:3]
	s_waitcnt lgkmcnt(0)
	v_cmp_lt_f32_e64 s[2:3], v7, v14
	ds_bpermute_b32 v9, v11, v5
	v_cndmask_b32_e64 v7, v7, v14, s[2:3]
	ds_bpermute_b32 v12, v11, v7
	v_lshlrev_b32_e32 v13, 2, v4
	s_mov_b32 s4, 0x3fb8aa3b
	s_waitcnt lgkmcnt(1)
	v_cmp_lt_f32_e64 s[2:3], v5, v9
	v_cndmask_b32_e64 v4, v5, v9, s[2:3]
	s_waitcnt lgkmcnt(0)
	v_cmp_lt_f32_e64 s[2:3], v7, v12
	ds_bpermute_b32 v5, v13, v4
	v_cndmask_b32_e64 v7, v7, v12, s[2:3]
	ds_bpermute_b32 v9, v13, v7
	s_mov_b32 s5, 0xc2ce8ed0
	s_mov_b32 s6, 0x42b17218
	s_waitcnt lgkmcnt(1)
	v_cmp_lt_f32_e64 s[2:3], v4, v5
	v_cndmask_b32_e64 v5, v4, v5, s[2:3]
	s_waitcnt lgkmcnt(0)
	v_cmp_lt_f32_e64 s[2:3], v7, v9
	v_cndmask_b32_e64 v4, v7, v9, s[2:3]
	v_pk_add_f32 v[2:3], v[2:3], v[4:5] neg_lo:[0,1] neg_hi:[0,1]
	v_mul_f32_e32 v4, 0x3fb8aa3b, v3
	v_fma_f32 v5, v3, s4, -v4
	v_rndne_f32_e32 v7, v4
	v_fmac_f32_e32 v5, 0x32a5705f, v3
	v_sub_f32_e32 v4, v4, v7
	v_add_f32_e32 v4, v4, v5
	v_exp_f32_e32 v4, v4
	v_cvt_i32_f32_e32 v5, v7
	v_cmp_ngt_f32_e64 s[2:3], s5, v3
	v_ldexp_f32 v4, v4, v5
	v_mul_f32_e32 v5, 0x3fb8aa3b, v2
	v_fma_f32 v7, v2, s4, -v5
	v_rndne_f32_e32 v9, v5
	v_fmac_f32_e32 v7, 0x32a5705f, v2
	v_sub_f32_e32 v5, v5, v9
	v_add_f32_e32 v5, v5, v7
	v_exp_f32_e32 v5, v5
	v_cvt_i32_f32_e32 v7, v9
	v_cndmask_b32_e64 v4, 0, v4, s[2:3]
	v_mov_b32_e32 v9, 0x7f800000
	v_cmp_nlt_f32_e64 s[2:3], s6, v3
	v_cndmask_b32_e64 v3, v9, v4, s[2:3]
	v_ldexp_f32 v4, v5, v7
	v_cmp_ngt_f32_e64 s[2:3], s5, v2
	v_cndmask_b32_e64 v4, 0, v4, s[2:3]
	v_cmp_nlt_f32_e64 s[2:3], s6, v2
	v_cndmask_b32_e64 v2, v9, v4, s[2:3]
	ds_bpermute_b32 v4, v6, v2
	ds_bpermute_b32 v5, v6, v3
	s_waitcnt lgkmcnt(0)
	v_pk_add_f32 v[4:5], v[2:3], v[4:5]
	ds_bpermute_b32 v6, v10, v4
	ds_bpermute_b32 v7, v10, v5
	s_waitcnt lgkmcnt(0)
	v_pk_add_f32 v[4:5], v[4:5], v[6:7]
	;; [unrolled: 4-line block ×3, first 2 shown]
	ds_bpermute_b32 v6, v13, v4
	ds_bpermute_b32 v7, v13, v5
	s_and_saveexec_b64 s[2:3], vcc
	s_cbranch_execz .LBB467_12
; %bb.5:
	v_mov_b32_e32 v9, s9
	v_add_co_u32_e32 v0, vcc, s8, v0
	v_addc_co_u32_e32 v1, vcc, v9, v1, vcc
	s_waitcnt lgkmcnt(0)
	v_pk_add_f32 v[4:5], v[4:5], v[6:7]
	s_and_saveexec_b64 s[2:3], s[0:1]
	s_cbranch_execz .LBB467_9
; %bb.6:
	v_cmp_neq_f32_e32 vcc, 0, v4
	v_mov_b32_e32 v6, 0x7fc0
	s_and_saveexec_b64 s[4:5], vcc
	s_cbranch_execz .LBB467_8
; %bb.7:
	v_div_scale_f32 v6, s[6:7], v4, v4, v2
	v_rcp_f32_e32 v7, v6
	v_div_scale_f32 v9, vcc, v2, v4, v2
	s_movk_i32 s6, 0x7fff
	v_fma_f32 v10, -v6, v7, 1.0
	v_fmac_f32_e32 v7, v10, v7
	v_mul_f32_e32 v10, v9, v7
	v_fma_f32 v11, -v6, v10, v9
	v_fmac_f32_e32 v10, v11, v7
	v_fma_f32 v6, -v6, v10, v9
	v_div_fmas_f32 v6, v6, v7, v10
	v_div_fixup_f32 v2, v6, v4, v2
	v_bfe_u32 v4, v2, 16, 1
	v_add3_u32 v4, v2, v4, s6
	v_lshrrev_b32_e32 v4, 16, v4
	v_mov_b32_e32 v6, 0x7fc0
	v_cmp_o_f32_e32 vcc, v2, v2
	v_cndmask_b32_e32 v6, v6, v4, vcc
.LBB467_8:
	s_or_b64 exec, exec, s[4:5]
	global_store_short v[0:1], v6, off
.LBB467_9:
	s_or_b64 exec, exec, s[2:3]
	v_cmp_ne_u32_e32 vcc, 1, v8
	s_and_b64 exec, exec, vcc
	s_cbranch_execz .LBB467_12
; %bb.10:
	s_and_b64 exec, exec, s[0:1]
	s_cbranch_execz .LBB467_12
; %bb.11:
	v_div_scale_f32 v2, s[0:1], v5, v5, v3
	v_rcp_f32_e32 v4, v2
	s_mov_b32 s15, 0
	s_movk_i32 s2, 0x7fff
	v_cmp_eq_f32_e64 s[0:1], 0, v5
	v_fma_f32 v6, -v2, v4, 1.0
	v_fmac_f32_e32 v4, v6, v4
	v_div_scale_f32 v6, vcc, v3, v5, v3
	v_mul_f32_e32 v7, v6, v4
	v_fma_f32 v8, -v2, v7, v6
	v_fmac_f32_e32 v7, v8, v4
	v_fma_f32 v2, -v2, v7, v6
	v_div_fmas_f32 v2, v2, v4, v7
	v_div_fixup_f32 v2, v2, v5, v3
	v_bfe_u32 v3, v2, 16, 1
	v_cmp_u_f32_e32 vcc, v2, v2
	v_add3_u32 v2, v2, v3, s2
	s_lshl_b64 s[2:3], s[14:15], 1
	v_mov_b32_e32 v3, s3
	v_add_co_u32_e64 v0, s[2:3], s2, v0
	v_lshrrev_b32_e32 v2, 16, v2
	v_addc_co_u32_e64 v1, s[2:3], v1, v3, s[2:3]
	v_mov_b32_e32 v3, 0x7fc0
	s_or_b64 vcc, s[0:1], vcc
	v_cndmask_b32_e32 v2, v2, v3, vcc
	global_store_short v[0:1], v2, off
.LBB467_12:
	s_endpgm
	.section	.rodata,"a",@progbits
	.p2align	6, 0x0
	.amdhsa_kernel _ZN12_GLOBAL__N_120softmax_warp_forwardIN3c108BFloat16ES2_fLi4ELb0ELb0ELi32EEEvPT0_PKT_iiiPKbib
		.amdhsa_group_segment_fixed_size 0
		.amdhsa_private_segment_fixed_size 0
		.amdhsa_kernarg_size 304
		.amdhsa_user_sgpr_count 6
		.amdhsa_user_sgpr_private_segment_buffer 1
		.amdhsa_user_sgpr_dispatch_ptr 0
		.amdhsa_user_sgpr_queue_ptr 0
		.amdhsa_user_sgpr_kernarg_segment_ptr 1
		.amdhsa_user_sgpr_dispatch_id 0
		.amdhsa_user_sgpr_flat_scratch_init 0
		.amdhsa_user_sgpr_kernarg_preload_length 0
		.amdhsa_user_sgpr_kernarg_preload_offset 0
		.amdhsa_user_sgpr_private_segment_size 0
		.amdhsa_uses_dynamic_stack 0
		.amdhsa_system_sgpr_private_segment_wavefront_offset 0
		.amdhsa_system_sgpr_workgroup_id_x 1
		.amdhsa_system_sgpr_workgroup_id_y 0
		.amdhsa_system_sgpr_workgroup_id_z 0
		.amdhsa_system_sgpr_workgroup_info 0
		.amdhsa_system_vgpr_workitem_id 1
		.amdhsa_next_free_vgpr 15
		.amdhsa_next_free_sgpr 16
		.amdhsa_accum_offset 16
		.amdhsa_reserve_vcc 1
		.amdhsa_reserve_flat_scratch 0
		.amdhsa_float_round_mode_32 0
		.amdhsa_float_round_mode_16_64 0
		.amdhsa_float_denorm_mode_32 3
		.amdhsa_float_denorm_mode_16_64 3
		.amdhsa_dx10_clamp 1
		.amdhsa_ieee_mode 1
		.amdhsa_fp16_overflow 0
		.amdhsa_tg_split 0
		.amdhsa_exception_fp_ieee_invalid_op 0
		.amdhsa_exception_fp_denorm_src 0
		.amdhsa_exception_fp_ieee_div_zero 0
		.amdhsa_exception_fp_ieee_overflow 0
		.amdhsa_exception_fp_ieee_underflow 0
		.amdhsa_exception_fp_ieee_inexact 0
		.amdhsa_exception_int_div_zero 0
	.end_amdhsa_kernel
	.section	.text._ZN12_GLOBAL__N_120softmax_warp_forwardIN3c108BFloat16ES2_fLi4ELb0ELb0ELi32EEEvPT0_PKT_iiiPKbib,"axG",@progbits,_ZN12_GLOBAL__N_120softmax_warp_forwardIN3c108BFloat16ES2_fLi4ELb0ELb0ELi32EEEvPT0_PKT_iiiPKbib,comdat
.Lfunc_end467:
	.size	_ZN12_GLOBAL__N_120softmax_warp_forwardIN3c108BFloat16ES2_fLi4ELb0ELb0ELi32EEEvPT0_PKT_iiiPKbib, .Lfunc_end467-_ZN12_GLOBAL__N_120softmax_warp_forwardIN3c108BFloat16ES2_fLi4ELb0ELb0ELi32EEEvPT0_PKT_iiiPKbib
                                        ; -- End function
	.section	.AMDGPU.csdata,"",@progbits
; Kernel info:
; codeLenInByte = 1244
; NumSgprs: 20
; NumVgprs: 15
; NumAgprs: 0
; TotalNumVgprs: 15
; ScratchSize: 0
; MemoryBound: 0
; FloatMode: 240
; IeeeMode: 1
; LDSByteSize: 0 bytes/workgroup (compile time only)
; SGPRBlocks: 2
; VGPRBlocks: 1
; NumSGPRsForWavesPerEU: 20
; NumVGPRsForWavesPerEU: 15
; AccumOffset: 16
; Occupancy: 8
; WaveLimiterHint : 0
; COMPUTE_PGM_RSRC2:SCRATCH_EN: 0
; COMPUTE_PGM_RSRC2:USER_SGPR: 6
; COMPUTE_PGM_RSRC2:TRAP_HANDLER: 0
; COMPUTE_PGM_RSRC2:TGID_X_EN: 1
; COMPUTE_PGM_RSRC2:TGID_Y_EN: 0
; COMPUTE_PGM_RSRC2:TGID_Z_EN: 0
; COMPUTE_PGM_RSRC2:TIDIG_COMP_CNT: 1
; COMPUTE_PGM_RSRC3_GFX90A:ACCUM_OFFSET: 3
; COMPUTE_PGM_RSRC3_GFX90A:TG_SPLIT: 0
	.section	.text._ZN12_GLOBAL__N_120softmax_warp_forwardIN3c108BFloat16ES2_fLi5ELb0ELb0ELi64EEEvPT0_PKT_iiiPKbib,"axG",@progbits,_ZN12_GLOBAL__N_120softmax_warp_forwardIN3c108BFloat16ES2_fLi5ELb0ELb0ELi64EEEvPT0_PKT_iiiPKbib,comdat
	.globl	_ZN12_GLOBAL__N_120softmax_warp_forwardIN3c108BFloat16ES2_fLi5ELb0ELb0ELi64EEEvPT0_PKT_iiiPKbib ; -- Begin function _ZN12_GLOBAL__N_120softmax_warp_forwardIN3c108BFloat16ES2_fLi5ELb0ELb0ELi64EEEvPT0_PKT_iiiPKbib
	.p2align	8
	.type	_ZN12_GLOBAL__N_120softmax_warp_forwardIN3c108BFloat16ES2_fLi5ELb0ELb0ELi64EEEvPT0_PKT_iiiPKbib,@function
_ZN12_GLOBAL__N_120softmax_warp_forwardIN3c108BFloat16ES2_fLi5ELb0ELb0ELi64EEEvPT0_PKT_iiiPKbib: ; @_ZN12_GLOBAL__N_120softmax_warp_forwardIN3c108BFloat16ES2_fLi5ELb0ELb0ELi64EEEvPT0_PKT_iiiPKbib
; %bb.0:
	s_load_dword s0, s[4:5], 0x3c
	s_load_dwordx8 s[8:15], s[4:5], 0x0
	v_bfe_u32 v1, v0, 10, 10
	v_and_b32_e32 v2, 0x3ff, v0
	s_waitcnt lgkmcnt(0)
	s_lshr_b32 s0, s0, 16
	s_mul_i32 s6, s6, s0
	v_add_lshl_u32 v1, s6, v1, 1
	v_sub_u32_e32 v8, s12, v1
	v_mad_u64_u32 v[0:1], s[0:1], v1, s13, v[2:3]
	v_ashrrev_i32_e32 v1, 31, v0
	v_lshlrev_b64 v[0:1], 1, v[0:1]
	v_mov_b32_e32 v3, s11
	v_add_co_u32_e32 v4, vcc, s10, v0
	v_addc_co_u32_e32 v5, vcc, v3, v1, vcc
	v_cmp_gt_i32_e64 s[0:1], s14, v2
	v_cmp_lt_i32_e32 vcc, 0, v8
	s_and_b64 s[4:5], s[0:1], vcc
	v_mov_b32_e32 v3, 0xff800000
	v_mov_b32_e32 v2, 0xff800000
	s_and_saveexec_b64 s[2:3], s[4:5]
	s_cbranch_execz .LBB468_2
; %bb.1:
	global_load_ushort v2, v[4:5], off
	s_waitcnt vmcnt(0)
	v_lshlrev_b32_e32 v2, 16, v2
.LBB468_2:
	s_or_b64 exec, exec, s[2:3]
	v_cmp_lt_i32_e64 s[2:3], 1, v8
	s_and_b64 s[2:3], s[0:1], s[2:3]
	s_and_saveexec_b64 s[4:5], s[2:3]
	s_cbranch_execz .LBB468_4
; %bb.3:
	s_mov_b32 s15, 0
	s_lshl_b64 s[2:3], s[14:15], 1
	v_mov_b32_e32 v3, s3
	v_add_co_u32_e64 v4, s[2:3], s2, v4
	v_addc_co_u32_e64 v5, s[2:3], v5, v3, s[2:3]
	global_load_ushort v3, v[4:5], off
	s_waitcnt vmcnt(0)
	v_lshlrev_b32_e32 v3, 16, v3
.LBB468_4:
	s_or_b64 exec, exec, s[4:5]
	v_mbcnt_lo_u32_b32 v4, -1, 0
	v_mbcnt_hi_u32_b32 v4, -1, v4
	v_and_b32_e32 v5, 0x60, v4
	v_add_u32_e32 v5, 32, v5
	v_xor_b32_e32 v6, 16, v4
	v_cmp_lt_i32_e64 s[2:3], v6, v5
	v_cndmask_b32_e64 v6, v4, v6, s[2:3]
	v_lshlrev_b32_e32 v6, 2, v6
	ds_bpermute_b32 v9, v6, v3
	ds_bpermute_b32 v7, v6, v2
	v_xor_b32_e32 v10, 8, v4
	v_cmp_lt_i32_e64 s[2:3], v10, v5
	v_xor_b32_e32 v11, 4, v4
	v_cndmask_b32_e64 v10, v4, v10, s[2:3]
	v_cmp_lt_i32_e64 s[2:3], v11, v5
	v_xor_b32_e32 v12, 2, v4
	v_cndmask_b32_e64 v11, v4, v11, s[2:3]
	v_cmp_lt_i32_e64 s[2:3], v12, v5
	v_cndmask_b32_e64 v12, v4, v12, s[2:3]
	s_waitcnt lgkmcnt(1)
	v_cmp_lt_f32_e64 s[2:3], v3, v9
	v_lshlrev_b32_e32 v10, 2, v10
	v_cndmask_b32_e64 v9, v3, v9, s[2:3]
	s_waitcnt lgkmcnt(0)
	v_cmp_lt_f32_e64 s[2:3], v2, v7
	ds_bpermute_b32 v13, v10, v9
	v_cndmask_b32_e64 v7, v2, v7, s[2:3]
	ds_bpermute_b32 v14, v10, v7
	v_lshlrev_b32_e32 v11, 2, v11
	v_xor_b32_e32 v15, 1, v4
	s_waitcnt lgkmcnt(1)
	v_cmp_lt_f32_e64 s[2:3], v9, v13
	v_cndmask_b32_e64 v9, v9, v13, s[2:3]
	s_waitcnt lgkmcnt(0)
	v_cmp_lt_f32_e64 s[2:3], v7, v14
	ds_bpermute_b32 v13, v11, v9
	v_cndmask_b32_e64 v7, v7, v14, s[2:3]
	ds_bpermute_b32 v14, v11, v7
	v_cmp_lt_i32_e64 s[2:3], v15, v5
	v_cndmask_b32_e64 v4, v4, v15, s[2:3]
	s_waitcnt lgkmcnt(1)
	v_cmp_lt_f32_e64 s[2:3], v9, v13
	v_lshlrev_b32_e32 v12, 2, v12
	v_cndmask_b32_e64 v5, v9, v13, s[2:3]
	s_waitcnt lgkmcnt(0)
	v_cmp_lt_f32_e64 s[2:3], v7, v14
	ds_bpermute_b32 v9, v12, v5
	v_cndmask_b32_e64 v7, v7, v14, s[2:3]
	ds_bpermute_b32 v13, v12, v7
	v_lshlrev_b32_e32 v14, 2, v4
	s_mov_b32 s4, 0x3fb8aa3b
	s_waitcnt lgkmcnt(1)
	v_cmp_lt_f32_e64 s[2:3], v5, v9
	v_cndmask_b32_e64 v4, v5, v9, s[2:3]
	s_waitcnt lgkmcnt(0)
	v_cmp_lt_f32_e64 s[2:3], v7, v13
	ds_bpermute_b32 v5, v14, v4
	v_cndmask_b32_e64 v7, v7, v13, s[2:3]
	ds_bpermute_b32 v9, v14, v7
	s_mov_b32 s5, 0xc2ce8ed0
	s_mov_b32 s6, 0x42b17218
	s_waitcnt lgkmcnt(1)
	v_cmp_lt_f32_e64 s[2:3], v4, v5
	v_cndmask_b32_e64 v5, v4, v5, s[2:3]
	s_waitcnt lgkmcnt(0)
	v_cmp_lt_f32_e64 s[2:3], v7, v9
	v_cndmask_b32_e64 v4, v7, v9, s[2:3]
	v_pk_add_f32 v[2:3], v[2:3], v[4:5] neg_lo:[0,1] neg_hi:[0,1]
	v_mul_f32_e32 v4, 0x3fb8aa3b, v3
	v_fma_f32 v5, v3, s4, -v4
	v_rndne_f32_e32 v7, v4
	v_fmac_f32_e32 v5, 0x32a5705f, v3
	v_sub_f32_e32 v4, v4, v7
	v_add_f32_e32 v4, v4, v5
	v_exp_f32_e32 v4, v4
	v_cvt_i32_f32_e32 v5, v7
	v_cmp_ngt_f32_e64 s[2:3], s5, v3
	v_ldexp_f32 v4, v4, v5
	v_mul_f32_e32 v5, 0x3fb8aa3b, v2
	v_fma_f32 v7, v2, s4, -v5
	v_rndne_f32_e32 v9, v5
	v_fmac_f32_e32 v7, 0x32a5705f, v2
	v_sub_f32_e32 v5, v5, v9
	v_add_f32_e32 v5, v5, v7
	v_exp_f32_e32 v5, v5
	v_cvt_i32_f32_e32 v7, v9
	v_cndmask_b32_e64 v4, 0, v4, s[2:3]
	v_mov_b32_e32 v9, 0x7f800000
	v_cmp_nlt_f32_e64 s[2:3], s6, v3
	v_cndmask_b32_e64 v3, v9, v4, s[2:3]
	v_ldexp_f32 v4, v5, v7
	v_cmp_ngt_f32_e64 s[2:3], s5, v2
	v_cndmask_b32_e64 v4, 0, v4, s[2:3]
	v_cmp_nlt_f32_e64 s[2:3], s6, v2
	v_cndmask_b32_e64 v2, v9, v4, s[2:3]
	ds_bpermute_b32 v4, v6, v2
	ds_bpermute_b32 v5, v6, v3
	s_waitcnt lgkmcnt(0)
	v_pk_add_f32 v[4:5], v[2:3], v[4:5]
	ds_bpermute_b32 v6, v10, v4
	ds_bpermute_b32 v7, v10, v5
	s_waitcnt lgkmcnt(0)
	v_pk_add_f32 v[4:5], v[4:5], v[6:7]
	;; [unrolled: 4-line block ×4, first 2 shown]
	ds_bpermute_b32 v6, v14, v4
	ds_bpermute_b32 v7, v14, v5
	s_and_saveexec_b64 s[2:3], vcc
	s_cbranch_execz .LBB468_12
; %bb.5:
	v_mov_b32_e32 v9, s9
	v_add_co_u32_e32 v0, vcc, s8, v0
	v_addc_co_u32_e32 v1, vcc, v9, v1, vcc
	s_waitcnt lgkmcnt(0)
	v_pk_add_f32 v[4:5], v[4:5], v[6:7]
	s_and_saveexec_b64 s[2:3], s[0:1]
	s_cbranch_execz .LBB468_9
; %bb.6:
	v_cmp_neq_f32_e32 vcc, 0, v4
	v_mov_b32_e32 v6, 0x7fc0
	s_and_saveexec_b64 s[4:5], vcc
	s_cbranch_execz .LBB468_8
; %bb.7:
	v_div_scale_f32 v6, s[6:7], v4, v4, v2
	v_rcp_f32_e32 v7, v6
	v_div_scale_f32 v9, vcc, v2, v4, v2
	s_movk_i32 s6, 0x7fff
	v_fma_f32 v10, -v6, v7, 1.0
	v_fmac_f32_e32 v7, v10, v7
	v_mul_f32_e32 v10, v9, v7
	v_fma_f32 v11, -v6, v10, v9
	v_fmac_f32_e32 v10, v11, v7
	v_fma_f32 v6, -v6, v10, v9
	v_div_fmas_f32 v6, v6, v7, v10
	v_div_fixup_f32 v2, v6, v4, v2
	v_bfe_u32 v4, v2, 16, 1
	v_add3_u32 v4, v2, v4, s6
	v_lshrrev_b32_e32 v4, 16, v4
	v_mov_b32_e32 v6, 0x7fc0
	v_cmp_o_f32_e32 vcc, v2, v2
	v_cndmask_b32_e32 v6, v6, v4, vcc
.LBB468_8:
	s_or_b64 exec, exec, s[4:5]
	global_store_short v[0:1], v6, off
.LBB468_9:
	s_or_b64 exec, exec, s[2:3]
	v_cmp_ne_u32_e32 vcc, 1, v8
	s_and_b64 exec, exec, vcc
	s_cbranch_execz .LBB468_12
; %bb.10:
	s_and_b64 exec, exec, s[0:1]
	s_cbranch_execz .LBB468_12
; %bb.11:
	v_div_scale_f32 v2, s[0:1], v5, v5, v3
	v_rcp_f32_e32 v4, v2
	s_mov_b32 s15, 0
	s_movk_i32 s2, 0x7fff
	v_cmp_eq_f32_e64 s[0:1], 0, v5
	v_fma_f32 v6, -v2, v4, 1.0
	v_fmac_f32_e32 v4, v6, v4
	v_div_scale_f32 v6, vcc, v3, v5, v3
	v_mul_f32_e32 v7, v6, v4
	v_fma_f32 v8, -v2, v7, v6
	v_fmac_f32_e32 v7, v8, v4
	v_fma_f32 v2, -v2, v7, v6
	v_div_fmas_f32 v2, v2, v4, v7
	v_div_fixup_f32 v2, v2, v5, v3
	v_bfe_u32 v3, v2, 16, 1
	v_cmp_u_f32_e32 vcc, v2, v2
	v_add3_u32 v2, v2, v3, s2
	s_lshl_b64 s[2:3], s[14:15], 1
	v_mov_b32_e32 v3, s3
	v_add_co_u32_e64 v0, s[2:3], s2, v0
	v_lshrrev_b32_e32 v2, 16, v2
	v_addc_co_u32_e64 v1, s[2:3], v1, v3, s[2:3]
	v_mov_b32_e32 v3, 0x7fc0
	s_or_b64 vcc, s[0:1], vcc
	v_cndmask_b32_e32 v2, v2, v3, vcc
	global_store_short v[0:1], v2, off
.LBB468_12:
	s_endpgm
	.section	.rodata,"a",@progbits
	.p2align	6, 0x0
	.amdhsa_kernel _ZN12_GLOBAL__N_120softmax_warp_forwardIN3c108BFloat16ES2_fLi5ELb0ELb0ELi64EEEvPT0_PKT_iiiPKbib
		.amdhsa_group_segment_fixed_size 0
		.amdhsa_private_segment_fixed_size 0
		.amdhsa_kernarg_size 304
		.amdhsa_user_sgpr_count 6
		.amdhsa_user_sgpr_private_segment_buffer 1
		.amdhsa_user_sgpr_dispatch_ptr 0
		.amdhsa_user_sgpr_queue_ptr 0
		.amdhsa_user_sgpr_kernarg_segment_ptr 1
		.amdhsa_user_sgpr_dispatch_id 0
		.amdhsa_user_sgpr_flat_scratch_init 0
		.amdhsa_user_sgpr_kernarg_preload_length 0
		.amdhsa_user_sgpr_kernarg_preload_offset 0
		.amdhsa_user_sgpr_private_segment_size 0
		.amdhsa_uses_dynamic_stack 0
		.amdhsa_system_sgpr_private_segment_wavefront_offset 0
		.amdhsa_system_sgpr_workgroup_id_x 1
		.amdhsa_system_sgpr_workgroup_id_y 0
		.amdhsa_system_sgpr_workgroup_id_z 0
		.amdhsa_system_sgpr_workgroup_info 0
		.amdhsa_system_vgpr_workitem_id 1
		.amdhsa_next_free_vgpr 16
		.amdhsa_next_free_sgpr 16
		.amdhsa_accum_offset 16
		.amdhsa_reserve_vcc 1
		.amdhsa_reserve_flat_scratch 0
		.amdhsa_float_round_mode_32 0
		.amdhsa_float_round_mode_16_64 0
		.amdhsa_float_denorm_mode_32 3
		.amdhsa_float_denorm_mode_16_64 3
		.amdhsa_dx10_clamp 1
		.amdhsa_ieee_mode 1
		.amdhsa_fp16_overflow 0
		.amdhsa_tg_split 0
		.amdhsa_exception_fp_ieee_invalid_op 0
		.amdhsa_exception_fp_denorm_src 0
		.amdhsa_exception_fp_ieee_div_zero 0
		.amdhsa_exception_fp_ieee_overflow 0
		.amdhsa_exception_fp_ieee_underflow 0
		.amdhsa_exception_fp_ieee_inexact 0
		.amdhsa_exception_int_div_zero 0
	.end_amdhsa_kernel
	.section	.text._ZN12_GLOBAL__N_120softmax_warp_forwardIN3c108BFloat16ES2_fLi5ELb0ELb0ELi64EEEvPT0_PKT_iiiPKbib,"axG",@progbits,_ZN12_GLOBAL__N_120softmax_warp_forwardIN3c108BFloat16ES2_fLi5ELb0ELb0ELi64EEEvPT0_PKT_iiiPKbib,comdat
.Lfunc_end468:
	.size	_ZN12_GLOBAL__N_120softmax_warp_forwardIN3c108BFloat16ES2_fLi5ELb0ELb0ELi64EEEvPT0_PKT_iiiPKbib, .Lfunc_end468-_ZN12_GLOBAL__N_120softmax_warp_forwardIN3c108BFloat16ES2_fLi5ELb0ELb0ELi64EEEvPT0_PKT_iiiPKbib
                                        ; -- End function
	.section	.AMDGPU.csdata,"",@progbits
; Kernel info:
; codeLenInByte = 1352
; NumSgprs: 20
; NumVgprs: 16
; NumAgprs: 0
; TotalNumVgprs: 16
; ScratchSize: 0
; MemoryBound: 0
; FloatMode: 240
; IeeeMode: 1
; LDSByteSize: 0 bytes/workgroup (compile time only)
; SGPRBlocks: 2
; VGPRBlocks: 1
; NumSGPRsForWavesPerEU: 20
; NumVGPRsForWavesPerEU: 16
; AccumOffset: 16
; Occupancy: 8
; WaveLimiterHint : 0
; COMPUTE_PGM_RSRC2:SCRATCH_EN: 0
; COMPUTE_PGM_RSRC2:USER_SGPR: 6
; COMPUTE_PGM_RSRC2:TRAP_HANDLER: 0
; COMPUTE_PGM_RSRC2:TGID_X_EN: 1
; COMPUTE_PGM_RSRC2:TGID_Y_EN: 0
; COMPUTE_PGM_RSRC2:TGID_Z_EN: 0
; COMPUTE_PGM_RSRC2:TIDIG_COMP_CNT: 1
; COMPUTE_PGM_RSRC3_GFX90A:ACCUM_OFFSET: 3
; COMPUTE_PGM_RSRC3_GFX90A:TG_SPLIT: 0
	.section	.text._ZN12_GLOBAL__N_120softmax_warp_forwardIN3c108BFloat16ES2_fLi5ELb0ELb0ELi32EEEvPT0_PKT_iiiPKbib,"axG",@progbits,_ZN12_GLOBAL__N_120softmax_warp_forwardIN3c108BFloat16ES2_fLi5ELb0ELb0ELi32EEEvPT0_PKT_iiiPKbib,comdat
	.globl	_ZN12_GLOBAL__N_120softmax_warp_forwardIN3c108BFloat16ES2_fLi5ELb0ELb0ELi32EEEvPT0_PKT_iiiPKbib ; -- Begin function _ZN12_GLOBAL__N_120softmax_warp_forwardIN3c108BFloat16ES2_fLi5ELb0ELb0ELi32EEEvPT0_PKT_iiiPKbib
	.p2align	8
	.type	_ZN12_GLOBAL__N_120softmax_warp_forwardIN3c108BFloat16ES2_fLi5ELb0ELb0ELi32EEEvPT0_PKT_iiiPKbib,@function
_ZN12_GLOBAL__N_120softmax_warp_forwardIN3c108BFloat16ES2_fLi5ELb0ELb0ELi32EEEvPT0_PKT_iiiPKbib: ; @_ZN12_GLOBAL__N_120softmax_warp_forwardIN3c108BFloat16ES2_fLi5ELb0ELb0ELi32EEEvPT0_PKT_iiiPKbib
; %bb.0:
	s_load_dword s0, s[4:5], 0x3c
	s_load_dwordx8 s[8:15], s[4:5], 0x0
	v_bfe_u32 v1, v0, 10, 10
	v_and_b32_e32 v2, 0x3ff, v0
	s_waitcnt lgkmcnt(0)
	s_lshr_b32 s0, s0, 16
	s_mul_i32 s6, s6, s0
	v_add_lshl_u32 v1, s6, v1, 1
	v_sub_u32_e32 v8, s12, v1
	v_mad_u64_u32 v[0:1], s[0:1], v1, s13, v[2:3]
	v_ashrrev_i32_e32 v1, 31, v0
	v_lshlrev_b64 v[0:1], 1, v[0:1]
	v_mov_b32_e32 v3, s11
	v_add_co_u32_e32 v4, vcc, s10, v0
	v_addc_co_u32_e32 v5, vcc, v3, v1, vcc
	v_cmp_gt_i32_e64 s[0:1], s14, v2
	v_cmp_lt_i32_e32 vcc, 0, v8
	s_and_b64 s[4:5], s[0:1], vcc
	v_mov_b32_e32 v3, 0xff800000
	v_mov_b32_e32 v2, 0xff800000
	s_and_saveexec_b64 s[2:3], s[4:5]
	s_cbranch_execz .LBB469_2
; %bb.1:
	global_load_ushort v2, v[4:5], off
	s_waitcnt vmcnt(0)
	v_lshlrev_b32_e32 v2, 16, v2
.LBB469_2:
	s_or_b64 exec, exec, s[2:3]
	v_cmp_lt_i32_e64 s[2:3], 1, v8
	s_and_b64 s[2:3], s[0:1], s[2:3]
	s_and_saveexec_b64 s[4:5], s[2:3]
	s_cbranch_execz .LBB469_4
; %bb.3:
	s_mov_b32 s15, 0
	s_lshl_b64 s[2:3], s[14:15], 1
	v_mov_b32_e32 v3, s3
	v_add_co_u32_e64 v4, s[2:3], s2, v4
	v_addc_co_u32_e64 v5, s[2:3], v5, v3, s[2:3]
	global_load_ushort v3, v[4:5], off
	s_waitcnt vmcnt(0)
	v_lshlrev_b32_e32 v3, 16, v3
.LBB469_4:
	s_or_b64 exec, exec, s[4:5]
	v_mbcnt_lo_u32_b32 v4, -1, 0
	v_mbcnt_hi_u32_b32 v4, -1, v4
	v_and_b32_e32 v5, 0x60, v4
	v_add_u32_e32 v5, 32, v5
	v_xor_b32_e32 v6, 16, v4
	v_cmp_lt_i32_e64 s[2:3], v6, v5
	v_cndmask_b32_e64 v6, v4, v6, s[2:3]
	v_lshlrev_b32_e32 v6, 2, v6
	ds_bpermute_b32 v9, v6, v3
	ds_bpermute_b32 v7, v6, v2
	v_xor_b32_e32 v10, 8, v4
	v_cmp_lt_i32_e64 s[2:3], v10, v5
	v_xor_b32_e32 v11, 4, v4
	v_cndmask_b32_e64 v10, v4, v10, s[2:3]
	v_cmp_lt_i32_e64 s[2:3], v11, v5
	v_xor_b32_e32 v12, 2, v4
	v_cndmask_b32_e64 v11, v4, v11, s[2:3]
	v_cmp_lt_i32_e64 s[2:3], v12, v5
	v_cndmask_b32_e64 v12, v4, v12, s[2:3]
	s_waitcnt lgkmcnt(1)
	v_cmp_lt_f32_e64 s[2:3], v3, v9
	v_lshlrev_b32_e32 v10, 2, v10
	v_cndmask_b32_e64 v9, v3, v9, s[2:3]
	s_waitcnt lgkmcnt(0)
	v_cmp_lt_f32_e64 s[2:3], v2, v7
	ds_bpermute_b32 v13, v10, v9
	v_cndmask_b32_e64 v7, v2, v7, s[2:3]
	ds_bpermute_b32 v14, v10, v7
	v_lshlrev_b32_e32 v11, 2, v11
	v_xor_b32_e32 v15, 1, v4
	s_waitcnt lgkmcnt(1)
	v_cmp_lt_f32_e64 s[2:3], v9, v13
	v_cndmask_b32_e64 v9, v9, v13, s[2:3]
	s_waitcnt lgkmcnt(0)
	v_cmp_lt_f32_e64 s[2:3], v7, v14
	ds_bpermute_b32 v13, v11, v9
	v_cndmask_b32_e64 v7, v7, v14, s[2:3]
	ds_bpermute_b32 v14, v11, v7
	v_cmp_lt_i32_e64 s[2:3], v15, v5
	v_cndmask_b32_e64 v4, v4, v15, s[2:3]
	s_waitcnt lgkmcnt(1)
	v_cmp_lt_f32_e64 s[2:3], v9, v13
	v_lshlrev_b32_e32 v12, 2, v12
	v_cndmask_b32_e64 v5, v9, v13, s[2:3]
	s_waitcnt lgkmcnt(0)
	v_cmp_lt_f32_e64 s[2:3], v7, v14
	ds_bpermute_b32 v9, v12, v5
	v_cndmask_b32_e64 v7, v7, v14, s[2:3]
	ds_bpermute_b32 v13, v12, v7
	v_lshlrev_b32_e32 v14, 2, v4
	s_mov_b32 s4, 0x3fb8aa3b
	s_waitcnt lgkmcnt(1)
	v_cmp_lt_f32_e64 s[2:3], v5, v9
	v_cndmask_b32_e64 v4, v5, v9, s[2:3]
	s_waitcnt lgkmcnt(0)
	v_cmp_lt_f32_e64 s[2:3], v7, v13
	ds_bpermute_b32 v5, v14, v4
	v_cndmask_b32_e64 v7, v7, v13, s[2:3]
	ds_bpermute_b32 v9, v14, v7
	s_mov_b32 s5, 0xc2ce8ed0
	s_mov_b32 s6, 0x42b17218
	s_waitcnt lgkmcnt(1)
	v_cmp_lt_f32_e64 s[2:3], v4, v5
	v_cndmask_b32_e64 v5, v4, v5, s[2:3]
	s_waitcnt lgkmcnt(0)
	v_cmp_lt_f32_e64 s[2:3], v7, v9
	v_cndmask_b32_e64 v4, v7, v9, s[2:3]
	v_pk_add_f32 v[2:3], v[2:3], v[4:5] neg_lo:[0,1] neg_hi:[0,1]
	v_mul_f32_e32 v4, 0x3fb8aa3b, v3
	v_fma_f32 v5, v3, s4, -v4
	v_rndne_f32_e32 v7, v4
	v_fmac_f32_e32 v5, 0x32a5705f, v3
	v_sub_f32_e32 v4, v4, v7
	v_add_f32_e32 v4, v4, v5
	v_exp_f32_e32 v4, v4
	v_cvt_i32_f32_e32 v5, v7
	v_cmp_ngt_f32_e64 s[2:3], s5, v3
	v_ldexp_f32 v4, v4, v5
	v_mul_f32_e32 v5, 0x3fb8aa3b, v2
	v_fma_f32 v7, v2, s4, -v5
	v_rndne_f32_e32 v9, v5
	v_fmac_f32_e32 v7, 0x32a5705f, v2
	v_sub_f32_e32 v5, v5, v9
	v_add_f32_e32 v5, v5, v7
	v_exp_f32_e32 v5, v5
	v_cvt_i32_f32_e32 v7, v9
	v_cndmask_b32_e64 v4, 0, v4, s[2:3]
	v_mov_b32_e32 v9, 0x7f800000
	v_cmp_nlt_f32_e64 s[2:3], s6, v3
	v_cndmask_b32_e64 v3, v9, v4, s[2:3]
	v_ldexp_f32 v4, v5, v7
	v_cmp_ngt_f32_e64 s[2:3], s5, v2
	v_cndmask_b32_e64 v4, 0, v4, s[2:3]
	v_cmp_nlt_f32_e64 s[2:3], s6, v2
	v_cndmask_b32_e64 v2, v9, v4, s[2:3]
	ds_bpermute_b32 v4, v6, v2
	ds_bpermute_b32 v5, v6, v3
	s_waitcnt lgkmcnt(0)
	v_pk_add_f32 v[4:5], v[2:3], v[4:5]
	ds_bpermute_b32 v6, v10, v4
	ds_bpermute_b32 v7, v10, v5
	s_waitcnt lgkmcnt(0)
	v_pk_add_f32 v[4:5], v[4:5], v[6:7]
	;; [unrolled: 4-line block ×4, first 2 shown]
	ds_bpermute_b32 v6, v14, v4
	ds_bpermute_b32 v7, v14, v5
	s_and_saveexec_b64 s[2:3], vcc
	s_cbranch_execz .LBB469_12
; %bb.5:
	v_mov_b32_e32 v9, s9
	v_add_co_u32_e32 v0, vcc, s8, v0
	v_addc_co_u32_e32 v1, vcc, v9, v1, vcc
	s_waitcnt lgkmcnt(0)
	v_pk_add_f32 v[4:5], v[4:5], v[6:7]
	s_and_saveexec_b64 s[2:3], s[0:1]
	s_cbranch_execz .LBB469_9
; %bb.6:
	v_cmp_neq_f32_e32 vcc, 0, v4
	v_mov_b32_e32 v6, 0x7fc0
	s_and_saveexec_b64 s[4:5], vcc
	s_cbranch_execz .LBB469_8
; %bb.7:
	v_div_scale_f32 v6, s[6:7], v4, v4, v2
	v_rcp_f32_e32 v7, v6
	v_div_scale_f32 v9, vcc, v2, v4, v2
	s_movk_i32 s6, 0x7fff
	v_fma_f32 v10, -v6, v7, 1.0
	v_fmac_f32_e32 v7, v10, v7
	v_mul_f32_e32 v10, v9, v7
	v_fma_f32 v11, -v6, v10, v9
	v_fmac_f32_e32 v10, v11, v7
	v_fma_f32 v6, -v6, v10, v9
	v_div_fmas_f32 v6, v6, v7, v10
	v_div_fixup_f32 v2, v6, v4, v2
	v_bfe_u32 v4, v2, 16, 1
	v_add3_u32 v4, v2, v4, s6
	v_lshrrev_b32_e32 v4, 16, v4
	v_mov_b32_e32 v6, 0x7fc0
	v_cmp_o_f32_e32 vcc, v2, v2
	v_cndmask_b32_e32 v6, v6, v4, vcc
.LBB469_8:
	s_or_b64 exec, exec, s[4:5]
	global_store_short v[0:1], v6, off
.LBB469_9:
	s_or_b64 exec, exec, s[2:3]
	v_cmp_ne_u32_e32 vcc, 1, v8
	s_and_b64 exec, exec, vcc
	s_cbranch_execz .LBB469_12
; %bb.10:
	s_and_b64 exec, exec, s[0:1]
	s_cbranch_execz .LBB469_12
; %bb.11:
	v_div_scale_f32 v2, s[0:1], v5, v5, v3
	v_rcp_f32_e32 v4, v2
	s_mov_b32 s15, 0
	s_movk_i32 s2, 0x7fff
	v_cmp_eq_f32_e64 s[0:1], 0, v5
	v_fma_f32 v6, -v2, v4, 1.0
	v_fmac_f32_e32 v4, v6, v4
	v_div_scale_f32 v6, vcc, v3, v5, v3
	v_mul_f32_e32 v7, v6, v4
	v_fma_f32 v8, -v2, v7, v6
	v_fmac_f32_e32 v7, v8, v4
	v_fma_f32 v2, -v2, v7, v6
	v_div_fmas_f32 v2, v2, v4, v7
	v_div_fixup_f32 v2, v2, v5, v3
	v_bfe_u32 v3, v2, 16, 1
	v_cmp_u_f32_e32 vcc, v2, v2
	v_add3_u32 v2, v2, v3, s2
	s_lshl_b64 s[2:3], s[14:15], 1
	v_mov_b32_e32 v3, s3
	v_add_co_u32_e64 v0, s[2:3], s2, v0
	v_lshrrev_b32_e32 v2, 16, v2
	v_addc_co_u32_e64 v1, s[2:3], v1, v3, s[2:3]
	v_mov_b32_e32 v3, 0x7fc0
	s_or_b64 vcc, s[0:1], vcc
	v_cndmask_b32_e32 v2, v2, v3, vcc
	global_store_short v[0:1], v2, off
.LBB469_12:
	s_endpgm
	.section	.rodata,"a",@progbits
	.p2align	6, 0x0
	.amdhsa_kernel _ZN12_GLOBAL__N_120softmax_warp_forwardIN3c108BFloat16ES2_fLi5ELb0ELb0ELi32EEEvPT0_PKT_iiiPKbib
		.amdhsa_group_segment_fixed_size 0
		.amdhsa_private_segment_fixed_size 0
		.amdhsa_kernarg_size 304
		.amdhsa_user_sgpr_count 6
		.amdhsa_user_sgpr_private_segment_buffer 1
		.amdhsa_user_sgpr_dispatch_ptr 0
		.amdhsa_user_sgpr_queue_ptr 0
		.amdhsa_user_sgpr_kernarg_segment_ptr 1
		.amdhsa_user_sgpr_dispatch_id 0
		.amdhsa_user_sgpr_flat_scratch_init 0
		.amdhsa_user_sgpr_kernarg_preload_length 0
		.amdhsa_user_sgpr_kernarg_preload_offset 0
		.amdhsa_user_sgpr_private_segment_size 0
		.amdhsa_uses_dynamic_stack 0
		.amdhsa_system_sgpr_private_segment_wavefront_offset 0
		.amdhsa_system_sgpr_workgroup_id_x 1
		.amdhsa_system_sgpr_workgroup_id_y 0
		.amdhsa_system_sgpr_workgroup_id_z 0
		.amdhsa_system_sgpr_workgroup_info 0
		.amdhsa_system_vgpr_workitem_id 1
		.amdhsa_next_free_vgpr 16
		.amdhsa_next_free_sgpr 16
		.amdhsa_accum_offset 16
		.amdhsa_reserve_vcc 1
		.amdhsa_reserve_flat_scratch 0
		.amdhsa_float_round_mode_32 0
		.amdhsa_float_round_mode_16_64 0
		.amdhsa_float_denorm_mode_32 3
		.amdhsa_float_denorm_mode_16_64 3
		.amdhsa_dx10_clamp 1
		.amdhsa_ieee_mode 1
		.amdhsa_fp16_overflow 0
		.amdhsa_tg_split 0
		.amdhsa_exception_fp_ieee_invalid_op 0
		.amdhsa_exception_fp_denorm_src 0
		.amdhsa_exception_fp_ieee_div_zero 0
		.amdhsa_exception_fp_ieee_overflow 0
		.amdhsa_exception_fp_ieee_underflow 0
		.amdhsa_exception_fp_ieee_inexact 0
		.amdhsa_exception_int_div_zero 0
	.end_amdhsa_kernel
	.section	.text._ZN12_GLOBAL__N_120softmax_warp_forwardIN3c108BFloat16ES2_fLi5ELb0ELb0ELi32EEEvPT0_PKT_iiiPKbib,"axG",@progbits,_ZN12_GLOBAL__N_120softmax_warp_forwardIN3c108BFloat16ES2_fLi5ELb0ELb0ELi32EEEvPT0_PKT_iiiPKbib,comdat
.Lfunc_end469:
	.size	_ZN12_GLOBAL__N_120softmax_warp_forwardIN3c108BFloat16ES2_fLi5ELb0ELb0ELi32EEEvPT0_PKT_iiiPKbib, .Lfunc_end469-_ZN12_GLOBAL__N_120softmax_warp_forwardIN3c108BFloat16ES2_fLi5ELb0ELb0ELi32EEEvPT0_PKT_iiiPKbib
                                        ; -- End function
	.section	.AMDGPU.csdata,"",@progbits
; Kernel info:
; codeLenInByte = 1352
; NumSgprs: 20
; NumVgprs: 16
; NumAgprs: 0
; TotalNumVgprs: 16
; ScratchSize: 0
; MemoryBound: 0
; FloatMode: 240
; IeeeMode: 1
; LDSByteSize: 0 bytes/workgroup (compile time only)
; SGPRBlocks: 2
; VGPRBlocks: 1
; NumSGPRsForWavesPerEU: 20
; NumVGPRsForWavesPerEU: 16
; AccumOffset: 16
; Occupancy: 8
; WaveLimiterHint : 0
; COMPUTE_PGM_RSRC2:SCRATCH_EN: 0
; COMPUTE_PGM_RSRC2:USER_SGPR: 6
; COMPUTE_PGM_RSRC2:TRAP_HANDLER: 0
; COMPUTE_PGM_RSRC2:TGID_X_EN: 1
; COMPUTE_PGM_RSRC2:TGID_Y_EN: 0
; COMPUTE_PGM_RSRC2:TGID_Z_EN: 0
; COMPUTE_PGM_RSRC2:TIDIG_COMP_CNT: 1
; COMPUTE_PGM_RSRC3_GFX90A:ACCUM_OFFSET: 3
; COMPUTE_PGM_RSRC3_GFX90A:TG_SPLIT: 0
	.section	.text._ZN12_GLOBAL__N_120softmax_warp_forwardIN3c108BFloat16ES2_fLi6ELb0ELb0ELi64EEEvPT0_PKT_iiiPKbib,"axG",@progbits,_ZN12_GLOBAL__N_120softmax_warp_forwardIN3c108BFloat16ES2_fLi6ELb0ELb0ELi64EEEvPT0_PKT_iiiPKbib,comdat
	.globl	_ZN12_GLOBAL__N_120softmax_warp_forwardIN3c108BFloat16ES2_fLi6ELb0ELb0ELi64EEEvPT0_PKT_iiiPKbib ; -- Begin function _ZN12_GLOBAL__N_120softmax_warp_forwardIN3c108BFloat16ES2_fLi6ELb0ELb0ELi64EEEvPT0_PKT_iiiPKbib
	.p2align	8
	.type	_ZN12_GLOBAL__N_120softmax_warp_forwardIN3c108BFloat16ES2_fLi6ELb0ELb0ELi64EEEvPT0_PKT_iiiPKbib,@function
_ZN12_GLOBAL__N_120softmax_warp_forwardIN3c108BFloat16ES2_fLi6ELb0ELb0ELi64EEEvPT0_PKT_iiiPKbib: ; @_ZN12_GLOBAL__N_120softmax_warp_forwardIN3c108BFloat16ES2_fLi6ELb0ELb0ELi64EEEvPT0_PKT_iiiPKbib
; %bb.0:
	s_load_dword s0, s[4:5], 0x3c
	s_load_dwordx8 s[8:15], s[4:5], 0x0
	v_bfe_u32 v1, v0, 10, 10
	v_and_b32_e32 v2, 0x3ff, v0
	s_waitcnt lgkmcnt(0)
	s_lshr_b32 s0, s0, 16
	s_mul_i32 s6, s6, s0
	v_add_lshl_u32 v1, s6, v1, 1
	v_sub_u32_e32 v8, s12, v1
	v_mad_u64_u32 v[0:1], s[0:1], v1, s13, v[2:3]
	v_ashrrev_i32_e32 v1, 31, v0
	v_lshlrev_b64 v[0:1], 1, v[0:1]
	v_mov_b32_e32 v3, s11
	v_add_co_u32_e32 v4, vcc, s10, v0
	v_addc_co_u32_e32 v5, vcc, v3, v1, vcc
	v_cmp_gt_i32_e64 s[0:1], s14, v2
	v_cmp_lt_i32_e32 vcc, 0, v8
	s_and_b64 s[4:5], s[0:1], vcc
	v_mov_b32_e32 v3, 0xff800000
	v_mov_b32_e32 v2, 0xff800000
	s_and_saveexec_b64 s[2:3], s[4:5]
	s_cbranch_execz .LBB470_2
; %bb.1:
	global_load_ushort v2, v[4:5], off
	s_waitcnt vmcnt(0)
	v_lshlrev_b32_e32 v2, 16, v2
.LBB470_2:
	s_or_b64 exec, exec, s[2:3]
	v_cmp_lt_i32_e64 s[2:3], 1, v8
	s_and_b64 s[2:3], s[0:1], s[2:3]
	s_and_saveexec_b64 s[4:5], s[2:3]
	s_cbranch_execz .LBB470_4
; %bb.3:
	s_mov_b32 s15, 0
	s_lshl_b64 s[2:3], s[14:15], 1
	v_mov_b32_e32 v3, s3
	v_add_co_u32_e64 v4, s[2:3], s2, v4
	v_addc_co_u32_e64 v5, s[2:3], v5, v3, s[2:3]
	global_load_ushort v3, v[4:5], off
	s_waitcnt vmcnt(0)
	v_lshlrev_b32_e32 v3, 16, v3
.LBB470_4:
	s_or_b64 exec, exec, s[4:5]
	v_mbcnt_lo_u32_b32 v4, -1, 0
	v_mbcnt_hi_u32_b32 v4, -1, v4
	v_and_b32_e32 v5, 64, v4
	v_add_u32_e32 v5, 64, v5
	v_xor_b32_e32 v6, 32, v4
	v_cmp_lt_i32_e64 s[2:3], v6, v5
	v_cndmask_b32_e64 v6, v4, v6, s[2:3]
	v_lshlrev_b32_e32 v6, 2, v6
	ds_bpermute_b32 v7, v6, v3
	ds_bpermute_b32 v9, v6, v2
	v_xor_b32_e32 v10, 16, v4
	v_xor_b32_e32 v13, 8, v4
	;; [unrolled: 1-line block ×3, first 2 shown]
	s_waitcnt lgkmcnt(1)
	v_cmp_lt_f32_e64 s[2:3], v3, v7
	v_cndmask_b32_e64 v7, v3, v7, s[2:3]
	s_waitcnt lgkmcnt(0)
	v_cmp_lt_f32_e64 s[2:3], v2, v9
	v_cndmask_b32_e64 v9, v2, v9, s[2:3]
	v_cmp_lt_i32_e64 s[2:3], v10, v5
	v_cndmask_b32_e64 v10, v4, v10, s[2:3]
	v_lshlrev_b32_e32 v10, 2, v10
	ds_bpermute_b32 v12, v10, v7
	ds_bpermute_b32 v11, v10, v9
	v_cmp_lt_i32_e64 s[2:3], v13, v5
	v_cndmask_b32_e64 v13, v4, v13, s[2:3]
	v_cmp_lt_i32_e64 s[2:3], v14, v5
	v_xor_b32_e32 v15, 2, v4
	v_cndmask_b32_e64 v14, v4, v14, s[2:3]
	v_cmp_lt_i32_e64 s[2:3], v15, v5
	v_cndmask_b32_e64 v15, v4, v15, s[2:3]
	s_waitcnt lgkmcnt(1)
	v_cmp_lt_f32_e64 s[2:3], v7, v12
	v_lshlrev_b32_e32 v13, 2, v13
	v_cndmask_b32_e64 v7, v7, v12, s[2:3]
	s_waitcnt lgkmcnt(0)
	v_cmp_lt_f32_e64 s[2:3], v9, v11
	ds_bpermute_b32 v12, v13, v7
	v_cndmask_b32_e64 v9, v9, v11, s[2:3]
	ds_bpermute_b32 v11, v13, v9
	v_lshlrev_b32_e32 v14, 2, v14
	v_xor_b32_e32 v16, 1, v4
	s_waitcnt lgkmcnt(1)
	v_cmp_lt_f32_e64 s[2:3], v7, v12
	v_cndmask_b32_e64 v7, v7, v12, s[2:3]
	s_waitcnt lgkmcnt(0)
	v_cmp_lt_f32_e64 s[2:3], v9, v11
	ds_bpermute_b32 v12, v14, v7
	v_cndmask_b32_e64 v9, v9, v11, s[2:3]
	ds_bpermute_b32 v11, v14, v9
	v_cmp_lt_i32_e64 s[2:3], v16, v5
	v_cndmask_b32_e64 v4, v4, v16, s[2:3]
	s_waitcnt lgkmcnt(1)
	v_cmp_lt_f32_e64 s[2:3], v7, v12
	v_lshlrev_b32_e32 v15, 2, v15
	v_cndmask_b32_e64 v5, v7, v12, s[2:3]
	s_waitcnt lgkmcnt(0)
	v_cmp_lt_f32_e64 s[2:3], v9, v11
	ds_bpermute_b32 v7, v15, v5
	v_cndmask_b32_e64 v9, v9, v11, s[2:3]
	ds_bpermute_b32 v11, v15, v9
	v_lshlrev_b32_e32 v12, 2, v4
	s_mov_b32 s4, 0x3fb8aa3b
	s_waitcnt lgkmcnt(1)
	v_cmp_lt_f32_e64 s[2:3], v5, v7
	v_cndmask_b32_e64 v4, v5, v7, s[2:3]
	s_waitcnt lgkmcnt(0)
	v_cmp_lt_f32_e64 s[2:3], v9, v11
	ds_bpermute_b32 v5, v12, v4
	v_cndmask_b32_e64 v7, v9, v11, s[2:3]
	ds_bpermute_b32 v9, v12, v7
	s_mov_b32 s5, 0xc2ce8ed0
	s_mov_b32 s6, 0x42b17218
	s_waitcnt lgkmcnt(1)
	v_cmp_lt_f32_e64 s[2:3], v4, v5
	v_cndmask_b32_e64 v5, v4, v5, s[2:3]
	s_waitcnt lgkmcnt(0)
	v_cmp_lt_f32_e64 s[2:3], v7, v9
	v_cndmask_b32_e64 v4, v7, v9, s[2:3]
	v_pk_add_f32 v[2:3], v[2:3], v[4:5] neg_lo:[0,1] neg_hi:[0,1]
	v_mul_f32_e32 v4, 0x3fb8aa3b, v3
	v_fma_f32 v5, v3, s4, -v4
	v_rndne_f32_e32 v7, v4
	v_fmac_f32_e32 v5, 0x32a5705f, v3
	v_sub_f32_e32 v4, v4, v7
	v_add_f32_e32 v4, v4, v5
	v_exp_f32_e32 v4, v4
	v_cvt_i32_f32_e32 v5, v7
	v_cmp_ngt_f32_e64 s[2:3], s5, v3
	v_ldexp_f32 v4, v4, v5
	v_mul_f32_e32 v5, 0x3fb8aa3b, v2
	v_fma_f32 v7, v2, s4, -v5
	v_rndne_f32_e32 v9, v5
	v_fmac_f32_e32 v7, 0x32a5705f, v2
	v_sub_f32_e32 v5, v5, v9
	v_add_f32_e32 v5, v5, v7
	v_exp_f32_e32 v5, v5
	v_cvt_i32_f32_e32 v7, v9
	v_cndmask_b32_e64 v4, 0, v4, s[2:3]
	v_mov_b32_e32 v9, 0x7f800000
	v_cmp_nlt_f32_e64 s[2:3], s6, v3
	v_cndmask_b32_e64 v3, v9, v4, s[2:3]
	v_ldexp_f32 v4, v5, v7
	v_cmp_ngt_f32_e64 s[2:3], s5, v2
	v_cndmask_b32_e64 v4, 0, v4, s[2:3]
	v_cmp_nlt_f32_e64 s[2:3], s6, v2
	v_cndmask_b32_e64 v2, v9, v4, s[2:3]
	ds_bpermute_b32 v4, v6, v2
	ds_bpermute_b32 v5, v6, v3
	s_waitcnt lgkmcnt(0)
	v_pk_add_f32 v[4:5], v[2:3], v[4:5]
	ds_bpermute_b32 v6, v10, v4
	ds_bpermute_b32 v7, v10, v5
	s_waitcnt lgkmcnt(0)
	v_pk_add_f32 v[4:5], v[4:5], v[6:7]
	;; [unrolled: 4-line block ×5, first 2 shown]
	ds_bpermute_b32 v6, v12, v4
	ds_bpermute_b32 v7, v12, v5
	s_and_saveexec_b64 s[2:3], vcc
	s_cbranch_execz .LBB470_12
; %bb.5:
	v_mov_b32_e32 v9, s9
	v_add_co_u32_e32 v0, vcc, s8, v0
	v_addc_co_u32_e32 v1, vcc, v9, v1, vcc
	s_waitcnt lgkmcnt(0)
	v_pk_add_f32 v[4:5], v[4:5], v[6:7]
	s_and_saveexec_b64 s[2:3], s[0:1]
	s_cbranch_execz .LBB470_9
; %bb.6:
	v_cmp_neq_f32_e32 vcc, 0, v4
	v_mov_b32_e32 v6, 0x7fc0
	s_and_saveexec_b64 s[4:5], vcc
	s_cbranch_execz .LBB470_8
; %bb.7:
	v_div_scale_f32 v6, s[6:7], v4, v4, v2
	v_rcp_f32_e32 v7, v6
	v_div_scale_f32 v9, vcc, v2, v4, v2
	s_movk_i32 s6, 0x7fff
	v_fma_f32 v10, -v6, v7, 1.0
	v_fmac_f32_e32 v7, v10, v7
	v_mul_f32_e32 v10, v9, v7
	v_fma_f32 v11, -v6, v10, v9
	v_fmac_f32_e32 v10, v11, v7
	v_fma_f32 v6, -v6, v10, v9
	v_div_fmas_f32 v6, v6, v7, v10
	v_div_fixup_f32 v2, v6, v4, v2
	v_bfe_u32 v4, v2, 16, 1
	v_add3_u32 v4, v2, v4, s6
	v_lshrrev_b32_e32 v4, 16, v4
	v_mov_b32_e32 v6, 0x7fc0
	v_cmp_o_f32_e32 vcc, v2, v2
	v_cndmask_b32_e32 v6, v6, v4, vcc
.LBB470_8:
	s_or_b64 exec, exec, s[4:5]
	global_store_short v[0:1], v6, off
.LBB470_9:
	s_or_b64 exec, exec, s[2:3]
	v_cmp_ne_u32_e32 vcc, 1, v8
	s_and_b64 exec, exec, vcc
	s_cbranch_execz .LBB470_12
; %bb.10:
	s_and_b64 exec, exec, s[0:1]
	s_cbranch_execz .LBB470_12
; %bb.11:
	v_div_scale_f32 v2, s[0:1], v5, v5, v3
	v_rcp_f32_e32 v4, v2
	s_mov_b32 s15, 0
	s_movk_i32 s2, 0x7fff
	v_cmp_eq_f32_e64 s[0:1], 0, v5
	v_fma_f32 v6, -v2, v4, 1.0
	v_fmac_f32_e32 v4, v6, v4
	v_div_scale_f32 v6, vcc, v3, v5, v3
	v_mul_f32_e32 v7, v6, v4
	v_fma_f32 v8, -v2, v7, v6
	v_fmac_f32_e32 v7, v8, v4
	v_fma_f32 v2, -v2, v7, v6
	v_div_fmas_f32 v2, v2, v4, v7
	v_div_fixup_f32 v2, v2, v5, v3
	v_bfe_u32 v3, v2, 16, 1
	v_cmp_u_f32_e32 vcc, v2, v2
	v_add3_u32 v2, v2, v3, s2
	s_lshl_b64 s[2:3], s[14:15], 1
	v_mov_b32_e32 v3, s3
	v_add_co_u32_e64 v0, s[2:3], s2, v0
	v_lshrrev_b32_e32 v2, 16, v2
	v_addc_co_u32_e64 v1, s[2:3], v1, v3, s[2:3]
	v_mov_b32_e32 v3, 0x7fc0
	s_or_b64 vcc, s[0:1], vcc
	v_cndmask_b32_e32 v2, v2, v3, vcc
	global_store_short v[0:1], v2, off
.LBB470_12:
	s_endpgm
	.section	.rodata,"a",@progbits
	.p2align	6, 0x0
	.amdhsa_kernel _ZN12_GLOBAL__N_120softmax_warp_forwardIN3c108BFloat16ES2_fLi6ELb0ELb0ELi64EEEvPT0_PKT_iiiPKbib
		.amdhsa_group_segment_fixed_size 0
		.amdhsa_private_segment_fixed_size 0
		.amdhsa_kernarg_size 304
		.amdhsa_user_sgpr_count 6
		.amdhsa_user_sgpr_private_segment_buffer 1
		.amdhsa_user_sgpr_dispatch_ptr 0
		.amdhsa_user_sgpr_queue_ptr 0
		.amdhsa_user_sgpr_kernarg_segment_ptr 1
		.amdhsa_user_sgpr_dispatch_id 0
		.amdhsa_user_sgpr_flat_scratch_init 0
		.amdhsa_user_sgpr_kernarg_preload_length 0
		.amdhsa_user_sgpr_kernarg_preload_offset 0
		.amdhsa_user_sgpr_private_segment_size 0
		.amdhsa_uses_dynamic_stack 0
		.amdhsa_system_sgpr_private_segment_wavefront_offset 0
		.amdhsa_system_sgpr_workgroup_id_x 1
		.amdhsa_system_sgpr_workgroup_id_y 0
		.amdhsa_system_sgpr_workgroup_id_z 0
		.amdhsa_system_sgpr_workgroup_info 0
		.amdhsa_system_vgpr_workitem_id 1
		.amdhsa_next_free_vgpr 17
		.amdhsa_next_free_sgpr 16
		.amdhsa_accum_offset 20
		.amdhsa_reserve_vcc 1
		.amdhsa_reserve_flat_scratch 0
		.amdhsa_float_round_mode_32 0
		.amdhsa_float_round_mode_16_64 0
		.amdhsa_float_denorm_mode_32 3
		.amdhsa_float_denorm_mode_16_64 3
		.amdhsa_dx10_clamp 1
		.amdhsa_ieee_mode 1
		.amdhsa_fp16_overflow 0
		.amdhsa_tg_split 0
		.amdhsa_exception_fp_ieee_invalid_op 0
		.amdhsa_exception_fp_denorm_src 0
		.amdhsa_exception_fp_ieee_div_zero 0
		.amdhsa_exception_fp_ieee_overflow 0
		.amdhsa_exception_fp_ieee_underflow 0
		.amdhsa_exception_fp_ieee_inexact 0
		.amdhsa_exception_int_div_zero 0
	.end_amdhsa_kernel
	.section	.text._ZN12_GLOBAL__N_120softmax_warp_forwardIN3c108BFloat16ES2_fLi6ELb0ELb0ELi64EEEvPT0_PKT_iiiPKbib,"axG",@progbits,_ZN12_GLOBAL__N_120softmax_warp_forwardIN3c108BFloat16ES2_fLi6ELb0ELb0ELi64EEEvPT0_PKT_iiiPKbib,comdat
.Lfunc_end470:
	.size	_ZN12_GLOBAL__N_120softmax_warp_forwardIN3c108BFloat16ES2_fLi6ELb0ELb0ELi64EEEvPT0_PKT_iiiPKbib, .Lfunc_end470-_ZN12_GLOBAL__N_120softmax_warp_forwardIN3c108BFloat16ES2_fLi6ELb0ELb0ELi64EEEvPT0_PKT_iiiPKbib
                                        ; -- End function
	.section	.AMDGPU.csdata,"",@progbits
; Kernel info:
; codeLenInByte = 1456
; NumSgprs: 20
; NumVgprs: 17
; NumAgprs: 0
; TotalNumVgprs: 17
; ScratchSize: 0
; MemoryBound: 0
; FloatMode: 240
; IeeeMode: 1
; LDSByteSize: 0 bytes/workgroup (compile time only)
; SGPRBlocks: 2
; VGPRBlocks: 2
; NumSGPRsForWavesPerEU: 20
; NumVGPRsForWavesPerEU: 17
; AccumOffset: 20
; Occupancy: 8
; WaveLimiterHint : 0
; COMPUTE_PGM_RSRC2:SCRATCH_EN: 0
; COMPUTE_PGM_RSRC2:USER_SGPR: 6
; COMPUTE_PGM_RSRC2:TRAP_HANDLER: 0
; COMPUTE_PGM_RSRC2:TGID_X_EN: 1
; COMPUTE_PGM_RSRC2:TGID_Y_EN: 0
; COMPUTE_PGM_RSRC2:TGID_Z_EN: 0
; COMPUTE_PGM_RSRC2:TIDIG_COMP_CNT: 1
; COMPUTE_PGM_RSRC3_GFX90A:ACCUM_OFFSET: 4
; COMPUTE_PGM_RSRC3_GFX90A:TG_SPLIT: 0
	.section	.text._ZN12_GLOBAL__N_120softmax_warp_forwardIN3c108BFloat16ES2_fLi6ELb0ELb0ELi32EEEvPT0_PKT_iiiPKbib,"axG",@progbits,_ZN12_GLOBAL__N_120softmax_warp_forwardIN3c108BFloat16ES2_fLi6ELb0ELb0ELi32EEEvPT0_PKT_iiiPKbib,comdat
	.globl	_ZN12_GLOBAL__N_120softmax_warp_forwardIN3c108BFloat16ES2_fLi6ELb0ELb0ELi32EEEvPT0_PKT_iiiPKbib ; -- Begin function _ZN12_GLOBAL__N_120softmax_warp_forwardIN3c108BFloat16ES2_fLi6ELb0ELb0ELi32EEEvPT0_PKT_iiiPKbib
	.p2align	8
	.type	_ZN12_GLOBAL__N_120softmax_warp_forwardIN3c108BFloat16ES2_fLi6ELb0ELb0ELi32EEEvPT0_PKT_iiiPKbib,@function
_ZN12_GLOBAL__N_120softmax_warp_forwardIN3c108BFloat16ES2_fLi6ELb0ELb0ELi32EEEvPT0_PKT_iiiPKbib: ; @_ZN12_GLOBAL__N_120softmax_warp_forwardIN3c108BFloat16ES2_fLi6ELb0ELb0ELi32EEEvPT0_PKT_iiiPKbib
; %bb.0:
	s_load_dword s0, s[4:5], 0x3c
	s_load_dwordx8 s[8:15], s[4:5], 0x0
	v_bfe_u32 v1, v0, 10, 10
	v_and_b32_e32 v4, 0x3ff, v0
	v_mov_b32_e32 v3, 0xff800000
	s_waitcnt lgkmcnt(0)
	s_lshr_b32 s0, s0, 16
	s_mul_i32 s6, s6, s0
	v_add_lshl_u32 v1, s6, v1, 1
	v_sub_u32_e32 v10, s12, v1
	v_mad_u64_u32 v[0:1], s[0:1], v1, s13, v[4:5]
	v_ashrrev_i32_e32 v1, 31, v0
	v_lshlrev_b64 v[0:1], 1, v[0:1]
	v_mov_b32_e32 v2, s11
	v_add_co_u32_e32 v6, vcc, s10, v0
	v_addc_co_u32_e32 v7, vcc, v2, v1, vcc
	v_cmp_lt_i32_e32 vcc, 0, v10
	v_cmp_gt_i32_e64 s[2:3], s14, v4
	s_and_b64 s[4:5], vcc, s[2:3]
	v_mov_b32_e32 v2, 0xff800000
	s_and_saveexec_b64 s[0:1], s[4:5]
	s_cbranch_execz .LBB471_2
; %bb.1:
	global_load_ushort v2, v[6:7], off
	s_waitcnt vmcnt(0)
	v_lshlrev_b32_e32 v2, 16, v2
.LBB471_2:
	s_or_b64 exec, exec, s[0:1]
	v_add_u32_e32 v4, 32, v4
	v_cmp_gt_i32_e64 s[0:1], s14, v4
	s_and_b64 s[6:7], vcc, s[0:1]
	s_and_saveexec_b64 s[4:5], s[6:7]
	s_cbranch_execz .LBB471_4
; %bb.3:
	global_load_ushort v3, v[6:7], off offset:64
	s_waitcnt vmcnt(0)
	v_lshlrev_b32_e32 v3, 16, v3
.LBB471_4:
	s_or_b64 exec, exec, s[4:5]
	v_cmp_lt_i32_e64 s[4:5], 1, v10
	s_and_b64 s[6:7], s[4:5], s[2:3]
	v_mov_b32_e32 v5, 0xff800000
	v_mov_b32_e32 v4, 0xff800000
	s_and_saveexec_b64 s[10:11], s[6:7]
	s_cbranch_execz .LBB471_6
; %bb.5:
	s_mov_b32 s15, 0
	s_lshl_b64 s[6:7], s[14:15], 1
	v_mov_b32_e32 v4, s7
	v_add_co_u32_e64 v8, s[6:7], s6, v6
	v_addc_co_u32_e64 v9, s[6:7], v7, v4, s[6:7]
	global_load_ushort v4, v[8:9], off
	s_waitcnt vmcnt(0)
	v_lshlrev_b32_e32 v4, 16, v4
.LBB471_6:
	s_or_b64 exec, exec, s[10:11]
	s_and_b64 s[4:5], s[4:5], s[0:1]
	s_and_saveexec_b64 s[6:7], s[4:5]
	s_cbranch_execz .LBB471_8
; %bb.7:
	s_mov_b32 s15, 0
	s_lshl_b64 s[4:5], s[14:15], 1
	v_mov_b32_e32 v5, s5
	v_add_co_u32_e64 v6, s[4:5], s4, v6
	v_addc_co_u32_e64 v7, s[4:5], v7, v5, s[4:5]
	global_load_ushort v5, v[6:7], off offset:64
	s_waitcnt vmcnt(0)
	v_lshlrev_b32_e32 v5, 16, v5
.LBB471_8:
	s_or_b64 exec, exec, s[6:7]
	v_mbcnt_lo_u32_b32 v7, -1, 0
	v_mbcnt_hi_u32_b32 v7, -1, v7
	v_and_b32_e32 v8, 0x60, v7
	v_cmp_gt_f32_e64 s[4:5], v2, v3
	v_add_u32_e32 v8, 32, v8
	v_xor_b32_e32 v9, 16, v7
	v_cndmask_b32_e64 v6, v3, v2, s[4:5]
	v_cmp_lt_i32_e64 s[4:5], v9, v8
	v_cndmask_b32_e64 v9, v7, v9, s[4:5]
	v_lshlrev_b32_e32 v11, 2, v9
	ds_bpermute_b32 v9, v11, v6
	v_cmp_gt_f32_e64 s[4:5], v4, v5
	v_cndmask_b32_e64 v12, v5, v4, s[4:5]
	v_xor_b32_e32 v13, 8, v7
	s_mov_b32 s6, 0x3fb8aa3b
	s_waitcnt lgkmcnt(0)
	v_cmp_lt_f32_e64 s[4:5], v6, v9
	v_cndmask_b32_e64 v6, v6, v9, s[4:5]
	v_cmp_lt_i32_e64 s[4:5], v13, v8
	v_cndmask_b32_e64 v13, v7, v13, s[4:5]
	ds_bpermute_b32 v9, v11, v12
	v_lshlrev_b32_e32 v13, 2, v13
	ds_bpermute_b32 v14, v13, v6
	s_mov_b32 s7, 0xc2ce8ed0
	s_mov_b32 s10, 0x42b17218
	s_waitcnt lgkmcnt(1)
	v_cmp_lt_f32_e64 s[4:5], v12, v9
	v_cndmask_b32_e64 v9, v12, v9, s[4:5]
	s_waitcnt lgkmcnt(0)
	v_cmp_lt_f32_e64 s[4:5], v6, v14
	v_cndmask_b32_e64 v6, v6, v14, s[4:5]
	v_xor_b32_e32 v14, 4, v7
	v_cmp_lt_i32_e64 s[4:5], v14, v8
	v_cndmask_b32_e64 v14, v7, v14, s[4:5]
	ds_bpermute_b32 v12, v13, v9
	v_lshlrev_b32_e32 v14, 2, v14
	ds_bpermute_b32 v15, v14, v6
	s_waitcnt lgkmcnt(1)
	v_cmp_lt_f32_e64 s[4:5], v9, v12
	v_cndmask_b32_e64 v9, v9, v12, s[4:5]
	s_waitcnt lgkmcnt(0)
	v_cmp_lt_f32_e64 s[4:5], v6, v15
	v_cndmask_b32_e64 v6, v6, v15, s[4:5]
	v_xor_b32_e32 v15, 2, v7
	v_cmp_lt_i32_e64 s[4:5], v15, v8
	v_cndmask_b32_e64 v15, v7, v15, s[4:5]
	ds_bpermute_b32 v12, v14, v9
	v_lshlrev_b32_e32 v15, 2, v15
	ds_bpermute_b32 v16, v15, v6
	s_waitcnt lgkmcnt(1)
	v_cmp_lt_f32_e64 s[4:5], v9, v12
	v_cndmask_b32_e64 v9, v9, v12, s[4:5]
	s_waitcnt lgkmcnt(0)
	v_cmp_lt_f32_e64 s[4:5], v6, v16
	v_cndmask_b32_e64 v6, v6, v16, s[4:5]
	v_xor_b32_e32 v16, 1, v7
	v_cmp_lt_i32_e64 s[4:5], v16, v8
	v_cndmask_b32_e64 v7, v7, v16, s[4:5]
	ds_bpermute_b32 v12, v15, v9
	v_lshlrev_b32_e32 v16, 2, v7
	ds_bpermute_b32 v7, v16, v6
	s_waitcnt lgkmcnt(1)
	v_cmp_lt_f32_e64 s[4:5], v9, v12
	v_cndmask_b32_e64 v8, v9, v12, s[4:5]
	s_waitcnt lgkmcnt(0)
	v_cmp_lt_f32_e64 s[4:5], v6, v7
	v_cndmask_b32_e64 v6, v6, v7, s[4:5]
	v_pk_add_f32 v[6:7], v[2:3], v[6:7] op_sel_hi:[1,0] neg_lo:[0,1] neg_hi:[0,1]
	v_mul_f32_e32 v2, 0x3fb8aa3b, v7
	v_fma_f32 v3, v7, s6, -v2
	v_rndne_f32_e32 v12, v2
	v_fmac_f32_e32 v3, 0x32a5705f, v7
	v_sub_f32_e32 v2, v2, v12
	ds_bpermute_b32 v9, v16, v8
	v_add_f32_e32 v2, v2, v3
	v_exp_f32_e32 v2, v2
	v_cvt_i32_f32_e32 v3, v12
	s_waitcnt lgkmcnt(0)
	v_cmp_lt_f32_e64 s[4:5], v8, v9
	v_cndmask_b32_e64 v8, v8, v9, s[4:5]
	v_ldexp_f32 v2, v2, v3
	v_mul_f32_e32 v3, 0x3fb8aa3b, v6
	v_fma_f32 v9, v6, s6, -v3
	v_rndne_f32_e32 v12, v3
	v_fmac_f32_e32 v9, 0x32a5705f, v6
	v_sub_f32_e32 v3, v3, v12
	v_add_f32_e32 v3, v3, v9
	v_exp_f32_e32 v3, v3
	v_cvt_i32_f32_e32 v9, v12
	v_cmp_ngt_f32_e64 s[4:5], s7, v7
	v_cndmask_b32_e64 v2, 0, v2, s[4:5]
	v_cmp_nlt_f32_e64 s[4:5], s10, v7
	v_ldexp_f32 v3, v3, v9
	v_pk_add_f32 v[8:9], v[4:5], v[8:9] op_sel_hi:[1,0] neg_lo:[0,1] neg_hi:[0,1]
	v_mul_f32_e32 v4, 0x3fb8aa3b, v9
	v_fma_f32 v5, v9, s6, -v4
	v_rndne_f32_e32 v7, v4
	v_fmac_f32_e32 v5, 0x32a5705f, v9
	v_sub_f32_e32 v4, v4, v7
	v_add_f32_e32 v4, v4, v5
	v_exp_f32_e32 v5, v4
	v_cvt_i32_f32_e32 v7, v7
	v_mov_b32_e32 v12, 0x7f800000
	v_cndmask_b32_e64 v2, v12, v2, s[4:5]
	v_cmp_ngt_f32_e64 s[4:5], s7, v6
	v_cndmask_b32_e64 v3, 0, v3, s[4:5]
	v_cmp_nlt_f32_e64 s[4:5], s10, v6
	v_cndmask_b32_e64 v4, v12, v3, s[4:5]
	v_ldexp_f32 v3, v5, v7
	v_mul_f32_e32 v5, 0x3fb8aa3b, v8
	v_fma_f32 v6, v8, s6, -v5
	v_rndne_f32_e32 v7, v5
	v_fmac_f32_e32 v6, 0x32a5705f, v8
	v_sub_f32_e32 v5, v5, v7
	v_add_f32_e32 v5, v5, v6
	v_exp_f32_e32 v5, v5
	v_cvt_i32_f32_e32 v6, v7
	v_cmp_ngt_f32_e64 s[4:5], s7, v9
	v_cndmask_b32_e64 v3, 0, v3, s[4:5]
	v_cmp_nlt_f32_e64 s[4:5], s10, v9
	v_cndmask_b32_e64 v3, v12, v3, s[4:5]
	v_ldexp_f32 v5, v5, v6
	v_cmp_ngt_f32_e64 s[4:5], s7, v8
	v_cndmask_b32_e64 v5, 0, v5, s[4:5]
	v_cmp_nlt_f32_e64 s[4:5], s10, v8
	v_cndmask_b32_e64 v5, v12, v5, s[4:5]
	v_pk_add_f32 v[6:7], v[4:5], v[2:3]
	ds_bpermute_b32 v8, v11, v6
	ds_bpermute_b32 v9, v11, v7
	s_waitcnt lgkmcnt(0)
	v_pk_add_f32 v[6:7], v[6:7], v[8:9]
	ds_bpermute_b32 v8, v13, v6
	ds_bpermute_b32 v9, v13, v7
	s_waitcnt lgkmcnt(0)
	;; [unrolled: 4-line block ×4, first 2 shown]
	v_pk_add_f32 v[6:7], v[6:7], v[8:9]
	ds_bpermute_b32 v8, v16, v6
	ds_bpermute_b32 v9, v16, v7
	s_and_saveexec_b64 s[4:5], vcc
	s_cbranch_execz .LBB471_20
; %bb.9:
	v_mov_b32_e32 v11, s9
	v_add_co_u32_e32 v0, vcc, s8, v0
	v_addc_co_u32_e32 v1, vcc, v11, v1, vcc
	s_waitcnt lgkmcnt(0)
	v_pk_add_f32 v[6:7], v[6:7], v[8:9]
	s_and_saveexec_b64 s[6:7], s[2:3]
	s_cbranch_execz .LBB471_16
; %bb.10:
	v_cmp_neq_f32_e64 s[4:5], 0, v6
	v_mov_b32_e32 v8, 0x7fc0
	s_and_saveexec_b64 s[8:9], s[4:5]
	s_cbranch_execz .LBB471_12
; %bb.11:
	v_div_scale_f32 v8, s[10:11], v6, v6, v4
	v_rcp_f32_e32 v9, v8
	v_div_scale_f32 v11, vcc, v4, v6, v4
	s_movk_i32 s10, 0x7fff
	v_fma_f32 v12, -v8, v9, 1.0
	v_fmac_f32_e32 v9, v12, v9
	v_mul_f32_e32 v12, v11, v9
	v_fma_f32 v13, -v8, v12, v11
	v_fmac_f32_e32 v12, v13, v9
	v_fma_f32 v8, -v8, v12, v11
	v_div_fmas_f32 v8, v8, v9, v12
	v_div_fixup_f32 v4, v8, v6, v4
	v_bfe_u32 v8, v4, 16, 1
	v_add3_u32 v8, v4, v8, s10
	v_lshrrev_b32_e32 v8, 16, v8
	v_mov_b32_e32 v9, 0x7fc0
	v_cmp_o_f32_e32 vcc, v4, v4
	v_cndmask_b32_e32 v8, v9, v8, vcc
.LBB471_12:
	s_or_b64 exec, exec, s[8:9]
	global_store_short v[0:1], v8, off
	s_and_b64 exec, exec, s[0:1]
	s_cbranch_execz .LBB471_16
; %bb.13:
	v_mov_b32_e32 v4, 0x7fc0
	s_and_saveexec_b64 s[8:9], s[4:5]
	s_cbranch_execz .LBB471_15
; %bb.14:
	v_div_scale_f32 v4, s[4:5], v6, v6, v2
	v_rcp_f32_e32 v8, v4
	v_div_scale_f32 v9, vcc, v2, v6, v2
	s_movk_i32 s4, 0x7fff
	v_fma_f32 v11, -v4, v8, 1.0
	v_fmac_f32_e32 v8, v11, v8
	v_mul_f32_e32 v11, v9, v8
	v_fma_f32 v12, -v4, v11, v9
	v_fmac_f32_e32 v11, v12, v8
	v_fma_f32 v4, -v4, v11, v9
	v_div_fmas_f32 v4, v4, v8, v11
	v_div_fixup_f32 v2, v4, v6, v2
	v_bfe_u32 v4, v2, 16, 1
	v_add3_u32 v4, v2, v4, s4
	v_lshrrev_b32_e32 v4, 16, v4
	v_mov_b32_e32 v6, 0x7fc0
	v_cmp_o_f32_e32 vcc, v2, v2
	v_cndmask_b32_e32 v4, v6, v4, vcc
.LBB471_15:
	s_or_b64 exec, exec, s[8:9]
	global_store_short v[0:1], v4, off offset:64
.LBB471_16:
	s_or_b64 exec, exec, s[6:7]
	v_cmp_ne_u32_e32 vcc, 1, v10
	s_and_b64 exec, exec, vcc
	s_cbranch_execz .LBB471_20
; %bb.17:
	s_and_b64 exec, exec, s[2:3]
	s_cbranch_execz .LBB471_20
; %bb.18:
	v_div_scale_f32 v2, s[2:3], v7, v7, v5
	v_rcp_f32_e32 v4, v2
	s_mov_b32 s15, 0
	s_movk_i32 s6, 0x7fff
	s_lshl_b64 s[4:5], s[14:15], 1
	v_fma_f32 v6, -v2, v4, 1.0
	v_fmac_f32_e32 v4, v6, v4
	v_div_scale_f32 v6, vcc, v5, v7, v5
	v_mul_f32_e32 v8, v6, v4
	v_fma_f32 v9, -v2, v8, v6
	v_fmac_f32_e32 v8, v9, v4
	v_fma_f32 v2, -v2, v8, v6
	v_div_fmas_f32 v2, v2, v4, v8
	v_div_fixup_f32 v2, v2, v7, v5
	v_bfe_u32 v4, v2, 16, 1
	v_cmp_u_f32_e32 vcc, v2, v2
	v_add3_u32 v2, v2, v4, s6
	v_cmp_eq_f32_e64 s[2:3], 0, v7
	v_lshrrev_b32_e32 v6, 16, v2
	v_mov_b32_e32 v2, s5
	v_add_co_u32_e64 v4, s[4:5], s4, v0
	v_addc_co_u32_e64 v5, s[4:5], v1, v2, s[4:5]
	v_mov_b32_e32 v2, 0x7fc0
	s_or_b64 vcc, s[2:3], vcc
	v_cndmask_b32_e32 v6, v6, v2, vcc
	global_store_short v[4:5], v6, off
	s_and_b64 exec, exec, s[0:1]
	s_cbranch_execz .LBB471_20
; %bb.19:
	v_div_scale_f32 v4, s[0:1], v7, v7, v3
	v_rcp_f32_e32 v5, v4
	v_div_scale_f32 v6, vcc, v3, v7, v3
	s_ashr_i32 s15, s14, 31
	v_fma_f32 v8, -v4, v5, 1.0
	v_fmac_f32_e32 v5, v8, v5
	v_mul_f32_e32 v8, v6, v5
	v_fma_f32 v9, -v4, v8, v6
	v_fmac_f32_e32 v8, v9, v5
	v_fma_f32 v4, -v4, v8, v6
	v_div_fmas_f32 v4, v4, v5, v8
	v_div_fixup_f32 v3, v4, v7, v3
	v_bfe_u32 v4, v3, 16, 1
	v_cmp_u_f32_e32 vcc, v3, v3
	v_add3_u32 v3, v3, v4, s6
	s_lshl_b64 s[0:1], s[14:15], 1
	v_lshrrev_b32_e32 v3, 16, v3
	v_mov_b32_e32 v4, s1
	v_add_co_u32_e64 v0, s[0:1], s0, v0
	s_or_b64 vcc, s[2:3], vcc
	v_addc_co_u32_e64 v1, s[0:1], v1, v4, s[0:1]
	v_cndmask_b32_e32 v2, v3, v2, vcc
	global_store_short v[0:1], v2, off offset:64
.LBB471_20:
	s_endpgm
	.section	.rodata,"a",@progbits
	.p2align	6, 0x0
	.amdhsa_kernel _ZN12_GLOBAL__N_120softmax_warp_forwardIN3c108BFloat16ES2_fLi6ELb0ELb0ELi32EEEvPT0_PKT_iiiPKbib
		.amdhsa_group_segment_fixed_size 0
		.amdhsa_private_segment_fixed_size 0
		.amdhsa_kernarg_size 304
		.amdhsa_user_sgpr_count 6
		.amdhsa_user_sgpr_private_segment_buffer 1
		.amdhsa_user_sgpr_dispatch_ptr 0
		.amdhsa_user_sgpr_queue_ptr 0
		.amdhsa_user_sgpr_kernarg_segment_ptr 1
		.amdhsa_user_sgpr_dispatch_id 0
		.amdhsa_user_sgpr_flat_scratch_init 0
		.amdhsa_user_sgpr_kernarg_preload_length 0
		.amdhsa_user_sgpr_kernarg_preload_offset 0
		.amdhsa_user_sgpr_private_segment_size 0
		.amdhsa_uses_dynamic_stack 0
		.amdhsa_system_sgpr_private_segment_wavefront_offset 0
		.amdhsa_system_sgpr_workgroup_id_x 1
		.amdhsa_system_sgpr_workgroup_id_y 0
		.amdhsa_system_sgpr_workgroup_id_z 0
		.amdhsa_system_sgpr_workgroup_info 0
		.amdhsa_system_vgpr_workitem_id 1
		.amdhsa_next_free_vgpr 17
		.amdhsa_next_free_sgpr 16
		.amdhsa_accum_offset 20
		.amdhsa_reserve_vcc 1
		.amdhsa_reserve_flat_scratch 0
		.amdhsa_float_round_mode_32 0
		.amdhsa_float_round_mode_16_64 0
		.amdhsa_float_denorm_mode_32 3
		.amdhsa_float_denorm_mode_16_64 3
		.amdhsa_dx10_clamp 1
		.amdhsa_ieee_mode 1
		.amdhsa_fp16_overflow 0
		.amdhsa_tg_split 0
		.amdhsa_exception_fp_ieee_invalid_op 0
		.amdhsa_exception_fp_denorm_src 0
		.amdhsa_exception_fp_ieee_div_zero 0
		.amdhsa_exception_fp_ieee_overflow 0
		.amdhsa_exception_fp_ieee_underflow 0
		.amdhsa_exception_fp_ieee_inexact 0
		.amdhsa_exception_int_div_zero 0
	.end_amdhsa_kernel
	.section	.text._ZN12_GLOBAL__N_120softmax_warp_forwardIN3c108BFloat16ES2_fLi6ELb0ELb0ELi32EEEvPT0_PKT_iiiPKbib,"axG",@progbits,_ZN12_GLOBAL__N_120softmax_warp_forwardIN3c108BFloat16ES2_fLi6ELb0ELb0ELi32EEEvPT0_PKT_iiiPKbib,comdat
.Lfunc_end471:
	.size	_ZN12_GLOBAL__N_120softmax_warp_forwardIN3c108BFloat16ES2_fLi6ELb0ELb0ELi32EEEvPT0_PKT_iiiPKbib, .Lfunc_end471-_ZN12_GLOBAL__N_120softmax_warp_forwardIN3c108BFloat16ES2_fLi6ELb0ELb0ELi32EEEvPT0_PKT_iiiPKbib
                                        ; -- End function
	.section	.AMDGPU.csdata,"",@progbits
; Kernel info:
; codeLenInByte = 1988
; NumSgprs: 20
; NumVgprs: 17
; NumAgprs: 0
; TotalNumVgprs: 17
; ScratchSize: 0
; MemoryBound: 0
; FloatMode: 240
; IeeeMode: 1
; LDSByteSize: 0 bytes/workgroup (compile time only)
; SGPRBlocks: 2
; VGPRBlocks: 2
; NumSGPRsForWavesPerEU: 20
; NumVGPRsForWavesPerEU: 17
; AccumOffset: 20
; Occupancy: 8
; WaveLimiterHint : 0
; COMPUTE_PGM_RSRC2:SCRATCH_EN: 0
; COMPUTE_PGM_RSRC2:USER_SGPR: 6
; COMPUTE_PGM_RSRC2:TRAP_HANDLER: 0
; COMPUTE_PGM_RSRC2:TGID_X_EN: 1
; COMPUTE_PGM_RSRC2:TGID_Y_EN: 0
; COMPUTE_PGM_RSRC2:TGID_Z_EN: 0
; COMPUTE_PGM_RSRC2:TIDIG_COMP_CNT: 1
; COMPUTE_PGM_RSRC3_GFX90A:ACCUM_OFFSET: 4
; COMPUTE_PGM_RSRC3_GFX90A:TG_SPLIT: 0
	.section	.text._ZN12_GLOBAL__N_120softmax_warp_forwardIN3c108BFloat16ES2_fLi7ELb0ELb0ELi64EEEvPT0_PKT_iiiPKbib,"axG",@progbits,_ZN12_GLOBAL__N_120softmax_warp_forwardIN3c108BFloat16ES2_fLi7ELb0ELb0ELi64EEEvPT0_PKT_iiiPKbib,comdat
	.globl	_ZN12_GLOBAL__N_120softmax_warp_forwardIN3c108BFloat16ES2_fLi7ELb0ELb0ELi64EEEvPT0_PKT_iiiPKbib ; -- Begin function _ZN12_GLOBAL__N_120softmax_warp_forwardIN3c108BFloat16ES2_fLi7ELb0ELb0ELi64EEEvPT0_PKT_iiiPKbib
	.p2align	8
	.type	_ZN12_GLOBAL__N_120softmax_warp_forwardIN3c108BFloat16ES2_fLi7ELb0ELb0ELi64EEEvPT0_PKT_iiiPKbib,@function
_ZN12_GLOBAL__N_120softmax_warp_forwardIN3c108BFloat16ES2_fLi7ELb0ELb0ELi64EEEvPT0_PKT_iiiPKbib: ; @_ZN12_GLOBAL__N_120softmax_warp_forwardIN3c108BFloat16ES2_fLi7ELb0ELb0ELi64EEEvPT0_PKT_iiiPKbib
; %bb.0:
	s_load_dword s0, s[4:5], 0x3c
	s_load_dwordx8 s[8:15], s[4:5], 0x0
	v_bfe_u32 v1, v0, 10, 10
	v_and_b32_e32 v4, 0x3ff, v0
	v_mov_b32_e32 v3, 0xff800000
	s_waitcnt lgkmcnt(0)
	s_lshr_b32 s0, s0, 16
	s_mul_i32 s6, s6, s0
	v_add_lshl_u32 v1, s6, v1, 1
	v_sub_u32_e32 v10, s12, v1
	v_mad_u64_u32 v[0:1], s[0:1], v1, s13, v[4:5]
	v_ashrrev_i32_e32 v1, 31, v0
	v_lshlrev_b64 v[0:1], 1, v[0:1]
	v_mov_b32_e32 v2, s11
	v_add_co_u32_e32 v6, vcc, s10, v0
	v_addc_co_u32_e32 v7, vcc, v2, v1, vcc
	v_cmp_lt_i32_e32 vcc, 0, v10
	v_cmp_gt_i32_e64 s[2:3], s14, v4
	s_and_b64 s[4:5], vcc, s[2:3]
	v_mov_b32_e32 v2, 0xff800000
	s_and_saveexec_b64 s[0:1], s[4:5]
	s_cbranch_execz .LBB472_2
; %bb.1:
	global_load_ushort v2, v[6:7], off
	s_waitcnt vmcnt(0)
	v_lshlrev_b32_e32 v2, 16, v2
.LBB472_2:
	s_or_b64 exec, exec, s[0:1]
	v_add_u32_e32 v4, 64, v4
	v_cmp_gt_i32_e64 s[0:1], s14, v4
	s_and_b64 s[6:7], vcc, s[0:1]
	s_and_saveexec_b64 s[4:5], s[6:7]
	s_cbranch_execz .LBB472_4
; %bb.3:
	global_load_ushort v3, v[6:7], off offset:128
	s_waitcnt vmcnt(0)
	v_lshlrev_b32_e32 v3, 16, v3
.LBB472_4:
	s_or_b64 exec, exec, s[4:5]
	v_cmp_lt_i32_e64 s[4:5], 1, v10
	s_and_b64 s[6:7], s[4:5], s[2:3]
	v_mov_b32_e32 v5, 0xff800000
	v_mov_b32_e32 v4, 0xff800000
	s_and_saveexec_b64 s[10:11], s[6:7]
	s_cbranch_execz .LBB472_6
; %bb.5:
	s_mov_b32 s15, 0
	s_lshl_b64 s[6:7], s[14:15], 1
	v_mov_b32_e32 v4, s7
	v_add_co_u32_e64 v8, s[6:7], s6, v6
	v_addc_co_u32_e64 v9, s[6:7], v7, v4, s[6:7]
	global_load_ushort v4, v[8:9], off
	s_waitcnt vmcnt(0)
	v_lshlrev_b32_e32 v4, 16, v4
.LBB472_6:
	s_or_b64 exec, exec, s[10:11]
	s_and_b64 s[4:5], s[4:5], s[0:1]
	s_and_saveexec_b64 s[6:7], s[4:5]
	s_cbranch_execz .LBB472_8
; %bb.7:
	s_mov_b32 s15, 0
	s_lshl_b64 s[4:5], s[14:15], 1
	v_mov_b32_e32 v5, s5
	v_add_co_u32_e64 v6, s[4:5], s4, v6
	v_addc_co_u32_e64 v7, s[4:5], v7, v5, s[4:5]
	global_load_ushort v5, v[6:7], off offset:128
	s_waitcnt vmcnt(0)
	v_lshlrev_b32_e32 v5, 16, v5
.LBB472_8:
	s_or_b64 exec, exec, s[6:7]
	v_mbcnt_lo_u32_b32 v7, -1, 0
	v_mbcnt_hi_u32_b32 v7, -1, v7
	v_and_b32_e32 v8, 64, v7
	v_cmp_gt_f32_e64 s[4:5], v2, v3
	v_add_u32_e32 v8, 64, v8
	v_xor_b32_e32 v9, 32, v7
	v_cndmask_b32_e64 v6, v3, v2, s[4:5]
	v_cmp_lt_i32_e64 s[4:5], v9, v8
	v_cndmask_b32_e64 v9, v7, v9, s[4:5]
	v_lshlrev_b32_e32 v11, 2, v9
	ds_bpermute_b32 v9, v11, v6
	v_cmp_gt_f32_e64 s[4:5], v4, v5
	v_cndmask_b32_e64 v12, v5, v4, s[4:5]
	v_xor_b32_e32 v13, 16, v7
	s_mov_b32 s6, 0x3fb8aa3b
	s_waitcnt lgkmcnt(0)
	v_cmp_lt_f32_e64 s[4:5], v6, v9
	v_cndmask_b32_e64 v6, v6, v9, s[4:5]
	v_cmp_lt_i32_e64 s[4:5], v13, v8
	v_cndmask_b32_e64 v13, v7, v13, s[4:5]
	ds_bpermute_b32 v9, v11, v12
	v_lshlrev_b32_e32 v13, 2, v13
	ds_bpermute_b32 v14, v13, v6
	s_mov_b32 s7, 0xc2ce8ed0
	s_mov_b32 s10, 0x42b17218
	s_waitcnt lgkmcnt(1)
	v_cmp_lt_f32_e64 s[4:5], v12, v9
	v_cndmask_b32_e64 v9, v12, v9, s[4:5]
	s_waitcnt lgkmcnt(0)
	v_cmp_lt_f32_e64 s[4:5], v6, v14
	v_cndmask_b32_e64 v6, v6, v14, s[4:5]
	v_xor_b32_e32 v14, 8, v7
	v_cmp_lt_i32_e64 s[4:5], v14, v8
	v_cndmask_b32_e64 v14, v7, v14, s[4:5]
	ds_bpermute_b32 v12, v13, v9
	v_lshlrev_b32_e32 v14, 2, v14
	ds_bpermute_b32 v15, v14, v6
	s_waitcnt lgkmcnt(1)
	v_cmp_lt_f32_e64 s[4:5], v9, v12
	v_cndmask_b32_e64 v9, v9, v12, s[4:5]
	s_waitcnt lgkmcnt(0)
	v_cmp_lt_f32_e64 s[4:5], v6, v15
	v_cndmask_b32_e64 v6, v6, v15, s[4:5]
	v_xor_b32_e32 v15, 4, v7
	v_cmp_lt_i32_e64 s[4:5], v15, v8
	v_cndmask_b32_e64 v15, v7, v15, s[4:5]
	ds_bpermute_b32 v12, v14, v9
	v_lshlrev_b32_e32 v15, 2, v15
	ds_bpermute_b32 v16, v15, v6
	;; [unrolled: 12-line block ×4, first 2 shown]
	s_waitcnt lgkmcnt(1)
	v_cmp_lt_f32_e64 s[4:5], v9, v12
	v_cndmask_b32_e64 v8, v9, v12, s[4:5]
	s_waitcnt lgkmcnt(0)
	v_cmp_lt_f32_e64 s[4:5], v6, v7
	v_cndmask_b32_e64 v6, v6, v7, s[4:5]
	v_pk_add_f32 v[6:7], v[2:3], v[6:7] op_sel_hi:[1,0] neg_lo:[0,1] neg_hi:[0,1]
	v_mul_f32_e32 v2, 0x3fb8aa3b, v7
	v_fma_f32 v3, v7, s6, -v2
	v_rndne_f32_e32 v12, v2
	v_fmac_f32_e32 v3, 0x32a5705f, v7
	v_sub_f32_e32 v2, v2, v12
	ds_bpermute_b32 v9, v17, v8
	v_add_f32_e32 v2, v2, v3
	v_exp_f32_e32 v2, v2
	v_cvt_i32_f32_e32 v3, v12
	s_waitcnt lgkmcnt(0)
	v_cmp_lt_f32_e64 s[4:5], v8, v9
	v_cndmask_b32_e64 v8, v8, v9, s[4:5]
	v_ldexp_f32 v2, v2, v3
	v_mul_f32_e32 v3, 0x3fb8aa3b, v6
	v_fma_f32 v9, v6, s6, -v3
	v_rndne_f32_e32 v12, v3
	v_fmac_f32_e32 v9, 0x32a5705f, v6
	v_sub_f32_e32 v3, v3, v12
	v_add_f32_e32 v3, v3, v9
	v_exp_f32_e32 v3, v3
	v_cvt_i32_f32_e32 v9, v12
	v_cmp_ngt_f32_e64 s[4:5], s7, v7
	v_cndmask_b32_e64 v2, 0, v2, s[4:5]
	v_cmp_nlt_f32_e64 s[4:5], s10, v7
	v_ldexp_f32 v3, v3, v9
	v_pk_add_f32 v[8:9], v[4:5], v[8:9] op_sel_hi:[1,0] neg_lo:[0,1] neg_hi:[0,1]
	v_mul_f32_e32 v4, 0x3fb8aa3b, v9
	v_fma_f32 v5, v9, s6, -v4
	v_rndne_f32_e32 v7, v4
	v_fmac_f32_e32 v5, 0x32a5705f, v9
	v_sub_f32_e32 v4, v4, v7
	v_add_f32_e32 v4, v4, v5
	v_exp_f32_e32 v5, v4
	v_cvt_i32_f32_e32 v7, v7
	v_mov_b32_e32 v12, 0x7f800000
	v_cndmask_b32_e64 v2, v12, v2, s[4:5]
	v_cmp_ngt_f32_e64 s[4:5], s7, v6
	v_cndmask_b32_e64 v3, 0, v3, s[4:5]
	v_cmp_nlt_f32_e64 s[4:5], s10, v6
	v_cndmask_b32_e64 v4, v12, v3, s[4:5]
	v_ldexp_f32 v3, v5, v7
	v_mul_f32_e32 v5, 0x3fb8aa3b, v8
	v_fma_f32 v6, v8, s6, -v5
	v_rndne_f32_e32 v7, v5
	v_fmac_f32_e32 v6, 0x32a5705f, v8
	v_sub_f32_e32 v5, v5, v7
	v_add_f32_e32 v5, v5, v6
	v_exp_f32_e32 v5, v5
	v_cvt_i32_f32_e32 v6, v7
	v_cmp_ngt_f32_e64 s[4:5], s7, v9
	v_cndmask_b32_e64 v3, 0, v3, s[4:5]
	v_cmp_nlt_f32_e64 s[4:5], s10, v9
	v_cndmask_b32_e64 v3, v12, v3, s[4:5]
	v_ldexp_f32 v5, v5, v6
	v_cmp_ngt_f32_e64 s[4:5], s7, v8
	v_cndmask_b32_e64 v5, 0, v5, s[4:5]
	v_cmp_nlt_f32_e64 s[4:5], s10, v8
	v_cndmask_b32_e64 v5, v12, v5, s[4:5]
	v_pk_add_f32 v[6:7], v[4:5], v[2:3]
	ds_bpermute_b32 v8, v11, v6
	ds_bpermute_b32 v9, v11, v7
	s_waitcnt lgkmcnt(0)
	v_pk_add_f32 v[6:7], v[6:7], v[8:9]
	ds_bpermute_b32 v8, v13, v6
	ds_bpermute_b32 v9, v13, v7
	s_waitcnt lgkmcnt(0)
	;; [unrolled: 4-line block ×5, first 2 shown]
	v_pk_add_f32 v[6:7], v[6:7], v[8:9]
	ds_bpermute_b32 v8, v17, v6
	ds_bpermute_b32 v9, v17, v7
	s_and_saveexec_b64 s[4:5], vcc
	s_cbranch_execz .LBB472_20
; %bb.9:
	v_mov_b32_e32 v11, s9
	v_add_co_u32_e32 v0, vcc, s8, v0
	v_addc_co_u32_e32 v1, vcc, v11, v1, vcc
	s_waitcnt lgkmcnt(0)
	v_pk_add_f32 v[6:7], v[6:7], v[8:9]
	s_and_saveexec_b64 s[6:7], s[2:3]
	s_cbranch_execz .LBB472_16
; %bb.10:
	v_cmp_neq_f32_e64 s[4:5], 0, v6
	v_mov_b32_e32 v8, 0x7fc0
	s_and_saveexec_b64 s[8:9], s[4:5]
	s_cbranch_execz .LBB472_12
; %bb.11:
	v_div_scale_f32 v8, s[10:11], v6, v6, v4
	v_rcp_f32_e32 v9, v8
	v_div_scale_f32 v11, vcc, v4, v6, v4
	s_movk_i32 s10, 0x7fff
	v_fma_f32 v12, -v8, v9, 1.0
	v_fmac_f32_e32 v9, v12, v9
	v_mul_f32_e32 v12, v11, v9
	v_fma_f32 v13, -v8, v12, v11
	v_fmac_f32_e32 v12, v13, v9
	v_fma_f32 v8, -v8, v12, v11
	v_div_fmas_f32 v8, v8, v9, v12
	v_div_fixup_f32 v4, v8, v6, v4
	v_bfe_u32 v8, v4, 16, 1
	v_add3_u32 v8, v4, v8, s10
	v_lshrrev_b32_e32 v8, 16, v8
	v_mov_b32_e32 v9, 0x7fc0
	v_cmp_o_f32_e32 vcc, v4, v4
	v_cndmask_b32_e32 v8, v9, v8, vcc
.LBB472_12:
	s_or_b64 exec, exec, s[8:9]
	global_store_short v[0:1], v8, off
	s_and_b64 exec, exec, s[0:1]
	s_cbranch_execz .LBB472_16
; %bb.13:
	v_mov_b32_e32 v4, 0x7fc0
	s_and_saveexec_b64 s[8:9], s[4:5]
	s_cbranch_execz .LBB472_15
; %bb.14:
	v_div_scale_f32 v4, s[4:5], v6, v6, v2
	v_rcp_f32_e32 v8, v4
	v_div_scale_f32 v9, vcc, v2, v6, v2
	s_movk_i32 s4, 0x7fff
	v_fma_f32 v11, -v4, v8, 1.0
	v_fmac_f32_e32 v8, v11, v8
	v_mul_f32_e32 v11, v9, v8
	v_fma_f32 v12, -v4, v11, v9
	v_fmac_f32_e32 v11, v12, v8
	v_fma_f32 v4, -v4, v11, v9
	v_div_fmas_f32 v4, v4, v8, v11
	v_div_fixup_f32 v2, v4, v6, v2
	v_bfe_u32 v4, v2, 16, 1
	v_add3_u32 v4, v2, v4, s4
	v_lshrrev_b32_e32 v4, 16, v4
	v_mov_b32_e32 v6, 0x7fc0
	v_cmp_o_f32_e32 vcc, v2, v2
	v_cndmask_b32_e32 v4, v6, v4, vcc
.LBB472_15:
	s_or_b64 exec, exec, s[8:9]
	global_store_short v[0:1], v4, off offset:128
.LBB472_16:
	s_or_b64 exec, exec, s[6:7]
	v_cmp_ne_u32_e32 vcc, 1, v10
	s_and_b64 exec, exec, vcc
	s_cbranch_execz .LBB472_20
; %bb.17:
	s_and_b64 exec, exec, s[2:3]
	s_cbranch_execz .LBB472_20
; %bb.18:
	v_div_scale_f32 v2, s[2:3], v7, v7, v5
	v_rcp_f32_e32 v4, v2
	s_mov_b32 s15, 0
	s_movk_i32 s6, 0x7fff
	s_lshl_b64 s[4:5], s[14:15], 1
	v_fma_f32 v6, -v2, v4, 1.0
	v_fmac_f32_e32 v4, v6, v4
	v_div_scale_f32 v6, vcc, v5, v7, v5
	v_mul_f32_e32 v8, v6, v4
	v_fma_f32 v9, -v2, v8, v6
	v_fmac_f32_e32 v8, v9, v4
	v_fma_f32 v2, -v2, v8, v6
	v_div_fmas_f32 v2, v2, v4, v8
	v_div_fixup_f32 v2, v2, v7, v5
	v_bfe_u32 v4, v2, 16, 1
	v_cmp_u_f32_e32 vcc, v2, v2
	v_add3_u32 v2, v2, v4, s6
	v_cmp_eq_f32_e64 s[2:3], 0, v7
	v_lshrrev_b32_e32 v6, 16, v2
	v_mov_b32_e32 v2, s5
	v_add_co_u32_e64 v4, s[4:5], s4, v0
	v_addc_co_u32_e64 v5, s[4:5], v1, v2, s[4:5]
	v_mov_b32_e32 v2, 0x7fc0
	s_or_b64 vcc, s[2:3], vcc
	v_cndmask_b32_e32 v6, v6, v2, vcc
	global_store_short v[4:5], v6, off
	s_and_b64 exec, exec, s[0:1]
	s_cbranch_execz .LBB472_20
; %bb.19:
	v_div_scale_f32 v4, s[0:1], v7, v7, v3
	v_rcp_f32_e32 v5, v4
	v_div_scale_f32 v6, vcc, v3, v7, v3
	s_ashr_i32 s15, s14, 31
	v_fma_f32 v8, -v4, v5, 1.0
	v_fmac_f32_e32 v5, v8, v5
	v_mul_f32_e32 v8, v6, v5
	v_fma_f32 v9, -v4, v8, v6
	v_fmac_f32_e32 v8, v9, v5
	v_fma_f32 v4, -v4, v8, v6
	v_div_fmas_f32 v4, v4, v5, v8
	v_div_fixup_f32 v3, v4, v7, v3
	v_bfe_u32 v4, v3, 16, 1
	v_cmp_u_f32_e32 vcc, v3, v3
	v_add3_u32 v3, v3, v4, s6
	s_lshl_b64 s[0:1], s[14:15], 1
	v_lshrrev_b32_e32 v3, 16, v3
	v_mov_b32_e32 v4, s1
	v_add_co_u32_e64 v0, s[0:1], s0, v0
	s_or_b64 vcc, s[2:3], vcc
	v_addc_co_u32_e64 v1, s[0:1], v1, v4, s[0:1]
	v_cndmask_b32_e32 v2, v3, v2, vcc
	global_store_short v[0:1], v2, off offset:128
.LBB472_20:
	s_endpgm
	.section	.rodata,"a",@progbits
	.p2align	6, 0x0
	.amdhsa_kernel _ZN12_GLOBAL__N_120softmax_warp_forwardIN3c108BFloat16ES2_fLi7ELb0ELb0ELi64EEEvPT0_PKT_iiiPKbib
		.amdhsa_group_segment_fixed_size 0
		.amdhsa_private_segment_fixed_size 0
		.amdhsa_kernarg_size 304
		.amdhsa_user_sgpr_count 6
		.amdhsa_user_sgpr_private_segment_buffer 1
		.amdhsa_user_sgpr_dispatch_ptr 0
		.amdhsa_user_sgpr_queue_ptr 0
		.amdhsa_user_sgpr_kernarg_segment_ptr 1
		.amdhsa_user_sgpr_dispatch_id 0
		.amdhsa_user_sgpr_flat_scratch_init 0
		.amdhsa_user_sgpr_kernarg_preload_length 0
		.amdhsa_user_sgpr_kernarg_preload_offset 0
		.amdhsa_user_sgpr_private_segment_size 0
		.amdhsa_uses_dynamic_stack 0
		.amdhsa_system_sgpr_private_segment_wavefront_offset 0
		.amdhsa_system_sgpr_workgroup_id_x 1
		.amdhsa_system_sgpr_workgroup_id_y 0
		.amdhsa_system_sgpr_workgroup_id_z 0
		.amdhsa_system_sgpr_workgroup_info 0
		.amdhsa_system_vgpr_workitem_id 1
		.amdhsa_next_free_vgpr 18
		.amdhsa_next_free_sgpr 16
		.amdhsa_accum_offset 20
		.amdhsa_reserve_vcc 1
		.amdhsa_reserve_flat_scratch 0
		.amdhsa_float_round_mode_32 0
		.amdhsa_float_round_mode_16_64 0
		.amdhsa_float_denorm_mode_32 3
		.amdhsa_float_denorm_mode_16_64 3
		.amdhsa_dx10_clamp 1
		.amdhsa_ieee_mode 1
		.amdhsa_fp16_overflow 0
		.amdhsa_tg_split 0
		.amdhsa_exception_fp_ieee_invalid_op 0
		.amdhsa_exception_fp_denorm_src 0
		.amdhsa_exception_fp_ieee_div_zero 0
		.amdhsa_exception_fp_ieee_overflow 0
		.amdhsa_exception_fp_ieee_underflow 0
		.amdhsa_exception_fp_ieee_inexact 0
		.amdhsa_exception_int_div_zero 0
	.end_amdhsa_kernel
	.section	.text._ZN12_GLOBAL__N_120softmax_warp_forwardIN3c108BFloat16ES2_fLi7ELb0ELb0ELi64EEEvPT0_PKT_iiiPKbib,"axG",@progbits,_ZN12_GLOBAL__N_120softmax_warp_forwardIN3c108BFloat16ES2_fLi7ELb0ELb0ELi64EEEvPT0_PKT_iiiPKbib,comdat
.Lfunc_end472:
	.size	_ZN12_GLOBAL__N_120softmax_warp_forwardIN3c108BFloat16ES2_fLi7ELb0ELb0ELi64EEEvPT0_PKT_iiiPKbib, .Lfunc_end472-_ZN12_GLOBAL__N_120softmax_warp_forwardIN3c108BFloat16ES2_fLi7ELb0ELb0ELi64EEEvPT0_PKT_iiiPKbib
                                        ; -- End function
	.section	.AMDGPU.csdata,"",@progbits
; Kernel info:
; codeLenInByte = 2092
; NumSgprs: 20
; NumVgprs: 18
; NumAgprs: 0
; TotalNumVgprs: 18
; ScratchSize: 0
; MemoryBound: 0
; FloatMode: 240
; IeeeMode: 1
; LDSByteSize: 0 bytes/workgroup (compile time only)
; SGPRBlocks: 2
; VGPRBlocks: 2
; NumSGPRsForWavesPerEU: 20
; NumVGPRsForWavesPerEU: 18
; AccumOffset: 20
; Occupancy: 8
; WaveLimiterHint : 0
; COMPUTE_PGM_RSRC2:SCRATCH_EN: 0
; COMPUTE_PGM_RSRC2:USER_SGPR: 6
; COMPUTE_PGM_RSRC2:TRAP_HANDLER: 0
; COMPUTE_PGM_RSRC2:TGID_X_EN: 1
; COMPUTE_PGM_RSRC2:TGID_Y_EN: 0
; COMPUTE_PGM_RSRC2:TGID_Z_EN: 0
; COMPUTE_PGM_RSRC2:TIDIG_COMP_CNT: 1
; COMPUTE_PGM_RSRC3_GFX90A:ACCUM_OFFSET: 4
; COMPUTE_PGM_RSRC3_GFX90A:TG_SPLIT: 0
	.section	.text._ZN12_GLOBAL__N_120softmax_warp_forwardIN3c108BFloat16ES2_fLi7ELb0ELb0ELi32EEEvPT0_PKT_iiiPKbib,"axG",@progbits,_ZN12_GLOBAL__N_120softmax_warp_forwardIN3c108BFloat16ES2_fLi7ELb0ELb0ELi32EEEvPT0_PKT_iiiPKbib,comdat
	.globl	_ZN12_GLOBAL__N_120softmax_warp_forwardIN3c108BFloat16ES2_fLi7ELb0ELb0ELi32EEEvPT0_PKT_iiiPKbib ; -- Begin function _ZN12_GLOBAL__N_120softmax_warp_forwardIN3c108BFloat16ES2_fLi7ELb0ELb0ELi32EEEvPT0_PKT_iiiPKbib
	.p2align	8
	.type	_ZN12_GLOBAL__N_120softmax_warp_forwardIN3c108BFloat16ES2_fLi7ELb0ELb0ELi32EEEvPT0_PKT_iiiPKbib,@function
_ZN12_GLOBAL__N_120softmax_warp_forwardIN3c108BFloat16ES2_fLi7ELb0ELb0ELi32EEEvPT0_PKT_iiiPKbib: ; @_ZN12_GLOBAL__N_120softmax_warp_forwardIN3c108BFloat16ES2_fLi7ELb0ELb0ELi32EEEvPT0_PKT_iiiPKbib
; %bb.0:
	s_load_dword s0, s[4:5], 0x3c
	s_load_dwordx8 s[12:19], s[4:5], 0x0
	v_bfe_u32 v1, v0, 10, 10
	v_and_b32_e32 v6, 0x3ff, v0
	v_mov_b32_e32 v5, 0xff800000
	s_waitcnt lgkmcnt(0)
	s_lshr_b32 s0, s0, 16
	s_mul_i32 s6, s6, s0
	v_add_lshl_u32 v1, s6, v1, 1
	v_sub_u32_e32 v16, s16, v1
	v_mad_u64_u32 v[0:1], s[0:1], v1, s17, v[6:7]
	v_ashrrev_i32_e32 v1, 31, v0
	v_lshlrev_b64 v[0:1], 1, v[0:1]
	v_mov_b32_e32 v2, s15
	v_add_co_u32_e32 v8, vcc, s14, v0
	v_addc_co_u32_e32 v9, vcc, v2, v1, vcc
	v_cmp_lt_i32_e32 vcc, 0, v16
	v_cmp_gt_i32_e64 s[6:7], s18, v6
	s_and_b64 s[2:3], vcc, s[6:7]
	v_mov_b32_e32 v4, 0xff800000
	s_and_saveexec_b64 s[0:1], s[2:3]
	s_cbranch_execz .LBB473_2
; %bb.1:
	global_load_ushort v2, v[8:9], off
	s_waitcnt vmcnt(0)
	v_lshlrev_b32_e32 v4, 16, v2
.LBB473_2:
	s_or_b64 exec, exec, s[0:1]
	v_add_u32_e32 v2, 32, v6
	v_cmp_gt_i32_e64 s[4:5], s18, v2
	s_and_b64 s[2:3], vcc, s[4:5]
	s_and_saveexec_b64 s[0:1], s[2:3]
	s_cbranch_execz .LBB473_4
; %bb.3:
	global_load_ushort v2, v[8:9], off offset:64
	s_waitcnt vmcnt(0)
	v_lshlrev_b32_e32 v5, 16, v2
.LBB473_4:
	s_or_b64 exec, exec, s[0:1]
	v_add_u32_e32 v2, 64, v6
	v_cmp_gt_i32_e64 s[2:3], s18, v2
	s_and_b64 s[8:9], vcc, s[2:3]
	v_mov_b32_e32 v3, 0xff800000
	v_mov_b32_e32 v2, 0xff800000
	s_and_saveexec_b64 s[0:1], s[8:9]
	s_cbranch_execz .LBB473_6
; %bb.5:
	global_load_ushort v2, v[8:9], off offset:128
	s_waitcnt vmcnt(0)
	v_lshlrev_b32_e32 v2, 16, v2
.LBB473_6:
	s_or_b64 exec, exec, s[0:1]
	v_add_u32_e32 v6, 0x60, v6
	v_cmp_gt_i32_e64 s[0:1], s18, v6
	s_and_b64 s[10:11], vcc, s[0:1]
	s_and_saveexec_b64 s[8:9], s[10:11]
	s_cbranch_execz .LBB473_8
; %bb.7:
	global_load_ushort v3, v[8:9], off offset:192
	s_waitcnt vmcnt(0)
	v_lshlrev_b32_e32 v3, 16, v3
.LBB473_8:
	s_or_b64 exec, exec, s[8:9]
	v_cmp_lt_i32_e64 s[8:9], 1, v16
	s_and_b64 s[10:11], s[8:9], s[6:7]
	v_mov_b32_e32 v7, 0xff800000
	v_mov_b32_e32 v6, 0xff800000
	s_and_saveexec_b64 s[14:15], s[10:11]
	s_cbranch_execz .LBB473_10
; %bb.9:
	s_mov_b32 s19, 0
	s_lshl_b64 s[10:11], s[18:19], 1
	v_mov_b32_e32 v6, s11
	v_add_co_u32_e64 v10, s[10:11], s10, v8
	v_addc_co_u32_e64 v11, s[10:11], v9, v6, s[10:11]
	global_load_ushort v6, v[10:11], off
	s_waitcnt vmcnt(0)
	v_lshlrev_b32_e32 v6, 16, v6
.LBB473_10:
	s_or_b64 exec, exec, s[14:15]
	s_and_b64 s[10:11], s[8:9], s[4:5]
	s_and_saveexec_b64 s[14:15], s[10:11]
	s_cbranch_execz .LBB473_12
; %bb.11:
	s_mov_b32 s19, 0
	s_lshl_b64 s[10:11], s[18:19], 1
	v_mov_b32_e32 v7, s11
	v_add_co_u32_e64 v10, s[10:11], s10, v8
	v_addc_co_u32_e64 v11, s[10:11], v9, v7, s[10:11]
	global_load_ushort v7, v[10:11], off offset:64
	s_waitcnt vmcnt(0)
	v_lshlrev_b32_e32 v7, 16, v7
.LBB473_12:
	s_or_b64 exec, exec, s[14:15]
	s_and_b64 s[10:11], s[8:9], s[2:3]
	v_mov_b32_e32 v11, 0xff800000
	v_mov_b32_e32 v10, 0xff800000
	s_and_saveexec_b64 s[14:15], s[10:11]
	s_cbranch_execz .LBB473_14
; %bb.13:
	s_mov_b32 s19, 0
	s_lshl_b64 s[10:11], s[18:19], 1
	v_mov_b32_e32 v10, s11
	v_add_co_u32_e64 v12, s[10:11], s10, v8
	v_addc_co_u32_e64 v13, s[10:11], v9, v10, s[10:11]
	global_load_ushort v10, v[12:13], off offset:128
	s_waitcnt vmcnt(0)
	v_lshlrev_b32_e32 v10, 16, v10
.LBB473_14:
	s_or_b64 exec, exec, s[14:15]
	s_and_b64 s[8:9], s[8:9], s[0:1]
	s_and_saveexec_b64 s[10:11], s[8:9]
	s_cbranch_execz .LBB473_16
; %bb.15:
	s_mov_b32 s19, 0
	s_lshl_b64 s[8:9], s[18:19], 1
	v_mov_b32_e32 v11, s9
	v_add_co_u32_e64 v8, s[8:9], s8, v8
	v_addc_co_u32_e64 v9, s[8:9], v9, v11, s[8:9]
	global_load_ushort v8, v[8:9], off offset:192
	s_waitcnt vmcnt(0)
	v_lshlrev_b32_e32 v11, 16, v8
.LBB473_16:
	s_or_b64 exec, exec, s[10:11]
	v_cmp_gt_f32_e64 s[8:9], v4, v5
	v_cndmask_b32_e64 v8, v5, v4, s[8:9]
	v_cmp_gt_f32_e64 s[8:9], v8, v2
	v_mbcnt_lo_u32_b32 v12, -1, 0
	v_cndmask_b32_e64 v8, v2, v8, s[8:9]
	v_mbcnt_hi_u32_b32 v12, -1, v12
	v_cmp_gt_f32_e64 s[8:9], v8, v3
	v_and_b32_e32 v13, 0x60, v12
	v_cndmask_b32_e64 v8, v3, v8, s[8:9]
	v_cmp_gt_f32_e64 s[8:9], v6, v7
	v_add_u32_e32 v13, 32, v13
	v_xor_b32_e32 v14, 16, v12
	v_cndmask_b32_e64 v9, v7, v6, s[8:9]
	v_cmp_lt_i32_e64 s[8:9], v14, v13
	v_cndmask_b32_e64 v14, v12, v14, s[8:9]
	v_lshlrev_b32_e32 v15, 2, v14
	ds_bpermute_b32 v14, v15, v8
	v_cmp_gt_f32_e64 s[8:9], v9, v10
	v_cndmask_b32_e64 v9, v10, v9, s[8:9]
	v_cmp_gt_f32_e64 s[8:9], v9, v11
	v_cndmask_b32_e64 v9, v11, v9, s[8:9]
	s_waitcnt lgkmcnt(0)
	v_cmp_lt_f32_e64 s[8:9], v8, v14
	v_xor_b32_e32 v17, 8, v12
	v_cndmask_b32_e64 v8, v8, v14, s[8:9]
	v_cmp_lt_i32_e64 s[8:9], v17, v13
	v_cndmask_b32_e64 v17, v12, v17, s[8:9]
	ds_bpermute_b32 v14, v15, v9
	v_lshlrev_b32_e32 v17, 2, v17
	ds_bpermute_b32 v18, v17, v8
	s_mov_b32 s10, 0x3fb8aa3b
	s_mov_b32 s11, 0xc2ce8ed0
	s_waitcnt lgkmcnt(1)
	v_cmp_lt_f32_e64 s[8:9], v9, v14
	v_cndmask_b32_e64 v9, v9, v14, s[8:9]
	s_waitcnt lgkmcnt(0)
	v_cmp_lt_f32_e64 s[8:9], v8, v18
	v_cndmask_b32_e64 v8, v8, v18, s[8:9]
	v_xor_b32_e32 v18, 4, v12
	v_cmp_lt_i32_e64 s[8:9], v18, v13
	v_cndmask_b32_e64 v18, v12, v18, s[8:9]
	ds_bpermute_b32 v14, v17, v9
	v_lshlrev_b32_e32 v20, 2, v18
	ds_bpermute_b32 v18, v20, v8
	s_mov_b32 s14, 0x42b17218
	v_mov_b32_e32 v23, 0x7f800000
	s_waitcnt lgkmcnt(1)
	v_cmp_lt_f32_e64 s[8:9], v9, v14
	v_cndmask_b32_e64 v9, v9, v14, s[8:9]
	s_waitcnt lgkmcnt(0)
	v_cmp_lt_f32_e64 s[8:9], v8, v18
	v_cndmask_b32_e64 v8, v8, v18, s[8:9]
	v_xor_b32_e32 v18, 2, v12
	v_cmp_lt_i32_e64 s[8:9], v18, v13
	v_cndmask_b32_e64 v18, v12, v18, s[8:9]
	ds_bpermute_b32 v14, v20, v9
	v_lshlrev_b32_e32 v21, 2, v18
	ds_bpermute_b32 v18, v21, v8
	s_waitcnt lgkmcnt(1)
	v_cmp_lt_f32_e64 s[8:9], v9, v14
	v_cndmask_b32_e64 v9, v9, v14, s[8:9]
	s_waitcnt lgkmcnt(0)
	v_cmp_lt_f32_e64 s[8:9], v8, v18
	v_cndmask_b32_e64 v8, v8, v18, s[8:9]
	v_xor_b32_e32 v18, 1, v12
	v_cmp_lt_i32_e64 s[8:9], v18, v13
	v_cndmask_b32_e64 v12, v12, v18, s[8:9]
	ds_bpermute_b32 v14, v21, v9
	v_lshlrev_b32_e32 v22, 2, v12
	ds_bpermute_b32 v12, v22, v8
	s_waitcnt lgkmcnt(1)
	v_cmp_lt_f32_e64 s[8:9], v9, v14
	v_cndmask_b32_e64 v9, v9, v14, s[8:9]
	s_waitcnt lgkmcnt(0)
	v_cmp_lt_f32_e64 s[8:9], v8, v12
	v_cndmask_b32_e64 v8, v8, v12, s[8:9]
	v_pk_add_f32 v[12:13], v[4:5], v[8:9] op_sel_hi:[1,0] neg_lo:[0,1] neg_hi:[0,1]
	v_mul_f32_e32 v4, 0x3fb8aa3b, v13
	v_fma_f32 v5, v13, s10, -v4
	v_rndne_f32_e32 v18, v4
	v_fmac_f32_e32 v5, 0x32a5705f, v13
	v_sub_f32_e32 v4, v4, v18
	ds_bpermute_b32 v14, v22, v9
	v_add_f32_e32 v4, v4, v5
	v_exp_f32_e32 v4, v4
	v_cvt_i32_f32_e32 v5, v18
	s_waitcnt lgkmcnt(0)
	v_cmp_lt_f32_e64 s[8:9], v9, v14
	v_cndmask_b32_e64 v14, v9, v14, s[8:9]
	v_ldexp_f32 v4, v4, v5
	v_mul_f32_e32 v5, 0x3fb8aa3b, v12
	v_fma_f32 v9, v12, s10, -v5
	v_rndne_f32_e32 v18, v5
	v_fmac_f32_e32 v9, 0x32a5705f, v12
	v_sub_f32_e32 v5, v5, v18
	v_add_f32_e32 v5, v5, v9
	v_cvt_i32_f32_e32 v9, v18
	v_exp_f32_e32 v5, v5
	v_cmp_ngt_f32_e64 s[8:9], s11, v13
	v_cndmask_b32_e64 v4, 0, v4, s[8:9]
	v_pk_add_f32 v[18:19], v[2:3], v[8:9] op_sel_hi:[1,0] neg_lo:[0,1] neg_hi:[0,1]
	v_mul_f32_e32 v2, 0x3fb8aa3b, v19
	v_fma_f32 v3, v19, s10, -v2
	v_rndne_f32_e32 v8, v2
	v_fmac_f32_e32 v3, 0x32a5705f, v19
	v_sub_f32_e32 v2, v2, v8
	v_add_f32_e32 v2, v2, v3
	v_exp_f32_e32 v2, v2
	v_cvt_i32_f32_e32 v3, v8
	v_cmp_nlt_f32_e64 s[8:9], s14, v13
	v_cndmask_b32_e64 v4, v23, v4, s[8:9]
	v_ldexp_f32 v5, v5, v9
	v_cmp_ngt_f32_e64 s[8:9], s11, v12
	v_cndmask_b32_e64 v5, 0, v5, s[8:9]
	v_cmp_nlt_f32_e64 s[8:9], s14, v12
	v_ldexp_f32 v2, v2, v3
	v_mul_f32_e32 v3, 0x3fb8aa3b, v18
	v_cndmask_b32_e64 v8, v23, v5, s[8:9]
	v_fma_f32 v5, v18, s10, -v3
	v_rndne_f32_e32 v9, v3
	v_fmac_f32_e32 v5, 0x32a5705f, v18
	v_sub_f32_e32 v3, v3, v9
	v_add_f32_e32 v3, v3, v5
	v_exp_f32_e32 v3, v3
	v_cvt_i32_f32_e32 v5, v9
	v_pk_add_f32 v[12:13], v[6:7], v[14:15] op_sel_hi:[1,0] neg_lo:[0,1] neg_hi:[0,1]
	v_cmp_ngt_f32_e64 s[8:9], s11, v19
	v_cndmask_b32_e64 v2, 0, v2, s[8:9]
	v_ldexp_f32 v3, v3, v5
	v_mul_f32_e32 v5, 0x3fb8aa3b, v13
	v_fma_f32 v6, v13, s10, -v5
	v_rndne_f32_e32 v7, v5
	v_fmac_f32_e32 v6, 0x32a5705f, v13
	v_sub_f32_e32 v5, v5, v7
	v_add_f32_e32 v5, v5, v6
	v_exp_f32_e32 v5, v5
	v_cvt_i32_f32_e32 v7, v7
	v_cmp_nlt_f32_e64 s[8:9], s14, v19
	v_cndmask_b32_e64 v2, v23, v2, s[8:9]
	v_cmp_ngt_f32_e64 s[8:9], s11, v18
	v_cndmask_b32_e64 v3, 0, v3, s[8:9]
	v_cmp_nlt_f32_e64 s[8:9], s14, v18
	v_cndmask_b32_e64 v6, v23, v3, s[8:9]
	v_ldexp_f32 v3, v5, v7
	v_mul_f32_e32 v5, 0x3fb8aa3b, v12
	v_fma_f32 v7, v12, s10, -v5
	v_rndne_f32_e32 v9, v5
	v_fmac_f32_e32 v7, 0x32a5705f, v12
	v_sub_f32_e32 v5, v5, v9
	v_add_f32_e32 v5, v5, v7
	v_exp_f32_e32 v7, v5
	v_cvt_i32_f32_e32 v9, v9
	v_cmp_ngt_f32_e64 s[8:9], s11, v13
	v_cndmask_b32_e64 v3, 0, v3, s[8:9]
	v_cmp_nlt_f32_e64 s[8:9], s14, v13
	v_pk_add_f32 v[10:11], v[10:11], v[14:15] op_sel_hi:[1,0] neg_lo:[0,1] neg_hi:[0,1]
	v_cndmask_b32_e64 v5, v23, v3, s[8:9]
	v_ldexp_f32 v3, v7, v9
	v_mul_f32_e32 v7, 0x3fb8aa3b, v11
	v_fma_f32 v9, v11, s10, -v7
	v_rndne_f32_e32 v13, v7
	v_fmac_f32_e32 v9, 0x32a5705f, v11
	v_sub_f32_e32 v7, v7, v13
	v_add_f32_e32 v7, v7, v9
	v_exp_f32_e32 v7, v7
	v_cvt_i32_f32_e32 v13, v13
	v_cmp_ngt_f32_e64 s[8:9], s11, v12
	v_cndmask_b32_e64 v3, 0, v3, s[8:9]
	v_cmp_nlt_f32_e64 s[8:9], s14, v12
	v_cndmask_b32_e64 v9, v23, v3, s[8:9]
	v_ldexp_f32 v3, v7, v13
	v_mul_f32_e32 v7, 0x3fb8aa3b, v10
	v_fma_f32 v12, v10, s10, -v7
	v_rndne_f32_e32 v13, v7
	v_fmac_f32_e32 v12, 0x32a5705f, v10
	v_sub_f32_e32 v7, v7, v13
	v_add_f32_e32 v7, v7, v12
	v_exp_f32_e32 v7, v7
	v_cvt_i32_f32_e32 v12, v13
	v_cmp_ngt_f32_e64 s[8:9], s11, v11
	v_cndmask_b32_e64 v3, 0, v3, s[8:9]
	v_cmp_nlt_f32_e64 s[8:9], s14, v11
	v_cndmask_b32_e64 v3, v23, v3, s[8:9]
	v_ldexp_f32 v7, v7, v12
	v_cmp_ngt_f32_e64 s[8:9], s11, v10
	v_cndmask_b32_e64 v7, 0, v7, s[8:9]
	v_cmp_nlt_f32_e64 s[8:9], s14, v10
	v_cndmask_b32_e64 v7, v23, v7, s[8:9]
	v_pk_add_f32 v[10:11], v[8:9], v[4:5]
	v_pk_add_f32 v[10:11], v[10:11], v[6:7]
	;; [unrolled: 1-line block ×3, first 2 shown]
	ds_bpermute_b32 v12, v15, v10
	ds_bpermute_b32 v13, v15, v11
	s_waitcnt lgkmcnt(0)
	v_pk_add_f32 v[10:11], v[10:11], v[12:13]
	ds_bpermute_b32 v12, v17, v10
	ds_bpermute_b32 v13, v17, v11
	s_waitcnt lgkmcnt(0)
	v_pk_add_f32 v[10:11], v[10:11], v[12:13]
	;; [unrolled: 4-line block ×4, first 2 shown]
	ds_bpermute_b32 v14, v22, v12
	ds_bpermute_b32 v15, v22, v13
	s_and_saveexec_b64 s[8:9], vcc
	s_cbranch_execz .LBB473_36
; %bb.17:
	v_mov_b32_e32 v11, s13
	v_add_co_u32_e32 v10, vcc, s12, v0
	v_addc_co_u32_e32 v11, vcc, v11, v1, vcc
	s_waitcnt lgkmcnt(0)
	v_pk_add_f32 v[0:1], v[12:13], v[14:15]
	s_and_saveexec_b64 s[10:11], s[6:7]
	s_cbranch_execz .LBB473_30
; %bb.18:
	v_cmp_neq_f32_e64 s[8:9], 0, v0
	v_mov_b32_e32 v12, 0x7fc0
	s_and_saveexec_b64 s[12:13], s[8:9]
	s_cbranch_execz .LBB473_20
; %bb.19:
	v_div_scale_f32 v12, s[14:15], v0, v0, v8
	v_rcp_f32_e32 v13, v12
	v_div_scale_f32 v14, vcc, v8, v0, v8
	s_movk_i32 s14, 0x7fff
	v_fma_f32 v15, -v12, v13, 1.0
	v_fmac_f32_e32 v13, v15, v13
	v_mul_f32_e32 v15, v14, v13
	v_fma_f32 v17, -v12, v15, v14
	v_fmac_f32_e32 v15, v17, v13
	v_fma_f32 v12, -v12, v15, v14
	v_div_fmas_f32 v12, v12, v13, v15
	v_div_fixup_f32 v8, v12, v0, v8
	v_bfe_u32 v12, v8, 16, 1
	v_add3_u32 v12, v8, v12, s14
	v_lshrrev_b32_e32 v12, 16, v12
	v_mov_b32_e32 v13, 0x7fc0
	v_cmp_o_f32_e32 vcc, v8, v8
	v_cndmask_b32_e32 v12, v13, v12, vcc
.LBB473_20:
	s_or_b64 exec, exec, s[12:13]
	global_store_short v[10:11], v12, off
	s_and_b64 exec, exec, s[4:5]
	s_cbranch_execz .LBB473_30
; %bb.21:
	v_mov_b32_e32 v8, 0x7fc0
	s_and_saveexec_b64 s[12:13], s[8:9]
	s_cbranch_execz .LBB473_23
; %bb.22:
	v_div_scale_f32 v8, s[14:15], v0, v0, v4
	v_rcp_f32_e32 v12, v8
	v_div_scale_f32 v13, vcc, v4, v0, v4
	s_movk_i32 s14, 0x7fff
	v_fma_f32 v14, -v8, v12, 1.0
	v_fmac_f32_e32 v12, v14, v12
	v_mul_f32_e32 v14, v13, v12
	v_fma_f32 v15, -v8, v14, v13
	v_fmac_f32_e32 v14, v15, v12
	v_fma_f32 v8, -v8, v14, v13
	v_div_fmas_f32 v8, v8, v12, v14
	v_div_fixup_f32 v4, v8, v0, v4
	v_bfe_u32 v8, v4, 16, 1
	v_add3_u32 v8, v4, v8, s14
	v_lshrrev_b32_e32 v8, 16, v8
	v_mov_b32_e32 v12, 0x7fc0
	v_cmp_o_f32_e32 vcc, v4, v4
	v_cndmask_b32_e32 v8, v12, v8, vcc
.LBB473_23:
	s_or_b64 exec, exec, s[12:13]
	global_store_short v[10:11], v8, off offset:64
	s_and_b64 exec, exec, s[2:3]
	s_cbranch_execz .LBB473_30
; %bb.24:
	v_mov_b32_e32 v4, 0x7fc0
	s_and_saveexec_b64 s[12:13], s[8:9]
	s_cbranch_execz .LBB473_26
; %bb.25:
	v_div_scale_f32 v4, s[14:15], v0, v0, v6
	v_rcp_f32_e32 v8, v4
	v_div_scale_f32 v12, vcc, v6, v0, v6
	s_movk_i32 s14, 0x7fff
	v_fma_f32 v13, -v4, v8, 1.0
	v_fmac_f32_e32 v8, v13, v8
	v_mul_f32_e32 v13, v12, v8
	v_fma_f32 v14, -v4, v13, v12
	v_fmac_f32_e32 v13, v14, v8
	v_fma_f32 v4, -v4, v13, v12
	v_div_fmas_f32 v4, v4, v8, v13
	v_div_fixup_f32 v4, v4, v0, v6
	v_bfe_u32 v6, v4, 16, 1
	v_add3_u32 v6, v4, v6, s14
	v_lshrrev_b32_e32 v6, 16, v6
	v_mov_b32_e32 v8, 0x7fc0
	v_cmp_o_f32_e32 vcc, v4, v4
	v_cndmask_b32_e32 v4, v8, v6, vcc
.LBB473_26:
	s_or_b64 exec, exec, s[12:13]
	global_store_short v[10:11], v4, off offset:128
	;; [unrolled: 28-line block ×3, first 2 shown]
.LBB473_30:
	s_or_b64 exec, exec, s[10:11]
	v_cmp_ne_u32_e32 vcc, 1, v16
	s_and_b64 exec, exec, vcc
	s_cbranch_execz .LBB473_36
; %bb.31:
	s_and_b64 exec, exec, s[6:7]
	s_cbranch_execz .LBB473_36
; %bb.32:
	v_div_scale_f32 v0, s[6:7], v1, v1, v9
	v_rcp_f32_e32 v2, v0
	s_movk_i32 s10, 0x7fff
	s_ashr_i32 s19, s18, 31
	s_lshl_b64 s[8:9], s[18:19], 1
	v_fma_f32 v4, -v0, v2, 1.0
	v_fmac_f32_e32 v2, v4, v2
	v_div_scale_f32 v4, vcc, v9, v1, v9
	v_mul_f32_e32 v6, v4, v2
	v_fma_f32 v8, -v0, v6, v4
	v_fmac_f32_e32 v6, v8, v2
	v_fma_f32 v0, -v0, v6, v4
	v_div_fmas_f32 v0, v0, v2, v6
	v_div_fixup_f32 v0, v0, v1, v9
	v_bfe_u32 v2, v0, 16, 1
	v_cmp_u_f32_e32 vcc, v0, v0
	v_add3_u32 v0, v0, v2, s10
	v_cmp_eq_f32_e64 s[6:7], 0, v1
	v_lshrrev_b32_e32 v2, 16, v0
	v_mov_b32_e32 v0, s9
	v_add_co_u32_e64 v8, s[8:9], s8, v10
	v_addc_co_u32_e64 v9, s[8:9], v11, v0, s[8:9]
	v_mov_b32_e32 v0, 0x7fc0
	s_or_b64 vcc, s[6:7], vcc
	v_cndmask_b32_e32 v2, v2, v0, vcc
	global_store_short v[8:9], v2, off
	s_and_b64 exec, exec, s[4:5]
	s_cbranch_execz .LBB473_36
; %bb.33:
	v_div_scale_f32 v2, s[4:5], v1, v1, v5
	v_rcp_f32_e32 v4, v2
	v_div_scale_f32 v6, vcc, v5, v1, v5
	v_fma_f32 v10, -v2, v4, 1.0
	v_fmac_f32_e32 v4, v10, v4
	v_mul_f32_e32 v10, v6, v4
	v_fma_f32 v11, -v2, v10, v6
	v_fmac_f32_e32 v10, v11, v4
	v_fma_f32 v2, -v2, v10, v6
	v_div_fmas_f32 v2, v2, v4, v10
	v_div_fixup_f32 v2, v2, v1, v5
	v_bfe_u32 v4, v2, 16, 1
	v_cmp_u_f32_e32 vcc, v2, v2
	v_add3_u32 v2, v2, v4, s10
	v_lshrrev_b32_e32 v2, 16, v2
	s_or_b64 vcc, s[6:7], vcc
	v_cndmask_b32_e32 v0, v2, v0, vcc
	global_store_short v[8:9], v0, off offset:64
	s_and_b64 exec, exec, s[2:3]
	s_cbranch_execz .LBB473_36
; %bb.34:
	v_div_scale_f32 v0, s[2:3], v1, v1, v7
	v_rcp_f32_e32 v2, v0
	v_div_scale_f32 v4, vcc, v7, v1, v7
	s_movk_i32 s2, 0x7fff
	v_fma_f32 v5, -v0, v2, 1.0
	v_fmac_f32_e32 v2, v5, v2
	v_mul_f32_e32 v5, v4, v2
	v_fma_f32 v6, -v0, v5, v4
	v_fmac_f32_e32 v5, v6, v2
	v_fma_f32 v0, -v0, v5, v4
	v_div_fmas_f32 v0, v0, v2, v5
	v_div_fixup_f32 v0, v0, v1, v7
	v_bfe_u32 v2, v0, 16, 1
	v_cmp_u_f32_e32 vcc, v0, v0
	v_add3_u32 v0, v0, v2, s2
	v_lshrrev_b32_e32 v2, 16, v0
	v_mov_b32_e32 v0, 0x7fc0
	s_or_b64 vcc, s[6:7], vcc
	v_cndmask_b32_e32 v2, v2, v0, vcc
	global_store_short v[8:9], v2, off offset:128
	s_and_b64 exec, exec, s[0:1]
	s_cbranch_execz .LBB473_36
; %bb.35:
	v_div_scale_f32 v2, s[0:1], v1, v1, v3
	v_rcp_f32_e32 v4, v2
	v_div_scale_f32 v5, vcc, v3, v1, v3
	v_fma_f32 v6, -v2, v4, 1.0
	v_fmac_f32_e32 v4, v6, v4
	v_mul_f32_e32 v6, v5, v4
	v_fma_f32 v7, -v2, v6, v5
	v_fmac_f32_e32 v6, v7, v4
	v_fma_f32 v2, -v2, v6, v5
	v_div_fmas_f32 v2, v2, v4, v6
	v_div_fixup_f32 v1, v2, v1, v3
	v_bfe_u32 v2, v1, 16, 1
	v_cmp_u_f32_e32 vcc, v1, v1
	v_add3_u32 v1, v1, v2, s2
	v_lshrrev_b32_e32 v1, 16, v1
	s_or_b64 vcc, s[6:7], vcc
	v_cndmask_b32_e32 v0, v1, v0, vcc
	global_store_short v[8:9], v0, off offset:192
.LBB473_36:
	s_endpgm
	.section	.rodata,"a",@progbits
	.p2align	6, 0x0
	.amdhsa_kernel _ZN12_GLOBAL__N_120softmax_warp_forwardIN3c108BFloat16ES2_fLi7ELb0ELb0ELi32EEEvPT0_PKT_iiiPKbib
		.amdhsa_group_segment_fixed_size 0
		.amdhsa_private_segment_fixed_size 0
		.amdhsa_kernarg_size 304
		.amdhsa_user_sgpr_count 6
		.amdhsa_user_sgpr_private_segment_buffer 1
		.amdhsa_user_sgpr_dispatch_ptr 0
		.amdhsa_user_sgpr_queue_ptr 0
		.amdhsa_user_sgpr_kernarg_segment_ptr 1
		.amdhsa_user_sgpr_dispatch_id 0
		.amdhsa_user_sgpr_flat_scratch_init 0
		.amdhsa_user_sgpr_kernarg_preload_length 0
		.amdhsa_user_sgpr_kernarg_preload_offset 0
		.amdhsa_user_sgpr_private_segment_size 0
		.amdhsa_uses_dynamic_stack 0
		.amdhsa_system_sgpr_private_segment_wavefront_offset 0
		.amdhsa_system_sgpr_workgroup_id_x 1
		.amdhsa_system_sgpr_workgroup_id_y 0
		.amdhsa_system_sgpr_workgroup_id_z 0
		.amdhsa_system_sgpr_workgroup_info 0
		.amdhsa_system_vgpr_workitem_id 1
		.amdhsa_next_free_vgpr 24
		.amdhsa_next_free_sgpr 20
		.amdhsa_accum_offset 24
		.amdhsa_reserve_vcc 1
		.amdhsa_reserve_flat_scratch 0
		.amdhsa_float_round_mode_32 0
		.amdhsa_float_round_mode_16_64 0
		.amdhsa_float_denorm_mode_32 3
		.amdhsa_float_denorm_mode_16_64 3
		.amdhsa_dx10_clamp 1
		.amdhsa_ieee_mode 1
		.amdhsa_fp16_overflow 0
		.amdhsa_tg_split 0
		.amdhsa_exception_fp_ieee_invalid_op 0
		.amdhsa_exception_fp_denorm_src 0
		.amdhsa_exception_fp_ieee_div_zero 0
		.amdhsa_exception_fp_ieee_overflow 0
		.amdhsa_exception_fp_ieee_underflow 0
		.amdhsa_exception_fp_ieee_inexact 0
		.amdhsa_exception_int_div_zero 0
	.end_amdhsa_kernel
	.section	.text._ZN12_GLOBAL__N_120softmax_warp_forwardIN3c108BFloat16ES2_fLi7ELb0ELb0ELi32EEEvPT0_PKT_iiiPKbib,"axG",@progbits,_ZN12_GLOBAL__N_120softmax_warp_forwardIN3c108BFloat16ES2_fLi7ELb0ELb0ELi32EEEvPT0_PKT_iiiPKbib,comdat
.Lfunc_end473:
	.size	_ZN12_GLOBAL__N_120softmax_warp_forwardIN3c108BFloat16ES2_fLi7ELb0ELb0ELi32EEEvPT0_PKT_iiiPKbib, .Lfunc_end473-_ZN12_GLOBAL__N_120softmax_warp_forwardIN3c108BFloat16ES2_fLi7ELb0ELb0ELi32EEEvPT0_PKT_iiiPKbib
                                        ; -- End function
	.section	.AMDGPU.csdata,"",@progbits
; Kernel info:
; codeLenInByte = 3184
; NumSgprs: 24
; NumVgprs: 24
; NumAgprs: 0
; TotalNumVgprs: 24
; ScratchSize: 0
; MemoryBound: 0
; FloatMode: 240
; IeeeMode: 1
; LDSByteSize: 0 bytes/workgroup (compile time only)
; SGPRBlocks: 2
; VGPRBlocks: 2
; NumSGPRsForWavesPerEU: 24
; NumVGPRsForWavesPerEU: 24
; AccumOffset: 24
; Occupancy: 8
; WaveLimiterHint : 0
; COMPUTE_PGM_RSRC2:SCRATCH_EN: 0
; COMPUTE_PGM_RSRC2:USER_SGPR: 6
; COMPUTE_PGM_RSRC2:TRAP_HANDLER: 0
; COMPUTE_PGM_RSRC2:TGID_X_EN: 1
; COMPUTE_PGM_RSRC2:TGID_Y_EN: 0
; COMPUTE_PGM_RSRC2:TGID_Z_EN: 0
; COMPUTE_PGM_RSRC2:TIDIG_COMP_CNT: 1
; COMPUTE_PGM_RSRC3_GFX90A:ACCUM_OFFSET: 5
; COMPUTE_PGM_RSRC3_GFX90A:TG_SPLIT: 0
	.section	.text._ZN12_GLOBAL__N_120softmax_warp_forwardIN3c108BFloat16ES2_fLi8ELb0ELb0ELi64EEEvPT0_PKT_iiiPKbib,"axG",@progbits,_ZN12_GLOBAL__N_120softmax_warp_forwardIN3c108BFloat16ES2_fLi8ELb0ELb0ELi64EEEvPT0_PKT_iiiPKbib,comdat
	.globl	_ZN12_GLOBAL__N_120softmax_warp_forwardIN3c108BFloat16ES2_fLi8ELb0ELb0ELi64EEEvPT0_PKT_iiiPKbib ; -- Begin function _ZN12_GLOBAL__N_120softmax_warp_forwardIN3c108BFloat16ES2_fLi8ELb0ELb0ELi64EEEvPT0_PKT_iiiPKbib
	.p2align	8
	.type	_ZN12_GLOBAL__N_120softmax_warp_forwardIN3c108BFloat16ES2_fLi8ELb0ELb0ELi64EEEvPT0_PKT_iiiPKbib,@function
_ZN12_GLOBAL__N_120softmax_warp_forwardIN3c108BFloat16ES2_fLi8ELb0ELb0ELi64EEEvPT0_PKT_iiiPKbib: ; @_ZN12_GLOBAL__N_120softmax_warp_forwardIN3c108BFloat16ES2_fLi8ELb0ELb0ELi64EEEvPT0_PKT_iiiPKbib
; %bb.0:
	s_load_dword s0, s[4:5], 0x3c
	s_load_dwordx8 s[8:15], s[4:5], 0x0
	v_bfe_u32 v1, v0, 10, 10
	v_and_b32_e32 v4, 0x3ff, v0
	v_mov_b32_e32 v7, 0xff800000
	s_waitcnt lgkmcnt(0)
	s_lshr_b32 s0, s0, 16
	s_mul_i32 s6, s6, s0
	v_add_u32_e32 v1, s6, v1
	v_sub_u32_e32 v5, s12, v1
	v_mad_u64_u32 v[0:1], s[0:1], v1, s13, v[4:5]
	v_ashrrev_i32_e32 v1, 31, v0
	v_lshlrev_b64 v[0:1], 1, v[0:1]
	v_mov_b32_e32 v3, s11
	v_add_co_u32_e32 v2, vcc, s10, v0
	v_addc_co_u32_e32 v3, vcc, v3, v1, vcc
	v_cmp_lt_i32_e64 s[6:7], 0, v5
	v_cmp_gt_i32_e32 vcc, s14, v4
	s_and_b64 s[2:3], s[6:7], vcc
	v_mov_b32_e32 v9, 0xff800000
	s_and_saveexec_b64 s[0:1], s[2:3]
	s_cbranch_execz .LBB474_2
; %bb.1:
	global_load_ushort v6, v[2:3], off
	s_waitcnt vmcnt(0)
	v_lshlrev_b32_e32 v9, 16, v6
.LBB474_2:
	s_or_b64 exec, exec, s[0:1]
	v_add_u32_e32 v6, 64, v4
	v_cmp_gt_i32_e64 s[4:5], s14, v6
	s_and_b64 s[2:3], s[6:7], s[4:5]
	s_and_saveexec_b64 s[0:1], s[2:3]
	s_cbranch_execz .LBB474_4
; %bb.3:
	global_load_ushort v6, v[2:3], off offset:128
	s_waitcnt vmcnt(0)
	v_lshlrev_b32_e32 v7, 16, v6
.LBB474_4:
	s_or_b64 exec, exec, s[0:1]
	v_add_u32_e32 v6, 0x80, v4
	v_cmp_gt_i32_e64 s[2:3], s14, v6
	s_and_b64 s[10:11], s[6:7], s[2:3]
	v_mov_b32_e32 v6, 0xff800000
	v_mov_b32_e32 v8, 0xff800000
	s_and_saveexec_b64 s[0:1], s[10:11]
	s_cbranch_execz .LBB474_6
; %bb.5:
	global_load_ushort v8, v[2:3], off offset:256
	s_waitcnt vmcnt(0)
	v_lshlrev_b32_e32 v8, 16, v8
.LBB474_6:
	s_or_b64 exec, exec, s[0:1]
	v_add_u32_e32 v4, 0xc0, v4
	v_cmp_gt_i32_e64 s[0:1], s14, v4
	s_and_b64 s[10:11], s[6:7], s[0:1]
	s_and_saveexec_b64 s[6:7], s[10:11]
	s_cbranch_execz .LBB474_8
; %bb.7:
	global_load_ushort v2, v[2:3], off offset:384
	s_waitcnt vmcnt(0)
	v_lshlrev_b32_e32 v6, 16, v2
.LBB474_8:
	s_or_b64 exec, exec, s[6:7]
	v_cmp_gt_f32_e64 s[6:7], v9, v7
	v_cndmask_b32_e64 v2, v7, v9, s[6:7]
	v_mbcnt_lo_u32_b32 v3, -1, 0
	v_cmp_gt_f32_e64 s[6:7], v2, v8
	v_mbcnt_hi_u32_b32 v3, -1, v3
	v_cndmask_b32_e64 v2, v8, v2, s[6:7]
	v_and_b32_e32 v4, 64, v3
	v_cmp_gt_f32_e64 s[6:7], v2, v6
	v_add_u32_e32 v4, 64, v4
	v_xor_b32_e32 v10, 32, v3
	v_cndmask_b32_e64 v2, v6, v2, s[6:7]
	v_cmp_lt_i32_e64 s[6:7], v10, v4
	v_cndmask_b32_e64 v10, v3, v10, s[6:7]
	v_lshlrev_b32_e32 v10, 2, v10
	ds_bpermute_b32 v11, v10, v2
	s_mov_b32 s10, 0x3fb8aa3b
	s_mov_b32 s11, 0xc2ce8ed0
	;; [unrolled: 1-line block ×3, first 2 shown]
	v_mov_b32_e32 v18, 0x7f800000
	s_waitcnt lgkmcnt(0)
	v_cmp_lt_f32_e64 s[6:7], v2, v11
	v_cndmask_b32_e64 v2, v2, v11, s[6:7]
	v_xor_b32_e32 v11, 16, v3
	v_cmp_lt_i32_e64 s[6:7], v11, v4
	v_cndmask_b32_e64 v11, v3, v11, s[6:7]
	v_lshlrev_b32_e32 v11, 2, v11
	ds_bpermute_b32 v12, v11, v2
	s_waitcnt lgkmcnt(0)
	v_cmp_lt_f32_e64 s[6:7], v2, v12
	v_cndmask_b32_e64 v2, v2, v12, s[6:7]
	v_xor_b32_e32 v12, 8, v3
	v_cmp_lt_i32_e64 s[6:7], v12, v4
	v_cndmask_b32_e64 v12, v3, v12, s[6:7]
	v_lshlrev_b32_e32 v12, 2, v12
	ds_bpermute_b32 v13, v12, v2
	;; [unrolled: 8-line block ×5, first 2 shown]
	s_waitcnt lgkmcnt(0)
	v_cmp_lt_f32_e64 s[6:7], v2, v3
	v_cndmask_b32_e64 v2, v2, v3, s[6:7]
	v_sub_f32_e32 v3, v9, v2
	v_mul_f32_e32 v4, 0x3fb8aa3b, v3
	v_fma_f32 v9, v3, s10, -v4
	v_rndne_f32_e32 v16, v4
	v_fmac_f32_e32 v9, 0x32a5705f, v3
	v_sub_f32_e32 v4, v4, v16
	v_add_f32_e32 v4, v4, v9
	v_exp_f32_e32 v4, v4
	v_cvt_i32_f32_e32 v9, v16
	v_sub_f32_e32 v7, v7, v2
	v_cmp_ngt_f32_e64 s[6:7], s11, v3
	v_ldexp_f32 v4, v4, v9
	v_mul_f32_e32 v9, 0x3fb8aa3b, v7
	v_fma_f32 v16, v7, s10, -v9
	v_rndne_f32_e32 v17, v9
	v_fmac_f32_e32 v16, 0x32a5705f, v7
	v_sub_f32_e32 v9, v9, v17
	v_add_f32_e32 v9, v9, v16
	v_exp_f32_e32 v16, v9
	v_cvt_i32_f32_e32 v17, v17
	v_cndmask_b32_e64 v4, 0, v4, s[6:7]
	v_cmp_nlt_f32_e64 s[6:7], s12, v3
	v_cndmask_b32_e64 v9, v18, v4, s[6:7]
	v_sub_f32_e32 v4, v8, v2
	v_mul_f32_e32 v8, 0x3fb8aa3b, v4
	v_ldexp_f32 v3, v16, v17
	v_fma_f32 v16, v4, s10, -v8
	v_rndne_f32_e32 v17, v8
	v_fmac_f32_e32 v16, 0x32a5705f, v4
	v_sub_f32_e32 v8, v8, v17
	v_add_f32_e32 v8, v8, v16
	v_exp_f32_e32 v8, v8
	v_cvt_i32_f32_e32 v16, v17
	v_sub_f32_e32 v2, v6, v2
	v_mul_f32_e32 v6, 0x3fb8aa3b, v2
	v_rndne_f32_e32 v17, v6
	v_ldexp_f32 v8, v8, v16
	v_fma_f32 v16, v2, s10, -v6
	v_fmac_f32_e32 v16, 0x32a5705f, v2
	v_sub_f32_e32 v6, v6, v17
	v_add_f32_e32 v6, v6, v16
	v_cmp_ngt_f32_e64 s[6:7], s11, v7
	v_exp_f32_e32 v6, v6
	v_cvt_i32_f32_e32 v16, v17
	v_cndmask_b32_e64 v3, 0, v3, s[6:7]
	v_cmp_nlt_f32_e64 s[6:7], s12, v7
	v_cndmask_b32_e64 v7, v18, v3, s[6:7]
	v_cmp_ngt_f32_e64 s[6:7], s11, v4
	v_cndmask_b32_e64 v8, 0, v8, s[6:7]
	v_cmp_nlt_f32_e64 s[6:7], s12, v4
	v_cndmask_b32_e64 v4, v18, v8, s[6:7]
	v_ldexp_f32 v6, v6, v16
	v_cmp_ngt_f32_e64 s[6:7], s11, v2
	v_add_f32_e32 v3, v9, v7
	v_cndmask_b32_e64 v6, 0, v6, s[6:7]
	v_cmp_nlt_f32_e64 s[6:7], s12, v2
	v_add_f32_e32 v3, v3, v4
	v_cndmask_b32_e64 v2, v18, v6, s[6:7]
	v_add_f32_e32 v3, v3, v2
	ds_bpermute_b32 v6, v10, v3
	v_cmp_lt_i32_e64 s[6:7], 0, v5
	s_waitcnt lgkmcnt(0)
	v_add_f32_e32 v3, v3, v6
	ds_bpermute_b32 v6, v11, v3
	s_waitcnt lgkmcnt(0)
	v_add_f32_e32 v3, v3, v6
	ds_bpermute_b32 v6, v12, v3
	s_waitcnt lgkmcnt(0)
	v_add_f32_e32 v3, v3, v6
	ds_bpermute_b32 v6, v13, v3
	s_waitcnt lgkmcnt(0)
	v_add_f32_e32 v3, v3, v6
	ds_bpermute_b32 v6, v14, v3
	s_waitcnt lgkmcnt(0)
	v_add_f32_e32 v3, v3, v6
	ds_bpermute_b32 v6, v15, v3
	s_and_saveexec_b64 s[10:11], s[6:7]
	s_cbranch_execz .LBB474_22
; %bb.9:
	s_and_b64 exec, exec, vcc
	s_cbranch_execz .LBB474_22
; %bb.10:
	s_waitcnt lgkmcnt(0)
	v_add_f32_e32 v3, v3, v6
	v_cmp_neq_f32_e64 s[6:7], 0, v3
	v_mov_b32_e32 v5, 0x7fc0
	s_and_saveexec_b64 s[10:11], s[6:7]
	s_cbranch_execz .LBB474_12
; %bb.11:
	v_div_scale_f32 v5, s[12:13], v3, v3, v9
	v_rcp_f32_e32 v6, v5
	v_div_scale_f32 v8, vcc, v9, v3, v9
	s_movk_i32 s12, 0x7fff
	v_fma_f32 v10, -v5, v6, 1.0
	v_fmac_f32_e32 v6, v10, v6
	v_mul_f32_e32 v10, v8, v6
	v_fma_f32 v11, -v5, v10, v8
	v_fmac_f32_e32 v10, v11, v6
	v_fma_f32 v5, -v5, v10, v8
	v_div_fmas_f32 v5, v5, v6, v10
	v_div_fixup_f32 v5, v5, v3, v9
	v_bfe_u32 v6, v5, 16, 1
	v_add3_u32 v6, v5, v6, s12
	v_lshrrev_b32_e32 v6, 16, v6
	v_mov_b32_e32 v8, 0x7fc0
	v_cmp_o_f32_e32 vcc, v5, v5
	v_cndmask_b32_e32 v5, v8, v6, vcc
.LBB474_12:
	s_or_b64 exec, exec, s[10:11]
	v_mov_b32_e32 v6, s9
	v_add_co_u32_e32 v0, vcc, s8, v0
	v_addc_co_u32_e32 v1, vcc, v6, v1, vcc
	global_store_short v[0:1], v5, off
	s_and_b64 exec, exec, s[4:5]
	s_cbranch_execz .LBB474_22
; %bb.13:
	v_mov_b32_e32 v5, 0x7fc0
	s_and_saveexec_b64 s[4:5], s[6:7]
	s_cbranch_execz .LBB474_15
; %bb.14:
	v_div_scale_f32 v5, s[8:9], v3, v3, v7
	v_rcp_f32_e32 v6, v5
	v_div_scale_f32 v8, vcc, v7, v3, v7
	s_movk_i32 s8, 0x7fff
	v_fma_f32 v9, -v5, v6, 1.0
	v_fmac_f32_e32 v6, v9, v6
	v_mul_f32_e32 v9, v8, v6
	v_fma_f32 v10, -v5, v9, v8
	v_fmac_f32_e32 v9, v10, v6
	v_fma_f32 v5, -v5, v9, v8
	v_div_fmas_f32 v5, v5, v6, v9
	v_div_fixup_f32 v5, v5, v3, v7
	v_bfe_u32 v6, v5, 16, 1
	v_add3_u32 v6, v5, v6, s8
	v_lshrrev_b32_e32 v6, 16, v6
	v_mov_b32_e32 v7, 0x7fc0
	v_cmp_o_f32_e32 vcc, v5, v5
	v_cndmask_b32_e32 v5, v7, v6, vcc
.LBB474_15:
	s_or_b64 exec, exec, s[4:5]
	global_store_short v[0:1], v5, off offset:128
	s_and_b64 exec, exec, s[2:3]
	s_cbranch_execz .LBB474_22
; %bb.16:
	v_mov_b32_e32 v5, 0x7fc0
	s_and_saveexec_b64 s[2:3], s[6:7]
	s_cbranch_execz .LBB474_18
; %bb.17:
	v_div_scale_f32 v5, s[4:5], v3, v3, v4
	v_rcp_f32_e32 v6, v5
	v_div_scale_f32 v7, vcc, v4, v3, v4
	s_movk_i32 s4, 0x7fff
	v_fma_f32 v8, -v5, v6, 1.0
	v_fmac_f32_e32 v6, v8, v6
	v_mul_f32_e32 v8, v7, v6
	v_fma_f32 v9, -v5, v8, v7
	v_fmac_f32_e32 v8, v9, v6
	v_fma_f32 v5, -v5, v8, v7
	v_div_fmas_f32 v5, v5, v6, v8
	v_div_fixup_f32 v4, v5, v3, v4
	v_bfe_u32 v5, v4, 16, 1
	v_add3_u32 v5, v4, v5, s4
	v_lshrrev_b32_e32 v5, 16, v5
	v_mov_b32_e32 v6, 0x7fc0
	v_cmp_o_f32_e32 vcc, v4, v4
	v_cndmask_b32_e32 v5, v6, v5, vcc
.LBB474_18:
	s_or_b64 exec, exec, s[2:3]
	global_store_short v[0:1], v5, off offset:256
	;; [unrolled: 28-line block ×3, first 2 shown]
.LBB474_22:
	s_endpgm
	.section	.rodata,"a",@progbits
	.p2align	6, 0x0
	.amdhsa_kernel _ZN12_GLOBAL__N_120softmax_warp_forwardIN3c108BFloat16ES2_fLi8ELb0ELb0ELi64EEEvPT0_PKT_iiiPKbib
		.amdhsa_group_segment_fixed_size 0
		.amdhsa_private_segment_fixed_size 0
		.amdhsa_kernarg_size 304
		.amdhsa_user_sgpr_count 6
		.amdhsa_user_sgpr_private_segment_buffer 1
		.amdhsa_user_sgpr_dispatch_ptr 0
		.amdhsa_user_sgpr_queue_ptr 0
		.amdhsa_user_sgpr_kernarg_segment_ptr 1
		.amdhsa_user_sgpr_dispatch_id 0
		.amdhsa_user_sgpr_flat_scratch_init 0
		.amdhsa_user_sgpr_kernarg_preload_length 0
		.amdhsa_user_sgpr_kernarg_preload_offset 0
		.amdhsa_user_sgpr_private_segment_size 0
		.amdhsa_uses_dynamic_stack 0
		.amdhsa_system_sgpr_private_segment_wavefront_offset 0
		.amdhsa_system_sgpr_workgroup_id_x 1
		.amdhsa_system_sgpr_workgroup_id_y 0
		.amdhsa_system_sgpr_workgroup_id_z 0
		.amdhsa_system_sgpr_workgroup_info 0
		.amdhsa_system_vgpr_workitem_id 1
		.amdhsa_next_free_vgpr 19
		.amdhsa_next_free_sgpr 16
		.amdhsa_accum_offset 20
		.amdhsa_reserve_vcc 1
		.amdhsa_reserve_flat_scratch 0
		.amdhsa_float_round_mode_32 0
		.amdhsa_float_round_mode_16_64 0
		.amdhsa_float_denorm_mode_32 3
		.amdhsa_float_denorm_mode_16_64 3
		.amdhsa_dx10_clamp 1
		.amdhsa_ieee_mode 1
		.amdhsa_fp16_overflow 0
		.amdhsa_tg_split 0
		.amdhsa_exception_fp_ieee_invalid_op 0
		.amdhsa_exception_fp_denorm_src 0
		.amdhsa_exception_fp_ieee_div_zero 0
		.amdhsa_exception_fp_ieee_overflow 0
		.amdhsa_exception_fp_ieee_underflow 0
		.amdhsa_exception_fp_ieee_inexact 0
		.amdhsa_exception_int_div_zero 0
	.end_amdhsa_kernel
	.section	.text._ZN12_GLOBAL__N_120softmax_warp_forwardIN3c108BFloat16ES2_fLi8ELb0ELb0ELi64EEEvPT0_PKT_iiiPKbib,"axG",@progbits,_ZN12_GLOBAL__N_120softmax_warp_forwardIN3c108BFloat16ES2_fLi8ELb0ELb0ELi64EEEvPT0_PKT_iiiPKbib,comdat
.Lfunc_end474:
	.size	_ZN12_GLOBAL__N_120softmax_warp_forwardIN3c108BFloat16ES2_fLi8ELb0ELb0ELi64EEEvPT0_PKT_iiiPKbib, .Lfunc_end474-_ZN12_GLOBAL__N_120softmax_warp_forwardIN3c108BFloat16ES2_fLi8ELb0ELb0ELi64EEEvPT0_PKT_iiiPKbib
                                        ; -- End function
	.section	.AMDGPU.csdata,"",@progbits
; Kernel info:
; codeLenInByte = 1808
; NumSgprs: 20
; NumVgprs: 19
; NumAgprs: 0
; TotalNumVgprs: 19
; ScratchSize: 0
; MemoryBound: 0
; FloatMode: 240
; IeeeMode: 1
; LDSByteSize: 0 bytes/workgroup (compile time only)
; SGPRBlocks: 2
; VGPRBlocks: 2
; NumSGPRsForWavesPerEU: 20
; NumVGPRsForWavesPerEU: 19
; AccumOffset: 20
; Occupancy: 8
; WaveLimiterHint : 0
; COMPUTE_PGM_RSRC2:SCRATCH_EN: 0
; COMPUTE_PGM_RSRC2:USER_SGPR: 6
; COMPUTE_PGM_RSRC2:TRAP_HANDLER: 0
; COMPUTE_PGM_RSRC2:TGID_X_EN: 1
; COMPUTE_PGM_RSRC2:TGID_Y_EN: 0
; COMPUTE_PGM_RSRC2:TGID_Z_EN: 0
; COMPUTE_PGM_RSRC2:TIDIG_COMP_CNT: 1
; COMPUTE_PGM_RSRC3_GFX90A:ACCUM_OFFSET: 4
; COMPUTE_PGM_RSRC3_GFX90A:TG_SPLIT: 0
	.section	.text._ZN12_GLOBAL__N_120softmax_warp_forwardIN3c108BFloat16ES2_fLi8ELb0ELb0ELi32EEEvPT0_PKT_iiiPKbib,"axG",@progbits,_ZN12_GLOBAL__N_120softmax_warp_forwardIN3c108BFloat16ES2_fLi8ELb0ELb0ELi32EEEvPT0_PKT_iiiPKbib,comdat
	.globl	_ZN12_GLOBAL__N_120softmax_warp_forwardIN3c108BFloat16ES2_fLi8ELb0ELb0ELi32EEEvPT0_PKT_iiiPKbib ; -- Begin function _ZN12_GLOBAL__N_120softmax_warp_forwardIN3c108BFloat16ES2_fLi8ELb0ELb0ELi32EEEvPT0_PKT_iiiPKbib
	.p2align	8
	.type	_ZN12_GLOBAL__N_120softmax_warp_forwardIN3c108BFloat16ES2_fLi8ELb0ELb0ELi32EEEvPT0_PKT_iiiPKbib,@function
_ZN12_GLOBAL__N_120softmax_warp_forwardIN3c108BFloat16ES2_fLi8ELb0ELb0ELi32EEEvPT0_PKT_iiiPKbib: ; @_ZN12_GLOBAL__N_120softmax_warp_forwardIN3c108BFloat16ES2_fLi8ELb0ELb0ELi32EEEvPT0_PKT_iiiPKbib
; %bb.0:
	s_load_dword s0, s[4:5], 0x3c
	s_load_dwordx8 s[16:23], s[4:5], 0x0
	v_bfe_u32 v1, v0, 10, 10
	v_and_b32_e32 v4, 0x3ff, v0
	v_mov_b32_e32 v8, 0xff800000
	s_waitcnt lgkmcnt(0)
	s_lshr_b32 s0, s0, 16
	s_mul_i32 s6, s6, s0
	v_add_u32_e32 v1, s6, v1
	v_sub_u32_e32 v5, s20, v1
	v_mad_u64_u32 v[0:1], s[0:1], v1, s21, v[4:5]
	v_ashrrev_i32_e32 v1, 31, v0
	v_lshlrev_b64 v[0:1], 1, v[0:1]
	v_mov_b32_e32 v3, s19
	v_add_co_u32_e32 v2, vcc, s18, v0
	v_addc_co_u32_e32 v3, vcc, v3, v1, vcc
	v_cmp_lt_i32_e64 s[14:15], 0, v5
	v_cmp_gt_i32_e32 vcc, s22, v4
	s_and_b64 s[2:3], s[14:15], vcc
	v_mov_b32_e32 v11, 0xff800000
	s_and_saveexec_b64 s[0:1], s[2:3]
	s_cbranch_execz .LBB475_2
; %bb.1:
	global_load_ushort v6, v[2:3], off
	s_waitcnt vmcnt(0)
	v_lshlrev_b32_e32 v11, 16, v6
.LBB475_2:
	s_or_b64 exec, exec, s[0:1]
	v_add_u32_e32 v6, 32, v4
	v_cmp_gt_i32_e64 s[12:13], s22, v6
	s_and_b64 s[2:3], s[14:15], s[12:13]
	s_and_saveexec_b64 s[0:1], s[2:3]
	s_cbranch_execz .LBB475_4
; %bb.3:
	global_load_ushort v6, v[2:3], off offset:64
	s_waitcnt vmcnt(0)
	v_lshlrev_b32_e32 v8, 16, v6
.LBB475_4:
	s_or_b64 exec, exec, s[0:1]
	v_add_u32_e32 v6, 64, v4
	v_cmp_gt_i32_e64 s[10:11], s22, v6
	s_and_b64 s[2:3], s[14:15], s[10:11]
	v_mov_b32_e32 v7, 0xff800000
	v_mov_b32_e32 v9, 0xff800000
	s_and_saveexec_b64 s[0:1], s[2:3]
	s_cbranch_execz .LBB475_6
; %bb.5:
	global_load_ushort v6, v[2:3], off offset:128
	s_waitcnt vmcnt(0)
	v_lshlrev_b32_e32 v9, 16, v6
.LBB475_6:
	s_or_b64 exec, exec, s[0:1]
	v_add_u32_e32 v6, 0x60, v4
	v_cmp_gt_i32_e64 s[8:9], s22, v6
	s_and_b64 s[2:3], s[14:15], s[8:9]
	s_and_saveexec_b64 s[0:1], s[2:3]
	s_cbranch_execz .LBB475_8
; %bb.7:
	global_load_ushort v6, v[2:3], off offset:192
	s_waitcnt vmcnt(0)
	v_lshlrev_b32_e32 v7, 16, v6
.LBB475_8:
	s_or_b64 exec, exec, s[0:1]
	v_add_u32_e32 v6, 0x80, v4
	v_cmp_gt_i32_e64 s[6:7], s22, v6
	s_and_b64 s[2:3], s[14:15], s[6:7]
	v_mov_b32_e32 v6, 0xff800000
	v_mov_b32_e32 v13, 0xff800000
	s_and_saveexec_b64 s[0:1], s[2:3]
	s_cbranch_execz .LBB475_10
; %bb.9:
	global_load_ushort v10, v[2:3], off offset:256
	s_waitcnt vmcnt(0)
	v_lshlrev_b32_e32 v13, 16, v10
.LBB475_10:
	;; [unrolled: 24-line block ×3, first 2 shown]
	s_or_b64 exec, exec, s[0:1]
	v_add_u32_e32 v4, 0xe0, v4
	v_cmp_gt_i32_e64 s[0:1], s22, v4
	s_and_b64 s[18:19], s[14:15], s[0:1]
	s_and_saveexec_b64 s[14:15], s[18:19]
	s_cbranch_execz .LBB475_16
; %bb.15:
	global_load_ushort v2, v[2:3], off offset:448
	s_waitcnt vmcnt(0)
	v_lshlrev_b32_e32 v10, 16, v2
.LBB475_16:
	s_or_b64 exec, exec, s[14:15]
	v_cmp_gt_f32_e64 s[14:15], v11, v8
	v_cndmask_b32_e64 v2, v8, v11, s[14:15]
	v_cmp_gt_f32_e64 s[14:15], v2, v9
	v_cndmask_b32_e64 v2, v9, v2, s[14:15]
	v_cmp_gt_f32_e64 s[14:15], v2, v7
	v_cndmask_b32_e64 v2, v7, v2, s[14:15]
	v_cmp_gt_f32_e64 s[14:15], v2, v13
	v_cndmask_b32_e64 v2, v13, v2, s[14:15]
	v_cmp_gt_f32_e64 s[14:15], v2, v6
	v_cndmask_b32_e64 v2, v6, v2, s[14:15]
	v_mbcnt_lo_u32_b32 v3, -1, 0
	v_cmp_gt_f32_e64 s[14:15], v2, v12
	v_mbcnt_hi_u32_b32 v3, -1, v3
	v_cndmask_b32_e64 v2, v12, v2, s[14:15]
	v_and_b32_e32 v4, 0x60, v3
	v_cmp_gt_f32_e64 s[14:15], v2, v10
	v_add_u32_e32 v4, 32, v4
	v_xor_b32_e32 v14, 16, v3
	v_cndmask_b32_e64 v2, v10, v2, s[14:15]
	v_cmp_lt_i32_e64 s[14:15], v14, v4
	v_cndmask_b32_e64 v14, v3, v14, s[14:15]
	v_lshlrev_b32_e32 v15, 2, v14
	ds_bpermute_b32 v14, v15, v2
	s_mov_b32 s18, 0x3fb8aa3b
	s_mov_b32 s19, 0xc2ce8ed0
	;; [unrolled: 1-line block ×3, first 2 shown]
	v_mov_b32_e32 v21, 0x7f800000
	s_waitcnt lgkmcnt(0)
	v_cmp_lt_f32_e64 s[14:15], v2, v14
	v_cndmask_b32_e64 v2, v2, v14, s[14:15]
	v_xor_b32_e32 v14, 8, v3
	v_cmp_lt_i32_e64 s[14:15], v14, v4
	v_cndmask_b32_e64 v14, v3, v14, s[14:15]
	v_lshlrev_b32_e32 v16, 2, v14
	ds_bpermute_b32 v14, v16, v2
	s_waitcnt lgkmcnt(0)
	v_cmp_lt_f32_e64 s[14:15], v2, v14
	v_cndmask_b32_e64 v2, v2, v14, s[14:15]
	v_xor_b32_e32 v14, 4, v3
	v_cmp_lt_i32_e64 s[14:15], v14, v4
	v_cndmask_b32_e64 v14, v3, v14, s[14:15]
	v_lshlrev_b32_e32 v17, 2, v14
	ds_bpermute_b32 v14, v17, v2
	;; [unrolled: 8-line block ×4, first 2 shown]
	s_waitcnt lgkmcnt(0)
	v_cmp_lt_f32_e64 s[14:15], v2, v3
	v_cndmask_b32_e64 v2, v2, v3, s[14:15]
	v_sub_f32_e32 v3, v11, v2
	v_mul_f32_e32 v4, 0x3fb8aa3b, v3
	v_fma_f32 v11, v3, s18, -v4
	v_rndne_f32_e32 v14, v4
	v_fmac_f32_e32 v11, 0x32a5705f, v3
	v_sub_f32_e32 v4, v4, v14
	v_add_f32_e32 v4, v4, v11
	v_exp_f32_e32 v4, v4
	v_cvt_i32_f32_e32 v11, v14
	v_sub_f32_e32 v8, v8, v2
	v_cmp_ngt_f32_e64 s[14:15], s19, v3
	v_sub_f32_e32 v7, v7, v2
	v_ldexp_f32 v4, v4, v11
	v_mul_f32_e32 v11, 0x3fb8aa3b, v8
	v_fma_f32 v14, v8, s18, -v11
	v_rndne_f32_e32 v20, v11
	v_fmac_f32_e32 v14, 0x32a5705f, v8
	v_sub_f32_e32 v11, v11, v20
	v_add_f32_e32 v11, v11, v14
	v_exp_f32_e32 v11, v11
	v_cvt_i32_f32_e32 v20, v20
	v_cndmask_b32_e64 v4, 0, v4, s[14:15]
	v_cmp_nlt_f32_e64 s[14:15], s20, v3
	v_cndmask_b32_e64 v14, v21, v4, s[14:15]
	v_sub_f32_e32 v4, v9, v2
	v_mul_f32_e32 v9, 0x3fb8aa3b, v4
	v_ldexp_f32 v3, v11, v20
	v_fma_f32 v11, v4, s18, -v9
	v_rndne_f32_e32 v20, v9
	v_fmac_f32_e32 v11, 0x32a5705f, v4
	v_sub_f32_e32 v9, v9, v20
	v_add_f32_e32 v9, v9, v11
	v_exp_f32_e32 v9, v9
	v_cvt_i32_f32_e32 v20, v20
	v_cmp_ngt_f32_e64 s[14:15], s19, v8
	v_cndmask_b32_e64 v3, 0, v3, s[14:15]
	v_cmp_nlt_f32_e64 s[14:15], s20, v8
	v_ldexp_f32 v8, v9, v20
	v_mul_f32_e32 v9, 0x3fb8aa3b, v7
	v_fma_f32 v20, v7, s18, -v9
	v_rndne_f32_e32 v22, v9
	v_fmac_f32_e32 v20, 0x32a5705f, v7
	v_sub_f32_e32 v9, v9, v22
	v_add_f32_e32 v9, v9, v20
	v_exp_f32_e32 v20, v9
	v_cvt_i32_f32_e32 v22, v22
	v_cndmask_b32_e64 v11, v21, v3, s[14:15]
	v_cmp_ngt_f32_e64 s[14:15], s19, v4
	v_cndmask_b32_e64 v8, 0, v8, s[14:15]
	v_cmp_nlt_f32_e64 s[14:15], s20, v4
	v_sub_f32_e32 v13, v13, v2
	v_cndmask_b32_e64 v9, v21, v8, s[14:15]
	v_mul_f32_e32 v8, 0x3fb8aa3b, v13
	v_ldexp_f32 v4, v20, v22
	v_fma_f32 v20, v13, s18, -v8
	v_rndne_f32_e32 v22, v8
	v_fmac_f32_e32 v20, 0x32a5705f, v13
	v_sub_f32_e32 v8, v8, v22
	v_add_f32_e32 v8, v8, v20
	v_exp_f32_e32 v20, v8
	v_cvt_i32_f32_e32 v22, v22
	v_cmp_ngt_f32_e64 s[14:15], s19, v7
	v_sub_f32_e32 v6, v6, v2
	v_cndmask_b32_e64 v4, 0, v4, s[14:15]
	v_cmp_nlt_f32_e64 s[14:15], s20, v7
	v_mul_f32_e32 v7, 0x3fb8aa3b, v6
	v_cndmask_b32_e64 v8, v21, v4, s[14:15]
	v_ldexp_f32 v4, v20, v22
	v_fma_f32 v20, v6, s18, -v7
	v_rndne_f32_e32 v22, v7
	v_fmac_f32_e32 v20, 0x32a5705f, v6
	v_sub_f32_e32 v7, v7, v22
	v_add_f32_e32 v7, v7, v20
	v_exp_f32_e32 v20, v7
	v_cvt_i32_f32_e32 v22, v22
	v_cmp_ngt_f32_e64 s[14:15], s19, v13
	v_sub_f32_e32 v12, v12, v2
	v_cndmask_b32_e64 v4, 0, v4, s[14:15]
	v_cmp_nlt_f32_e64 s[14:15], s20, v13
	v_mul_f32_e32 v13, 0x3fb8aa3b, v12
	v_cndmask_b32_e64 v7, v21, v4, s[14:15]
	;; [unrolled: 14-line block ×3, first 2 shown]
	v_ldexp_f32 v4, v13, v20
	v_fma_f32 v13, v2, s18, -v10
	v_rndne_f32_e32 v20, v10
	v_fmac_f32_e32 v13, 0x32a5705f, v2
	v_sub_f32_e32 v10, v10, v20
	v_add_f32_e32 v10, v10, v13
	v_exp_f32_e32 v10, v10
	v_cvt_i32_f32_e32 v13, v20
	v_add_f32_e32 v3, v14, v11
	v_add_f32_e32 v3, v3, v9
	v_cmp_ngt_f32_e64 s[14:15], s19, v12
	v_add_f32_e32 v3, v3, v8
	v_cndmask_b32_e64 v4, 0, v4, s[14:15]
	v_cmp_nlt_f32_e64 s[14:15], s20, v12
	v_add_f32_e32 v3, v3, v7
	v_cndmask_b32_e64 v4, v21, v4, s[14:15]
	v_ldexp_f32 v10, v10, v13
	v_cmp_ngt_f32_e64 s[14:15], s19, v2
	v_add_f32_e32 v3, v3, v6
	v_cndmask_b32_e64 v10, 0, v10, s[14:15]
	v_cmp_nlt_f32_e64 s[14:15], s20, v2
	v_add_f32_e32 v3, v3, v4
	v_cndmask_b32_e64 v2, v21, v10, s[14:15]
	v_add_f32_e32 v3, v3, v2
	ds_bpermute_b32 v10, v15, v3
	v_cmp_lt_i32_e64 s[14:15], 0, v5
	s_waitcnt lgkmcnt(0)
	v_add_f32_e32 v3, v3, v10
	ds_bpermute_b32 v10, v16, v3
	s_waitcnt lgkmcnt(0)
	v_add_f32_e32 v3, v3, v10
	ds_bpermute_b32 v10, v17, v3
	;; [unrolled: 3-line block ×4, first 2 shown]
	s_and_saveexec_b64 s[18:19], s[14:15]
	s_cbranch_execz .LBB475_42
; %bb.17:
	s_and_b64 exec, exec, vcc
	s_cbranch_execz .LBB475_42
; %bb.18:
	s_waitcnt lgkmcnt(0)
	v_add_f32_e32 v3, v3, v10
	v_cmp_neq_f32_e64 s[14:15], 0, v3
	v_mov_b32_e32 v5, 0x7fc0
	s_and_saveexec_b64 s[18:19], s[14:15]
	s_cbranch_execz .LBB475_20
; %bb.19:
	v_div_scale_f32 v5, s[20:21], v3, v3, v14
	v_rcp_f32_e32 v10, v5
	v_div_scale_f32 v12, vcc, v14, v3, v14
	s_movk_i32 s20, 0x7fff
	v_fma_f32 v13, -v5, v10, 1.0
	v_fmac_f32_e32 v10, v13, v10
	v_mul_f32_e32 v13, v12, v10
	v_fma_f32 v15, -v5, v13, v12
	v_fmac_f32_e32 v13, v15, v10
	v_fma_f32 v5, -v5, v13, v12
	v_div_fmas_f32 v5, v5, v10, v13
	v_div_fixup_f32 v5, v5, v3, v14
	v_bfe_u32 v10, v5, 16, 1
	v_add3_u32 v10, v5, v10, s20
	v_lshrrev_b32_e32 v10, 16, v10
	v_mov_b32_e32 v12, 0x7fc0
	v_cmp_o_f32_e32 vcc, v5, v5
	v_cndmask_b32_e32 v5, v12, v10, vcc
.LBB475_20:
	s_or_b64 exec, exec, s[18:19]
	v_mov_b32_e32 v10, s17
	v_add_co_u32_e32 v0, vcc, s16, v0
	v_addc_co_u32_e32 v1, vcc, v10, v1, vcc
	global_store_short v[0:1], v5, off
	s_and_b64 exec, exec, s[12:13]
	s_cbranch_execz .LBB475_42
; %bb.21:
	v_mov_b32_e32 v5, 0x7fc0
	s_and_saveexec_b64 s[12:13], s[14:15]
	s_cbranch_execz .LBB475_23
; %bb.22:
	v_div_scale_f32 v5, s[16:17], v3, v3, v11
	v_rcp_f32_e32 v10, v5
	v_div_scale_f32 v12, vcc, v11, v3, v11
	s_movk_i32 s16, 0x7fff
	v_fma_f32 v13, -v5, v10, 1.0
	v_fmac_f32_e32 v10, v13, v10
	v_mul_f32_e32 v13, v12, v10
	v_fma_f32 v14, -v5, v13, v12
	v_fmac_f32_e32 v13, v14, v10
	v_fma_f32 v5, -v5, v13, v12
	v_div_fmas_f32 v5, v5, v10, v13
	v_div_fixup_f32 v5, v5, v3, v11
	v_bfe_u32 v10, v5, 16, 1
	v_add3_u32 v10, v5, v10, s16
	v_lshrrev_b32_e32 v10, 16, v10
	v_mov_b32_e32 v11, 0x7fc0
	v_cmp_o_f32_e32 vcc, v5, v5
	v_cndmask_b32_e32 v5, v11, v10, vcc
.LBB475_23:
	s_or_b64 exec, exec, s[12:13]
	global_store_short v[0:1], v5, off offset:64
	s_and_b64 exec, exec, s[10:11]
	s_cbranch_execz .LBB475_42
; %bb.24:
	v_mov_b32_e32 v5, 0x7fc0
	s_and_saveexec_b64 s[10:11], s[14:15]
	s_cbranch_execz .LBB475_26
; %bb.25:
	v_div_scale_f32 v5, s[12:13], v3, v3, v9
	v_rcp_f32_e32 v10, v5
	v_div_scale_f32 v11, vcc, v9, v3, v9
	s_movk_i32 s12, 0x7fff
	v_fma_f32 v12, -v5, v10, 1.0
	v_fmac_f32_e32 v10, v12, v10
	v_mul_f32_e32 v12, v11, v10
	v_fma_f32 v13, -v5, v12, v11
	v_fmac_f32_e32 v12, v13, v10
	v_fma_f32 v5, -v5, v12, v11
	v_div_fmas_f32 v5, v5, v10, v12
	v_div_fixup_f32 v5, v5, v3, v9
	v_bfe_u32 v9, v5, 16, 1
	v_add3_u32 v9, v5, v9, s12
	v_lshrrev_b32_e32 v9, 16, v9
	v_mov_b32_e32 v10, 0x7fc0
	v_cmp_o_f32_e32 vcc, v5, v5
	v_cndmask_b32_e32 v5, v10, v9, vcc
.LBB475_26:
	s_or_b64 exec, exec, s[10:11]
	global_store_short v[0:1], v5, off offset:128
	;; [unrolled: 28-line block ×7, first 2 shown]
.LBB475_42:
	s_endpgm
	.section	.rodata,"a",@progbits
	.p2align	6, 0x0
	.amdhsa_kernel _ZN12_GLOBAL__N_120softmax_warp_forwardIN3c108BFloat16ES2_fLi8ELb0ELb0ELi32EEEvPT0_PKT_iiiPKbib
		.amdhsa_group_segment_fixed_size 0
		.amdhsa_private_segment_fixed_size 0
		.amdhsa_kernarg_size 304
		.amdhsa_user_sgpr_count 6
		.amdhsa_user_sgpr_private_segment_buffer 1
		.amdhsa_user_sgpr_dispatch_ptr 0
		.amdhsa_user_sgpr_queue_ptr 0
		.amdhsa_user_sgpr_kernarg_segment_ptr 1
		.amdhsa_user_sgpr_dispatch_id 0
		.amdhsa_user_sgpr_flat_scratch_init 0
		.amdhsa_user_sgpr_kernarg_preload_length 0
		.amdhsa_user_sgpr_kernarg_preload_offset 0
		.amdhsa_user_sgpr_private_segment_size 0
		.amdhsa_uses_dynamic_stack 0
		.amdhsa_system_sgpr_private_segment_wavefront_offset 0
		.amdhsa_system_sgpr_workgroup_id_x 1
		.amdhsa_system_sgpr_workgroup_id_y 0
		.amdhsa_system_sgpr_workgroup_id_z 0
		.amdhsa_system_sgpr_workgroup_info 0
		.amdhsa_system_vgpr_workitem_id 1
		.amdhsa_next_free_vgpr 23
		.amdhsa_next_free_sgpr 24
		.amdhsa_accum_offset 24
		.amdhsa_reserve_vcc 1
		.amdhsa_reserve_flat_scratch 0
		.amdhsa_float_round_mode_32 0
		.amdhsa_float_round_mode_16_64 0
		.amdhsa_float_denorm_mode_32 3
		.amdhsa_float_denorm_mode_16_64 3
		.amdhsa_dx10_clamp 1
		.amdhsa_ieee_mode 1
		.amdhsa_fp16_overflow 0
		.amdhsa_tg_split 0
		.amdhsa_exception_fp_ieee_invalid_op 0
		.amdhsa_exception_fp_denorm_src 0
		.amdhsa_exception_fp_ieee_div_zero 0
		.amdhsa_exception_fp_ieee_overflow 0
		.amdhsa_exception_fp_ieee_underflow 0
		.amdhsa_exception_fp_ieee_inexact 0
		.amdhsa_exception_int_div_zero 0
	.end_amdhsa_kernel
	.section	.text._ZN12_GLOBAL__N_120softmax_warp_forwardIN3c108BFloat16ES2_fLi8ELb0ELb0ELi32EEEvPT0_PKT_iiiPKbib,"axG",@progbits,_ZN12_GLOBAL__N_120softmax_warp_forwardIN3c108BFloat16ES2_fLi8ELb0ELb0ELi32EEEvPT0_PKT_iiiPKbib,comdat
.Lfunc_end475:
	.size	_ZN12_GLOBAL__N_120softmax_warp_forwardIN3c108BFloat16ES2_fLi8ELb0ELb0ELi32EEEvPT0_PKT_iiiPKbib, .Lfunc_end475-_ZN12_GLOBAL__N_120softmax_warp_forwardIN3c108BFloat16ES2_fLi8ELb0ELb0ELi32EEEvPT0_PKT_iiiPKbib
                                        ; -- End function
	.section	.AMDGPU.csdata,"",@progbits
; Kernel info:
; codeLenInByte = 2988
; NumSgprs: 28
; NumVgprs: 23
; NumAgprs: 0
; TotalNumVgprs: 23
; ScratchSize: 0
; MemoryBound: 0
; FloatMode: 240
; IeeeMode: 1
; LDSByteSize: 0 bytes/workgroup (compile time only)
; SGPRBlocks: 3
; VGPRBlocks: 2
; NumSGPRsForWavesPerEU: 28
; NumVGPRsForWavesPerEU: 23
; AccumOffset: 24
; Occupancy: 8
; WaveLimiterHint : 0
; COMPUTE_PGM_RSRC2:SCRATCH_EN: 0
; COMPUTE_PGM_RSRC2:USER_SGPR: 6
; COMPUTE_PGM_RSRC2:TRAP_HANDLER: 0
; COMPUTE_PGM_RSRC2:TGID_X_EN: 1
; COMPUTE_PGM_RSRC2:TGID_Y_EN: 0
; COMPUTE_PGM_RSRC2:TGID_Z_EN: 0
; COMPUTE_PGM_RSRC2:TIDIG_COMP_CNT: 1
; COMPUTE_PGM_RSRC3_GFX90A:ACCUM_OFFSET: 5
; COMPUTE_PGM_RSRC3_GFX90A:TG_SPLIT: 0
	.section	.text._ZN12_GLOBAL__N_120softmax_warp_forwardIN3c108BFloat16ES2_fLi9ELb0ELb0ELi64EEEvPT0_PKT_iiiPKbib,"axG",@progbits,_ZN12_GLOBAL__N_120softmax_warp_forwardIN3c108BFloat16ES2_fLi9ELb0ELb0ELi64EEEvPT0_PKT_iiiPKbib,comdat
	.globl	_ZN12_GLOBAL__N_120softmax_warp_forwardIN3c108BFloat16ES2_fLi9ELb0ELb0ELi64EEEvPT0_PKT_iiiPKbib ; -- Begin function _ZN12_GLOBAL__N_120softmax_warp_forwardIN3c108BFloat16ES2_fLi9ELb0ELb0ELi64EEEvPT0_PKT_iiiPKbib
	.p2align	8
	.type	_ZN12_GLOBAL__N_120softmax_warp_forwardIN3c108BFloat16ES2_fLi9ELb0ELb0ELi64EEEvPT0_PKT_iiiPKbib,@function
_ZN12_GLOBAL__N_120softmax_warp_forwardIN3c108BFloat16ES2_fLi9ELb0ELb0ELi64EEEvPT0_PKT_iiiPKbib: ; @_ZN12_GLOBAL__N_120softmax_warp_forwardIN3c108BFloat16ES2_fLi9ELb0ELb0ELi64EEEvPT0_PKT_iiiPKbib
; %bb.0:
	s_load_dword s0, s[4:5], 0x3c
	s_load_dwordx8 s[16:23], s[4:5], 0x0
	v_bfe_u32 v1, v0, 10, 10
	v_and_b32_e32 v4, 0x3ff, v0
	v_mov_b32_e32 v8, 0xff800000
	s_waitcnt lgkmcnt(0)
	s_lshr_b32 s0, s0, 16
	s_mul_i32 s6, s6, s0
	v_add_u32_e32 v1, s6, v1
	v_sub_u32_e32 v5, s20, v1
	v_mad_u64_u32 v[0:1], s[0:1], v1, s21, v[4:5]
	v_ashrrev_i32_e32 v1, 31, v0
	v_lshlrev_b64 v[0:1], 1, v[0:1]
	v_mov_b32_e32 v3, s19
	v_add_co_u32_e32 v2, vcc, s18, v0
	v_addc_co_u32_e32 v3, vcc, v3, v1, vcc
	v_cmp_lt_i32_e64 s[14:15], 0, v5
	v_cmp_gt_i32_e32 vcc, s22, v4
	s_and_b64 s[2:3], s[14:15], vcc
	v_mov_b32_e32 v11, 0xff800000
	s_and_saveexec_b64 s[0:1], s[2:3]
	s_cbranch_execz .LBB476_2
; %bb.1:
	global_load_ushort v6, v[2:3], off
	s_waitcnt vmcnt(0)
	v_lshlrev_b32_e32 v11, 16, v6
.LBB476_2:
	s_or_b64 exec, exec, s[0:1]
	v_add_u32_e32 v6, 64, v4
	v_cmp_gt_i32_e64 s[12:13], s22, v6
	s_and_b64 s[2:3], s[14:15], s[12:13]
	s_and_saveexec_b64 s[0:1], s[2:3]
	s_cbranch_execz .LBB476_4
; %bb.3:
	global_load_ushort v6, v[2:3], off offset:128
	s_waitcnt vmcnt(0)
	v_lshlrev_b32_e32 v8, 16, v6
.LBB476_4:
	s_or_b64 exec, exec, s[0:1]
	v_add_u32_e32 v6, 0x80, v4
	v_cmp_gt_i32_e64 s[10:11], s22, v6
	s_and_b64 s[2:3], s[14:15], s[10:11]
	v_mov_b32_e32 v7, 0xff800000
	v_mov_b32_e32 v9, 0xff800000
	s_and_saveexec_b64 s[0:1], s[2:3]
	s_cbranch_execz .LBB476_6
; %bb.5:
	global_load_ushort v6, v[2:3], off offset:256
	s_waitcnt vmcnt(0)
	v_lshlrev_b32_e32 v9, 16, v6
.LBB476_6:
	s_or_b64 exec, exec, s[0:1]
	v_add_u32_e32 v6, 0xc0, v4
	v_cmp_gt_i32_e64 s[8:9], s22, v6
	s_and_b64 s[2:3], s[14:15], s[8:9]
	s_and_saveexec_b64 s[0:1], s[2:3]
	s_cbranch_execz .LBB476_8
; %bb.7:
	global_load_ushort v6, v[2:3], off offset:384
	s_waitcnt vmcnt(0)
	v_lshlrev_b32_e32 v7, 16, v6
.LBB476_8:
	s_or_b64 exec, exec, s[0:1]
	v_add_u32_e32 v6, 0x100, v4
	v_cmp_gt_i32_e64 s[6:7], s22, v6
	s_and_b64 s[2:3], s[14:15], s[6:7]
	v_mov_b32_e32 v6, 0xff800000
	v_mov_b32_e32 v13, 0xff800000
	s_and_saveexec_b64 s[0:1], s[2:3]
	s_cbranch_execz .LBB476_10
; %bb.9:
	global_load_ushort v10, v[2:3], off offset:512
	s_waitcnt vmcnt(0)
	v_lshlrev_b32_e32 v13, 16, v10
.LBB476_10:
	;; [unrolled: 24-line block ×3, first 2 shown]
	s_or_b64 exec, exec, s[0:1]
	v_add_u32_e32 v4, 0x1c0, v4
	v_cmp_gt_i32_e64 s[0:1], s22, v4
	s_and_b64 s[18:19], s[14:15], s[0:1]
	s_and_saveexec_b64 s[14:15], s[18:19]
	s_cbranch_execz .LBB476_16
; %bb.15:
	global_load_ushort v2, v[2:3], off offset:896
	s_waitcnt vmcnt(0)
	v_lshlrev_b32_e32 v10, 16, v2
.LBB476_16:
	s_or_b64 exec, exec, s[14:15]
	v_cmp_gt_f32_e64 s[14:15], v11, v8
	v_cndmask_b32_e64 v2, v8, v11, s[14:15]
	v_cmp_gt_f32_e64 s[14:15], v2, v9
	v_cndmask_b32_e64 v2, v9, v2, s[14:15]
	;; [unrolled: 2-line block ×5, first 2 shown]
	v_mbcnt_lo_u32_b32 v3, -1, 0
	v_cmp_gt_f32_e64 s[14:15], v2, v12
	v_mbcnt_hi_u32_b32 v3, -1, v3
	v_cndmask_b32_e64 v2, v12, v2, s[14:15]
	v_and_b32_e32 v4, 64, v3
	v_cmp_gt_f32_e64 s[14:15], v2, v10
	v_add_u32_e32 v4, 64, v4
	v_xor_b32_e32 v14, 32, v3
	v_cndmask_b32_e64 v2, v10, v2, s[14:15]
	v_cmp_lt_i32_e64 s[14:15], v14, v4
	v_cndmask_b32_e64 v14, v3, v14, s[14:15]
	v_lshlrev_b32_e32 v15, 2, v14
	ds_bpermute_b32 v14, v15, v2
	s_mov_b32 s18, 0x3fb8aa3b
	s_mov_b32 s19, 0xc2ce8ed0
	;; [unrolled: 1-line block ×3, first 2 shown]
	v_mov_b32_e32 v22, 0x7f800000
	s_waitcnt lgkmcnt(0)
	v_cmp_lt_f32_e64 s[14:15], v2, v14
	v_cndmask_b32_e64 v2, v2, v14, s[14:15]
	v_xor_b32_e32 v14, 16, v3
	v_cmp_lt_i32_e64 s[14:15], v14, v4
	v_cndmask_b32_e64 v14, v3, v14, s[14:15]
	v_lshlrev_b32_e32 v16, 2, v14
	ds_bpermute_b32 v14, v16, v2
	s_waitcnt lgkmcnt(0)
	v_cmp_lt_f32_e64 s[14:15], v2, v14
	v_cndmask_b32_e64 v2, v2, v14, s[14:15]
	v_xor_b32_e32 v14, 8, v3
	v_cmp_lt_i32_e64 s[14:15], v14, v4
	v_cndmask_b32_e64 v14, v3, v14, s[14:15]
	v_lshlrev_b32_e32 v17, 2, v14
	ds_bpermute_b32 v14, v17, v2
	;; [unrolled: 8-line block ×5, first 2 shown]
	s_waitcnt lgkmcnt(0)
	v_cmp_lt_f32_e64 s[14:15], v2, v3
	v_cndmask_b32_e64 v2, v2, v3, s[14:15]
	v_sub_f32_e32 v3, v11, v2
	v_mul_f32_e32 v4, 0x3fb8aa3b, v3
	v_fma_f32 v11, v3, s18, -v4
	v_rndne_f32_e32 v14, v4
	v_fmac_f32_e32 v11, 0x32a5705f, v3
	v_sub_f32_e32 v4, v4, v14
	v_add_f32_e32 v4, v4, v11
	v_exp_f32_e32 v4, v4
	v_cvt_i32_f32_e32 v11, v14
	v_sub_f32_e32 v8, v8, v2
	v_cmp_ngt_f32_e64 s[14:15], s19, v3
	v_sub_f32_e32 v7, v7, v2
	v_ldexp_f32 v4, v4, v11
	v_mul_f32_e32 v11, 0x3fb8aa3b, v8
	v_fma_f32 v14, v8, s18, -v11
	v_rndne_f32_e32 v21, v11
	v_fmac_f32_e32 v14, 0x32a5705f, v8
	v_sub_f32_e32 v11, v11, v21
	v_add_f32_e32 v11, v11, v14
	v_exp_f32_e32 v11, v11
	v_cvt_i32_f32_e32 v21, v21
	v_cndmask_b32_e64 v4, 0, v4, s[14:15]
	v_cmp_nlt_f32_e64 s[14:15], s20, v3
	v_cndmask_b32_e64 v14, v22, v4, s[14:15]
	v_sub_f32_e32 v4, v9, v2
	v_mul_f32_e32 v9, 0x3fb8aa3b, v4
	v_ldexp_f32 v3, v11, v21
	v_fma_f32 v11, v4, s18, -v9
	v_rndne_f32_e32 v21, v9
	v_fmac_f32_e32 v11, 0x32a5705f, v4
	v_sub_f32_e32 v9, v9, v21
	v_add_f32_e32 v9, v9, v11
	v_exp_f32_e32 v9, v9
	v_cvt_i32_f32_e32 v21, v21
	v_cmp_ngt_f32_e64 s[14:15], s19, v8
	v_cndmask_b32_e64 v3, 0, v3, s[14:15]
	v_cmp_nlt_f32_e64 s[14:15], s20, v8
	v_ldexp_f32 v8, v9, v21
	v_mul_f32_e32 v9, 0x3fb8aa3b, v7
	v_fma_f32 v21, v7, s18, -v9
	v_rndne_f32_e32 v23, v9
	v_fmac_f32_e32 v21, 0x32a5705f, v7
	v_sub_f32_e32 v9, v9, v23
	v_add_f32_e32 v9, v9, v21
	v_exp_f32_e32 v21, v9
	v_cvt_i32_f32_e32 v23, v23
	v_cndmask_b32_e64 v11, v22, v3, s[14:15]
	v_cmp_ngt_f32_e64 s[14:15], s19, v4
	v_cndmask_b32_e64 v8, 0, v8, s[14:15]
	v_cmp_nlt_f32_e64 s[14:15], s20, v4
	v_sub_f32_e32 v13, v13, v2
	v_cndmask_b32_e64 v9, v22, v8, s[14:15]
	v_mul_f32_e32 v8, 0x3fb8aa3b, v13
	v_ldexp_f32 v4, v21, v23
	v_fma_f32 v21, v13, s18, -v8
	v_rndne_f32_e32 v23, v8
	v_fmac_f32_e32 v21, 0x32a5705f, v13
	v_sub_f32_e32 v8, v8, v23
	v_add_f32_e32 v8, v8, v21
	v_exp_f32_e32 v21, v8
	v_cvt_i32_f32_e32 v23, v23
	v_cmp_ngt_f32_e64 s[14:15], s19, v7
	v_sub_f32_e32 v6, v6, v2
	v_cndmask_b32_e64 v4, 0, v4, s[14:15]
	v_cmp_nlt_f32_e64 s[14:15], s20, v7
	v_mul_f32_e32 v7, 0x3fb8aa3b, v6
	v_cndmask_b32_e64 v8, v22, v4, s[14:15]
	v_ldexp_f32 v4, v21, v23
	v_fma_f32 v21, v6, s18, -v7
	v_rndne_f32_e32 v23, v7
	v_fmac_f32_e32 v21, 0x32a5705f, v6
	v_sub_f32_e32 v7, v7, v23
	v_add_f32_e32 v7, v7, v21
	v_exp_f32_e32 v21, v7
	v_cvt_i32_f32_e32 v23, v23
	v_cmp_ngt_f32_e64 s[14:15], s19, v13
	v_sub_f32_e32 v12, v12, v2
	v_cndmask_b32_e64 v4, 0, v4, s[14:15]
	v_cmp_nlt_f32_e64 s[14:15], s20, v13
	v_mul_f32_e32 v13, 0x3fb8aa3b, v12
	v_cndmask_b32_e64 v7, v22, v4, s[14:15]
	;; [unrolled: 14-line block ×3, first 2 shown]
	v_ldexp_f32 v4, v13, v21
	v_fma_f32 v13, v2, s18, -v10
	v_rndne_f32_e32 v21, v10
	v_fmac_f32_e32 v13, 0x32a5705f, v2
	v_sub_f32_e32 v10, v10, v21
	v_add_f32_e32 v10, v10, v13
	v_exp_f32_e32 v10, v10
	v_cvt_i32_f32_e32 v13, v21
	v_add_f32_e32 v3, v14, v11
	v_add_f32_e32 v3, v3, v9
	v_cmp_ngt_f32_e64 s[14:15], s19, v12
	v_add_f32_e32 v3, v3, v8
	v_cndmask_b32_e64 v4, 0, v4, s[14:15]
	v_cmp_nlt_f32_e64 s[14:15], s20, v12
	v_add_f32_e32 v3, v3, v7
	v_cndmask_b32_e64 v4, v22, v4, s[14:15]
	v_ldexp_f32 v10, v10, v13
	v_cmp_ngt_f32_e64 s[14:15], s19, v2
	v_add_f32_e32 v3, v3, v6
	v_cndmask_b32_e64 v10, 0, v10, s[14:15]
	v_cmp_nlt_f32_e64 s[14:15], s20, v2
	v_add_f32_e32 v3, v3, v4
	v_cndmask_b32_e64 v2, v22, v10, s[14:15]
	v_add_f32_e32 v3, v3, v2
	ds_bpermute_b32 v10, v15, v3
	v_cmp_lt_i32_e64 s[14:15], 0, v5
	s_waitcnt lgkmcnt(0)
	v_add_f32_e32 v3, v3, v10
	ds_bpermute_b32 v10, v16, v3
	s_waitcnt lgkmcnt(0)
	v_add_f32_e32 v3, v3, v10
	ds_bpermute_b32 v10, v17, v3
	s_waitcnt lgkmcnt(0)
	v_add_f32_e32 v3, v3, v10
	ds_bpermute_b32 v10, v18, v3
	s_waitcnt lgkmcnt(0)
	v_add_f32_e32 v3, v3, v10
	ds_bpermute_b32 v10, v19, v3
	s_waitcnt lgkmcnt(0)
	v_add_f32_e32 v3, v3, v10
	ds_bpermute_b32 v10, v20, v3
	s_and_saveexec_b64 s[18:19], s[14:15]
	s_cbranch_execz .LBB476_42
; %bb.17:
	s_and_b64 exec, exec, vcc
	s_cbranch_execz .LBB476_42
; %bb.18:
	s_waitcnt lgkmcnt(0)
	v_add_f32_e32 v3, v3, v10
	v_cmp_neq_f32_e64 s[14:15], 0, v3
	v_mov_b32_e32 v5, 0x7fc0
	s_and_saveexec_b64 s[18:19], s[14:15]
	s_cbranch_execz .LBB476_20
; %bb.19:
	v_div_scale_f32 v5, s[20:21], v3, v3, v14
	v_rcp_f32_e32 v10, v5
	v_div_scale_f32 v12, vcc, v14, v3, v14
	s_movk_i32 s20, 0x7fff
	v_fma_f32 v13, -v5, v10, 1.0
	v_fmac_f32_e32 v10, v13, v10
	v_mul_f32_e32 v13, v12, v10
	v_fma_f32 v15, -v5, v13, v12
	v_fmac_f32_e32 v13, v15, v10
	v_fma_f32 v5, -v5, v13, v12
	v_div_fmas_f32 v5, v5, v10, v13
	v_div_fixup_f32 v5, v5, v3, v14
	v_bfe_u32 v10, v5, 16, 1
	v_add3_u32 v10, v5, v10, s20
	v_lshrrev_b32_e32 v10, 16, v10
	v_mov_b32_e32 v12, 0x7fc0
	v_cmp_o_f32_e32 vcc, v5, v5
	v_cndmask_b32_e32 v5, v12, v10, vcc
.LBB476_20:
	s_or_b64 exec, exec, s[18:19]
	v_mov_b32_e32 v10, s17
	v_add_co_u32_e32 v0, vcc, s16, v0
	v_addc_co_u32_e32 v1, vcc, v10, v1, vcc
	global_store_short v[0:1], v5, off
	s_and_b64 exec, exec, s[12:13]
	s_cbranch_execz .LBB476_42
; %bb.21:
	v_mov_b32_e32 v5, 0x7fc0
	s_and_saveexec_b64 s[12:13], s[14:15]
	s_cbranch_execz .LBB476_23
; %bb.22:
	v_div_scale_f32 v5, s[16:17], v3, v3, v11
	v_rcp_f32_e32 v10, v5
	v_div_scale_f32 v12, vcc, v11, v3, v11
	s_movk_i32 s16, 0x7fff
	v_fma_f32 v13, -v5, v10, 1.0
	v_fmac_f32_e32 v10, v13, v10
	v_mul_f32_e32 v13, v12, v10
	v_fma_f32 v14, -v5, v13, v12
	v_fmac_f32_e32 v13, v14, v10
	v_fma_f32 v5, -v5, v13, v12
	v_div_fmas_f32 v5, v5, v10, v13
	v_div_fixup_f32 v5, v5, v3, v11
	v_bfe_u32 v10, v5, 16, 1
	v_add3_u32 v10, v5, v10, s16
	v_lshrrev_b32_e32 v10, 16, v10
	v_mov_b32_e32 v11, 0x7fc0
	v_cmp_o_f32_e32 vcc, v5, v5
	v_cndmask_b32_e32 v5, v11, v10, vcc
.LBB476_23:
	s_or_b64 exec, exec, s[12:13]
	global_store_short v[0:1], v5, off offset:128
	s_and_b64 exec, exec, s[10:11]
	s_cbranch_execz .LBB476_42
; %bb.24:
	v_mov_b32_e32 v5, 0x7fc0
	s_and_saveexec_b64 s[10:11], s[14:15]
	s_cbranch_execz .LBB476_26
; %bb.25:
	v_div_scale_f32 v5, s[12:13], v3, v3, v9
	v_rcp_f32_e32 v10, v5
	v_div_scale_f32 v11, vcc, v9, v3, v9
	s_movk_i32 s12, 0x7fff
	v_fma_f32 v12, -v5, v10, 1.0
	v_fmac_f32_e32 v10, v12, v10
	v_mul_f32_e32 v12, v11, v10
	v_fma_f32 v13, -v5, v12, v11
	v_fmac_f32_e32 v12, v13, v10
	v_fma_f32 v5, -v5, v12, v11
	v_div_fmas_f32 v5, v5, v10, v12
	v_div_fixup_f32 v5, v5, v3, v9
	v_bfe_u32 v9, v5, 16, 1
	v_add3_u32 v9, v5, v9, s12
	v_lshrrev_b32_e32 v9, 16, v9
	v_mov_b32_e32 v10, 0x7fc0
	v_cmp_o_f32_e32 vcc, v5, v5
	v_cndmask_b32_e32 v5, v10, v9, vcc
.LBB476_26:
	s_or_b64 exec, exec, s[10:11]
	global_store_short v[0:1], v5, off offset:256
	;; [unrolled: 28-line block ×7, first 2 shown]
.LBB476_42:
	s_endpgm
	.section	.rodata,"a",@progbits
	.p2align	6, 0x0
	.amdhsa_kernel _ZN12_GLOBAL__N_120softmax_warp_forwardIN3c108BFloat16ES2_fLi9ELb0ELb0ELi64EEEvPT0_PKT_iiiPKbib
		.amdhsa_group_segment_fixed_size 0
		.amdhsa_private_segment_fixed_size 0
		.amdhsa_kernarg_size 304
		.amdhsa_user_sgpr_count 6
		.amdhsa_user_sgpr_private_segment_buffer 1
		.amdhsa_user_sgpr_dispatch_ptr 0
		.amdhsa_user_sgpr_queue_ptr 0
		.amdhsa_user_sgpr_kernarg_segment_ptr 1
		.amdhsa_user_sgpr_dispatch_id 0
		.amdhsa_user_sgpr_flat_scratch_init 0
		.amdhsa_user_sgpr_kernarg_preload_length 0
		.amdhsa_user_sgpr_kernarg_preload_offset 0
		.amdhsa_user_sgpr_private_segment_size 0
		.amdhsa_uses_dynamic_stack 0
		.amdhsa_system_sgpr_private_segment_wavefront_offset 0
		.amdhsa_system_sgpr_workgroup_id_x 1
		.amdhsa_system_sgpr_workgroup_id_y 0
		.amdhsa_system_sgpr_workgroup_id_z 0
		.amdhsa_system_sgpr_workgroup_info 0
		.amdhsa_system_vgpr_workitem_id 1
		.amdhsa_next_free_vgpr 24
		.amdhsa_next_free_sgpr 24
		.amdhsa_accum_offset 24
		.amdhsa_reserve_vcc 1
		.amdhsa_reserve_flat_scratch 0
		.amdhsa_float_round_mode_32 0
		.amdhsa_float_round_mode_16_64 0
		.amdhsa_float_denorm_mode_32 3
		.amdhsa_float_denorm_mode_16_64 3
		.amdhsa_dx10_clamp 1
		.amdhsa_ieee_mode 1
		.amdhsa_fp16_overflow 0
		.amdhsa_tg_split 0
		.amdhsa_exception_fp_ieee_invalid_op 0
		.amdhsa_exception_fp_denorm_src 0
		.amdhsa_exception_fp_ieee_div_zero 0
		.amdhsa_exception_fp_ieee_overflow 0
		.amdhsa_exception_fp_ieee_underflow 0
		.amdhsa_exception_fp_ieee_inexact 0
		.amdhsa_exception_int_div_zero 0
	.end_amdhsa_kernel
	.section	.text._ZN12_GLOBAL__N_120softmax_warp_forwardIN3c108BFloat16ES2_fLi9ELb0ELb0ELi64EEEvPT0_PKT_iiiPKbib,"axG",@progbits,_ZN12_GLOBAL__N_120softmax_warp_forwardIN3c108BFloat16ES2_fLi9ELb0ELb0ELi64EEEvPT0_PKT_iiiPKbib,comdat
.Lfunc_end476:
	.size	_ZN12_GLOBAL__N_120softmax_warp_forwardIN3c108BFloat16ES2_fLi9ELb0ELb0ELi64EEEvPT0_PKT_iiiPKbib, .Lfunc_end476-_ZN12_GLOBAL__N_120softmax_warp_forwardIN3c108BFloat16ES2_fLi9ELb0ELb0ELi64EEEvPT0_PKT_iiiPKbib
                                        ; -- End function
	.section	.AMDGPU.csdata,"",@progbits
; Kernel info:
; codeLenInByte = 3056
; NumSgprs: 28
; NumVgprs: 24
; NumAgprs: 0
; TotalNumVgprs: 24
; ScratchSize: 0
; MemoryBound: 0
; FloatMode: 240
; IeeeMode: 1
; LDSByteSize: 0 bytes/workgroup (compile time only)
; SGPRBlocks: 3
; VGPRBlocks: 2
; NumSGPRsForWavesPerEU: 28
; NumVGPRsForWavesPerEU: 24
; AccumOffset: 24
; Occupancy: 8
; WaveLimiterHint : 0
; COMPUTE_PGM_RSRC2:SCRATCH_EN: 0
; COMPUTE_PGM_RSRC2:USER_SGPR: 6
; COMPUTE_PGM_RSRC2:TRAP_HANDLER: 0
; COMPUTE_PGM_RSRC2:TGID_X_EN: 1
; COMPUTE_PGM_RSRC2:TGID_Y_EN: 0
; COMPUTE_PGM_RSRC2:TGID_Z_EN: 0
; COMPUTE_PGM_RSRC2:TIDIG_COMP_CNT: 1
; COMPUTE_PGM_RSRC3_GFX90A:ACCUM_OFFSET: 5
; COMPUTE_PGM_RSRC3_GFX90A:TG_SPLIT: 0
	.section	.text._ZN12_GLOBAL__N_120softmax_warp_forwardIN3c108BFloat16ES2_fLi9ELb0ELb0ELi32EEEvPT0_PKT_iiiPKbib,"axG",@progbits,_ZN12_GLOBAL__N_120softmax_warp_forwardIN3c108BFloat16ES2_fLi9ELb0ELb0ELi32EEEvPT0_PKT_iiiPKbib,comdat
	.globl	_ZN12_GLOBAL__N_120softmax_warp_forwardIN3c108BFloat16ES2_fLi9ELb0ELb0ELi32EEEvPT0_PKT_iiiPKbib ; -- Begin function _ZN12_GLOBAL__N_120softmax_warp_forwardIN3c108BFloat16ES2_fLi9ELb0ELb0ELi32EEEvPT0_PKT_iiiPKbib
	.p2align	8
	.type	_ZN12_GLOBAL__N_120softmax_warp_forwardIN3c108BFloat16ES2_fLi9ELb0ELb0ELi32EEEvPT0_PKT_iiiPKbib,@function
_ZN12_GLOBAL__N_120softmax_warp_forwardIN3c108BFloat16ES2_fLi9ELb0ELb0ELi32EEEvPT0_PKT_iiiPKbib: ; @_ZN12_GLOBAL__N_120softmax_warp_forwardIN3c108BFloat16ES2_fLi9ELb0ELb0ELi32EEEvPT0_PKT_iiiPKbib
; %bb.0:
	s_load_dword s0, s[4:5], 0x3c
	s_load_dwordx8 s[36:43], s[4:5], 0x0
	v_bfe_u32 v1, v0, 10, 10
	v_and_b32_e32 v4, 0x3ff, v0
	v_mov_b32_e32 v12, 0xff800000
	s_waitcnt lgkmcnt(0)
	s_lshr_b32 s0, s0, 16
	s_mul_i32 s6, s6, s0
	v_add_u32_e32 v1, s6, v1
	v_sub_u32_e32 v5, s40, v1
	v_mad_u64_u32 v[0:1], s[0:1], v1, s41, v[4:5]
	v_ashrrev_i32_e32 v1, 31, v0
	v_lshlrev_b64 v[0:1], 1, v[0:1]
	v_mov_b32_e32 v3, s39
	v_add_co_u32_e32 v2, vcc, s38, v0
	v_addc_co_u32_e32 v3, vcc, v3, v1, vcc
	v_cmp_lt_i32_e64 s[30:31], 0, v5
	v_cmp_gt_i32_e32 vcc, s42, v4
	s_and_b64 s[2:3], s[30:31], vcc
	v_mov_b32_e32 v16, 0xff800000
	s_and_saveexec_b64 s[0:1], s[2:3]
	s_cbranch_execz .LBB477_2
; %bb.1:
	global_load_ushort v6, v[2:3], off
	s_waitcnt vmcnt(0)
	v_lshlrev_b32_e32 v16, 16, v6
.LBB477_2:
	s_or_b64 exec, exec, s[0:1]
	v_add_u32_e32 v6, 32, v4
	v_cmp_gt_i32_e64 s[28:29], s42, v6
	s_and_b64 s[2:3], s[30:31], s[28:29]
	s_and_saveexec_b64 s[0:1], s[2:3]
	s_cbranch_execz .LBB477_4
; %bb.3:
	global_load_ushort v6, v[2:3], off offset:64
	s_waitcnt vmcnt(0)
	v_lshlrev_b32_e32 v12, 16, v6
.LBB477_4:
	s_or_b64 exec, exec, s[0:1]
	v_add_u32_e32 v6, 64, v4
	v_cmp_gt_i32_e64 s[26:27], s42, v6
	s_and_b64 s[2:3], s[30:31], s[26:27]
	v_mov_b32_e32 v11, 0xff800000
	v_mov_b32_e32 v15, 0xff800000
	s_and_saveexec_b64 s[0:1], s[2:3]
	s_cbranch_execz .LBB477_6
; %bb.5:
	global_load_ushort v6, v[2:3], off offset:128
	s_waitcnt vmcnt(0)
	v_lshlrev_b32_e32 v15, 16, v6
.LBB477_6:
	s_or_b64 exec, exec, s[0:1]
	v_add_u32_e32 v6, 0x60, v4
	v_cmp_gt_i32_e64 s[24:25], s42, v6
	s_and_b64 s[2:3], s[30:31], s[24:25]
	s_and_saveexec_b64 s[0:1], s[2:3]
	s_cbranch_execz .LBB477_8
; %bb.7:
	global_load_ushort v6, v[2:3], off offset:192
	s_waitcnt vmcnt(0)
	v_lshlrev_b32_e32 v11, 16, v6
.LBB477_8:
	s_or_b64 exec, exec, s[0:1]
	v_add_u32_e32 v6, 0x80, v4
	v_cmp_gt_i32_e64 s[22:23], s42, v6
	s_and_b64 s[2:3], s[30:31], s[22:23]
	v_mov_b32_e32 v10, 0xff800000
	v_mov_b32_e32 v14, 0xff800000
	s_and_saveexec_b64 s[0:1], s[2:3]
	s_cbranch_execz .LBB477_10
; %bb.9:
	global_load_ushort v6, v[2:3], off offset:256
	s_waitcnt vmcnt(0)
	v_lshlrev_b32_e32 v14, 16, v6
.LBB477_10:
	;; [unrolled: 24-line block ×7, first 2 shown]
	s_or_b64 exec, exec, s[0:1]
	v_add_u32_e32 v4, 0x1e0, v4
	v_cmp_gt_i32_e64 s[0:1], s42, v4
	s_and_b64 s[34:35], s[30:31], s[0:1]
	s_and_saveexec_b64 s[30:31], s[34:35]
	s_cbranch_execz .LBB477_32
; %bb.31:
	global_load_ushort v2, v[2:3], off offset:960
	s_waitcnt vmcnt(0)
	v_lshlrev_b32_e32 v17, 16, v2
.LBB477_32:
	s_or_b64 exec, exec, s[30:31]
	v_cmp_gt_f32_e64 s[30:31], v16, v12
	v_cndmask_b32_e64 v2, v12, v16, s[30:31]
	v_cmp_gt_f32_e64 s[30:31], v2, v15
	v_cndmask_b32_e64 v2, v15, v2, s[30:31]
	;; [unrolled: 2-line block ×13, first 2 shown]
	v_mbcnt_lo_u32_b32 v3, -1, 0
	v_cmp_gt_f32_e64 s[30:31], v2, v19
	v_mbcnt_hi_u32_b32 v4, -1, v3
	v_cndmask_b32_e64 v2, v19, v2, s[30:31]
	v_and_b32_e32 v3, 0x60, v4
	v_cmp_gt_f32_e64 s[30:31], v2, v17
	v_add_u32_e32 v18, 32, v3
	v_xor_b32_e32 v3, 16, v4
	v_cndmask_b32_e64 v2, v17, v2, s[30:31]
	v_cmp_lt_i32_e64 s[30:31], v3, v18
	v_cndmask_b32_e64 v3, v4, v3, s[30:31]
	v_lshlrev_b32_e32 v3, 2, v3
	ds_bpermute_b32 v21, v3, v2
	s_mov_b32 s34, 0x3fb8aa3b
	s_mov_b32 s33, 0xc2ce8ed0
	;; [unrolled: 1-line block ×3, first 2 shown]
	v_mov_b32_e32 v29, 0x7f800000
	s_waitcnt lgkmcnt(0)
	v_cmp_lt_f32_e64 s[30:31], v2, v21
	v_cndmask_b32_e64 v2, v2, v21, s[30:31]
	v_xor_b32_e32 v21, 8, v4
	v_cmp_lt_i32_e64 s[30:31], v21, v18
	v_cndmask_b32_e64 v21, v4, v21, s[30:31]
	v_lshlrev_b32_e32 v24, 2, v21
	ds_bpermute_b32 v21, v24, v2
	s_waitcnt lgkmcnt(0)
	v_cmp_lt_f32_e64 s[30:31], v2, v21
	v_cndmask_b32_e64 v2, v2, v21, s[30:31]
	v_xor_b32_e32 v21, 4, v4
	v_cmp_lt_i32_e64 s[30:31], v21, v18
	v_cndmask_b32_e64 v21, v4, v21, s[30:31]
	v_lshlrev_b32_e32 v25, 2, v21
	ds_bpermute_b32 v21, v25, v2
	;; [unrolled: 8-line block ×4, first 2 shown]
	s_waitcnt lgkmcnt(0)
	v_cmp_lt_f32_e64 s[30:31], v2, v4
	v_cndmask_b32_e64 v2, v2, v4, s[30:31]
	v_sub_f32_e32 v4, v16, v2
	v_mul_f32_e32 v16, 0x3fb8aa3b, v4
	v_fma_f32 v18, v4, s34, -v16
	v_rndne_f32_e32 v21, v16
	v_fmac_f32_e32 v18, 0x32a5705f, v4
	v_sub_f32_e32 v16, v16, v21
	v_add_f32_e32 v16, v16, v18
	v_exp_f32_e32 v16, v16
	v_cvt_i32_f32_e32 v18, v21
	v_sub_f32_e32 v12, v12, v2
	v_cmp_ngt_f32_e64 s[30:31], s33, v4
	v_sub_f32_e32 v15, v15, v2
	v_ldexp_f32 v16, v16, v18
	v_mul_f32_e32 v18, 0x3fb8aa3b, v12
	v_fma_f32 v21, v12, s34, -v18
	v_rndne_f32_e32 v27, v18
	v_fmac_f32_e32 v21, 0x32a5705f, v12
	v_sub_f32_e32 v18, v18, v27
	v_add_f32_e32 v18, v18, v21
	v_exp_f32_e32 v18, v18
	v_cvt_i32_f32_e32 v21, v27
	v_cndmask_b32_e64 v16, 0, v16, s[30:31]
	v_cmp_nlt_f32_e64 s[30:31], s35, v4
	v_cndmask_b32_e64 v27, v29, v16, s[30:31]
	v_mul_f32_e32 v16, 0x3fb8aa3b, v15
	v_ldexp_f32 v4, v18, v21
	v_fma_f32 v18, v15, s34, -v16
	v_rndne_f32_e32 v21, v16
	v_fmac_f32_e32 v18, 0x32a5705f, v15
	v_sub_f32_e32 v16, v16, v21
	v_add_f32_e32 v16, v16, v18
	v_exp_f32_e32 v16, v16
	v_cvt_i32_f32_e32 v18, v21
	v_cmp_ngt_f32_e64 s[30:31], s33, v12
	v_sub_f32_e32 v11, v11, v2
	v_cndmask_b32_e64 v4, 0, v4, s[30:31]
	v_cmp_nlt_f32_e64 s[30:31], s35, v12
	v_ldexp_f32 v12, v16, v18
	v_mul_f32_e32 v16, 0x3fb8aa3b, v11
	v_fma_f32 v18, v11, s34, -v16
	v_rndne_f32_e32 v30, v16
	v_fmac_f32_e32 v18, 0x32a5705f, v11
	v_sub_f32_e32 v16, v16, v30
	v_add_f32_e32 v16, v16, v18
	v_exp_f32_e32 v16, v16
	v_cvt_i32_f32_e32 v30, v30
	v_cndmask_b32_e64 v21, v29, v4, s[30:31]
	v_cmp_ngt_f32_e64 s[30:31], s33, v15
	v_sub_f32_e32 v14, v14, v2
	v_cndmask_b32_e64 v12, 0, v12, s[30:31]
	v_cmp_nlt_f32_e64 s[30:31], s35, v15
	v_mul_f32_e32 v15, 0x3fb8aa3b, v14
	v_cndmask_b32_e64 v18, v29, v12, s[30:31]
	v_ldexp_f32 v12, v16, v30
	v_fma_f32 v16, v14, s34, -v15
	v_rndne_f32_e32 v30, v15
	v_fmac_f32_e32 v16, 0x32a5705f, v14
	v_sub_f32_e32 v15, v15, v30
	v_add_f32_e32 v15, v15, v16
	v_exp_f32_e32 v15, v15
	v_cvt_i32_f32_e32 v30, v30
	v_cmp_ngt_f32_e64 s[30:31], s33, v11
	v_cndmask_b32_e64 v12, 0, v12, s[30:31]
	v_cmp_nlt_f32_e64 s[30:31], s35, v11
	v_sub_f32_e32 v10, v10, v2
	v_cndmask_b32_e64 v16, v29, v12, s[30:31]
	v_mul_f32_e32 v12, 0x3fb8aa3b, v10
	v_ldexp_f32 v11, v15, v30
	v_fma_f32 v15, v10, s34, -v12
	v_rndne_f32_e32 v30, v12
	v_fmac_f32_e32 v15, 0x32a5705f, v10
	v_sub_f32_e32 v12, v12, v30
	v_add_f32_e32 v12, v12, v15
	v_exp_f32_e32 v12, v12
	v_cvt_i32_f32_e32 v30, v30
	v_cmp_ngt_f32_e64 s[30:31], s33, v14
	v_cndmask_b32_e64 v11, 0, v11, s[30:31]
	v_cmp_nlt_f32_e64 s[30:31], s35, v14
	v_cndmask_b32_e64 v15, v29, v11, s[30:31]
	v_ldexp_f32 v11, v12, v30
	v_sub_f32_e32 v12, v13, v2
	v_mul_f32_e32 v13, 0x3fb8aa3b, v12
	v_fma_f32 v14, v12, s34, -v13
	v_rndne_f32_e32 v30, v13
	v_fmac_f32_e32 v14, 0x32a5705f, v12
	v_sub_f32_e32 v13, v13, v30
	v_add_f32_e32 v13, v13, v14
	v_exp_f32_e32 v13, v13
	v_cvt_i32_f32_e32 v30, v30
	v_cmp_ngt_f32_e64 s[30:31], s33, v10
	v_cndmask_b32_e64 v11, 0, v11, s[30:31]
	v_cmp_nlt_f32_e64 s[30:31], s35, v10
	v_sub_f32_e32 v9, v9, v2
	v_cndmask_b32_e64 v14, v29, v11, s[30:31]
	v_mul_f32_e32 v11, 0x3fb8aa3b, v9
	v_ldexp_f32 v10, v13, v30
	v_fma_f32 v13, v9, s34, -v11
	v_rndne_f32_e32 v30, v11
	v_fmac_f32_e32 v13, 0x32a5705f, v9
	v_sub_f32_e32 v11, v11, v30
	v_add_f32_e32 v11, v11, v13
	v_exp_f32_e32 v11, v11
	v_cvt_i32_f32_e32 v30, v30
	v_cmp_ngt_f32_e64 s[30:31], s33, v12
	v_cndmask_b32_e64 v10, 0, v10, s[30:31]
	v_cmp_nlt_f32_e64 s[30:31], s35, v12
	v_cndmask_b32_e64 v13, v29, v10, s[30:31]
	v_ldexp_f32 v10, v11, v30
	v_sub_f32_e32 v11, v23, v2
	v_mul_f32_e32 v12, 0x3fb8aa3b, v11
	v_fma_f32 v23, v11, s34, -v12
	v_rndne_f32_e32 v30, v12
	v_fmac_f32_e32 v23, 0x32a5705f, v11
	v_sub_f32_e32 v12, v12, v30
	v_add_f32_e32 v12, v12, v23
	v_exp_f32_e32 v23, v12
	v_cvt_i32_f32_e32 v30, v30
	v_cmp_ngt_f32_e64 s[30:31], s33, v9
	v_cndmask_b32_e64 v10, 0, v10, s[30:31]
	v_cmp_nlt_f32_e64 s[30:31], s35, v9
	v_sub_f32_e32 v8, v8, v2
	v_cndmask_b32_e64 v12, v29, v10, s[30:31]
	v_mul_f32_e32 v10, 0x3fb8aa3b, v8
	v_ldexp_f32 v9, v23, v30
	v_fma_f32 v23, v8, s34, -v10
	v_rndne_f32_e32 v30, v10
	v_fmac_f32_e32 v23, 0x32a5705f, v8
	v_sub_f32_e32 v10, v10, v30
	v_add_f32_e32 v10, v10, v23
	v_exp_f32_e32 v10, v10
	v_cvt_i32_f32_e32 v23, v30
	v_cmp_ngt_f32_e64 s[30:31], s33, v11
	v_cndmask_b32_e64 v9, 0, v9, s[30:31]
	v_cmp_nlt_f32_e64 s[30:31], s35, v11
	v_sub_f32_e32 v22, v22, v2
	v_cndmask_b32_e64 v11, v29, v9, s[30:31]
	v_ldexp_f32 v9, v10, v23
	v_mul_f32_e32 v10, 0x3fb8aa3b, v22
	v_fma_f32 v23, v22, s34, -v10
	v_rndne_f32_e32 v30, v10
	v_fmac_f32_e32 v23, 0x32a5705f, v22
	v_sub_f32_e32 v10, v10, v30
	v_add_f32_e32 v10, v10, v23
	v_exp_f32_e32 v23, v10
	v_cvt_i32_f32_e32 v30, v30
	v_cmp_ngt_f32_e64 s[30:31], s33, v8
	v_cndmask_b32_e64 v9, 0, v9, s[30:31]
	v_cmp_nlt_f32_e64 s[30:31], s35, v8
	v_sub_f32_e32 v7, v7, v2
	v_cndmask_b32_e64 v10, v29, v9, s[30:31]
	v_mul_f32_e32 v9, 0x3fb8aa3b, v7
	v_ldexp_f32 v8, v23, v30
	v_fma_f32 v23, v7, s34, -v9
	v_rndne_f32_e32 v30, v9
	v_fmac_f32_e32 v23, 0x32a5705f, v7
	v_sub_f32_e32 v9, v9, v30
	v_add_f32_e32 v9, v9, v23
	v_exp_f32_e32 v23, v9
	v_cvt_i32_f32_e32 v30, v30
	v_cmp_ngt_f32_e64 s[30:31], s33, v22
	v_sub_f32_e32 v20, v20, v2
	v_cndmask_b32_e64 v8, 0, v8, s[30:31]
	v_cmp_nlt_f32_e64 s[30:31], s35, v22
	v_mul_f32_e32 v22, 0x3fb8aa3b, v20
	v_cndmask_b32_e64 v9, v29, v8, s[30:31]
	v_ldexp_f32 v8, v23, v30
	v_fma_f32 v23, v20, s34, -v22
	v_rndne_f32_e32 v30, v22
	v_fmac_f32_e32 v23, 0x32a5705f, v20
	v_sub_f32_e32 v22, v22, v30
	v_add_f32_e32 v22, v22, v23
	v_exp_f32_e32 v22, v22
	v_cvt_i32_f32_e32 v23, v30
	v_cmp_ngt_f32_e64 s[30:31], s33, v7
	v_sub_f32_e32 v6, v6, v2
	v_cndmask_b32_e64 v8, 0, v8, s[30:31]
	v_cmp_nlt_f32_e64 s[30:31], s35, v7
	v_ldexp_f32 v7, v22, v23
	v_mul_f32_e32 v22, 0x3fb8aa3b, v6
	v_fma_f32 v23, v6, s34, -v22
	v_rndne_f32_e32 v30, v22
	v_fmac_f32_e32 v23, 0x32a5705f, v6
	v_sub_f32_e32 v22, v22, v30
	v_add_f32_e32 v22, v22, v23
	v_add_f32_e32 v4, v27, v21
	v_exp_f32_e32 v22, v22
	v_cvt_i32_f32_e32 v23, v30
	v_add_f32_e32 v4, v4, v18
	v_add_f32_e32 v4, v4, v16
	;; [unrolled: 1-line block ×3, first 2 shown]
	v_cndmask_b32_e64 v8, v29, v8, s[30:31]
	v_cmp_ngt_f32_e64 s[30:31], s33, v20
	v_sub_f32_e32 v19, v19, v2
	v_add_f32_e32 v4, v4, v14
	v_cndmask_b32_e64 v7, 0, v7, s[30:31]
	v_cmp_nlt_f32_e64 s[30:31], s35, v20
	v_ldexp_f32 v20, v22, v23
	v_mul_f32_e32 v22, 0x3fb8aa3b, v19
	v_add_f32_e32 v4, v4, v13
	v_fma_f32 v23, v19, s34, -v22
	v_rndne_f32_e32 v30, v22
	v_add_f32_e32 v4, v4, v12
	v_fmac_f32_e32 v23, 0x32a5705f, v19
	v_sub_f32_e32 v22, v22, v30
	v_add_f32_e32 v4, v4, v11
	v_add_f32_e32 v22, v22, v23
	;; [unrolled: 1-line block ×3, first 2 shown]
	v_exp_f32_e32 v22, v22
	v_cvt_i32_f32_e32 v23, v30
	v_add_f32_e32 v4, v4, v9
	v_cndmask_b32_e64 v7, v29, v7, s[30:31]
	v_cmp_ngt_f32_e64 s[30:31], s33, v6
	v_add_f32_e32 v4, v4, v8
	v_cndmask_b32_e64 v20, 0, v20, s[30:31]
	v_cmp_nlt_f32_e64 s[30:31], s35, v6
	v_sub_f32_e32 v2, v17, v2
	v_add_f32_e32 v4, v4, v7
	v_cndmask_b32_e64 v6, v29, v20, s[30:31]
	v_mul_f32_e32 v17, 0x3fb8aa3b, v2
	v_add_f32_e32 v20, v4, v6
	v_ldexp_f32 v4, v22, v23
	v_fma_f32 v22, v2, s34, -v17
	v_rndne_f32_e32 v23, v17
	v_fmac_f32_e32 v22, 0x32a5705f, v2
	v_sub_f32_e32 v17, v17, v23
	v_add_f32_e32 v17, v17, v22
	v_exp_f32_e32 v17, v17
	v_cvt_i32_f32_e32 v22, v23
	v_cmp_ngt_f32_e64 s[30:31], s33, v19
	v_cndmask_b32_e64 v4, 0, v4, s[30:31]
	v_cmp_nlt_f32_e64 s[30:31], s35, v19
	v_cndmask_b32_e64 v4, v29, v4, s[30:31]
	v_ldexp_f32 v17, v17, v22
	v_cmp_ngt_f32_e64 s[30:31], s33, v2
	v_cndmask_b32_e64 v17, 0, v17, s[30:31]
	v_cmp_nlt_f32_e64 s[30:31], s35, v2
	v_add_f32_e32 v19, v20, v4
	v_cndmask_b32_e64 v2, v29, v17, s[30:31]
	v_add_f32_e32 v17, v19, v2
	ds_bpermute_b32 v3, v3, v17
	v_cmp_lt_i32_e64 s[30:31], 0, v5
	s_waitcnt lgkmcnt(0)
	v_add_f32_e32 v3, v17, v3
	ds_bpermute_b32 v17, v24, v3
	s_waitcnt lgkmcnt(0)
	v_add_f32_e32 v3, v3, v17
	ds_bpermute_b32 v17, v25, v3
	;; [unrolled: 3-line block ×4, first 2 shown]
	s_and_saveexec_b64 s[34:35], s[30:31]
	s_cbranch_execz .LBB477_82
; %bb.33:
	s_and_b64 exec, exec, vcc
	s_cbranch_execz .LBB477_82
; %bb.34:
	s_waitcnt lgkmcnt(0)
	v_add_f32_e32 v3, v3, v17
	v_cmp_neq_f32_e64 s[30:31], 0, v3
	v_mov_b32_e32 v5, 0x7fc0
	s_and_saveexec_b64 s[34:35], s[30:31]
	s_cbranch_execz .LBB477_36
; %bb.35:
	v_div_scale_f32 v5, s[38:39], v3, v3, v27
	v_rcp_f32_e32 v17, v5
	v_div_scale_f32 v19, vcc, v27, v3, v27
	s_movk_i32 s33, 0x7fff
	v_fma_f32 v20, -v5, v17, 1.0
	v_fmac_f32_e32 v17, v20, v17
	v_mul_f32_e32 v20, v19, v17
	v_fma_f32 v22, -v5, v20, v19
	v_fmac_f32_e32 v20, v22, v17
	v_fma_f32 v5, -v5, v20, v19
	v_div_fmas_f32 v5, v5, v17, v20
	v_div_fixup_f32 v5, v5, v3, v27
	v_bfe_u32 v17, v5, 16, 1
	v_add3_u32 v17, v5, v17, s33
	v_lshrrev_b32_e32 v17, 16, v17
	v_mov_b32_e32 v19, 0x7fc0
	v_cmp_o_f32_e32 vcc, v5, v5
	v_cndmask_b32_e32 v5, v19, v17, vcc
.LBB477_36:
	s_or_b64 exec, exec, s[34:35]
	v_mov_b32_e32 v17, s37
	v_add_co_u32_e32 v0, vcc, s36, v0
	v_addc_co_u32_e32 v1, vcc, v17, v1, vcc
	global_store_short v[0:1], v5, off
	s_and_b64 exec, exec, s[28:29]
	s_cbranch_execz .LBB477_82
; %bb.37:
	v_mov_b32_e32 v5, 0x7fc0
	s_and_saveexec_b64 s[28:29], s[30:31]
	s_cbranch_execz .LBB477_39
; %bb.38:
	v_div_scale_f32 v5, s[34:35], v3, v3, v21
	v_rcp_f32_e32 v17, v5
	v_div_scale_f32 v19, vcc, v21, v3, v21
	s_movk_i32 s33, 0x7fff
	v_fma_f32 v20, -v5, v17, 1.0
	v_fmac_f32_e32 v17, v20, v17
	v_mul_f32_e32 v20, v19, v17
	v_fma_f32 v22, -v5, v20, v19
	v_fmac_f32_e32 v20, v22, v17
	v_fma_f32 v5, -v5, v20, v19
	v_div_fmas_f32 v5, v5, v17, v20
	v_div_fixup_f32 v5, v5, v3, v21
	v_bfe_u32 v17, v5, 16, 1
	v_add3_u32 v17, v5, v17, s33
	v_lshrrev_b32_e32 v17, 16, v17
	v_mov_b32_e32 v19, 0x7fc0
	v_cmp_o_f32_e32 vcc, v5, v5
	v_cndmask_b32_e32 v5, v19, v17, vcc
.LBB477_39:
	s_or_b64 exec, exec, s[28:29]
	global_store_short v[0:1], v5, off offset:64
	s_and_b64 exec, exec, s[26:27]
	s_cbranch_execz .LBB477_82
; %bb.40:
	v_mov_b32_e32 v5, 0x7fc0
	s_and_saveexec_b64 s[26:27], s[30:31]
	s_cbranch_execz .LBB477_42
; %bb.41:
	v_div_scale_f32 v5, s[28:29], v3, v3, v18
	v_rcp_f32_e32 v17, v5
	v_div_scale_f32 v19, vcc, v18, v3, v18
	s_movk_i32 s28, 0x7fff
	v_fma_f32 v20, -v5, v17, 1.0
	v_fmac_f32_e32 v17, v20, v17
	v_mul_f32_e32 v20, v19, v17
	v_fma_f32 v21, -v5, v20, v19
	v_fmac_f32_e32 v20, v21, v17
	v_fma_f32 v5, -v5, v20, v19
	v_div_fmas_f32 v5, v5, v17, v20
	v_div_fixup_f32 v5, v5, v3, v18
	v_bfe_u32 v17, v5, 16, 1
	v_add3_u32 v17, v5, v17, s28
	v_lshrrev_b32_e32 v17, 16, v17
	v_mov_b32_e32 v18, 0x7fc0
	v_cmp_o_f32_e32 vcc, v5, v5
	v_cndmask_b32_e32 v5, v18, v17, vcc
.LBB477_42:
	s_or_b64 exec, exec, s[26:27]
	global_store_short v[0:1], v5, off offset:128
	;; [unrolled: 28-line block ×15, first 2 shown]
.LBB477_82:
	s_endpgm
	.section	.rodata,"a",@progbits
	.p2align	6, 0x0
	.amdhsa_kernel _ZN12_GLOBAL__N_120softmax_warp_forwardIN3c108BFloat16ES2_fLi9ELb0ELb0ELi32EEEvPT0_PKT_iiiPKbib
		.amdhsa_group_segment_fixed_size 0
		.amdhsa_private_segment_fixed_size 0
		.amdhsa_kernarg_size 304
		.amdhsa_user_sgpr_count 6
		.amdhsa_user_sgpr_private_segment_buffer 1
		.amdhsa_user_sgpr_dispatch_ptr 0
		.amdhsa_user_sgpr_queue_ptr 0
		.amdhsa_user_sgpr_kernarg_segment_ptr 1
		.amdhsa_user_sgpr_dispatch_id 0
		.amdhsa_user_sgpr_flat_scratch_init 0
		.amdhsa_user_sgpr_kernarg_preload_length 0
		.amdhsa_user_sgpr_kernarg_preload_offset 0
		.amdhsa_user_sgpr_private_segment_size 0
		.amdhsa_uses_dynamic_stack 0
		.amdhsa_system_sgpr_private_segment_wavefront_offset 0
		.amdhsa_system_sgpr_workgroup_id_x 1
		.amdhsa_system_sgpr_workgroup_id_y 0
		.amdhsa_system_sgpr_workgroup_id_z 0
		.amdhsa_system_sgpr_workgroup_info 0
		.amdhsa_system_vgpr_workitem_id 1
		.amdhsa_next_free_vgpr 31
		.amdhsa_next_free_sgpr 44
		.amdhsa_accum_offset 32
		.amdhsa_reserve_vcc 1
		.amdhsa_reserve_flat_scratch 0
		.amdhsa_float_round_mode_32 0
		.amdhsa_float_round_mode_16_64 0
		.amdhsa_float_denorm_mode_32 3
		.amdhsa_float_denorm_mode_16_64 3
		.amdhsa_dx10_clamp 1
		.amdhsa_ieee_mode 1
		.amdhsa_fp16_overflow 0
		.amdhsa_tg_split 0
		.amdhsa_exception_fp_ieee_invalid_op 0
		.amdhsa_exception_fp_denorm_src 0
		.amdhsa_exception_fp_ieee_div_zero 0
		.amdhsa_exception_fp_ieee_overflow 0
		.amdhsa_exception_fp_ieee_underflow 0
		.amdhsa_exception_fp_ieee_inexact 0
		.amdhsa_exception_int_div_zero 0
	.end_amdhsa_kernel
	.section	.text._ZN12_GLOBAL__N_120softmax_warp_forwardIN3c108BFloat16ES2_fLi9ELb0ELb0ELi32EEEvPT0_PKT_iiiPKbib,"axG",@progbits,_ZN12_GLOBAL__N_120softmax_warp_forwardIN3c108BFloat16ES2_fLi9ELb0ELb0ELi32EEEvPT0_PKT_iiiPKbib,comdat
.Lfunc_end477:
	.size	_ZN12_GLOBAL__N_120softmax_warp_forwardIN3c108BFloat16ES2_fLi9ELb0ELb0ELi32EEEvPT0_PKT_iiiPKbib, .Lfunc_end477-_ZN12_GLOBAL__N_120softmax_warp_forwardIN3c108BFloat16ES2_fLi9ELb0ELb0ELi32EEEvPT0_PKT_iiiPKbib
                                        ; -- End function
	.section	.AMDGPU.csdata,"",@progbits
; Kernel info:
; codeLenInByte = 5484
; NumSgprs: 48
; NumVgprs: 31
; NumAgprs: 0
; TotalNumVgprs: 31
; ScratchSize: 0
; MemoryBound: 0
; FloatMode: 240
; IeeeMode: 1
; LDSByteSize: 0 bytes/workgroup (compile time only)
; SGPRBlocks: 5
; VGPRBlocks: 3
; NumSGPRsForWavesPerEU: 48
; NumVGPRsForWavesPerEU: 31
; AccumOffset: 32
; Occupancy: 8
; WaveLimiterHint : 0
; COMPUTE_PGM_RSRC2:SCRATCH_EN: 0
; COMPUTE_PGM_RSRC2:USER_SGPR: 6
; COMPUTE_PGM_RSRC2:TRAP_HANDLER: 0
; COMPUTE_PGM_RSRC2:TGID_X_EN: 1
; COMPUTE_PGM_RSRC2:TGID_Y_EN: 0
; COMPUTE_PGM_RSRC2:TGID_Z_EN: 0
; COMPUTE_PGM_RSRC2:TIDIG_COMP_CNT: 1
; COMPUTE_PGM_RSRC3_GFX90A:ACCUM_OFFSET: 7
; COMPUTE_PGM_RSRC3_GFX90A:TG_SPLIT: 0
	.section	.text._ZN12_GLOBAL__N_120softmax_warp_forwardIN3c108BFloat16ES2_fLi10ELb0ELb0ELi64EEEvPT0_PKT_iiiPKbib,"axG",@progbits,_ZN12_GLOBAL__N_120softmax_warp_forwardIN3c108BFloat16ES2_fLi10ELb0ELb0ELi64EEEvPT0_PKT_iiiPKbib,comdat
	.globl	_ZN12_GLOBAL__N_120softmax_warp_forwardIN3c108BFloat16ES2_fLi10ELb0ELb0ELi64EEEvPT0_PKT_iiiPKbib ; -- Begin function _ZN12_GLOBAL__N_120softmax_warp_forwardIN3c108BFloat16ES2_fLi10ELb0ELb0ELi64EEEvPT0_PKT_iiiPKbib
	.p2align	8
	.type	_ZN12_GLOBAL__N_120softmax_warp_forwardIN3c108BFloat16ES2_fLi10ELb0ELb0ELi64EEEvPT0_PKT_iiiPKbib,@function
_ZN12_GLOBAL__N_120softmax_warp_forwardIN3c108BFloat16ES2_fLi10ELb0ELb0ELi64EEEvPT0_PKT_iiiPKbib: ; @_ZN12_GLOBAL__N_120softmax_warp_forwardIN3c108BFloat16ES2_fLi10ELb0ELb0ELi64EEEvPT0_PKT_iiiPKbib
; %bb.0:
	s_load_dword s0, s[4:5], 0x3c
	s_load_dwordx8 s[36:43], s[4:5], 0x0
	v_bfe_u32 v1, v0, 10, 10
	v_and_b32_e32 v4, 0x3ff, v0
	v_mov_b32_e32 v12, 0xff800000
	s_waitcnt lgkmcnt(0)
	s_lshr_b32 s0, s0, 16
	s_mul_i32 s6, s6, s0
	v_add_u32_e32 v1, s6, v1
	v_sub_u32_e32 v5, s40, v1
	v_mad_u64_u32 v[0:1], s[0:1], v1, s41, v[4:5]
	v_ashrrev_i32_e32 v1, 31, v0
	v_lshlrev_b64 v[0:1], 1, v[0:1]
	v_mov_b32_e32 v3, s39
	v_add_co_u32_e32 v2, vcc, s38, v0
	v_addc_co_u32_e32 v3, vcc, v3, v1, vcc
	v_cmp_lt_i32_e64 s[30:31], 0, v5
	v_cmp_gt_i32_e32 vcc, s42, v4
	s_and_b64 s[2:3], s[30:31], vcc
	v_mov_b32_e32 v16, 0xff800000
	s_and_saveexec_b64 s[0:1], s[2:3]
	s_cbranch_execz .LBB478_2
; %bb.1:
	global_load_ushort v6, v[2:3], off
	s_waitcnt vmcnt(0)
	v_lshlrev_b32_e32 v16, 16, v6
.LBB478_2:
	s_or_b64 exec, exec, s[0:1]
	v_add_u32_e32 v6, 64, v4
	v_cmp_gt_i32_e64 s[28:29], s42, v6
	s_and_b64 s[2:3], s[30:31], s[28:29]
	s_and_saveexec_b64 s[0:1], s[2:3]
	s_cbranch_execz .LBB478_4
; %bb.3:
	global_load_ushort v6, v[2:3], off offset:128
	s_waitcnt vmcnt(0)
	v_lshlrev_b32_e32 v12, 16, v6
.LBB478_4:
	s_or_b64 exec, exec, s[0:1]
	v_add_u32_e32 v6, 0x80, v4
	v_cmp_gt_i32_e64 s[26:27], s42, v6
	s_and_b64 s[2:3], s[30:31], s[26:27]
	v_mov_b32_e32 v11, 0xff800000
	v_mov_b32_e32 v15, 0xff800000
	s_and_saveexec_b64 s[0:1], s[2:3]
	s_cbranch_execz .LBB478_6
; %bb.5:
	global_load_ushort v6, v[2:3], off offset:256
	s_waitcnt vmcnt(0)
	v_lshlrev_b32_e32 v15, 16, v6
.LBB478_6:
	s_or_b64 exec, exec, s[0:1]
	v_add_u32_e32 v6, 0xc0, v4
	v_cmp_gt_i32_e64 s[24:25], s42, v6
	s_and_b64 s[2:3], s[30:31], s[24:25]
	s_and_saveexec_b64 s[0:1], s[2:3]
	s_cbranch_execz .LBB478_8
; %bb.7:
	global_load_ushort v6, v[2:3], off offset:384
	s_waitcnt vmcnt(0)
	v_lshlrev_b32_e32 v11, 16, v6
.LBB478_8:
	s_or_b64 exec, exec, s[0:1]
	v_add_u32_e32 v6, 0x100, v4
	v_cmp_gt_i32_e64 s[22:23], s42, v6
	s_and_b64 s[2:3], s[30:31], s[22:23]
	v_mov_b32_e32 v10, 0xff800000
	v_mov_b32_e32 v14, 0xff800000
	s_and_saveexec_b64 s[0:1], s[2:3]
	s_cbranch_execz .LBB478_10
; %bb.9:
	global_load_ushort v6, v[2:3], off offset:512
	s_waitcnt vmcnt(0)
	v_lshlrev_b32_e32 v14, 16, v6
.LBB478_10:
	;; [unrolled: 24-line block ×7, first 2 shown]
	s_or_b64 exec, exec, s[0:1]
	v_add_u32_e32 v4, 0x3c0, v4
	v_cmp_gt_i32_e64 s[0:1], s42, v4
	s_and_b64 s[34:35], s[30:31], s[0:1]
	s_and_saveexec_b64 s[30:31], s[34:35]
	s_cbranch_execz .LBB478_32
; %bb.31:
	global_load_ushort v2, v[2:3], off offset:1920
	s_waitcnt vmcnt(0)
	v_lshlrev_b32_e32 v17, 16, v2
.LBB478_32:
	s_or_b64 exec, exec, s[30:31]
	v_cmp_gt_f32_e64 s[30:31], v16, v12
	v_cndmask_b32_e64 v2, v12, v16, s[30:31]
	v_cmp_gt_f32_e64 s[30:31], v2, v15
	v_cndmask_b32_e64 v2, v15, v2, s[30:31]
	;; [unrolled: 2-line block ×13, first 2 shown]
	v_mbcnt_lo_u32_b32 v3, -1, 0
	v_cmp_gt_f32_e64 s[30:31], v2, v19
	v_mbcnt_hi_u32_b32 v4, -1, v3
	v_cndmask_b32_e64 v2, v19, v2, s[30:31]
	v_and_b32_e32 v3, 64, v4
	v_cmp_gt_f32_e64 s[30:31], v2, v17
	v_add_u32_e32 v18, 64, v3
	v_xor_b32_e32 v3, 32, v4
	v_cndmask_b32_e64 v2, v17, v2, s[30:31]
	v_cmp_lt_i32_e64 s[30:31], v3, v18
	v_cndmask_b32_e64 v3, v4, v3, s[30:31]
	v_lshlrev_b32_e32 v3, 2, v3
	ds_bpermute_b32 v22, v3, v2
	s_mov_b32 s34, 0x3fb8aa3b
	s_mov_b32 s33, 0xc2ce8ed0
	;; [unrolled: 1-line block ×3, first 2 shown]
	v_mov_b32_e32 v30, 0x7f800000
	s_waitcnt lgkmcnt(0)
	v_cmp_lt_f32_e64 s[30:31], v2, v22
	v_cndmask_b32_e64 v2, v2, v22, s[30:31]
	v_xor_b32_e32 v22, 16, v4
	v_cmp_lt_i32_e64 s[30:31], v22, v18
	v_cndmask_b32_e64 v22, v4, v22, s[30:31]
	v_lshlrev_b32_e32 v24, 2, v22
	ds_bpermute_b32 v22, v24, v2
	s_waitcnt lgkmcnt(0)
	v_cmp_lt_f32_e64 s[30:31], v2, v22
	v_cndmask_b32_e64 v2, v2, v22, s[30:31]
	v_xor_b32_e32 v22, 8, v4
	v_cmp_lt_i32_e64 s[30:31], v22, v18
	v_cndmask_b32_e64 v22, v4, v22, s[30:31]
	v_lshlrev_b32_e32 v25, 2, v22
	ds_bpermute_b32 v22, v25, v2
	;; [unrolled: 8-line block ×5, first 2 shown]
	s_waitcnt lgkmcnt(0)
	v_cmp_lt_f32_e64 s[30:31], v2, v4
	v_cndmask_b32_e64 v2, v2, v4, s[30:31]
	v_sub_f32_e32 v4, v16, v2
	v_mul_f32_e32 v16, 0x3fb8aa3b, v4
	v_fma_f32 v18, v4, s34, -v16
	v_rndne_f32_e32 v22, v16
	v_fmac_f32_e32 v18, 0x32a5705f, v4
	v_sub_f32_e32 v16, v16, v22
	v_add_f32_e32 v16, v16, v18
	v_exp_f32_e32 v16, v16
	v_cvt_i32_f32_e32 v18, v22
	v_sub_f32_e32 v12, v12, v2
	v_cmp_ngt_f32_e64 s[30:31], s33, v4
	v_sub_f32_e32 v15, v15, v2
	v_ldexp_f32 v16, v16, v18
	v_mul_f32_e32 v18, 0x3fb8aa3b, v12
	v_fma_f32 v22, v12, s34, -v18
	v_rndne_f32_e32 v28, v18
	v_fmac_f32_e32 v22, 0x32a5705f, v12
	v_sub_f32_e32 v18, v18, v28
	v_add_f32_e32 v18, v18, v22
	v_exp_f32_e32 v18, v18
	v_cvt_i32_f32_e32 v22, v28
	v_cndmask_b32_e64 v16, 0, v16, s[30:31]
	v_cmp_nlt_f32_e64 s[30:31], s35, v4
	v_cndmask_b32_e64 v28, v30, v16, s[30:31]
	v_mul_f32_e32 v16, 0x3fb8aa3b, v15
	v_ldexp_f32 v4, v18, v22
	v_fma_f32 v18, v15, s34, -v16
	v_rndne_f32_e32 v22, v16
	v_fmac_f32_e32 v18, 0x32a5705f, v15
	v_sub_f32_e32 v16, v16, v22
	v_add_f32_e32 v16, v16, v18
	v_exp_f32_e32 v16, v16
	v_cvt_i32_f32_e32 v18, v22
	v_cmp_ngt_f32_e64 s[30:31], s33, v12
	v_sub_f32_e32 v11, v11, v2
	v_cndmask_b32_e64 v4, 0, v4, s[30:31]
	v_cmp_nlt_f32_e64 s[30:31], s35, v12
	v_ldexp_f32 v12, v16, v18
	v_mul_f32_e32 v16, 0x3fb8aa3b, v11
	v_fma_f32 v18, v11, s34, -v16
	v_rndne_f32_e32 v31, v16
	v_fmac_f32_e32 v18, 0x32a5705f, v11
	v_sub_f32_e32 v16, v16, v31
	v_add_f32_e32 v16, v16, v18
	v_exp_f32_e32 v16, v16
	v_cvt_i32_f32_e32 v31, v31
	v_cndmask_b32_e64 v22, v30, v4, s[30:31]
	v_cmp_ngt_f32_e64 s[30:31], s33, v15
	v_sub_f32_e32 v14, v14, v2
	v_cndmask_b32_e64 v12, 0, v12, s[30:31]
	v_cmp_nlt_f32_e64 s[30:31], s35, v15
	v_mul_f32_e32 v15, 0x3fb8aa3b, v14
	v_cndmask_b32_e64 v18, v30, v12, s[30:31]
	v_ldexp_f32 v12, v16, v31
	v_fma_f32 v16, v14, s34, -v15
	v_rndne_f32_e32 v31, v15
	v_fmac_f32_e32 v16, 0x32a5705f, v14
	v_sub_f32_e32 v15, v15, v31
	v_add_f32_e32 v15, v15, v16
	v_exp_f32_e32 v15, v15
	v_cvt_i32_f32_e32 v31, v31
	v_cmp_ngt_f32_e64 s[30:31], s33, v11
	v_cndmask_b32_e64 v12, 0, v12, s[30:31]
	v_cmp_nlt_f32_e64 s[30:31], s35, v11
	v_sub_f32_e32 v10, v10, v2
	v_cndmask_b32_e64 v16, v30, v12, s[30:31]
	v_mul_f32_e32 v12, 0x3fb8aa3b, v10
	v_ldexp_f32 v11, v15, v31
	v_fma_f32 v15, v10, s34, -v12
	v_rndne_f32_e32 v31, v12
	v_fmac_f32_e32 v15, 0x32a5705f, v10
	v_sub_f32_e32 v12, v12, v31
	v_add_f32_e32 v12, v12, v15
	v_exp_f32_e32 v12, v12
	v_cvt_i32_f32_e32 v31, v31
	v_cmp_ngt_f32_e64 s[30:31], s33, v14
	v_cndmask_b32_e64 v11, 0, v11, s[30:31]
	v_cmp_nlt_f32_e64 s[30:31], s35, v14
	v_cndmask_b32_e64 v15, v30, v11, s[30:31]
	v_ldexp_f32 v11, v12, v31
	v_sub_f32_e32 v12, v13, v2
	v_mul_f32_e32 v13, 0x3fb8aa3b, v12
	v_fma_f32 v14, v12, s34, -v13
	v_rndne_f32_e32 v31, v13
	v_fmac_f32_e32 v14, 0x32a5705f, v12
	v_sub_f32_e32 v13, v13, v31
	v_add_f32_e32 v13, v13, v14
	v_exp_f32_e32 v13, v13
	v_cvt_i32_f32_e32 v31, v31
	v_cmp_ngt_f32_e64 s[30:31], s33, v10
	v_cndmask_b32_e64 v11, 0, v11, s[30:31]
	v_cmp_nlt_f32_e64 s[30:31], s35, v10
	v_sub_f32_e32 v9, v9, v2
	v_cndmask_b32_e64 v14, v30, v11, s[30:31]
	v_mul_f32_e32 v11, 0x3fb8aa3b, v9
	v_ldexp_f32 v10, v13, v31
	v_fma_f32 v13, v9, s34, -v11
	v_rndne_f32_e32 v31, v11
	v_fmac_f32_e32 v13, 0x32a5705f, v9
	v_sub_f32_e32 v11, v11, v31
	v_add_f32_e32 v11, v11, v13
	v_exp_f32_e32 v11, v11
	v_cvt_i32_f32_e32 v31, v31
	v_cmp_ngt_f32_e64 s[30:31], s33, v12
	v_cndmask_b32_e64 v10, 0, v10, s[30:31]
	v_cmp_nlt_f32_e64 s[30:31], s35, v12
	v_cndmask_b32_e64 v13, v30, v10, s[30:31]
	v_ldexp_f32 v10, v11, v31
	v_sub_f32_e32 v11, v23, v2
	v_mul_f32_e32 v12, 0x3fb8aa3b, v11
	v_fma_f32 v23, v11, s34, -v12
	v_rndne_f32_e32 v31, v12
	v_fmac_f32_e32 v23, 0x32a5705f, v11
	v_sub_f32_e32 v12, v12, v31
	v_add_f32_e32 v12, v12, v23
	v_exp_f32_e32 v23, v12
	v_cvt_i32_f32_e32 v31, v31
	v_cmp_ngt_f32_e64 s[30:31], s33, v9
	v_cndmask_b32_e64 v10, 0, v10, s[30:31]
	v_cmp_nlt_f32_e64 s[30:31], s35, v9
	v_sub_f32_e32 v8, v8, v2
	v_cndmask_b32_e64 v12, v30, v10, s[30:31]
	v_mul_f32_e32 v10, 0x3fb8aa3b, v8
	v_ldexp_f32 v9, v23, v31
	v_fma_f32 v23, v8, s34, -v10
	v_rndne_f32_e32 v31, v10
	v_fmac_f32_e32 v23, 0x32a5705f, v8
	v_sub_f32_e32 v10, v10, v31
	v_add_f32_e32 v10, v10, v23
	v_exp_f32_e32 v10, v10
	v_cvt_i32_f32_e32 v23, v31
	v_cmp_ngt_f32_e64 s[30:31], s33, v11
	v_cndmask_b32_e64 v9, 0, v9, s[30:31]
	v_cmp_nlt_f32_e64 s[30:31], s35, v11
	v_sub_f32_e32 v21, v21, v2
	v_cndmask_b32_e64 v11, v30, v9, s[30:31]
	v_ldexp_f32 v9, v10, v23
	v_mul_f32_e32 v10, 0x3fb8aa3b, v21
	v_fma_f32 v23, v21, s34, -v10
	v_rndne_f32_e32 v31, v10
	v_fmac_f32_e32 v23, 0x32a5705f, v21
	v_sub_f32_e32 v10, v10, v31
	v_add_f32_e32 v10, v10, v23
	v_exp_f32_e32 v23, v10
	v_cvt_i32_f32_e32 v31, v31
	v_cmp_ngt_f32_e64 s[30:31], s33, v8
	v_cndmask_b32_e64 v9, 0, v9, s[30:31]
	v_cmp_nlt_f32_e64 s[30:31], s35, v8
	v_sub_f32_e32 v7, v7, v2
	v_cndmask_b32_e64 v10, v30, v9, s[30:31]
	v_mul_f32_e32 v9, 0x3fb8aa3b, v7
	v_ldexp_f32 v8, v23, v31
	v_fma_f32 v23, v7, s34, -v9
	v_rndne_f32_e32 v31, v9
	v_fmac_f32_e32 v23, 0x32a5705f, v7
	v_sub_f32_e32 v9, v9, v31
	v_add_f32_e32 v9, v9, v23
	v_exp_f32_e32 v23, v9
	v_cvt_i32_f32_e32 v31, v31
	v_cmp_ngt_f32_e64 s[30:31], s33, v21
	v_sub_f32_e32 v20, v20, v2
	v_cndmask_b32_e64 v8, 0, v8, s[30:31]
	v_cmp_nlt_f32_e64 s[30:31], s35, v21
	v_mul_f32_e32 v21, 0x3fb8aa3b, v20
	v_cndmask_b32_e64 v9, v30, v8, s[30:31]
	v_ldexp_f32 v8, v23, v31
	v_fma_f32 v23, v20, s34, -v21
	v_rndne_f32_e32 v31, v21
	v_fmac_f32_e32 v23, 0x32a5705f, v20
	v_sub_f32_e32 v21, v21, v31
	v_add_f32_e32 v21, v21, v23
	v_exp_f32_e32 v21, v21
	v_cvt_i32_f32_e32 v23, v31
	v_cmp_ngt_f32_e64 s[30:31], s33, v7
	v_sub_f32_e32 v6, v6, v2
	v_cndmask_b32_e64 v8, 0, v8, s[30:31]
	v_cmp_nlt_f32_e64 s[30:31], s35, v7
	v_ldexp_f32 v7, v21, v23
	v_mul_f32_e32 v21, 0x3fb8aa3b, v6
	v_fma_f32 v23, v6, s34, -v21
	v_rndne_f32_e32 v31, v21
	v_fmac_f32_e32 v23, 0x32a5705f, v6
	v_sub_f32_e32 v21, v21, v31
	v_add_f32_e32 v21, v21, v23
	v_add_f32_e32 v4, v28, v22
	v_exp_f32_e32 v21, v21
	v_cvt_i32_f32_e32 v23, v31
	v_add_f32_e32 v4, v4, v18
	v_add_f32_e32 v4, v4, v16
	;; [unrolled: 1-line block ×3, first 2 shown]
	v_cndmask_b32_e64 v8, v30, v8, s[30:31]
	v_cmp_ngt_f32_e64 s[30:31], s33, v20
	v_sub_f32_e32 v19, v19, v2
	v_add_f32_e32 v4, v4, v14
	v_cndmask_b32_e64 v7, 0, v7, s[30:31]
	v_cmp_nlt_f32_e64 s[30:31], s35, v20
	v_ldexp_f32 v20, v21, v23
	v_mul_f32_e32 v21, 0x3fb8aa3b, v19
	v_add_f32_e32 v4, v4, v13
	v_fma_f32 v23, v19, s34, -v21
	v_rndne_f32_e32 v31, v21
	v_add_f32_e32 v4, v4, v12
	v_fmac_f32_e32 v23, 0x32a5705f, v19
	v_sub_f32_e32 v21, v21, v31
	v_add_f32_e32 v4, v4, v11
	v_add_f32_e32 v21, v21, v23
	;; [unrolled: 1-line block ×3, first 2 shown]
	v_exp_f32_e32 v21, v21
	v_cvt_i32_f32_e32 v23, v31
	v_add_f32_e32 v4, v4, v9
	v_cndmask_b32_e64 v7, v30, v7, s[30:31]
	v_cmp_ngt_f32_e64 s[30:31], s33, v6
	v_add_f32_e32 v4, v4, v8
	v_cndmask_b32_e64 v20, 0, v20, s[30:31]
	v_cmp_nlt_f32_e64 s[30:31], s35, v6
	v_sub_f32_e32 v2, v17, v2
	v_add_f32_e32 v4, v4, v7
	v_cndmask_b32_e64 v6, v30, v20, s[30:31]
	v_mul_f32_e32 v17, 0x3fb8aa3b, v2
	v_add_f32_e32 v20, v4, v6
	v_ldexp_f32 v4, v21, v23
	v_fma_f32 v21, v2, s34, -v17
	v_rndne_f32_e32 v23, v17
	v_fmac_f32_e32 v21, 0x32a5705f, v2
	v_sub_f32_e32 v17, v17, v23
	v_add_f32_e32 v17, v17, v21
	v_exp_f32_e32 v17, v17
	v_cvt_i32_f32_e32 v21, v23
	v_cmp_ngt_f32_e64 s[30:31], s33, v19
	v_cndmask_b32_e64 v4, 0, v4, s[30:31]
	v_cmp_nlt_f32_e64 s[30:31], s35, v19
	v_cndmask_b32_e64 v4, v30, v4, s[30:31]
	v_ldexp_f32 v17, v17, v21
	v_cmp_ngt_f32_e64 s[30:31], s33, v2
	v_cndmask_b32_e64 v17, 0, v17, s[30:31]
	v_cmp_nlt_f32_e64 s[30:31], s35, v2
	v_add_f32_e32 v19, v20, v4
	v_cndmask_b32_e64 v2, v30, v17, s[30:31]
	v_add_f32_e32 v17, v19, v2
	ds_bpermute_b32 v3, v3, v17
	v_cmp_lt_i32_e64 s[30:31], 0, v5
	s_waitcnt lgkmcnt(0)
	v_add_f32_e32 v3, v17, v3
	ds_bpermute_b32 v17, v24, v3
	s_waitcnt lgkmcnt(0)
	v_add_f32_e32 v3, v3, v17
	ds_bpermute_b32 v17, v25, v3
	;; [unrolled: 3-line block ×5, first 2 shown]
	s_and_saveexec_b64 s[34:35], s[30:31]
	s_cbranch_execz .LBB478_82
; %bb.33:
	s_and_b64 exec, exec, vcc
	s_cbranch_execz .LBB478_82
; %bb.34:
	s_waitcnt lgkmcnt(0)
	v_add_f32_e32 v3, v3, v17
	v_cmp_neq_f32_e64 s[30:31], 0, v3
	v_mov_b32_e32 v5, 0x7fc0
	s_and_saveexec_b64 s[34:35], s[30:31]
	s_cbranch_execz .LBB478_36
; %bb.35:
	v_div_scale_f32 v5, s[38:39], v3, v3, v28
	v_rcp_f32_e32 v17, v5
	v_div_scale_f32 v19, vcc, v28, v3, v28
	s_movk_i32 s33, 0x7fff
	v_fma_f32 v20, -v5, v17, 1.0
	v_fmac_f32_e32 v17, v20, v17
	v_mul_f32_e32 v20, v19, v17
	v_fma_f32 v21, -v5, v20, v19
	v_fmac_f32_e32 v20, v21, v17
	v_fma_f32 v5, -v5, v20, v19
	v_div_fmas_f32 v5, v5, v17, v20
	v_div_fixup_f32 v5, v5, v3, v28
	v_bfe_u32 v17, v5, 16, 1
	v_add3_u32 v17, v5, v17, s33
	v_lshrrev_b32_e32 v17, 16, v17
	v_mov_b32_e32 v19, 0x7fc0
	v_cmp_o_f32_e32 vcc, v5, v5
	v_cndmask_b32_e32 v5, v19, v17, vcc
.LBB478_36:
	s_or_b64 exec, exec, s[34:35]
	v_mov_b32_e32 v17, s37
	v_add_co_u32_e32 v0, vcc, s36, v0
	v_addc_co_u32_e32 v1, vcc, v17, v1, vcc
	global_store_short v[0:1], v5, off
	s_and_b64 exec, exec, s[28:29]
	s_cbranch_execz .LBB478_82
; %bb.37:
	v_mov_b32_e32 v5, 0x7fc0
	s_and_saveexec_b64 s[28:29], s[30:31]
	s_cbranch_execz .LBB478_39
; %bb.38:
	v_div_scale_f32 v5, s[34:35], v3, v3, v22
	v_rcp_f32_e32 v17, v5
	v_div_scale_f32 v19, vcc, v22, v3, v22
	s_movk_i32 s33, 0x7fff
	v_fma_f32 v20, -v5, v17, 1.0
	v_fmac_f32_e32 v17, v20, v17
	v_mul_f32_e32 v20, v19, v17
	v_fma_f32 v21, -v5, v20, v19
	v_fmac_f32_e32 v20, v21, v17
	v_fma_f32 v5, -v5, v20, v19
	v_div_fmas_f32 v5, v5, v17, v20
	v_div_fixup_f32 v5, v5, v3, v22
	v_bfe_u32 v17, v5, 16, 1
	v_add3_u32 v17, v5, v17, s33
	v_lshrrev_b32_e32 v17, 16, v17
	v_mov_b32_e32 v19, 0x7fc0
	v_cmp_o_f32_e32 vcc, v5, v5
	v_cndmask_b32_e32 v5, v19, v17, vcc
.LBB478_39:
	s_or_b64 exec, exec, s[28:29]
	global_store_short v[0:1], v5, off offset:128
	s_and_b64 exec, exec, s[26:27]
	s_cbranch_execz .LBB478_82
; %bb.40:
	v_mov_b32_e32 v5, 0x7fc0
	s_and_saveexec_b64 s[26:27], s[30:31]
	s_cbranch_execz .LBB478_42
; %bb.41:
	v_div_scale_f32 v5, s[28:29], v3, v3, v18
	v_rcp_f32_e32 v17, v5
	v_div_scale_f32 v19, vcc, v18, v3, v18
	s_movk_i32 s28, 0x7fff
	v_fma_f32 v20, -v5, v17, 1.0
	v_fmac_f32_e32 v17, v20, v17
	v_mul_f32_e32 v20, v19, v17
	v_fma_f32 v21, -v5, v20, v19
	v_fmac_f32_e32 v20, v21, v17
	v_fma_f32 v5, -v5, v20, v19
	v_div_fmas_f32 v5, v5, v17, v20
	v_div_fixup_f32 v5, v5, v3, v18
	v_bfe_u32 v17, v5, 16, 1
	v_add3_u32 v17, v5, v17, s28
	v_lshrrev_b32_e32 v17, 16, v17
	v_mov_b32_e32 v18, 0x7fc0
	v_cmp_o_f32_e32 vcc, v5, v5
	v_cndmask_b32_e32 v5, v18, v17, vcc
.LBB478_42:
	s_or_b64 exec, exec, s[26:27]
	global_store_short v[0:1], v5, off offset:256
	;; [unrolled: 28-line block ×15, first 2 shown]
.LBB478_82:
	s_endpgm
	.section	.rodata,"a",@progbits
	.p2align	6, 0x0
	.amdhsa_kernel _ZN12_GLOBAL__N_120softmax_warp_forwardIN3c108BFloat16ES2_fLi10ELb0ELb0ELi64EEEvPT0_PKT_iiiPKbib
		.amdhsa_group_segment_fixed_size 0
		.amdhsa_private_segment_fixed_size 0
		.amdhsa_kernarg_size 304
		.amdhsa_user_sgpr_count 6
		.amdhsa_user_sgpr_private_segment_buffer 1
		.amdhsa_user_sgpr_dispatch_ptr 0
		.amdhsa_user_sgpr_queue_ptr 0
		.amdhsa_user_sgpr_kernarg_segment_ptr 1
		.amdhsa_user_sgpr_dispatch_id 0
		.amdhsa_user_sgpr_flat_scratch_init 0
		.amdhsa_user_sgpr_kernarg_preload_length 0
		.amdhsa_user_sgpr_kernarg_preload_offset 0
		.amdhsa_user_sgpr_private_segment_size 0
		.amdhsa_uses_dynamic_stack 0
		.amdhsa_system_sgpr_private_segment_wavefront_offset 0
		.amdhsa_system_sgpr_workgroup_id_x 1
		.amdhsa_system_sgpr_workgroup_id_y 0
		.amdhsa_system_sgpr_workgroup_id_z 0
		.amdhsa_system_sgpr_workgroup_info 0
		.amdhsa_system_vgpr_workitem_id 1
		.amdhsa_next_free_vgpr 32
		.amdhsa_next_free_sgpr 44
		.amdhsa_accum_offset 32
		.amdhsa_reserve_vcc 1
		.amdhsa_reserve_flat_scratch 0
		.amdhsa_float_round_mode_32 0
		.amdhsa_float_round_mode_16_64 0
		.amdhsa_float_denorm_mode_32 3
		.amdhsa_float_denorm_mode_16_64 3
		.amdhsa_dx10_clamp 1
		.amdhsa_ieee_mode 1
		.amdhsa_fp16_overflow 0
		.amdhsa_tg_split 0
		.amdhsa_exception_fp_ieee_invalid_op 0
		.amdhsa_exception_fp_denorm_src 0
		.amdhsa_exception_fp_ieee_div_zero 0
		.amdhsa_exception_fp_ieee_overflow 0
		.amdhsa_exception_fp_ieee_underflow 0
		.amdhsa_exception_fp_ieee_inexact 0
		.amdhsa_exception_int_div_zero 0
	.end_amdhsa_kernel
	.section	.text._ZN12_GLOBAL__N_120softmax_warp_forwardIN3c108BFloat16ES2_fLi10ELb0ELb0ELi64EEEvPT0_PKT_iiiPKbib,"axG",@progbits,_ZN12_GLOBAL__N_120softmax_warp_forwardIN3c108BFloat16ES2_fLi10ELb0ELb0ELi64EEEvPT0_PKT_iiiPKbib,comdat
.Lfunc_end478:
	.size	_ZN12_GLOBAL__N_120softmax_warp_forwardIN3c108BFloat16ES2_fLi10ELb0ELb0ELi64EEEvPT0_PKT_iiiPKbib, .Lfunc_end478-_ZN12_GLOBAL__N_120softmax_warp_forwardIN3c108BFloat16ES2_fLi10ELb0ELb0ELi64EEEvPT0_PKT_iiiPKbib
                                        ; -- End function
	.section	.AMDGPU.csdata,"",@progbits
; Kernel info:
; codeLenInByte = 5552
; NumSgprs: 48
; NumVgprs: 32
; NumAgprs: 0
; TotalNumVgprs: 32
; ScratchSize: 0
; MemoryBound: 0
; FloatMode: 240
; IeeeMode: 1
; LDSByteSize: 0 bytes/workgroup (compile time only)
; SGPRBlocks: 5
; VGPRBlocks: 3
; NumSGPRsForWavesPerEU: 48
; NumVGPRsForWavesPerEU: 32
; AccumOffset: 32
; Occupancy: 8
; WaveLimiterHint : 0
; COMPUTE_PGM_RSRC2:SCRATCH_EN: 0
; COMPUTE_PGM_RSRC2:USER_SGPR: 6
; COMPUTE_PGM_RSRC2:TRAP_HANDLER: 0
; COMPUTE_PGM_RSRC2:TGID_X_EN: 1
; COMPUTE_PGM_RSRC2:TGID_Y_EN: 0
; COMPUTE_PGM_RSRC2:TGID_Z_EN: 0
; COMPUTE_PGM_RSRC2:TIDIG_COMP_CNT: 1
; COMPUTE_PGM_RSRC3_GFX90A:ACCUM_OFFSET: 7
; COMPUTE_PGM_RSRC3_GFX90A:TG_SPLIT: 0
	.section	.text._ZN12_GLOBAL__N_120softmax_warp_forwardIN3c108BFloat16ES2_fLi10ELb0ELb0ELi32EEEvPT0_PKT_iiiPKbib,"axG",@progbits,_ZN12_GLOBAL__N_120softmax_warp_forwardIN3c108BFloat16ES2_fLi10ELb0ELb0ELi32EEEvPT0_PKT_iiiPKbib,comdat
	.globl	_ZN12_GLOBAL__N_120softmax_warp_forwardIN3c108BFloat16ES2_fLi10ELb0ELb0ELi32EEEvPT0_PKT_iiiPKbib ; -- Begin function _ZN12_GLOBAL__N_120softmax_warp_forwardIN3c108BFloat16ES2_fLi10ELb0ELb0ELi32EEEvPT0_PKT_iiiPKbib
	.p2align	8
	.type	_ZN12_GLOBAL__N_120softmax_warp_forwardIN3c108BFloat16ES2_fLi10ELb0ELb0ELi32EEEvPT0_PKT_iiiPKbib,@function
_ZN12_GLOBAL__N_120softmax_warp_forwardIN3c108BFloat16ES2_fLi10ELb0ELb0ELi32EEEvPT0_PKT_iiiPKbib: ; @_ZN12_GLOBAL__N_120softmax_warp_forwardIN3c108BFloat16ES2_fLi10ELb0ELb0ELi32EEEvPT0_PKT_iiiPKbib
; %bb.0:
	s_load_dword s0, s[4:5], 0x3c
	s_load_dwordx8 s[68:75], s[4:5], 0x0
	v_bfe_u32 v1, v0, 10, 10
	v_and_b32_e32 v4, 0x3ff, v0
	v_mov_b32_e32 v27, 0xff800000
	s_waitcnt lgkmcnt(0)
	s_lshr_b32 s0, s0, 16
	s_mul_i32 s6, s6, s0
	v_add_u32_e32 v1, s6, v1
	v_sub_u32_e32 v9, s72, v1
	v_mad_u64_u32 v[0:1], s[0:1], v1, s73, v[4:5]
	v_ashrrev_i32_e32 v1, 31, v0
	v_lshlrev_b64 v[0:1], 1, v[0:1]
	v_mov_b32_e32 v3, s71
	v_add_co_u32_e32 v2, vcc, s70, v0
	v_addc_co_u32_e32 v3, vcc, v3, v1, vcc
	v_cmp_lt_i32_e64 s[56:57], 0, v9
	v_cmp_gt_i32_e32 vcc, s74, v4
	s_and_b64 s[2:3], s[56:57], vcc
	v_mov_b32_e32 v33, 0xff800000
	s_and_saveexec_b64 s[0:1], s[2:3]
	s_cbranch_execz .LBB479_2
; %bb.1:
	global_load_ushort v5, v[2:3], off
	s_waitcnt vmcnt(0)
	v_lshlrev_b32_e32 v33, 16, v5
.LBB479_2:
	s_or_b64 exec, exec, s[0:1]
	v_add_u32_e32 v5, 32, v4
	v_cmp_gt_i32_e64 s[64:65], s74, v5
	s_and_b64 s[2:3], s[56:57], s[64:65]
	s_and_saveexec_b64 s[0:1], s[2:3]
	s_cbranch_execz .LBB479_4
; %bb.3:
	global_load_ushort v5, v[2:3], off offset:64
	s_waitcnt vmcnt(0)
	v_lshlrev_b32_e32 v27, 16, v5
.LBB479_4:
	s_or_b64 exec, exec, s[0:1]
	v_add_u32_e32 v5, 64, v4
	v_cmp_gt_i32_e64 s[62:63], s74, v5
	s_and_b64 s[2:3], s[56:57], s[62:63]
	v_mov_b32_e32 v25, 0xff800000
	v_mov_b32_e32 v31, 0xff800000
	s_and_saveexec_b64 s[0:1], s[2:3]
	s_cbranch_execz .LBB479_6
; %bb.5:
	global_load_ushort v5, v[2:3], off offset:128
	s_waitcnt vmcnt(0)
	v_lshlrev_b32_e32 v31, 16, v5
.LBB479_6:
	s_or_b64 exec, exec, s[0:1]
	v_add_u32_e32 v5, 0x60, v4
	v_cmp_gt_i32_e64 s[60:61], s74, v5
	s_and_b64 s[2:3], s[56:57], s[60:61]
	s_and_saveexec_b64 s[0:1], s[2:3]
	s_cbranch_execz .LBB479_8
; %bb.7:
	global_load_ushort v5, v[2:3], off offset:192
	s_waitcnt vmcnt(0)
	v_lshlrev_b32_e32 v25, 16, v5
.LBB479_8:
	s_or_b64 exec, exec, s[0:1]
	v_add_u32_e32 v5, 0x80, v4
	v_cmp_gt_i32_e64 s[58:59], s74, v5
	s_and_b64 s[2:3], s[56:57], s[58:59]
	v_mov_b32_e32 v23, 0xff800000
	v_mov_b32_e32 v30, 0xff800000
	s_and_saveexec_b64 s[0:1], s[2:3]
	s_cbranch_execz .LBB479_10
; %bb.9:
	global_load_ushort v5, v[2:3], off offset:256
	s_waitcnt vmcnt(0)
	v_lshlrev_b32_e32 v30, 16, v5
.LBB479_10:
	;; [unrolled: 24-line block ×15, first 2 shown]
	s_or_b64 exec, exec, s[0:1]
	v_add_u32_e32 v4, 0x3e0, v4
	v_cmp_gt_i32_e64 s[0:1], s74, v4
	s_and_b64 s[66:67], s[56:57], s[0:1]
	s_and_saveexec_b64 s[56:57], s[66:67]
	s_cbranch_execz .LBB479_64
; %bb.63:
	global_load_ushort v2, v[2:3], off offset:1984
	s_waitcnt vmcnt(0)
	v_lshlrev_b32_e32 v32, 16, v2
.LBB479_64:
	s_or_b64 exec, exec, s[56:57]
	v_cmp_gt_f32_e64 s[56:57], v33, v27
	v_cndmask_b32_e64 v2, v27, v33, s[56:57]
	v_cmp_gt_f32_e64 s[56:57], v2, v31
	v_cndmask_b32_e64 v2, v31, v2, s[56:57]
	;; [unrolled: 2-line block ×29, first 2 shown]
	v_mbcnt_lo_u32_b32 v3, -1, 0
	v_cmp_gt_f32_e64 s[56:57], v2, v34
	v_mbcnt_hi_u32_b32 v4, -1, v3
	v_cndmask_b32_e64 v2, v34, v2, s[56:57]
	v_and_b32_e32 v3, 0x60, v4
	v_cmp_gt_f32_e64 s[56:57], v2, v32
	v_add_u32_e32 v38, 32, v3
	v_xor_b32_e32 v3, 16, v4
	v_cndmask_b32_e64 v2, v32, v2, s[56:57]
	v_cmp_lt_i32_e64 s[56:57], v3, v38
	v_cndmask_b32_e64 v3, v4, v3, s[56:57]
	v_lshlrev_b32_e32 v3, 2, v3
	ds_bpermute_b32 v39, v3, v2
	s_mov_b32 s66, 0x3fb8aa3b
	s_mov_b32 s33, 0xc2ce8ed0
	;; [unrolled: 1-line block ×3, first 2 shown]
	v_mov_b32_e32 v45, 0x7f800000
	s_waitcnt lgkmcnt(0)
	v_cmp_lt_f32_e64 s[56:57], v2, v39
	v_cndmask_b32_e64 v2, v2, v39, s[56:57]
	v_xor_b32_e32 v39, 8, v4
	v_cmp_lt_i32_e64 s[56:57], v39, v38
	v_cndmask_b32_e64 v39, v4, v39, s[56:57]
	v_lshlrev_b32_e32 v40, 2, v39
	ds_bpermute_b32 v39, v40, v2
	s_waitcnt lgkmcnt(0)
	v_cmp_lt_f32_e64 s[56:57], v2, v39
	v_cndmask_b32_e64 v2, v2, v39, s[56:57]
	v_xor_b32_e32 v39, 4, v4
	v_cmp_lt_i32_e64 s[56:57], v39, v38
	v_cndmask_b32_e64 v39, v4, v39, s[56:57]
	v_lshlrev_b32_e32 v41, 2, v39
	ds_bpermute_b32 v39, v41, v2
	;; [unrolled: 8-line block ×4, first 2 shown]
	s_waitcnt lgkmcnt(0)
	v_cmp_lt_f32_e64 s[56:57], v2, v4
	v_cndmask_b32_e64 v2, v2, v4, s[56:57]
	v_sub_f32_e32 v4, v33, v2
	v_mul_f32_e32 v33, 0x3fb8aa3b, v4
	v_fma_f32 v38, v4, s66, -v33
	v_rndne_f32_e32 v39, v33
	v_fmac_f32_e32 v38, 0x32a5705f, v4
	v_sub_f32_e32 v33, v33, v39
	v_add_f32_e32 v33, v33, v38
	v_exp_f32_e32 v33, v33
	v_cvt_i32_f32_e32 v38, v39
	v_sub_f32_e32 v27, v27, v2
	v_cmp_ngt_f32_e64 s[56:57], s33, v4
	v_sub_f32_e32 v31, v31, v2
	v_ldexp_f32 v33, v33, v38
	v_mul_f32_e32 v38, 0x3fb8aa3b, v27
	v_fma_f32 v39, v27, s66, -v38
	v_rndne_f32_e32 v43, v38
	v_fmac_f32_e32 v39, 0x32a5705f, v27
	v_sub_f32_e32 v38, v38, v43
	v_add_f32_e32 v38, v38, v39
	v_exp_f32_e32 v38, v38
	v_cvt_i32_f32_e32 v39, v43
	v_cndmask_b32_e64 v33, 0, v33, s[56:57]
	v_cmp_nlt_f32_e64 s[56:57], s67, v4
	v_cndmask_b32_e64 v43, v45, v33, s[56:57]
	v_mul_f32_e32 v33, 0x3fb8aa3b, v31
	v_ldexp_f32 v4, v38, v39
	v_fma_f32 v38, v31, s66, -v33
	v_rndne_f32_e32 v39, v33
	v_fmac_f32_e32 v38, 0x32a5705f, v31
	v_sub_f32_e32 v33, v33, v39
	v_add_f32_e32 v33, v33, v38
	v_exp_f32_e32 v33, v33
	v_cvt_i32_f32_e32 v38, v39
	v_cmp_ngt_f32_e64 s[56:57], s33, v27
	v_sub_f32_e32 v25, v25, v2
	v_cndmask_b32_e64 v4, 0, v4, s[56:57]
	v_cmp_nlt_f32_e64 s[56:57], s67, v27
	v_ldexp_f32 v27, v33, v38
	v_mul_f32_e32 v33, 0x3fb8aa3b, v25
	v_fma_f32 v38, v25, s66, -v33
	v_rndne_f32_e32 v46, v33
	v_fmac_f32_e32 v38, 0x32a5705f, v25
	v_sub_f32_e32 v33, v33, v46
	v_add_f32_e32 v33, v33, v38
	v_exp_f32_e32 v33, v33
	v_cvt_i32_f32_e32 v46, v46
	v_cndmask_b32_e64 v39, v45, v4, s[56:57]
	v_cmp_ngt_f32_e64 s[56:57], s33, v31
	v_sub_f32_e32 v30, v30, v2
	v_cndmask_b32_e64 v27, 0, v27, s[56:57]
	v_cmp_nlt_f32_e64 s[56:57], s67, v31
	v_mul_f32_e32 v31, 0x3fb8aa3b, v30
	v_cndmask_b32_e64 v38, v45, v27, s[56:57]
	v_ldexp_f32 v27, v33, v46
	v_fma_f32 v33, v30, s66, -v31
	v_rndne_f32_e32 v46, v31
	v_fmac_f32_e32 v33, 0x32a5705f, v30
	v_sub_f32_e32 v31, v31, v46
	v_add_f32_e32 v31, v31, v33
	v_exp_f32_e32 v31, v31
	v_cvt_i32_f32_e32 v46, v46
	v_cmp_ngt_f32_e64 s[56:57], s33, v25
	v_cndmask_b32_e64 v27, 0, v27, s[56:57]
	v_cmp_nlt_f32_e64 s[56:57], s67, v25
	v_sub_f32_e32 v23, v23, v2
	v_cndmask_b32_e64 v33, v45, v27, s[56:57]
	v_mul_f32_e32 v27, 0x3fb8aa3b, v23
	v_ldexp_f32 v25, v31, v46
	v_fma_f32 v31, v23, s66, -v27
	v_rndne_f32_e32 v46, v27
	v_fmac_f32_e32 v31, 0x32a5705f, v23
	v_sub_f32_e32 v27, v27, v46
	v_add_f32_e32 v27, v27, v31
	v_exp_f32_e32 v27, v27
	v_cvt_i32_f32_e32 v46, v46
	v_cmp_ngt_f32_e64 s[56:57], s33, v30
	v_cndmask_b32_e64 v25, 0, v25, s[56:57]
	v_cmp_nlt_f32_e64 s[56:57], s67, v30
	v_cndmask_b32_e64 v31, v45, v25, s[56:57]
	v_ldexp_f32 v25, v27, v46
	v_sub_f32_e32 v27, v29, v2
	v_mul_f32_e32 v29, 0x3fb8aa3b, v27
	v_fma_f32 v30, v27, s66, -v29
	v_rndne_f32_e32 v46, v29
	v_fmac_f32_e32 v30, 0x32a5705f, v27
	v_sub_f32_e32 v29, v29, v46
	v_add_f32_e32 v29, v29, v30
	v_exp_f32_e32 v29, v29
	v_cvt_i32_f32_e32 v46, v46
	v_cmp_ngt_f32_e64 s[56:57], s33, v23
	v_cndmask_b32_e64 v25, 0, v25, s[56:57]
	v_cmp_nlt_f32_e64 s[56:57], s67, v23
	v_sub_f32_e32 v21, v21, v2
	v_cndmask_b32_e64 v30, v45, v25, s[56:57]
	v_mul_f32_e32 v25, 0x3fb8aa3b, v21
	v_ldexp_f32 v23, v29, v46
	v_fma_f32 v29, v21, s66, -v25
	v_rndne_f32_e32 v46, v25
	v_fmac_f32_e32 v29, 0x32a5705f, v21
	v_sub_f32_e32 v25, v25, v46
	v_add_f32_e32 v25, v25, v29
	v_exp_f32_e32 v25, v25
	v_cvt_i32_f32_e32 v46, v46
	v_cmp_ngt_f32_e64 s[56:57], s33, v27
	v_cndmask_b32_e64 v23, 0, v23, s[56:57]
	v_cmp_nlt_f32_e64 s[56:57], s67, v27
	v_cndmask_b32_e64 v29, v45, v23, s[56:57]
	v_ldexp_f32 v23, v25, v46
	v_sub_f32_e32 v25, v28, v2
	v_mul_f32_e32 v27, 0x3fb8aa3b, v25
	v_fma_f32 v28, v25, s66, -v27
	v_rndne_f32_e32 v46, v27
	v_fmac_f32_e32 v28, 0x32a5705f, v25
	v_sub_f32_e32 v27, v27, v46
	v_add_f32_e32 v27, v27, v28
	v_exp_f32_e32 v27, v27
	v_cvt_i32_f32_e32 v46, v46
	v_cmp_ngt_f32_e64 s[56:57], s33, v21
	v_cndmask_b32_e64 v23, 0, v23, s[56:57]
	v_cmp_nlt_f32_e64 s[56:57], s67, v21
	v_sub_f32_e32 v19, v19, v2
	v_cndmask_b32_e64 v28, v45, v23, s[56:57]
	v_mul_f32_e32 v23, 0x3fb8aa3b, v19
	v_ldexp_f32 v21, v27, v46
	v_fma_f32 v27, v19, s66, -v23
	v_rndne_f32_e32 v46, v23
	v_fmac_f32_e32 v27, 0x32a5705f, v19
	v_sub_f32_e32 v23, v23, v46
	v_add_f32_e32 v23, v23, v27
	v_exp_f32_e32 v23, v23
	v_cvt_i32_f32_e32 v46, v46
	v_cmp_ngt_f32_e64 s[56:57], s33, v25
	v_cndmask_b32_e64 v21, 0, v21, s[56:57]
	v_cmp_nlt_f32_e64 s[56:57], s67, v25
	v_cndmask_b32_e64 v27, v45, v21, s[56:57]
	v_ldexp_f32 v21, v23, v46
	v_sub_f32_e32 v23, v26, v2
	v_mul_f32_e32 v25, 0x3fb8aa3b, v23
	v_fma_f32 v26, v23, s66, -v25
	v_rndne_f32_e32 v46, v25
	v_fmac_f32_e32 v26, 0x32a5705f, v23
	v_sub_f32_e32 v25, v25, v46
	v_add_f32_e32 v25, v25, v26
	v_exp_f32_e32 v25, v25
	v_cvt_i32_f32_e32 v46, v46
	v_cmp_ngt_f32_e64 s[56:57], s33, v19
	v_cndmask_b32_e64 v21, 0, v21, s[56:57]
	v_cmp_nlt_f32_e64 s[56:57], s67, v19
	v_sub_f32_e32 v17, v17, v2
	v_cndmask_b32_e64 v26, v45, v21, s[56:57]
	v_mul_f32_e32 v21, 0x3fb8aa3b, v17
	v_ldexp_f32 v19, v25, v46
	v_fma_f32 v25, v17, s66, -v21
	v_rndne_f32_e32 v46, v21
	v_fmac_f32_e32 v25, 0x32a5705f, v17
	v_sub_f32_e32 v21, v21, v46
	v_add_f32_e32 v21, v21, v25
	v_exp_f32_e32 v21, v21
	v_cvt_i32_f32_e32 v46, v46
	v_cmp_ngt_f32_e64 s[56:57], s33, v23
	v_cndmask_b32_e64 v19, 0, v19, s[56:57]
	v_cmp_nlt_f32_e64 s[56:57], s67, v23
	v_cndmask_b32_e64 v25, v45, v19, s[56:57]
	v_ldexp_f32 v19, v21, v46
	v_sub_f32_e32 v21, v24, v2
	v_mul_f32_e32 v23, 0x3fb8aa3b, v21
	v_fma_f32 v24, v21, s66, -v23
	v_rndne_f32_e32 v46, v23
	v_fmac_f32_e32 v24, 0x32a5705f, v21
	v_sub_f32_e32 v23, v23, v46
	v_add_f32_e32 v23, v23, v24
	v_exp_f32_e32 v23, v23
	v_cvt_i32_f32_e32 v46, v46
	v_cmp_ngt_f32_e64 s[56:57], s33, v17
	v_cndmask_b32_e64 v19, 0, v19, s[56:57]
	v_cmp_nlt_f32_e64 s[56:57], s67, v17
	v_sub_f32_e32 v15, v15, v2
	v_cndmask_b32_e64 v24, v45, v19, s[56:57]
	v_mul_f32_e32 v19, 0x3fb8aa3b, v15
	v_ldexp_f32 v17, v23, v46
	v_fma_f32 v23, v15, s66, -v19
	v_rndne_f32_e32 v46, v19
	v_fmac_f32_e32 v23, 0x32a5705f, v15
	v_sub_f32_e32 v19, v19, v46
	v_add_f32_e32 v19, v19, v23
	v_exp_f32_e32 v19, v19
	v_cvt_i32_f32_e32 v46, v46
	v_cmp_ngt_f32_e64 s[56:57], s33, v21
	v_cndmask_b32_e64 v17, 0, v17, s[56:57]
	v_cmp_nlt_f32_e64 s[56:57], s67, v21
	v_cndmask_b32_e64 v23, v45, v17, s[56:57]
	v_ldexp_f32 v17, v19, v46
	v_sub_f32_e32 v19, v22, v2
	v_mul_f32_e32 v21, 0x3fb8aa3b, v19
	v_fma_f32 v22, v19, s66, -v21
	v_rndne_f32_e32 v46, v21
	v_fmac_f32_e32 v22, 0x32a5705f, v19
	v_sub_f32_e32 v21, v21, v46
	v_add_f32_e32 v21, v21, v22
	v_exp_f32_e32 v21, v21
	v_cvt_i32_f32_e32 v46, v46
	v_cmp_ngt_f32_e64 s[56:57], s33, v15
	v_cndmask_b32_e64 v17, 0, v17, s[56:57]
	v_cmp_nlt_f32_e64 s[56:57], s67, v15
	v_sub_f32_e32 v13, v13, v2
	v_cndmask_b32_e64 v22, v45, v17, s[56:57]
	v_mul_f32_e32 v17, 0x3fb8aa3b, v13
	v_ldexp_f32 v15, v21, v46
	v_fma_f32 v21, v13, s66, -v17
	v_rndne_f32_e32 v46, v17
	v_fmac_f32_e32 v21, 0x32a5705f, v13
	v_sub_f32_e32 v17, v17, v46
	v_add_f32_e32 v17, v17, v21
	v_exp_f32_e32 v17, v17
	v_cvt_i32_f32_e32 v46, v46
	v_cmp_ngt_f32_e64 s[56:57], s33, v19
	v_cndmask_b32_e64 v15, 0, v15, s[56:57]
	v_cmp_nlt_f32_e64 s[56:57], s67, v19
	v_cndmask_b32_e64 v21, v45, v15, s[56:57]
	v_ldexp_f32 v15, v17, v46
	v_sub_f32_e32 v17, v20, v2
	v_mul_f32_e32 v19, 0x3fb8aa3b, v17
	v_fma_f32 v20, v17, s66, -v19
	v_rndne_f32_e32 v46, v19
	v_fmac_f32_e32 v20, 0x32a5705f, v17
	v_sub_f32_e32 v19, v19, v46
	v_add_f32_e32 v19, v19, v20
	v_exp_f32_e32 v19, v19
	v_cvt_i32_f32_e32 v46, v46
	v_cmp_ngt_f32_e64 s[56:57], s33, v13
	v_cndmask_b32_e64 v15, 0, v15, s[56:57]
	v_cmp_nlt_f32_e64 s[56:57], s67, v13
	v_sub_f32_e32 v12, v12, v2
	v_cndmask_b32_e64 v20, v45, v15, s[56:57]
	v_mul_f32_e32 v15, 0x3fb8aa3b, v12
	v_ldexp_f32 v13, v19, v46
	v_fma_f32 v19, v12, s66, -v15
	v_rndne_f32_e32 v46, v15
	v_fmac_f32_e32 v19, 0x32a5705f, v12
	v_sub_f32_e32 v15, v15, v46
	v_add_f32_e32 v15, v15, v19
	v_exp_f32_e32 v15, v15
	v_cvt_i32_f32_e32 v46, v46
	v_cmp_ngt_f32_e64 s[56:57], s33, v17
	v_cndmask_b32_e64 v13, 0, v13, s[56:57]
	v_cmp_nlt_f32_e64 s[56:57], s67, v17
	v_cndmask_b32_e64 v19, v45, v13, s[56:57]
	v_ldexp_f32 v13, v15, v46
	v_sub_f32_e32 v15, v18, v2
	v_mul_f32_e32 v17, 0x3fb8aa3b, v15
	v_fma_f32 v18, v15, s66, -v17
	v_rndne_f32_e32 v46, v17
	v_fmac_f32_e32 v18, 0x32a5705f, v15
	v_sub_f32_e32 v17, v17, v46
	v_add_f32_e32 v17, v17, v18
	v_exp_f32_e32 v17, v17
	v_cvt_i32_f32_e32 v46, v46
	v_cmp_ngt_f32_e64 s[56:57], s33, v12
	v_cndmask_b32_e64 v13, 0, v13, s[56:57]
	v_cmp_nlt_f32_e64 s[56:57], s67, v12
	v_sub_f32_e32 v11, v11, v2
	v_cndmask_b32_e64 v18, v45, v13, s[56:57]
	v_mul_f32_e32 v13, 0x3fb8aa3b, v11
	v_ldexp_f32 v12, v17, v46
	v_fma_f32 v17, v11, s66, -v13
	v_rndne_f32_e32 v46, v13
	v_fmac_f32_e32 v17, 0x32a5705f, v11
	v_sub_f32_e32 v13, v13, v46
	v_add_f32_e32 v13, v13, v17
	v_exp_f32_e32 v13, v13
	v_cvt_i32_f32_e32 v46, v46
	v_cmp_ngt_f32_e64 s[56:57], s33, v15
	v_cndmask_b32_e64 v12, 0, v12, s[56:57]
	v_cmp_nlt_f32_e64 s[56:57], s67, v15
	v_cndmask_b32_e64 v17, v45, v12, s[56:57]
	v_ldexp_f32 v12, v13, v46
	v_sub_f32_e32 v13, v16, v2
	v_mul_f32_e32 v15, 0x3fb8aa3b, v13
	v_fma_f32 v16, v13, s66, -v15
	v_rndne_f32_e32 v46, v15
	v_fmac_f32_e32 v16, 0x32a5705f, v13
	v_sub_f32_e32 v15, v15, v46
	v_add_f32_e32 v15, v15, v16
	v_exp_f32_e32 v15, v15
	v_cvt_i32_f32_e32 v46, v46
	v_cmp_ngt_f32_e64 s[56:57], s33, v11
	v_cndmask_b32_e64 v12, 0, v12, s[56:57]
	v_cmp_nlt_f32_e64 s[56:57], s67, v11
	v_sub_f32_e32 v10, v10, v2
	v_cndmask_b32_e64 v16, v45, v12, s[56:57]
	v_mul_f32_e32 v12, 0x3fb8aa3b, v10
	v_ldexp_f32 v11, v15, v46
	v_fma_f32 v15, v10, s66, -v12
	v_rndne_f32_e32 v46, v12
	v_fmac_f32_e32 v15, 0x32a5705f, v10
	v_sub_f32_e32 v12, v12, v46
	v_add_f32_e32 v12, v12, v15
	v_exp_f32_e32 v12, v12
	v_cvt_i32_f32_e32 v46, v46
	v_cmp_ngt_f32_e64 s[56:57], s33, v13
	v_cndmask_b32_e64 v11, 0, v11, s[56:57]
	v_cmp_nlt_f32_e64 s[56:57], s67, v13
	v_cndmask_b32_e64 v15, v45, v11, s[56:57]
	v_ldexp_f32 v11, v12, v46
	v_sub_f32_e32 v12, v14, v2
	v_mul_f32_e32 v13, 0x3fb8aa3b, v12
	v_fma_f32 v14, v12, s66, -v13
	v_rndne_f32_e32 v46, v13
	v_fmac_f32_e32 v14, 0x32a5705f, v12
	v_sub_f32_e32 v13, v13, v46
	v_add_f32_e32 v13, v13, v14
	v_exp_f32_e32 v13, v13
	v_cvt_i32_f32_e32 v46, v46
	v_cmp_ngt_f32_e64 s[56:57], s33, v10
	v_cndmask_b32_e64 v11, 0, v11, s[56:57]
	v_cmp_nlt_f32_e64 s[56:57], s67, v10
	v_sub_f32_e32 v8, v8, v2
	v_cndmask_b32_e64 v14, v45, v11, s[56:57]
	v_mul_f32_e32 v11, 0x3fb8aa3b, v8
	v_ldexp_f32 v10, v13, v46
	v_fma_f32 v13, v8, s66, -v11
	v_rndne_f32_e32 v46, v11
	v_fmac_f32_e32 v13, 0x32a5705f, v8
	v_sub_f32_e32 v11, v11, v46
	v_add_f32_e32 v11, v11, v13
	v_exp_f32_e32 v11, v11
	v_cvt_i32_f32_e32 v46, v46
	v_cmp_ngt_f32_e64 s[56:57], s33, v12
	v_cndmask_b32_e64 v10, 0, v10, s[56:57]
	v_cmp_nlt_f32_e64 s[56:57], s67, v12
	v_cndmask_b32_e64 v13, v45, v10, s[56:57]
	v_ldexp_f32 v10, v11, v46
	v_sub_f32_e32 v11, v37, v2
	v_mul_f32_e32 v12, 0x3fb8aa3b, v11
	v_fma_f32 v37, v11, s66, -v12
	v_rndne_f32_e32 v46, v12
	v_fmac_f32_e32 v37, 0x32a5705f, v11
	v_sub_f32_e32 v12, v12, v46
	v_add_f32_e32 v12, v12, v37
	v_exp_f32_e32 v37, v12
	v_cvt_i32_f32_e32 v46, v46
	v_cmp_ngt_f32_e64 s[56:57], s33, v8
	v_cndmask_b32_e64 v10, 0, v10, s[56:57]
	v_cmp_nlt_f32_e64 s[56:57], s67, v8
	v_sub_f32_e32 v7, v7, v2
	v_cndmask_b32_e64 v12, v45, v10, s[56:57]
	v_mul_f32_e32 v10, 0x3fb8aa3b, v7
	v_ldexp_f32 v8, v37, v46
	v_fma_f32 v37, v7, s66, -v10
	v_rndne_f32_e32 v46, v10
	v_fmac_f32_e32 v37, 0x32a5705f, v7
	v_sub_f32_e32 v10, v10, v46
	v_add_f32_e32 v10, v10, v37
	v_exp_f32_e32 v10, v10
	v_cvt_i32_f32_e32 v37, v46
	v_cmp_ngt_f32_e64 s[56:57], s33, v11
	v_cndmask_b32_e64 v8, 0, v8, s[56:57]
	v_cmp_nlt_f32_e64 s[56:57], s67, v11
	v_sub_f32_e32 v36, v36, v2
	v_cndmask_b32_e64 v11, v45, v8, s[56:57]
	v_ldexp_f32 v8, v10, v37
	v_mul_f32_e32 v10, 0x3fb8aa3b, v36
	v_fma_f32 v37, v36, s66, -v10
	v_rndne_f32_e32 v46, v10
	v_fmac_f32_e32 v37, 0x32a5705f, v36
	v_sub_f32_e32 v10, v10, v46
	v_add_f32_e32 v10, v10, v37
	v_exp_f32_e32 v37, v10
	v_cvt_i32_f32_e32 v46, v46
	v_cmp_ngt_f32_e64 s[56:57], s33, v7
	v_cndmask_b32_e64 v8, 0, v8, s[56:57]
	v_cmp_nlt_f32_e64 s[56:57], s67, v7
	v_sub_f32_e32 v6, v6, v2
	v_cndmask_b32_e64 v10, v45, v8, s[56:57]
	v_mul_f32_e32 v8, 0x3fb8aa3b, v6
	v_ldexp_f32 v7, v37, v46
	v_fma_f32 v37, v6, s66, -v8
	v_rndne_f32_e32 v46, v8
	v_fmac_f32_e32 v37, 0x32a5705f, v6
	v_sub_f32_e32 v8, v8, v46
	v_add_f32_e32 v4, v43, v39
	v_add_f32_e32 v8, v8, v37
	;; [unrolled: 1-line block ×3, first 2 shown]
	v_exp_f32_e32 v37, v8
	v_cvt_i32_f32_e32 v46, v46
	v_add_f32_e32 v4, v4, v33
	v_add_f32_e32 v4, v4, v31
	v_cmp_ngt_f32_e64 s[56:57], s33, v36
	v_sub_f32_e32 v35, v35, v2
	v_add_f32_e32 v4, v4, v30
	v_cndmask_b32_e64 v7, 0, v7, s[56:57]
	v_cmp_nlt_f32_e64 s[56:57], s67, v36
	v_mul_f32_e32 v36, 0x3fb8aa3b, v35
	v_add_f32_e32 v4, v4, v29
	v_cndmask_b32_e64 v8, v45, v7, s[56:57]
	v_ldexp_f32 v7, v37, v46
	v_fma_f32 v37, v35, s66, -v36
	v_rndne_f32_e32 v46, v36
	v_add_f32_e32 v4, v4, v28
	v_fmac_f32_e32 v37, 0x32a5705f, v35
	v_sub_f32_e32 v36, v36, v46
	v_add_f32_e32 v4, v4, v27
	v_add_f32_e32 v36, v36, v37
	;; [unrolled: 1-line block ×3, first 2 shown]
	v_exp_f32_e32 v36, v36
	v_cvt_i32_f32_e32 v37, v46
	v_add_f32_e32 v4, v4, v25
	v_add_f32_e32 v4, v4, v24
	;; [unrolled: 1-line block ×3, first 2 shown]
	v_cmp_ngt_f32_e64 s[56:57], s33, v6
	v_sub_f32_e32 v5, v5, v2
	v_add_f32_e32 v4, v4, v22
	v_cndmask_b32_e64 v7, 0, v7, s[56:57]
	v_cmp_nlt_f32_e64 s[56:57], s67, v6
	v_ldexp_f32 v6, v36, v37
	v_mul_f32_e32 v36, 0x3fb8aa3b, v5
	v_add_f32_e32 v4, v4, v21
	v_fma_f32 v37, v5, s66, -v36
	v_rndne_f32_e32 v46, v36
	v_add_f32_e32 v4, v4, v20
	v_fmac_f32_e32 v37, 0x32a5705f, v5
	v_sub_f32_e32 v36, v36, v46
	v_add_f32_e32 v4, v4, v19
	v_add_f32_e32 v36, v36, v37
	v_add_f32_e32 v4, v4, v18
	v_exp_f32_e32 v36, v36
	v_cvt_i32_f32_e32 v37, v46
	v_add_f32_e32 v4, v4, v17
	v_add_f32_e32 v4, v4, v16
	;; [unrolled: 1-line block ×3, first 2 shown]
	v_cndmask_b32_e64 v7, v45, v7, s[56:57]
	v_cmp_ngt_f32_e64 s[56:57], s33, v35
	v_sub_f32_e32 v34, v34, v2
	v_add_f32_e32 v4, v4, v14
	v_cndmask_b32_e64 v6, 0, v6, s[56:57]
	v_cmp_nlt_f32_e64 s[56:57], s67, v35
	v_ldexp_f32 v35, v36, v37
	v_mul_f32_e32 v36, 0x3fb8aa3b, v34
	v_add_f32_e32 v4, v4, v13
	v_fma_f32 v37, v34, s66, -v36
	v_rndne_f32_e32 v46, v36
	v_add_f32_e32 v4, v4, v12
	v_fmac_f32_e32 v37, 0x32a5705f, v34
	v_sub_f32_e32 v36, v36, v46
	v_add_f32_e32 v4, v4, v11
	v_add_f32_e32 v36, v36, v37
	;; [unrolled: 1-line block ×3, first 2 shown]
	v_exp_f32_e32 v36, v36
	v_cvt_i32_f32_e32 v37, v46
	v_add_f32_e32 v4, v4, v8
	v_cndmask_b32_e64 v6, v45, v6, s[56:57]
	v_cmp_ngt_f32_e64 s[56:57], s33, v5
	v_add_f32_e32 v4, v4, v7
	v_cndmask_b32_e64 v35, 0, v35, s[56:57]
	v_cmp_nlt_f32_e64 s[56:57], s67, v5
	v_sub_f32_e32 v2, v32, v2
	v_add_f32_e32 v4, v4, v6
	v_cndmask_b32_e64 v5, v45, v35, s[56:57]
	v_mul_f32_e32 v32, 0x3fb8aa3b, v2
	v_add_f32_e32 v35, v4, v5
	v_ldexp_f32 v4, v36, v37
	v_fma_f32 v36, v2, s66, -v32
	v_rndne_f32_e32 v37, v32
	v_fmac_f32_e32 v36, 0x32a5705f, v2
	v_sub_f32_e32 v32, v32, v37
	v_add_f32_e32 v32, v32, v36
	v_exp_f32_e32 v32, v32
	v_cvt_i32_f32_e32 v36, v37
	v_cmp_ngt_f32_e64 s[56:57], s33, v34
	v_cndmask_b32_e64 v4, 0, v4, s[56:57]
	v_cmp_nlt_f32_e64 s[56:57], s67, v34
	v_cndmask_b32_e64 v4, v45, v4, s[56:57]
	v_ldexp_f32 v32, v32, v36
	v_cmp_ngt_f32_e64 s[56:57], s33, v2
	v_cndmask_b32_e64 v32, 0, v32, s[56:57]
	v_cmp_nlt_f32_e64 s[56:57], s67, v2
	v_add_f32_e32 v34, v35, v4
	v_cndmask_b32_e64 v2, v45, v32, s[56:57]
	v_add_f32_e32 v32, v34, v2
	ds_bpermute_b32 v3, v3, v32
	v_cmp_lt_i32_e64 s[56:57], 0, v9
	s_waitcnt lgkmcnt(0)
	v_add_f32_e32 v3, v32, v3
	ds_bpermute_b32 v32, v40, v3
	s_waitcnt lgkmcnt(0)
	v_add_f32_e32 v3, v3, v32
	ds_bpermute_b32 v32, v41, v3
	;; [unrolled: 3-line block ×4, first 2 shown]
	s_and_saveexec_b64 s[66:67], s[56:57]
	s_cbranch_execz .LBB479_162
; %bb.65:
	s_and_b64 exec, exec, vcc
	s_cbranch_execz .LBB479_162
; %bb.66:
	s_waitcnt lgkmcnt(0)
	v_add_f32_e32 v3, v3, v32
	v_cmp_neq_f32_e64 s[56:57], 0, v3
	v_mov_b32_e32 v9, 0x7fc0
	s_and_saveexec_b64 s[66:67], s[56:57]
	s_cbranch_execz .LBB479_68
; %bb.67:
	v_div_scale_f32 v9, s[70:71], v3, v3, v43
	v_rcp_f32_e32 v32, v9
	v_div_scale_f32 v34, vcc, v43, v3, v43
	s_movk_i32 s33, 0x7fff
	v_fma_f32 v35, -v9, v32, 1.0
	v_fmac_f32_e32 v32, v35, v32
	v_mul_f32_e32 v35, v34, v32
	v_fma_f32 v36, -v9, v35, v34
	v_fmac_f32_e32 v35, v36, v32
	v_fma_f32 v9, -v9, v35, v34
	v_div_fmas_f32 v9, v9, v32, v35
	v_div_fixup_f32 v9, v9, v3, v43
	v_bfe_u32 v32, v9, 16, 1
	v_add3_u32 v32, v9, v32, s33
	v_lshrrev_b32_e32 v32, 16, v32
	v_mov_b32_e32 v34, 0x7fc0
	v_cmp_o_f32_e32 vcc, v9, v9
	v_cndmask_b32_e32 v9, v34, v32, vcc
.LBB479_68:
	s_or_b64 exec, exec, s[66:67]
	v_mov_b32_e32 v32, s69
	v_add_co_u32_e32 v0, vcc, s68, v0
	v_addc_co_u32_e32 v1, vcc, v32, v1, vcc
	global_store_short v[0:1], v9, off
	s_and_b64 exec, exec, s[64:65]
	s_cbranch_execz .LBB479_162
; %bb.69:
	v_mov_b32_e32 v9, 0x7fc0
	s_and_saveexec_b64 s[64:65], s[56:57]
	s_cbranch_execz .LBB479_71
; %bb.70:
	v_div_scale_f32 v9, s[66:67], v3, v3, v39
	v_rcp_f32_e32 v32, v9
	v_div_scale_f32 v34, vcc, v39, v3, v39
	s_movk_i32 s33, 0x7fff
	v_fma_f32 v35, -v9, v32, 1.0
	v_fmac_f32_e32 v32, v35, v32
	v_mul_f32_e32 v35, v34, v32
	v_fma_f32 v36, -v9, v35, v34
	v_fmac_f32_e32 v35, v36, v32
	v_fma_f32 v9, -v9, v35, v34
	v_div_fmas_f32 v9, v9, v32, v35
	v_div_fixup_f32 v9, v9, v3, v39
	v_bfe_u32 v32, v9, 16, 1
	v_add3_u32 v32, v9, v32, s33
	v_lshrrev_b32_e32 v32, 16, v32
	v_mov_b32_e32 v34, 0x7fc0
	v_cmp_o_f32_e32 vcc, v9, v9
	v_cndmask_b32_e32 v9, v34, v32, vcc
.LBB479_71:
	s_or_b64 exec, exec, s[64:65]
	global_store_short v[0:1], v9, off offset:64
	s_and_b64 exec, exec, s[62:63]
	s_cbranch_execz .LBB479_162
; %bb.72:
	v_mov_b32_e32 v9, 0x7fc0
	s_and_saveexec_b64 s[62:63], s[56:57]
	s_cbranch_execz .LBB479_74
; %bb.73:
	v_div_scale_f32 v9, s[64:65], v3, v3, v38
	v_rcp_f32_e32 v32, v9
	v_div_scale_f32 v34, vcc, v38, v3, v38
	s_movk_i32 s33, 0x7fff
	v_fma_f32 v35, -v9, v32, 1.0
	v_fmac_f32_e32 v32, v35, v32
	v_mul_f32_e32 v35, v34, v32
	v_fma_f32 v36, -v9, v35, v34
	v_fmac_f32_e32 v35, v36, v32
	v_fma_f32 v9, -v9, v35, v34
	v_div_fmas_f32 v9, v9, v32, v35
	v_div_fixup_f32 v9, v9, v3, v38
	v_bfe_u32 v32, v9, 16, 1
	v_add3_u32 v32, v9, v32, s33
	v_lshrrev_b32_e32 v32, 16, v32
	v_mov_b32_e32 v34, 0x7fc0
	v_cmp_o_f32_e32 vcc, v9, v9
	v_cndmask_b32_e32 v9, v34, v32, vcc
.LBB479_74:
	s_or_b64 exec, exec, s[62:63]
	global_store_short v[0:1], v9, off offset:128
	;; [unrolled: 28-line block ×31, first 2 shown]
.LBB479_162:
	s_endpgm
	.section	.rodata,"a",@progbits
	.p2align	6, 0x0
	.amdhsa_kernel _ZN12_GLOBAL__N_120softmax_warp_forwardIN3c108BFloat16ES2_fLi10ELb0ELb0ELi32EEEvPT0_PKT_iiiPKbib
		.amdhsa_group_segment_fixed_size 0
		.amdhsa_private_segment_fixed_size 0
		.amdhsa_kernarg_size 304
		.amdhsa_user_sgpr_count 6
		.amdhsa_user_sgpr_private_segment_buffer 1
		.amdhsa_user_sgpr_dispatch_ptr 0
		.amdhsa_user_sgpr_queue_ptr 0
		.amdhsa_user_sgpr_kernarg_segment_ptr 1
		.amdhsa_user_sgpr_dispatch_id 0
		.amdhsa_user_sgpr_flat_scratch_init 0
		.amdhsa_user_sgpr_kernarg_preload_length 0
		.amdhsa_user_sgpr_kernarg_preload_offset 0
		.amdhsa_user_sgpr_private_segment_size 0
		.amdhsa_uses_dynamic_stack 0
		.amdhsa_system_sgpr_private_segment_wavefront_offset 0
		.amdhsa_system_sgpr_workgroup_id_x 1
		.amdhsa_system_sgpr_workgroup_id_y 0
		.amdhsa_system_sgpr_workgroup_id_z 0
		.amdhsa_system_sgpr_workgroup_info 0
		.amdhsa_system_vgpr_workitem_id 1
		.amdhsa_next_free_vgpr 47
		.amdhsa_next_free_sgpr 76
		.amdhsa_accum_offset 48
		.amdhsa_reserve_vcc 1
		.amdhsa_reserve_flat_scratch 0
		.amdhsa_float_round_mode_32 0
		.amdhsa_float_round_mode_16_64 0
		.amdhsa_float_denorm_mode_32 3
		.amdhsa_float_denorm_mode_16_64 3
		.amdhsa_dx10_clamp 1
		.amdhsa_ieee_mode 1
		.amdhsa_fp16_overflow 0
		.amdhsa_tg_split 0
		.amdhsa_exception_fp_ieee_invalid_op 0
		.amdhsa_exception_fp_denorm_src 0
		.amdhsa_exception_fp_ieee_div_zero 0
		.amdhsa_exception_fp_ieee_overflow 0
		.amdhsa_exception_fp_ieee_underflow 0
		.amdhsa_exception_fp_ieee_inexact 0
		.amdhsa_exception_int_div_zero 0
	.end_amdhsa_kernel
	.section	.text._ZN12_GLOBAL__N_120softmax_warp_forwardIN3c108BFloat16ES2_fLi10ELb0ELb0ELi32EEEvPT0_PKT_iiiPKbib,"axG",@progbits,_ZN12_GLOBAL__N_120softmax_warp_forwardIN3c108BFloat16ES2_fLi10ELb0ELb0ELi32EEEvPT0_PKT_iiiPKbib,comdat
.Lfunc_end479:
	.size	_ZN12_GLOBAL__N_120softmax_warp_forwardIN3c108BFloat16ES2_fLi10ELb0ELb0ELi32EEEvPT0_PKT_iiiPKbib, .Lfunc_end479-_ZN12_GLOBAL__N_120softmax_warp_forwardIN3c108BFloat16ES2_fLi10ELb0ELb0ELi32EEEvPT0_PKT_iiiPKbib
                                        ; -- End function
	.section	.AMDGPU.csdata,"",@progbits
; Kernel info:
; codeLenInByte = 10476
; NumSgprs: 80
; NumVgprs: 47
; NumAgprs: 0
; TotalNumVgprs: 47
; ScratchSize: 0
; MemoryBound: 0
; FloatMode: 240
; IeeeMode: 1
; LDSByteSize: 0 bytes/workgroup (compile time only)
; SGPRBlocks: 9
; VGPRBlocks: 5
; NumSGPRsForWavesPerEU: 80
; NumVGPRsForWavesPerEU: 47
; AccumOffset: 48
; Occupancy: 8
; WaveLimiterHint : 0
; COMPUTE_PGM_RSRC2:SCRATCH_EN: 0
; COMPUTE_PGM_RSRC2:USER_SGPR: 6
; COMPUTE_PGM_RSRC2:TRAP_HANDLER: 0
; COMPUTE_PGM_RSRC2:TGID_X_EN: 1
; COMPUTE_PGM_RSRC2:TGID_Y_EN: 0
; COMPUTE_PGM_RSRC2:TGID_Z_EN: 0
; COMPUTE_PGM_RSRC2:TIDIG_COMP_CNT: 1
; COMPUTE_PGM_RSRC3_GFX90A:ACCUM_OFFSET: 11
; COMPUTE_PGM_RSRC3_GFX90A:TG_SPLIT: 0
	.section	.text._ZN12_GLOBAL__N_120softmax_warp_forwardIN3c108BFloat16ES2_fLi11ELb0ELb0ELi64EEEvPT0_PKT_iiiPKbib,"axG",@progbits,_ZN12_GLOBAL__N_120softmax_warp_forwardIN3c108BFloat16ES2_fLi11ELb0ELb0ELi64EEEvPT0_PKT_iiiPKbib,comdat
	.globl	_ZN12_GLOBAL__N_120softmax_warp_forwardIN3c108BFloat16ES2_fLi11ELb0ELb0ELi64EEEvPT0_PKT_iiiPKbib ; -- Begin function _ZN12_GLOBAL__N_120softmax_warp_forwardIN3c108BFloat16ES2_fLi11ELb0ELb0ELi64EEEvPT0_PKT_iiiPKbib
	.p2align	8
	.type	_ZN12_GLOBAL__N_120softmax_warp_forwardIN3c108BFloat16ES2_fLi11ELb0ELb0ELi64EEEvPT0_PKT_iiiPKbib,@function
_ZN12_GLOBAL__N_120softmax_warp_forwardIN3c108BFloat16ES2_fLi11ELb0ELb0ELi64EEEvPT0_PKT_iiiPKbib: ; @_ZN12_GLOBAL__N_120softmax_warp_forwardIN3c108BFloat16ES2_fLi11ELb0ELb0ELi64EEEvPT0_PKT_iiiPKbib
; %bb.0:
	s_load_dword s0, s[4:5], 0x3c
	s_load_dwordx8 s[68:75], s[4:5], 0x0
	v_bfe_u32 v1, v0, 10, 10
	v_and_b32_e32 v4, 0x3ff, v0
	v_mov_b32_e32 v27, 0xff800000
	s_waitcnt lgkmcnt(0)
	s_lshr_b32 s0, s0, 16
	s_mul_i32 s6, s6, s0
	v_add_u32_e32 v1, s6, v1
	v_sub_u32_e32 v9, s72, v1
	v_mad_u64_u32 v[0:1], s[0:1], v1, s73, v[4:5]
	v_ashrrev_i32_e32 v1, 31, v0
	v_lshlrev_b64 v[0:1], 1, v[0:1]
	v_mov_b32_e32 v3, s71
	v_add_co_u32_e32 v2, vcc, s70, v0
	v_addc_co_u32_e32 v3, vcc, v3, v1, vcc
	v_cmp_lt_i32_e64 s[58:59], 0, v9
	v_cmp_gt_i32_e32 vcc, s74, v4
	s_and_b64 s[2:3], s[58:59], vcc
	v_mov_b32_e32 v33, 0xff800000
	s_and_saveexec_b64 s[0:1], s[2:3]
	s_cbranch_execz .LBB480_2
; %bb.1:
	global_load_ushort v5, v[2:3], off
	s_waitcnt vmcnt(0)
	v_lshlrev_b32_e32 v33, 16, v5
.LBB480_2:
	s_or_b64 exec, exec, s[0:1]
	v_add_u32_e32 v5, 64, v4
	v_cmp_gt_i32_e64 s[64:65], s74, v5
	s_and_b64 s[2:3], s[58:59], s[64:65]
	s_and_saveexec_b64 s[0:1], s[2:3]
	s_cbranch_execz .LBB480_4
; %bb.3:
	global_load_ushort v5, v[2:3], off offset:128
	s_waitcnt vmcnt(0)
	v_lshlrev_b32_e32 v27, 16, v5
.LBB480_4:
	s_or_b64 exec, exec, s[0:1]
	v_add_u32_e32 v5, 0x80, v4
	v_cmp_gt_i32_e64 s[62:63], s74, v5
	s_and_b64 s[2:3], s[58:59], s[62:63]
	v_mov_b32_e32 v25, 0xff800000
	v_mov_b32_e32 v31, 0xff800000
	s_and_saveexec_b64 s[0:1], s[2:3]
	s_cbranch_execz .LBB480_6
; %bb.5:
	global_load_ushort v5, v[2:3], off offset:256
	s_waitcnt vmcnt(0)
	v_lshlrev_b32_e32 v31, 16, v5
.LBB480_6:
	s_or_b64 exec, exec, s[0:1]
	v_add_u32_e32 v5, 0xc0, v4
	v_cmp_gt_i32_e64 s[60:61], s74, v5
	s_and_b64 s[2:3], s[58:59], s[60:61]
	s_and_saveexec_b64 s[0:1], s[2:3]
	s_cbranch_execz .LBB480_8
; %bb.7:
	global_load_ushort v5, v[2:3], off offset:384
	s_waitcnt vmcnt(0)
	v_lshlrev_b32_e32 v25, 16, v5
.LBB480_8:
	s_or_b64 exec, exec, s[0:1]
	v_add_u32_e32 v5, 0x100, v4
	v_cmp_gt_i32_e64 s[56:57], s74, v5
	s_and_b64 s[2:3], s[58:59], s[56:57]
	v_mov_b32_e32 v23, 0xff800000
	v_mov_b32_e32 v30, 0xff800000
	s_and_saveexec_b64 s[0:1], s[2:3]
	s_cbranch_execz .LBB480_10
; %bb.9:
	global_load_ushort v5, v[2:3], off offset:512
	s_waitcnt vmcnt(0)
	v_lshlrev_b32_e32 v30, 16, v5
.LBB480_10:
	;; [unrolled: 24-line block ×7, first 2 shown]
	s_or_b64 exec, exec, s[0:1]
	v_add_u32_e32 v5, 0x3c0, v4
	v_cmp_gt_i32_e64 s[34:35], s74, v5
	s_and_b64 s[2:3], s[58:59], s[34:35]
	s_and_saveexec_b64 s[0:1], s[2:3]
	s_cbranch_execz .LBB480_32
; %bb.31:
	global_load_ushort v5, v[2:3], off offset:1920
	s_waitcnt vmcnt(0)
	v_lshlrev_b32_e32 v13, 16, v5
.LBB480_32:
	s_or_b64 exec, exec, s[0:1]
	v_or_b32_e32 v5, 0x400, v4
	v_cmp_gt_i32_e64 s[30:31], s74, v5
	s_and_b64 s[2:3], s[58:59], s[30:31]
	v_mov_b32_e32 v12, 0xff800000
	v_mov_b32_e32 v20, 0xff800000
	s_and_saveexec_b64 s[0:1], s[2:3]
	s_cbranch_execz .LBB480_34
; %bb.33:
	global_load_ushort v5, v[2:3], off offset:2048
	s_waitcnt vmcnt(0)
	v_lshlrev_b32_e32 v20, 16, v5
.LBB480_34:
	s_or_b64 exec, exec, s[0:1]
	v_add_u32_e32 v5, 0x440, v4
	v_cmp_gt_i32_e64 s[28:29], s74, v5
	s_and_b64 s[2:3], s[58:59], s[28:29]
	s_and_saveexec_b64 s[0:1], s[2:3]
	s_cbranch_execz .LBB480_36
; %bb.35:
	global_load_ushort v5, v[2:3], off offset:2176
	s_waitcnt vmcnt(0)
	v_lshlrev_b32_e32 v12, 16, v5
.LBB480_36:
	s_or_b64 exec, exec, s[0:1]
	v_add_u32_e32 v5, 0x480, v4
	v_cmp_gt_i32_e64 s[26:27], s74, v5
	s_and_b64 s[2:3], s[58:59], s[26:27]
	v_mov_b32_e32 v11, 0xff800000
	v_mov_b32_e32 v18, 0xff800000
	s_and_saveexec_b64 s[0:1], s[2:3]
	s_cbranch_execz .LBB480_38
; %bb.37:
	global_load_ushort v5, v[2:3], off offset:2304
	s_waitcnt vmcnt(0)
	v_lshlrev_b32_e32 v18, 16, v5
.LBB480_38:
	s_or_b64 exec, exec, s[0:1]
	v_add_u32_e32 v5, 0x4c0, v4
	v_cmp_gt_i32_e64 s[24:25], s74, v5
	s_and_b64 s[2:3], s[58:59], s[24:25]
	s_and_saveexec_b64 s[0:1], s[2:3]
	s_cbranch_execz .LBB480_40
; %bb.39:
	global_load_ushort v5, v[2:3], off offset:2432
	s_waitcnt vmcnt(0)
	v_lshlrev_b32_e32 v11, 16, v5
.LBB480_40:
	s_or_b64 exec, exec, s[0:1]
	v_add_u32_e32 v5, 0x500, v4
	;; [unrolled: 24-line block ×7, first 2 shown]
	v_cmp_gt_i32_e64 s[2:3], s74, v32
	s_and_b64 s[66:67], s[58:59], s[2:3]
	v_mov_b32_e32 v32, 0xff800000
	v_mov_b32_e32 v34, 0xff800000
	s_and_saveexec_b64 s[0:1], s[66:67]
	s_cbranch_execz .LBB480_62
; %bb.61:
	global_load_ushort v34, v[2:3], off offset:3840
	s_waitcnt vmcnt(0)
	v_lshlrev_b32_e32 v34, 16, v34
.LBB480_62:
	s_or_b64 exec, exec, s[0:1]
	v_add_u32_e32 v4, 0x7c0, v4
	v_cmp_gt_i32_e64 s[0:1], s74, v4
	s_and_b64 s[66:67], s[58:59], s[0:1]
	s_and_saveexec_b64 s[58:59], s[66:67]
	s_cbranch_execz .LBB480_64
; %bb.63:
	global_load_ushort v2, v[2:3], off offset:3968
	s_waitcnt vmcnt(0)
	v_lshlrev_b32_e32 v32, 16, v2
.LBB480_64:
	s_or_b64 exec, exec, s[58:59]
	v_cmp_gt_f32_e64 s[58:59], v33, v27
	v_cndmask_b32_e64 v2, v27, v33, s[58:59]
	v_cmp_gt_f32_e64 s[58:59], v2, v31
	v_cndmask_b32_e64 v2, v31, v2, s[58:59]
	;; [unrolled: 2-line block ×29, first 2 shown]
	v_mbcnt_lo_u32_b32 v3, -1, 0
	v_cmp_gt_f32_e64 s[58:59], v2, v34
	v_mbcnt_hi_u32_b32 v4, -1, v3
	v_cndmask_b32_e64 v2, v34, v2, s[58:59]
	v_and_b32_e32 v3, 64, v4
	v_cmp_gt_f32_e64 s[58:59], v2, v32
	v_add_u32_e32 v38, 64, v3
	v_xor_b32_e32 v3, 32, v4
	v_cndmask_b32_e64 v2, v32, v2, s[58:59]
	v_cmp_lt_i32_e64 s[58:59], v3, v38
	v_cndmask_b32_e64 v3, v4, v3, s[58:59]
	v_lshlrev_b32_e32 v3, 2, v3
	ds_bpermute_b32 v39, v3, v2
	s_mov_b32 s66, 0x3fb8aa3b
	s_mov_b32 s33, 0xc2ce8ed0
	;; [unrolled: 1-line block ×3, first 2 shown]
	v_mov_b32_e32 v46, 0x7f800000
	s_waitcnt lgkmcnt(0)
	v_cmp_lt_f32_e64 s[58:59], v2, v39
	v_cndmask_b32_e64 v2, v2, v39, s[58:59]
	v_xor_b32_e32 v39, 16, v4
	v_cmp_lt_i32_e64 s[58:59], v39, v38
	v_cndmask_b32_e64 v39, v4, v39, s[58:59]
	v_lshlrev_b32_e32 v40, 2, v39
	ds_bpermute_b32 v39, v40, v2
	s_waitcnt lgkmcnt(0)
	v_cmp_lt_f32_e64 s[58:59], v2, v39
	v_cndmask_b32_e64 v2, v2, v39, s[58:59]
	v_xor_b32_e32 v39, 8, v4
	v_cmp_lt_i32_e64 s[58:59], v39, v38
	v_cndmask_b32_e64 v39, v4, v39, s[58:59]
	v_lshlrev_b32_e32 v41, 2, v39
	ds_bpermute_b32 v39, v41, v2
	;; [unrolled: 8-line block ×5, first 2 shown]
	s_waitcnt lgkmcnt(0)
	v_cmp_lt_f32_e64 s[58:59], v2, v4
	v_cndmask_b32_e64 v2, v2, v4, s[58:59]
	v_sub_f32_e32 v4, v33, v2
	v_mul_f32_e32 v33, 0x3fb8aa3b, v4
	v_fma_f32 v38, v4, s66, -v33
	v_rndne_f32_e32 v39, v33
	v_fmac_f32_e32 v38, 0x32a5705f, v4
	v_sub_f32_e32 v33, v33, v39
	v_add_f32_e32 v33, v33, v38
	v_exp_f32_e32 v33, v33
	v_cvt_i32_f32_e32 v38, v39
	v_sub_f32_e32 v27, v27, v2
	v_cmp_ngt_f32_e64 s[58:59], s33, v4
	v_sub_f32_e32 v31, v31, v2
	v_ldexp_f32 v33, v33, v38
	v_mul_f32_e32 v38, 0x3fb8aa3b, v27
	v_fma_f32 v39, v27, s66, -v38
	v_rndne_f32_e32 v44, v38
	v_fmac_f32_e32 v39, 0x32a5705f, v27
	v_sub_f32_e32 v38, v38, v44
	v_add_f32_e32 v38, v38, v39
	v_exp_f32_e32 v38, v38
	v_cvt_i32_f32_e32 v39, v44
	v_cndmask_b32_e64 v33, 0, v33, s[58:59]
	v_cmp_nlt_f32_e64 s[58:59], s67, v4
	v_cndmask_b32_e64 v44, v46, v33, s[58:59]
	v_mul_f32_e32 v33, 0x3fb8aa3b, v31
	v_ldexp_f32 v4, v38, v39
	v_fma_f32 v38, v31, s66, -v33
	v_rndne_f32_e32 v39, v33
	v_fmac_f32_e32 v38, 0x32a5705f, v31
	v_sub_f32_e32 v33, v33, v39
	v_add_f32_e32 v33, v33, v38
	v_exp_f32_e32 v33, v33
	v_cvt_i32_f32_e32 v38, v39
	v_cmp_ngt_f32_e64 s[58:59], s33, v27
	v_sub_f32_e32 v25, v25, v2
	v_cndmask_b32_e64 v4, 0, v4, s[58:59]
	v_cmp_nlt_f32_e64 s[58:59], s67, v27
	v_ldexp_f32 v27, v33, v38
	v_mul_f32_e32 v33, 0x3fb8aa3b, v25
	v_fma_f32 v38, v25, s66, -v33
	v_rndne_f32_e32 v47, v33
	v_fmac_f32_e32 v38, 0x32a5705f, v25
	v_sub_f32_e32 v33, v33, v47
	v_add_f32_e32 v33, v33, v38
	v_exp_f32_e32 v33, v33
	v_cvt_i32_f32_e32 v47, v47
	v_cndmask_b32_e64 v39, v46, v4, s[58:59]
	v_cmp_ngt_f32_e64 s[58:59], s33, v31
	v_sub_f32_e32 v30, v30, v2
	v_cndmask_b32_e64 v27, 0, v27, s[58:59]
	v_cmp_nlt_f32_e64 s[58:59], s67, v31
	v_mul_f32_e32 v31, 0x3fb8aa3b, v30
	v_cndmask_b32_e64 v38, v46, v27, s[58:59]
	v_ldexp_f32 v27, v33, v47
	v_fma_f32 v33, v30, s66, -v31
	v_rndne_f32_e32 v47, v31
	v_fmac_f32_e32 v33, 0x32a5705f, v30
	v_sub_f32_e32 v31, v31, v47
	v_add_f32_e32 v31, v31, v33
	v_exp_f32_e32 v31, v31
	v_cvt_i32_f32_e32 v47, v47
	v_cmp_ngt_f32_e64 s[58:59], s33, v25
	v_cndmask_b32_e64 v27, 0, v27, s[58:59]
	v_cmp_nlt_f32_e64 s[58:59], s67, v25
	v_sub_f32_e32 v23, v23, v2
	v_cndmask_b32_e64 v33, v46, v27, s[58:59]
	v_mul_f32_e32 v27, 0x3fb8aa3b, v23
	v_ldexp_f32 v25, v31, v47
	v_fma_f32 v31, v23, s66, -v27
	v_rndne_f32_e32 v47, v27
	v_fmac_f32_e32 v31, 0x32a5705f, v23
	v_sub_f32_e32 v27, v27, v47
	v_add_f32_e32 v27, v27, v31
	v_exp_f32_e32 v27, v27
	v_cvt_i32_f32_e32 v47, v47
	v_cmp_ngt_f32_e64 s[58:59], s33, v30
	v_cndmask_b32_e64 v25, 0, v25, s[58:59]
	v_cmp_nlt_f32_e64 s[58:59], s67, v30
	v_cndmask_b32_e64 v31, v46, v25, s[58:59]
	v_ldexp_f32 v25, v27, v47
	v_sub_f32_e32 v27, v29, v2
	v_mul_f32_e32 v29, 0x3fb8aa3b, v27
	v_fma_f32 v30, v27, s66, -v29
	v_rndne_f32_e32 v47, v29
	v_fmac_f32_e32 v30, 0x32a5705f, v27
	v_sub_f32_e32 v29, v29, v47
	v_add_f32_e32 v29, v29, v30
	v_exp_f32_e32 v29, v29
	v_cvt_i32_f32_e32 v47, v47
	v_cmp_ngt_f32_e64 s[58:59], s33, v23
	v_cndmask_b32_e64 v25, 0, v25, s[58:59]
	v_cmp_nlt_f32_e64 s[58:59], s67, v23
	v_sub_f32_e32 v21, v21, v2
	v_cndmask_b32_e64 v30, v46, v25, s[58:59]
	v_mul_f32_e32 v25, 0x3fb8aa3b, v21
	v_ldexp_f32 v23, v29, v47
	v_fma_f32 v29, v21, s66, -v25
	v_rndne_f32_e32 v47, v25
	v_fmac_f32_e32 v29, 0x32a5705f, v21
	v_sub_f32_e32 v25, v25, v47
	v_add_f32_e32 v25, v25, v29
	v_exp_f32_e32 v25, v25
	v_cvt_i32_f32_e32 v47, v47
	v_cmp_ngt_f32_e64 s[58:59], s33, v27
	v_cndmask_b32_e64 v23, 0, v23, s[58:59]
	v_cmp_nlt_f32_e64 s[58:59], s67, v27
	v_cndmask_b32_e64 v29, v46, v23, s[58:59]
	v_ldexp_f32 v23, v25, v47
	v_sub_f32_e32 v25, v28, v2
	v_mul_f32_e32 v27, 0x3fb8aa3b, v25
	;; [unrolled: 28-line block ×10, first 2 shown]
	v_fma_f32 v37, v11, s66, -v12
	v_rndne_f32_e32 v47, v12
	v_fmac_f32_e32 v37, 0x32a5705f, v11
	v_sub_f32_e32 v12, v12, v47
	v_add_f32_e32 v12, v12, v37
	v_exp_f32_e32 v37, v12
	v_cvt_i32_f32_e32 v47, v47
	v_cmp_ngt_f32_e64 s[58:59], s33, v8
	v_cndmask_b32_e64 v10, 0, v10, s[58:59]
	v_cmp_nlt_f32_e64 s[58:59], s67, v8
	v_sub_f32_e32 v7, v7, v2
	v_cndmask_b32_e64 v12, v46, v10, s[58:59]
	v_mul_f32_e32 v10, 0x3fb8aa3b, v7
	v_ldexp_f32 v8, v37, v47
	v_fma_f32 v37, v7, s66, -v10
	v_rndne_f32_e32 v47, v10
	v_fmac_f32_e32 v37, 0x32a5705f, v7
	v_sub_f32_e32 v10, v10, v47
	v_add_f32_e32 v10, v10, v37
	v_exp_f32_e32 v10, v10
	v_cvt_i32_f32_e32 v37, v47
	v_cmp_ngt_f32_e64 s[58:59], s33, v11
	v_cndmask_b32_e64 v8, 0, v8, s[58:59]
	v_cmp_nlt_f32_e64 s[58:59], s67, v11
	v_sub_f32_e32 v36, v36, v2
	v_cndmask_b32_e64 v11, v46, v8, s[58:59]
	v_ldexp_f32 v8, v10, v37
	v_mul_f32_e32 v10, 0x3fb8aa3b, v36
	v_fma_f32 v37, v36, s66, -v10
	v_rndne_f32_e32 v47, v10
	v_fmac_f32_e32 v37, 0x32a5705f, v36
	v_sub_f32_e32 v10, v10, v47
	v_add_f32_e32 v10, v10, v37
	v_exp_f32_e32 v37, v10
	v_cvt_i32_f32_e32 v47, v47
	v_cmp_ngt_f32_e64 s[58:59], s33, v7
	v_cndmask_b32_e64 v8, 0, v8, s[58:59]
	v_cmp_nlt_f32_e64 s[58:59], s67, v7
	v_sub_f32_e32 v6, v6, v2
	v_cndmask_b32_e64 v10, v46, v8, s[58:59]
	v_mul_f32_e32 v8, 0x3fb8aa3b, v6
	v_ldexp_f32 v7, v37, v47
	v_fma_f32 v37, v6, s66, -v8
	v_rndne_f32_e32 v47, v8
	v_fmac_f32_e32 v37, 0x32a5705f, v6
	v_sub_f32_e32 v8, v8, v47
	v_add_f32_e32 v4, v44, v39
	v_add_f32_e32 v8, v8, v37
	;; [unrolled: 1-line block ×3, first 2 shown]
	v_exp_f32_e32 v37, v8
	v_cvt_i32_f32_e32 v47, v47
	v_add_f32_e32 v4, v4, v33
	v_add_f32_e32 v4, v4, v31
	v_cmp_ngt_f32_e64 s[58:59], s33, v36
	v_sub_f32_e32 v35, v35, v2
	v_add_f32_e32 v4, v4, v30
	v_cndmask_b32_e64 v7, 0, v7, s[58:59]
	v_cmp_nlt_f32_e64 s[58:59], s67, v36
	v_mul_f32_e32 v36, 0x3fb8aa3b, v35
	v_add_f32_e32 v4, v4, v29
	v_cndmask_b32_e64 v8, v46, v7, s[58:59]
	v_ldexp_f32 v7, v37, v47
	v_fma_f32 v37, v35, s66, -v36
	v_rndne_f32_e32 v47, v36
	v_add_f32_e32 v4, v4, v28
	v_fmac_f32_e32 v37, 0x32a5705f, v35
	v_sub_f32_e32 v36, v36, v47
	v_add_f32_e32 v4, v4, v27
	v_add_f32_e32 v36, v36, v37
	;; [unrolled: 1-line block ×3, first 2 shown]
	v_exp_f32_e32 v36, v36
	v_cvt_i32_f32_e32 v37, v47
	v_add_f32_e32 v4, v4, v25
	v_add_f32_e32 v4, v4, v24
	;; [unrolled: 1-line block ×3, first 2 shown]
	v_cmp_ngt_f32_e64 s[58:59], s33, v6
	v_sub_f32_e32 v5, v5, v2
	v_add_f32_e32 v4, v4, v22
	v_cndmask_b32_e64 v7, 0, v7, s[58:59]
	v_cmp_nlt_f32_e64 s[58:59], s67, v6
	v_ldexp_f32 v6, v36, v37
	v_mul_f32_e32 v36, 0x3fb8aa3b, v5
	v_add_f32_e32 v4, v4, v21
	v_fma_f32 v37, v5, s66, -v36
	v_rndne_f32_e32 v47, v36
	v_add_f32_e32 v4, v4, v20
	v_fmac_f32_e32 v37, 0x32a5705f, v5
	v_sub_f32_e32 v36, v36, v47
	v_add_f32_e32 v4, v4, v19
	v_add_f32_e32 v36, v36, v37
	;; [unrolled: 1-line block ×3, first 2 shown]
	v_exp_f32_e32 v36, v36
	v_cvt_i32_f32_e32 v37, v47
	v_add_f32_e32 v4, v4, v17
	v_add_f32_e32 v4, v4, v16
	;; [unrolled: 1-line block ×3, first 2 shown]
	v_cndmask_b32_e64 v7, v46, v7, s[58:59]
	v_cmp_ngt_f32_e64 s[58:59], s33, v35
	v_sub_f32_e32 v34, v34, v2
	v_add_f32_e32 v4, v4, v14
	v_cndmask_b32_e64 v6, 0, v6, s[58:59]
	v_cmp_nlt_f32_e64 s[58:59], s67, v35
	v_ldexp_f32 v35, v36, v37
	v_mul_f32_e32 v36, 0x3fb8aa3b, v34
	v_add_f32_e32 v4, v4, v13
	v_fma_f32 v37, v34, s66, -v36
	v_rndne_f32_e32 v47, v36
	v_add_f32_e32 v4, v4, v12
	v_fmac_f32_e32 v37, 0x32a5705f, v34
	v_sub_f32_e32 v36, v36, v47
	v_add_f32_e32 v4, v4, v11
	v_add_f32_e32 v36, v36, v37
	;; [unrolled: 1-line block ×3, first 2 shown]
	v_exp_f32_e32 v36, v36
	v_cvt_i32_f32_e32 v37, v47
	v_add_f32_e32 v4, v4, v8
	v_cndmask_b32_e64 v6, v46, v6, s[58:59]
	v_cmp_ngt_f32_e64 s[58:59], s33, v5
	v_add_f32_e32 v4, v4, v7
	v_cndmask_b32_e64 v35, 0, v35, s[58:59]
	v_cmp_nlt_f32_e64 s[58:59], s67, v5
	v_sub_f32_e32 v2, v32, v2
	v_add_f32_e32 v4, v4, v6
	v_cndmask_b32_e64 v5, v46, v35, s[58:59]
	v_mul_f32_e32 v32, 0x3fb8aa3b, v2
	v_add_f32_e32 v35, v4, v5
	v_ldexp_f32 v4, v36, v37
	v_fma_f32 v36, v2, s66, -v32
	v_rndne_f32_e32 v37, v32
	v_fmac_f32_e32 v36, 0x32a5705f, v2
	v_sub_f32_e32 v32, v32, v37
	v_add_f32_e32 v32, v32, v36
	v_exp_f32_e32 v32, v32
	v_cvt_i32_f32_e32 v36, v37
	v_cmp_ngt_f32_e64 s[58:59], s33, v34
	v_cndmask_b32_e64 v4, 0, v4, s[58:59]
	v_cmp_nlt_f32_e64 s[58:59], s67, v34
	v_cndmask_b32_e64 v4, v46, v4, s[58:59]
	v_ldexp_f32 v32, v32, v36
	v_cmp_ngt_f32_e64 s[58:59], s33, v2
	v_cndmask_b32_e64 v32, 0, v32, s[58:59]
	v_cmp_nlt_f32_e64 s[58:59], s67, v2
	v_add_f32_e32 v34, v35, v4
	v_cndmask_b32_e64 v2, v46, v32, s[58:59]
	v_add_f32_e32 v32, v34, v2
	ds_bpermute_b32 v3, v3, v32
	v_cmp_lt_i32_e64 s[58:59], 0, v9
	s_waitcnt lgkmcnt(0)
	v_add_f32_e32 v3, v32, v3
	ds_bpermute_b32 v32, v40, v3
	s_waitcnt lgkmcnt(0)
	v_add_f32_e32 v3, v3, v32
	ds_bpermute_b32 v32, v41, v3
	;; [unrolled: 3-line block ×5, first 2 shown]
	s_and_saveexec_b64 s[66:67], s[58:59]
	s_cbranch_execz .LBB480_162
; %bb.65:
	s_and_b64 exec, exec, vcc
	s_cbranch_execz .LBB480_162
; %bb.66:
	s_waitcnt lgkmcnt(0)
	v_add_f32_e32 v3, v3, v32
	v_cmp_neq_f32_e64 s[58:59], 0, v3
	v_mov_b32_e32 v9, 0x7fc0
	s_and_saveexec_b64 s[66:67], s[58:59]
	s_cbranch_execz .LBB480_68
; %bb.67:
	v_div_scale_f32 v9, s[70:71], v3, v3, v44
	v_rcp_f32_e32 v32, v9
	v_div_scale_f32 v34, vcc, v44, v3, v44
	s_movk_i32 s33, 0x7fff
	v_fma_f32 v35, -v9, v32, 1.0
	v_fmac_f32_e32 v32, v35, v32
	v_mul_f32_e32 v35, v34, v32
	v_fma_f32 v36, -v9, v35, v34
	v_fmac_f32_e32 v35, v36, v32
	v_fma_f32 v9, -v9, v35, v34
	v_div_fmas_f32 v9, v9, v32, v35
	v_div_fixup_f32 v9, v9, v3, v44
	v_bfe_u32 v32, v9, 16, 1
	v_add3_u32 v32, v9, v32, s33
	v_lshrrev_b32_e32 v32, 16, v32
	v_mov_b32_e32 v34, 0x7fc0
	v_cmp_o_f32_e32 vcc, v9, v9
	v_cndmask_b32_e32 v9, v34, v32, vcc
.LBB480_68:
	s_or_b64 exec, exec, s[66:67]
	v_mov_b32_e32 v32, s69
	v_add_co_u32_e32 v0, vcc, s68, v0
	v_addc_co_u32_e32 v1, vcc, v32, v1, vcc
	global_store_short v[0:1], v9, off
	s_and_b64 exec, exec, s[64:65]
	s_cbranch_execz .LBB480_162
; %bb.69:
	v_mov_b32_e32 v9, 0x7fc0
	s_and_saveexec_b64 s[64:65], s[58:59]
	s_cbranch_execz .LBB480_71
; %bb.70:
	v_div_scale_f32 v9, s[66:67], v3, v3, v39
	v_rcp_f32_e32 v32, v9
	v_div_scale_f32 v34, vcc, v39, v3, v39
	s_movk_i32 s33, 0x7fff
	v_fma_f32 v35, -v9, v32, 1.0
	v_fmac_f32_e32 v32, v35, v32
	v_mul_f32_e32 v35, v34, v32
	v_fma_f32 v36, -v9, v35, v34
	v_fmac_f32_e32 v35, v36, v32
	v_fma_f32 v9, -v9, v35, v34
	v_div_fmas_f32 v9, v9, v32, v35
	v_div_fixup_f32 v9, v9, v3, v39
	v_bfe_u32 v32, v9, 16, 1
	v_add3_u32 v32, v9, v32, s33
	v_lshrrev_b32_e32 v32, 16, v32
	v_mov_b32_e32 v34, 0x7fc0
	v_cmp_o_f32_e32 vcc, v9, v9
	v_cndmask_b32_e32 v9, v34, v32, vcc
.LBB480_71:
	s_or_b64 exec, exec, s[64:65]
	global_store_short v[0:1], v9, off offset:128
	s_and_b64 exec, exec, s[62:63]
	s_cbranch_execz .LBB480_162
; %bb.72:
	v_mov_b32_e32 v9, 0x7fc0
	s_and_saveexec_b64 s[62:63], s[58:59]
	s_cbranch_execz .LBB480_74
; %bb.73:
	v_div_scale_f32 v9, s[64:65], v3, v3, v38
	v_rcp_f32_e32 v32, v9
	v_div_scale_f32 v34, vcc, v38, v3, v38
	s_movk_i32 s33, 0x7fff
	v_fma_f32 v35, -v9, v32, 1.0
	v_fmac_f32_e32 v32, v35, v32
	v_mul_f32_e32 v35, v34, v32
	v_fma_f32 v36, -v9, v35, v34
	v_fmac_f32_e32 v35, v36, v32
	v_fma_f32 v9, -v9, v35, v34
	v_div_fmas_f32 v9, v9, v32, v35
	v_div_fixup_f32 v9, v9, v3, v38
	v_bfe_u32 v32, v9, 16, 1
	v_add3_u32 v32, v9, v32, s33
	v_lshrrev_b32_e32 v32, 16, v32
	v_mov_b32_e32 v34, 0x7fc0
	v_cmp_o_f32_e32 vcc, v9, v9
	v_cndmask_b32_e32 v9, v34, v32, vcc
.LBB480_74:
	s_or_b64 exec, exec, s[62:63]
	global_store_short v[0:1], v9, off offset:256
	;; [unrolled: 28-line block ×31, first 2 shown]
.LBB480_162:
	s_endpgm
	.section	.rodata,"a",@progbits
	.p2align	6, 0x0
	.amdhsa_kernel _ZN12_GLOBAL__N_120softmax_warp_forwardIN3c108BFloat16ES2_fLi11ELb0ELb0ELi64EEEvPT0_PKT_iiiPKbib
		.amdhsa_group_segment_fixed_size 0
		.amdhsa_private_segment_fixed_size 0
		.amdhsa_kernarg_size 304
		.amdhsa_user_sgpr_count 6
		.amdhsa_user_sgpr_private_segment_buffer 1
		.amdhsa_user_sgpr_dispatch_ptr 0
		.amdhsa_user_sgpr_queue_ptr 0
		.amdhsa_user_sgpr_kernarg_segment_ptr 1
		.amdhsa_user_sgpr_dispatch_id 0
		.amdhsa_user_sgpr_flat_scratch_init 0
		.amdhsa_user_sgpr_kernarg_preload_length 0
		.amdhsa_user_sgpr_kernarg_preload_offset 0
		.amdhsa_user_sgpr_private_segment_size 0
		.amdhsa_uses_dynamic_stack 0
		.amdhsa_system_sgpr_private_segment_wavefront_offset 0
		.amdhsa_system_sgpr_workgroup_id_x 1
		.amdhsa_system_sgpr_workgroup_id_y 0
		.amdhsa_system_sgpr_workgroup_id_z 0
		.amdhsa_system_sgpr_workgroup_info 0
		.amdhsa_system_vgpr_workitem_id 1
		.amdhsa_next_free_vgpr 48
		.amdhsa_next_free_sgpr 76
		.amdhsa_accum_offset 48
		.amdhsa_reserve_vcc 1
		.amdhsa_reserve_flat_scratch 0
		.amdhsa_float_round_mode_32 0
		.amdhsa_float_round_mode_16_64 0
		.amdhsa_float_denorm_mode_32 3
		.amdhsa_float_denorm_mode_16_64 3
		.amdhsa_dx10_clamp 1
		.amdhsa_ieee_mode 1
		.amdhsa_fp16_overflow 0
		.amdhsa_tg_split 0
		.amdhsa_exception_fp_ieee_invalid_op 0
		.amdhsa_exception_fp_denorm_src 0
		.amdhsa_exception_fp_ieee_div_zero 0
		.amdhsa_exception_fp_ieee_overflow 0
		.amdhsa_exception_fp_ieee_underflow 0
		.amdhsa_exception_fp_ieee_inexact 0
		.amdhsa_exception_int_div_zero 0
	.end_amdhsa_kernel
	.section	.text._ZN12_GLOBAL__N_120softmax_warp_forwardIN3c108BFloat16ES2_fLi11ELb0ELb0ELi64EEEvPT0_PKT_iiiPKbib,"axG",@progbits,_ZN12_GLOBAL__N_120softmax_warp_forwardIN3c108BFloat16ES2_fLi11ELb0ELb0ELi64EEEvPT0_PKT_iiiPKbib,comdat
.Lfunc_end480:
	.size	_ZN12_GLOBAL__N_120softmax_warp_forwardIN3c108BFloat16ES2_fLi11ELb0ELb0ELi64EEEvPT0_PKT_iiiPKbib, .Lfunc_end480-_ZN12_GLOBAL__N_120softmax_warp_forwardIN3c108BFloat16ES2_fLi11ELb0ELb0ELi64EEEvPT0_PKT_iiiPKbib
                                        ; -- End function
	.section	.AMDGPU.csdata,"",@progbits
; Kernel info:
; codeLenInByte = 10544
; NumSgprs: 80
; NumVgprs: 48
; NumAgprs: 0
; TotalNumVgprs: 48
; ScratchSize: 0
; MemoryBound: 0
; FloatMode: 240
; IeeeMode: 1
; LDSByteSize: 0 bytes/workgroup (compile time only)
; SGPRBlocks: 9
; VGPRBlocks: 5
; NumSGPRsForWavesPerEU: 80
; NumVGPRsForWavesPerEU: 48
; AccumOffset: 48
; Occupancy: 8
; WaveLimiterHint : 0
; COMPUTE_PGM_RSRC2:SCRATCH_EN: 0
; COMPUTE_PGM_RSRC2:USER_SGPR: 6
; COMPUTE_PGM_RSRC2:TRAP_HANDLER: 0
; COMPUTE_PGM_RSRC2:TGID_X_EN: 1
; COMPUTE_PGM_RSRC2:TGID_Y_EN: 0
; COMPUTE_PGM_RSRC2:TGID_Z_EN: 0
; COMPUTE_PGM_RSRC2:TIDIG_COMP_CNT: 1
; COMPUTE_PGM_RSRC3_GFX90A:ACCUM_OFFSET: 11
; COMPUTE_PGM_RSRC3_GFX90A:TG_SPLIT: 0
	.section	.text._ZN12_GLOBAL__N_120softmax_warp_forwardIN3c108BFloat16ES2_fLi11ELb0ELb0ELi32EEEvPT0_PKT_iiiPKbib,"axG",@progbits,_ZN12_GLOBAL__N_120softmax_warp_forwardIN3c108BFloat16ES2_fLi11ELb0ELb0ELi32EEEvPT0_PKT_iiiPKbib,comdat
	.globl	_ZN12_GLOBAL__N_120softmax_warp_forwardIN3c108BFloat16ES2_fLi11ELb0ELb0ELi32EEEvPT0_PKT_iiiPKbib ; -- Begin function _ZN12_GLOBAL__N_120softmax_warp_forwardIN3c108BFloat16ES2_fLi11ELb0ELb0ELi32EEEvPT0_PKT_iiiPKbib
	.p2align	8
	.type	_ZN12_GLOBAL__N_120softmax_warp_forwardIN3c108BFloat16ES2_fLi11ELb0ELb0ELi32EEEvPT0_PKT_iiiPKbib,@function
_ZN12_GLOBAL__N_120softmax_warp_forwardIN3c108BFloat16ES2_fLi11ELb0ELb0ELi32EEEvPT0_PKT_iiiPKbib: ; @_ZN12_GLOBAL__N_120softmax_warp_forwardIN3c108BFloat16ES2_fLi11ELb0ELb0ELi32EEEvPT0_PKT_iiiPKbib
; %bb.0:
	s_load_dword s0, s[4:5], 0x3c
	s_load_dwordx8 s[36:43], s[4:5], 0x0
	v_bfe_u32 v1, v0, 10, 10
	v_and_b32_e32 v4, 0x3ff, v0
	v_mov_b32_e32 v63, 0xff800000
	s_waitcnt lgkmcnt(0)
	s_lshr_b32 s0, s0, 16
	s_mul_i32 s6, s6, s0
	v_add_u32_e32 v1, s6, v1
	v_sub_u32_e32 v5, s40, v1
	v_mad_u64_u32 v[0:1], s[0:1], v1, s41, v[4:5]
	v_ashrrev_i32_e32 v1, 31, v0
	v_lshlrev_b64 v[0:1], 1, v[0:1]
	v_mov_b32_e32 v3, s39
	v_add_co_u32_e32 v2, vcc, s38, v0
	v_addc_co_u32_e32 v3, vcc, v3, v1, vcc
	v_cmp_lt_i32_e32 vcc, 0, v5
	v_cmp_gt_i32_e64 s[34:35], s42, v4
	s_and_b64 s[2:3], vcc, s[34:35]
	v_mov_b32_e32 v50, 0xff800000
	s_and_saveexec_b64 s[0:1], s[2:3]
	s_cbranch_execz .LBB481_2
; %bb.1:
	global_load_ushort v6, v[2:3], off
	s_waitcnt vmcnt(0)
	v_lshlrev_b32_e32 v50, 16, v6
.LBB481_2:
	s_or_b64 exec, exec, s[0:1]
	v_add_u32_e32 v6, 32, v4
	v_cmp_gt_i32_e64 s[30:31], s42, v6
	s_and_b64 s[2:3], vcc, s[30:31]
	s_and_saveexec_b64 s[0:1], s[2:3]
	s_cbranch_execz .LBB481_4
; %bb.3:
	global_load_ushort v6, v[2:3], off offset:64
	s_waitcnt vmcnt(0)
	v_lshlrev_b32_e32 v63, 16, v6
.LBB481_4:
	s_or_b64 exec, exec, s[0:1]
	v_add_u32_e32 v6, 64, v4
	v_cmp_gt_i32_e64 s[28:29], s42, v6
	s_and_b64 s[2:3], vcc, s[28:29]
	v_mov_b32_e32 v61, 0xff800000
	v_mov_b32_e32 v64, 0xff800000
	s_and_saveexec_b64 s[0:1], s[2:3]
	s_cbranch_execz .LBB481_6
; %bb.5:
	global_load_ushort v6, v[2:3], off offset:128
	s_waitcnt vmcnt(0)
	v_lshlrev_b32_e32 v64, 16, v6
.LBB481_6:
	s_or_b64 exec, exec, s[0:1]
	v_add_u32_e32 v6, 0x60, v4
	v_cmp_gt_i32_e64 s[26:27], s42, v6
	s_and_b64 s[2:3], vcc, s[26:27]
	s_and_saveexec_b64 s[0:1], s[2:3]
	s_cbranch_execz .LBB481_8
; %bb.7:
	global_load_ushort v6, v[2:3], off offset:192
	s_waitcnt vmcnt(0)
	v_lshlrev_b32_e32 v61, 16, v6
.LBB481_8:
	s_or_b64 exec, exec, s[0:1]
	v_add_u32_e32 v6, 0x80, v4
	v_cmp_gt_i32_e64 s[24:25], s42, v6
	s_and_b64 s[2:3], vcc, s[24:25]
	v_mov_b32_e32 v59, 0xff800000
	v_mov_b32_e32 v62, 0xff800000
	s_and_saveexec_b64 s[0:1], s[2:3]
	s_cbranch_execz .LBB481_10
; %bb.9:
	global_load_ushort v6, v[2:3], off offset:256
	s_waitcnt vmcnt(0)
	v_lshlrev_b32_e32 v62, 16, v6
.LBB481_10:
	;; [unrolled: 24-line block ×15, first 2 shown]
	s_or_b64 exec, exec, s[38:39]
	v_add_u32_e32 v6, 0x3e0, v4
	v_cmp_gt_i32_e64 s[66:67], s42, v6
	s_and_b64 s[40:41], vcc, s[66:67]
	s_and_saveexec_b64 s[38:39], s[40:41]
	s_cbranch_execz .LBB481_64
; %bb.63:
	global_load_ushort v6, v[2:3], off offset:1984
	s_waitcnt vmcnt(0)
	v_lshlrev_b32_e32 v31, 16, v6
.LBB481_64:
	s_or_b64 exec, exec, s[38:39]
	v_or_b32_e32 v6, 0x400, v4
	v_cmp_gt_i32_e64 s[64:65], s42, v6
	s_and_b64 s[40:41], vcc, s[64:65]
	v_mov_b32_e32 v29, 0xff800000
	v_mov_b32_e32 v32, 0xff800000
	s_and_saveexec_b64 s[38:39], s[40:41]
	s_cbranch_execz .LBB481_66
; %bb.65:
	global_load_ushort v6, v[2:3], off offset:2048
	s_waitcnt vmcnt(0)
	v_lshlrev_b32_e32 v32, 16, v6
.LBB481_66:
	s_or_b64 exec, exec, s[38:39]
	v_add_u32_e32 v6, 0x420, v4
	v_cmp_gt_i32_e64 s[62:63], s42, v6
	s_and_b64 s[40:41], vcc, s[62:63]
	s_and_saveexec_b64 s[38:39], s[40:41]
	s_cbranch_execz .LBB481_68
; %bb.67:
	global_load_ushort v6, v[2:3], off offset:2112
	s_waitcnt vmcnt(0)
	v_lshlrev_b32_e32 v29, 16, v6
.LBB481_68:
	s_or_b64 exec, exec, s[38:39]
	v_add_u32_e32 v6, 0x440, v4
	v_cmp_gt_i32_e64 s[60:61], s42, v6
	s_and_b64 s[40:41], vcc, s[60:61]
	v_mov_b32_e32 v27, 0xff800000
	v_mov_b32_e32 v30, 0xff800000
	s_and_saveexec_b64 s[38:39], s[40:41]
	s_cbranch_execz .LBB481_70
; %bb.69:
	global_load_ushort v6, v[2:3], off offset:2176
	s_waitcnt vmcnt(0)
	v_lshlrev_b32_e32 v30, 16, v6
.LBB481_70:
	s_or_b64 exec, exec, s[38:39]
	v_add_u32_e32 v6, 0x460, v4
	v_cmp_gt_i32_e64 s[58:59], s42, v6
	s_and_b64 s[40:41], vcc, s[58:59]
	s_and_saveexec_b64 s[38:39], s[40:41]
	s_cbranch_execz .LBB481_72
; %bb.71:
	global_load_ushort v6, v[2:3], off offset:2240
	s_waitcnt vmcnt(0)
	v_lshlrev_b32_e32 v27, 16, v6
.LBB481_72:
	s_or_b64 exec, exec, s[38:39]
	v_add_u32_e32 v6, 0x480, v4
	;; [unrolled: 24-line block ×5, first 2 shown]
	v_cmp_gt_i32_e64 s[44:45], s42, v6
	s_and_b64 s[40:41], vcc, s[44:45]
	v_mov_b32_e32 v23, 0xff800000
	v_mov_b32_e32 v25, 0xff800000
	s_and_saveexec_b64 s[38:39], s[40:41]
	s_cbranch_execz .LBB481_86
; %bb.85:
	global_load_ushort v6, v[2:3], off offset:2688
	s_waitcnt vmcnt(0)
	v_lshlrev_b32_e32 v25, 16, v6
.LBB481_86:
	s_or_b64 exec, exec, s[38:39]
	v_add_u32_e32 v6, 0x560, v4
	v_cmp_gt_i32_e64 s[38:39], s42, v6
                                        ; implicit-def: $vgpr78 : SGPR spill to VGPR lane
	v_writelane_b32 v78, s38, 0
	s_and_b64 s[40:41], vcc, s[38:39]
	v_writelane_b32 v78, s39, 1
	s_and_saveexec_b64 s[38:39], s[40:41]
	s_cbranch_execz .LBB481_88
; %bb.87:
	global_load_ushort v6, v[2:3], off offset:2752
	s_waitcnt vmcnt(0)
	v_lshlrev_b32_e32 v23, 16, v6
.LBB481_88:
	s_or_b64 exec, exec, s[38:39]
	v_add_u32_e32 v6, 0x580, v4
	v_cmp_gt_i32_e64 s[38:39], s42, v6
	v_writelane_b32 v78, s38, 2
	s_and_b64 s[40:41], vcc, s[38:39]
	v_mov_b32_e32 v21, 0xff800000
	v_mov_b32_e32 v77, 0xff800000
	v_writelane_b32 v78, s39, 3
	s_and_saveexec_b64 s[38:39], s[40:41]
	s_cbranch_execz .LBB481_90
; %bb.89:
	global_load_ushort v6, v[2:3], off offset:2816
	s_waitcnt vmcnt(0)
	v_lshlrev_b32_e32 v77, 16, v6
.LBB481_90:
	s_or_b64 exec, exec, s[38:39]
	v_add_u32_e32 v6, 0x5a0, v4
	v_cmp_gt_i32_e64 s[38:39], s42, v6
	v_writelane_b32 v78, s38, 4
	s_and_b64 s[40:41], vcc, s[38:39]
	v_writelane_b32 v78, s39, 5
	s_and_saveexec_b64 s[38:39], s[40:41]
	s_cbranch_execz .LBB481_92
; %bb.91:
	global_load_ushort v6, v[2:3], off offset:2880
	s_waitcnt vmcnt(0)
	v_lshlrev_b32_e32 v21, 16, v6
.LBB481_92:
	s_or_b64 exec, exec, s[38:39]
	v_add_u32_e32 v6, 0x5c0, v4
	v_cmp_gt_i32_e64 s[38:39], s42, v6
	v_writelane_b32 v78, s38, 6
	s_and_b64 s[40:41], vcc, s[38:39]
	v_mov_b32_e32 v18, 0xff800000
	v_mov_b32_e32 v20, 0xff800000
	v_writelane_b32 v78, s39, 7
	s_and_saveexec_b64 s[38:39], s[40:41]
	s_cbranch_execz .LBB481_94
; %bb.93:
	global_load_ushort v6, v[2:3], off offset:2944
	s_waitcnt vmcnt(0)
	v_lshlrev_b32_e32 v20, 16, v6
.LBB481_94:
	s_or_b64 exec, exec, s[38:39]
	v_add_u32_e32 v6, 0x5e0, v4
	v_cmp_gt_i32_e64 s[38:39], s42, v6
	;; [unrolled: 28-line block ×10, first 2 shown]
	s_and_b64 s[40:41], vcc, s[42:43]
	s_and_saveexec_b64 s[38:39], s[40:41]
	s_cbranch_execz .LBB481_128
; %bb.127:
	global_load_ushort v2, v[2:3], off offset:4032
	s_waitcnt vmcnt(0)
	v_lshlrev_b32_e32 v72, 16, v2
.LBB481_128:
	s_or_b64 exec, exec, s[38:39]
	v_cmp_gt_f32_e32 vcc, v50, v63
	v_cndmask_b32_e32 v2, v63, v50, vcc
	v_cmp_gt_f32_e32 vcc, v2, v64
	v_cndmask_b32_e32 v2, v64, v2, vcc
	;; [unrolled: 2-line block ×61, first 2 shown]
	v_mbcnt_lo_u32_b32 v3, -1, 0
	v_cmp_gt_f32_e32 vcc, v2, v33
	v_mbcnt_hi_u32_b32 v3, -1, v3
	v_cndmask_b32_e32 v2, v33, v2, vcc
	v_and_b32_e32 v4, 0x60, v3
	v_cmp_gt_f32_e32 vcc, v2, v72
	v_add_u32_e32 v4, 32, v4
	v_xor_b32_e32 v65, 16, v3
	v_cndmask_b32_e32 v2, v72, v2, vcc
	v_cmp_lt_i32_e32 vcc, v65, v4
	v_cndmask_b32_e32 v65, v3, v65, vcc
	v_lshlrev_b32_e32 v66, 2, v65
	ds_bpermute_b32 v65, v66, v2
	s_mov_b32 s39, 0x3fb8aa3b
	s_mov_b32 s38, 0xc2ce8ed0
	;; [unrolled: 1-line block ×3, first 2 shown]
	s_waitcnt lgkmcnt(0)
	v_cmp_lt_f32_e32 vcc, v2, v65
	v_cndmask_b32_e32 v2, v2, v65, vcc
	v_xor_b32_e32 v65, 8, v3
	v_cmp_lt_i32_e32 vcc, v65, v4
	v_cndmask_b32_e32 v65, v3, v65, vcc
	v_lshlrev_b32_e32 v68, 2, v65
	ds_bpermute_b32 v65, v68, v2
	s_waitcnt lgkmcnt(0)
	v_cmp_lt_f32_e32 vcc, v2, v65
	v_cndmask_b32_e32 v2, v2, v65, vcc
	v_xor_b32_e32 v65, 4, v3
	v_cmp_lt_i32_e32 vcc, v65, v4
	v_cndmask_b32_e32 v65, v3, v65, vcc
	v_lshlrev_b32_e32 v69, 2, v65
	ds_bpermute_b32 v65, v69, v2
	;; [unrolled: 8-line block ×4, first 2 shown]
	s_waitcnt lgkmcnt(0)
	v_cmp_lt_f32_e32 vcc, v2, v3
	v_cndmask_b32_e32 v73, v2, v3, vcc
	v_sub_f32_e32 v2, v50, v73
	v_mul_f32_e32 v3, 0x3fb8aa3b, v2
	v_fma_f32 v4, v2, s39, -v3
	v_rndne_f32_e32 v50, v3
	v_fmac_f32_e32 v4, 0x32a5705f, v2
	v_sub_f32_e32 v3, v3, v50
	v_add_f32_e32 v3, v3, v4
	v_exp_f32_e32 v3, v3
	v_cvt_i32_f32_e32 v4, v50
	v_cmp_ngt_f32_e32 vcc, s38, v2
	v_mov_b32_e32 v50, 0x7f800000
	v_sub_f32_e32 v33, v33, v73
	v_ldexp_f32 v3, v3, v4
	v_cndmask_b32_e32 v3, 0, v3, vcc
	v_cmp_nlt_f32_e32 vcc, s33, v2
	v_sub_f32_e32 v2, v63, v73
	v_cndmask_b32_e32 v67, v50, v3, vcc
	v_mul_f32_e32 v3, 0x3fb8aa3b, v2
	v_fma_f32 v4, v2, s39, -v3
	v_rndne_f32_e32 v63, v3
	v_fmac_f32_e32 v4, 0x32a5705f, v2
	v_sub_f32_e32 v3, v3, v63
	v_add_f32_e32 v3, v3, v4
	v_exp_f32_e32 v3, v3
	v_cvt_i32_f32_e32 v4, v63
	v_cmp_ngt_f32_e32 vcc, s38, v2
	v_sub_f32_e32 v72, v72, v73
	v_ldexp_f32 v3, v3, v4
	v_cndmask_b32_e32 v3, 0, v3, vcc
	v_cmp_nlt_f32_e32 vcc, s33, v2
	v_cndmask_b32_e32 v65, v50, v3, vcc
	v_sub_f32_e32 v3, v64, v73
	v_mul_f32_e32 v4, 0x3fb8aa3b, v3
	v_fma_f32 v63, v3, s39, -v4
	v_rndne_f32_e32 v64, v4
	v_fmac_f32_e32 v63, 0x32a5705f, v3
	v_sub_f32_e32 v4, v4, v64
	v_add_f32_e32 v4, v4, v63
	v_exp_f32_e32 v4, v4
	v_cvt_i32_f32_e32 v63, v64
	v_cmp_ngt_f32_e32 vcc, s38, v3
	v_add_f32_e32 v2, v67, v65
	v_ldexp_f32 v4, v4, v63
	v_cndmask_b32_e32 v4, 0, v4, vcc
	v_cmp_nlt_f32_e32 vcc, s33, v3
	v_sub_f32_e32 v3, v61, v73
	v_cndmask_b32_e32 v64, v50, v4, vcc
	v_mul_f32_e32 v4, 0x3fb8aa3b, v3
	v_fma_f32 v61, v3, s39, -v4
	v_rndne_f32_e32 v63, v4
	v_fmac_f32_e32 v61, 0x32a5705f, v3
	v_sub_f32_e32 v4, v4, v63
	v_add_f32_e32 v4, v4, v61
	v_exp_f32_e32 v4, v4
	v_cvt_i32_f32_e32 v61, v63
	v_cmp_ngt_f32_e32 vcc, s38, v3
	v_add_f32_e32 v2, v2, v64
	v_ldexp_f32 v4, v4, v61
	v_cndmask_b32_e32 v4, 0, v4, vcc
	v_cmp_nlt_f32_e32 vcc, s33, v3
	v_sub_f32_e32 v3, v62, v73
	v_cndmask_b32_e32 v63, v50, v4, vcc
	;; [unrolled: 15-line block ×57, first 2 shown]
	v_mul_f32_e32 v4, 0x3fb8aa3b, v3
	v_fma_f32 v76, v3, s39, -v4
	v_rndne_f32_e32 v77, v4
	v_fmac_f32_e32 v76, 0x32a5705f, v3
	v_sub_f32_e32 v4, v4, v77
	v_add_f32_e32 v4, v4, v76
	v_exp_f32_e32 v4, v4
	v_cvt_i32_f32_e32 v76, v77
	v_cmp_ngt_f32_e32 vcc, s38, v3
	v_add_f32_e32 v2, v2, v6
	v_ldexp_f32 v4, v4, v76
	v_cndmask_b32_e32 v4, 0, v4, vcc
	v_cmp_nlt_f32_e32 vcc, s33, v3
	v_sub_f32_e32 v3, v75, v73
	v_mul_f32_e32 v75, 0x3fb8aa3b, v3
	v_fma_f32 v76, v3, s39, -v75
	v_rndne_f32_e32 v77, v75
	v_fmac_f32_e32 v76, 0x32a5705f, v3
	v_sub_f32_e32 v75, v75, v77
	v_add_f32_e32 v75, v75, v76
	v_exp_f32_e32 v75, v75
	v_cvt_i32_f32_e32 v76, v77
	v_cndmask_b32_e32 v4, v50, v4, vcc
	v_cmp_ngt_f32_e32 vcc, s38, v3
	v_add_f32_e32 v2, v2, v4
	v_ldexp_f32 v75, v75, v76
	v_cndmask_b32_e32 v75, 0, v75, vcc
	v_cmp_nlt_f32_e32 vcc, s33, v3
	v_cndmask_b32_e32 v3, v50, v75, vcc
	v_add_f32_e32 v75, v2, v3
	v_sub_f32_e32 v2, v74, v73
	v_mul_f32_e32 v74, 0x3fb8aa3b, v2
	v_fma_f32 v76, v2, s39, -v74
	v_rndne_f32_e32 v77, v74
	v_fmac_f32_e32 v76, 0x32a5705f, v2
	v_sub_f32_e32 v74, v74, v77
	v_add_f32_e32 v74, v74, v76
	v_exp_f32_e32 v74, v74
	v_cvt_i32_f32_e32 v76, v77
	v_cmp_ngt_f32_e32 vcc, s38, v2
	v_mul_f32_e32 v73, 0x3fb8aa3b, v72
	v_ldexp_f32 v74, v74, v76
	v_cndmask_b32_e32 v74, 0, v74, vcc
	v_cmp_nlt_f32_e32 vcc, s33, v2
	v_cndmask_b32_e32 v2, v50, v74, vcc
	v_add_f32_e32 v74, v75, v2
	v_mul_f32_e32 v75, 0x3fb8aa3b, v33
	v_fma_f32 v76, v33, s39, -v75
	v_rndne_f32_e32 v77, v75
	v_fmac_f32_e32 v76, 0x32a5705f, v33
	v_sub_f32_e32 v75, v75, v77
	v_add_f32_e32 v75, v75, v76
	v_exp_f32_e32 v75, v75
	v_cvt_i32_f32_e32 v76, v77
	v_cmp_ngt_f32_e32 vcc, s38, v33
	v_ldexp_f32 v75, v75, v76
	v_cndmask_b32_e32 v75, 0, v75, vcc
	v_cmp_nlt_f32_e32 vcc, s33, v33
	v_cndmask_b32_e32 v33, v50, v75, vcc
	v_fma_f32 v75, v72, s39, -v73
	v_rndne_f32_e32 v76, v73
	v_fmac_f32_e32 v75, 0x32a5705f, v72
	v_sub_f32_e32 v73, v73, v76
	v_add_f32_e32 v73, v73, v75
	v_exp_f32_e32 v73, v73
	v_cvt_i32_f32_e32 v75, v76
	v_cmp_ngt_f32_e32 vcc, s38, v72
	v_add_f32_e32 v74, v74, v33
	v_ldexp_f32 v73, v73, v75
	v_cndmask_b32_e32 v73, 0, v73, vcc
	v_cmp_nlt_f32_e32 vcc, s33, v72
	v_cndmask_b32_e32 v50, v50, v73, vcc
	v_add_f32_e32 v72, v74, v50
	ds_bpermute_b32 v66, v66, v72
	v_cmp_lt_i32_e32 vcc, 0, v5
	s_waitcnt lgkmcnt(0)
	v_add_f32_e32 v66, v72, v66
	ds_bpermute_b32 v68, v68, v66
	s_waitcnt lgkmcnt(0)
	v_add_f32_e32 v66, v66, v68
	ds_bpermute_b32 v68, v69, v66
	;; [unrolled: 3-line block ×4, first 2 shown]
	s_and_saveexec_b64 s[38:39], vcc
	s_cbranch_execz .LBB481_322
; %bb.129:
	s_and_b64 exec, exec, s[34:35]
	s_cbranch_execz .LBB481_322
; %bb.130:
	s_waitcnt lgkmcnt(0)
	v_add_f32_e32 v5, v66, v68
	v_cmp_neq_f32_e64 s[40:41], 0, v5
	v_mov_b32_e32 v66, 0x7fc0
	s_and_saveexec_b64 s[34:35], s[40:41]
	s_cbranch_execz .LBB481_132
; %bb.131:
	v_div_scale_f32 v66, s[38:39], v5, v5, v67
	v_rcp_f32_e32 v68, v66
	v_div_scale_f32 v69, vcc, v67, v5, v67
	s_movk_i32 s33, 0x7fff
	v_fma_f32 v70, -v66, v68, 1.0
	v_fmac_f32_e32 v68, v70, v68
	v_mul_f32_e32 v70, v69, v68
	v_fma_f32 v71, -v66, v70, v69
	v_fmac_f32_e32 v70, v71, v68
	v_fma_f32 v66, -v66, v70, v69
	v_div_fmas_f32 v66, v66, v68, v70
	v_div_fixup_f32 v66, v66, v5, v67
	v_bfe_u32 v67, v66, 16, 1
	v_add3_u32 v67, v66, v67, s33
	v_lshrrev_b32_e32 v67, 16, v67
	v_mov_b32_e32 v68, 0x7fc0
	v_cmp_o_f32_e32 vcc, v66, v66
	v_cndmask_b32_e32 v66, v68, v67, vcc
.LBB481_132:
	s_or_b64 exec, exec, s[34:35]
	v_mov_b32_e32 v67, s37
	v_add_co_u32_e32 v0, vcc, s36, v0
	v_addc_co_u32_e32 v1, vcc, v67, v1, vcc
	global_store_short v[0:1], v66, off
	s_and_b64 exec, exec, s[30:31]
	s_cbranch_execz .LBB481_322
; %bb.133:
	v_mov_b32_e32 v66, 0x7fc0
	s_and_saveexec_b64 s[30:31], s[40:41]
	s_cbranch_execz .LBB481_135
; %bb.134:
	v_div_scale_f32 v66, s[34:35], v5, v5, v65
	v_rcp_f32_e32 v67, v66
	v_div_scale_f32 v68, vcc, v65, v5, v65
	s_movk_i32 s33, 0x7fff
	v_fma_f32 v69, -v66, v67, 1.0
	v_fmac_f32_e32 v67, v69, v67
	v_mul_f32_e32 v69, v68, v67
	v_fma_f32 v70, -v66, v69, v68
	v_fmac_f32_e32 v69, v70, v67
	v_fma_f32 v66, -v66, v69, v68
	v_div_fmas_f32 v66, v66, v67, v69
	v_div_fixup_f32 v65, v66, v5, v65
	v_bfe_u32 v66, v65, 16, 1
	v_add3_u32 v66, v65, v66, s33
	v_lshrrev_b32_e32 v66, 16, v66
	v_mov_b32_e32 v67, 0x7fc0
	v_cmp_o_f32_e32 vcc, v65, v65
	v_cndmask_b32_e32 v66, v67, v66, vcc
.LBB481_135:
	s_or_b64 exec, exec, s[30:31]
	global_store_short v[0:1], v66, off offset:64
	s_and_b64 exec, exec, s[28:29]
	s_cbranch_execz .LBB481_322
; %bb.136:
	v_mov_b32_e32 v65, 0x7fc0
	s_and_saveexec_b64 s[28:29], s[40:41]
	s_cbranch_execz .LBB481_138
; %bb.137:
	v_div_scale_f32 v65, s[30:31], v5, v5, v64
	v_rcp_f32_e32 v66, v65
	v_div_scale_f32 v67, vcc, v64, v5, v64
	s_movk_i32 s30, 0x7fff
	v_fma_f32 v68, -v65, v66, 1.0
	v_fmac_f32_e32 v66, v68, v66
	v_mul_f32_e32 v68, v67, v66
	v_fma_f32 v69, -v65, v68, v67
	v_fmac_f32_e32 v68, v69, v66
	v_fma_f32 v65, -v65, v68, v67
	v_div_fmas_f32 v65, v65, v66, v68
	v_div_fixup_f32 v64, v65, v5, v64
	v_bfe_u32 v65, v64, 16, 1
	v_add3_u32 v65, v64, v65, s30
	v_lshrrev_b32_e32 v65, 16, v65
	v_mov_b32_e32 v66, 0x7fc0
	v_cmp_o_f32_e32 vcc, v64, v64
	v_cndmask_b32_e32 v65, v66, v65, vcc
.LBB481_138:
	s_or_b64 exec, exec, s[28:29]
	global_store_short v[0:1], v65, off offset:128
	;; [unrolled: 28-line block ×41, first 2 shown]
	s_and_b64 exec, exec, s[44:45]
	s_cbranch_execz .LBB481_322
; %bb.256:
	v_mov_b32_e32 v16, 0x7fc0
	s_and_saveexec_b64 s[0:1], s[40:41]
	s_cbranch_execz .LBB481_258
; %bb.257:
	v_div_scale_f32 v16, s[2:3], v5, v5, v26
	v_rcp_f32_e32 v19, v16
	v_div_scale_f32 v22, vcc, v26, v5, v26
	s_movk_i32 s2, 0x7fff
	v_fma_f32 v24, -v16, v19, 1.0
	v_fmac_f32_e32 v19, v24, v19
	v_mul_f32_e32 v24, v22, v19
	v_fma_f32 v27, -v16, v24, v22
	v_fmac_f32_e32 v24, v27, v19
	v_fma_f32 v16, -v16, v24, v22
	v_div_fmas_f32 v16, v16, v19, v24
	v_div_fixup_f32 v16, v16, v5, v26
	v_bfe_u32 v19, v16, 16, 1
	v_add3_u32 v19, v16, v19, s2
	v_lshrrev_b32_e32 v19, 16, v19
	v_mov_b32_e32 v22, 0x7fc0
	v_cmp_o_f32_e32 vcc, v16, v16
	v_cndmask_b32_e32 v16, v22, v19, vcc
.LBB481_258:
	s_or_b64 exec, exec, s[0:1]
	v_readlane_b32 s0, v78, 0
	v_readlane_b32 s1, v78, 1
	global_store_short v[0:1], v16, off offset:2688
	s_and_b64 exec, exec, s[0:1]
	s_cbranch_execz .LBB481_322
; %bb.259:
	v_mov_b32_e32 v16, 0x7fc0
	s_and_saveexec_b64 s[0:1], s[40:41]
	s_cbranch_execz .LBB481_261
; %bb.260:
	v_div_scale_f32 v16, s[2:3], v5, v5, v25
	v_rcp_f32_e32 v19, v16
	v_div_scale_f32 v22, vcc, v25, v5, v25
	s_movk_i32 s2, 0x7fff
	v_fma_f32 v24, -v16, v19, 1.0
	v_fmac_f32_e32 v19, v24, v19
	v_mul_f32_e32 v24, v22, v19
	v_fma_f32 v26, -v16, v24, v22
	v_fmac_f32_e32 v24, v26, v19
	v_fma_f32 v16, -v16, v24, v22
	v_div_fmas_f32 v16, v16, v19, v24
	v_div_fixup_f32 v16, v16, v5, v25
	v_bfe_u32 v19, v16, 16, 1
	v_add3_u32 v19, v16, v19, s2
	v_lshrrev_b32_e32 v19, 16, v19
	v_mov_b32_e32 v22, 0x7fc0
	v_cmp_o_f32_e32 vcc, v16, v16
	v_cndmask_b32_e32 v16, v22, v19, vcc
.LBB481_261:
	s_or_b64 exec, exec, s[0:1]
	v_readlane_b32 s0, v78, 2
	v_readlane_b32 s1, v78, 3
	global_store_short v[0:1], v16, off offset:2752
	s_and_b64 exec, exec, s[0:1]
	s_cbranch_execz .LBB481_322
; %bb.262:
	v_mov_b32_e32 v16, 0x7fc0
	s_and_saveexec_b64 s[0:1], s[40:41]
	s_cbranch_execz .LBB481_264
; %bb.263:
	v_div_scale_f32 v16, s[2:3], v5, v5, v23
	v_rcp_f32_e32 v19, v16
	v_div_scale_f32 v22, vcc, v23, v5, v23
	s_movk_i32 s2, 0x7fff
	v_fma_f32 v24, -v16, v19, 1.0
	v_fmac_f32_e32 v19, v24, v19
	v_mul_f32_e32 v24, v22, v19
	v_fma_f32 v25, -v16, v24, v22
	v_fmac_f32_e32 v24, v25, v19
	v_fma_f32 v16, -v16, v24, v22
	v_div_fmas_f32 v16, v16, v19, v24
	v_div_fixup_f32 v16, v16, v5, v23
	v_bfe_u32 v19, v16, 16, 1
	v_add3_u32 v19, v16, v19, s2
	v_lshrrev_b32_e32 v19, 16, v19
	v_mov_b32_e32 v22, 0x7fc0
	v_cmp_o_f32_e32 vcc, v16, v16
	v_cndmask_b32_e32 v16, v22, v19, vcc
.LBB481_264:
	s_or_b64 exec, exec, s[0:1]
	v_readlane_b32 s0, v78, 4
	v_readlane_b32 s1, v78, 5
	global_store_short v[0:1], v16, off offset:2816
	s_and_b64 exec, exec, s[0:1]
	s_cbranch_execz .LBB481_322
; %bb.265:
	v_mov_b32_e32 v16, 0x7fc0
	s_and_saveexec_b64 s[0:1], s[40:41]
	s_cbranch_execz .LBB481_267
; %bb.266:
	v_div_scale_f32 v16, s[2:3], v5, v5, v21
	v_rcp_f32_e32 v19, v16
	v_div_scale_f32 v22, vcc, v21, v5, v21
	s_movk_i32 s2, 0x7fff
	v_fma_f32 v23, -v16, v19, 1.0
	v_fmac_f32_e32 v19, v23, v19
	v_mul_f32_e32 v23, v22, v19
	v_fma_f32 v24, -v16, v23, v22
	v_fmac_f32_e32 v23, v24, v19
	v_fma_f32 v16, -v16, v23, v22
	v_div_fmas_f32 v16, v16, v19, v23
	v_div_fixup_f32 v16, v16, v5, v21
	v_bfe_u32 v19, v16, 16, 1
	v_add3_u32 v19, v16, v19, s2
	v_lshrrev_b32_e32 v19, 16, v19
	v_mov_b32_e32 v21, 0x7fc0
	v_cmp_o_f32_e32 vcc, v16, v16
	v_cndmask_b32_e32 v16, v21, v19, vcc
.LBB481_267:
	s_or_b64 exec, exec, s[0:1]
	v_readlane_b32 s0, v78, 6
	v_readlane_b32 s1, v78, 7
	global_store_short v[0:1], v16, off offset:2880
	s_and_b64 exec, exec, s[0:1]
	s_cbranch_execz .LBB481_322
; %bb.268:
	v_mov_b32_e32 v16, 0x7fc0
	s_and_saveexec_b64 s[0:1], s[40:41]
	s_cbranch_execz .LBB481_270
; %bb.269:
	v_div_scale_f32 v16, s[2:3], v5, v5, v20
	v_rcp_f32_e32 v19, v16
	v_div_scale_f32 v21, vcc, v20, v5, v20
	s_movk_i32 s2, 0x7fff
	v_fma_f32 v22, -v16, v19, 1.0
	v_fmac_f32_e32 v19, v22, v19
	v_mul_f32_e32 v22, v21, v19
	v_fma_f32 v23, -v16, v22, v21
	v_fmac_f32_e32 v22, v23, v19
	v_fma_f32 v16, -v16, v22, v21
	v_div_fmas_f32 v16, v16, v19, v22
	v_div_fixup_f32 v16, v16, v5, v20
	v_bfe_u32 v19, v16, 16, 1
	v_add3_u32 v19, v16, v19, s2
	v_lshrrev_b32_e32 v19, 16, v19
	v_mov_b32_e32 v20, 0x7fc0
	v_cmp_o_f32_e32 vcc, v16, v16
	v_cndmask_b32_e32 v16, v20, v19, vcc
.LBB481_270:
	s_or_b64 exec, exec, s[0:1]
	v_readlane_b32 s0, v78, 8
	v_readlane_b32 s1, v78, 9
	global_store_short v[0:1], v16, off offset:2944
	s_and_b64 exec, exec, s[0:1]
	s_cbranch_execz .LBB481_322
; %bb.271:
	v_mov_b32_e32 v16, 0x7fc0
	s_and_saveexec_b64 s[0:1], s[40:41]
	s_cbranch_execz .LBB481_273
; %bb.272:
	v_div_scale_f32 v16, s[2:3], v5, v5, v18
	v_rcp_f32_e32 v19, v16
	v_div_scale_f32 v20, vcc, v18, v5, v18
	s_movk_i32 s2, 0x7fff
	v_fma_f32 v21, -v16, v19, 1.0
	v_fmac_f32_e32 v19, v21, v19
	v_mul_f32_e32 v21, v20, v19
	v_fma_f32 v22, -v16, v21, v20
	v_fmac_f32_e32 v21, v22, v19
	v_fma_f32 v16, -v16, v21, v20
	v_div_fmas_f32 v16, v16, v19, v21
	v_div_fixup_f32 v16, v16, v5, v18
	v_bfe_u32 v18, v16, 16, 1
	v_add3_u32 v18, v16, v18, s2
	v_lshrrev_b32_e32 v18, 16, v18
	v_mov_b32_e32 v19, 0x7fc0
	v_cmp_o_f32_e32 vcc, v16, v16
	v_cndmask_b32_e32 v16, v19, v18, vcc
.LBB481_273:
	s_or_b64 exec, exec, s[0:1]
	v_readlane_b32 s0, v78, 10
	v_readlane_b32 s1, v78, 11
	global_store_short v[0:1], v16, off offset:3008
	s_and_b64 exec, exec, s[0:1]
	s_cbranch_execz .LBB481_322
; %bb.274:
	v_mov_b32_e32 v16, 0x7fc0
	s_and_saveexec_b64 s[0:1], s[40:41]
	s_cbranch_execz .LBB481_276
; %bb.275:
	v_div_scale_f32 v16, s[2:3], v5, v5, v17
	v_rcp_f32_e32 v18, v16
	v_div_scale_f32 v19, vcc, v17, v5, v17
	s_movk_i32 s2, 0x7fff
	v_fma_f32 v20, -v16, v18, 1.0
	v_fmac_f32_e32 v18, v20, v18
	v_mul_f32_e32 v20, v19, v18
	v_fma_f32 v21, -v16, v20, v19
	v_fmac_f32_e32 v20, v21, v18
	v_fma_f32 v16, -v16, v20, v19
	v_div_fmas_f32 v16, v16, v18, v20
	v_div_fixup_f32 v16, v16, v5, v17
	v_bfe_u32 v17, v16, 16, 1
	v_add3_u32 v17, v16, v17, s2
	v_lshrrev_b32_e32 v17, 16, v17
	v_mov_b32_e32 v18, 0x7fc0
	v_cmp_o_f32_e32 vcc, v16, v16
	v_cndmask_b32_e32 v16, v18, v17, vcc
.LBB481_276:
	s_or_b64 exec, exec, s[0:1]
	v_readlane_b32 s0, v78, 12
	v_readlane_b32 s1, v78, 13
	global_store_short v[0:1], v16, off offset:3072
	s_and_b64 exec, exec, s[0:1]
	s_cbranch_execz .LBB481_322
; %bb.277:
	v_mov_b32_e32 v16, 0x7fc0
	s_and_saveexec_b64 s[0:1], s[40:41]
	s_cbranch_execz .LBB481_279
; %bb.278:
	v_div_scale_f32 v16, s[2:3], v5, v5, v15
	v_rcp_f32_e32 v17, v16
	v_div_scale_f32 v18, vcc, v15, v5, v15
	s_movk_i32 s2, 0x7fff
	v_fma_f32 v19, -v16, v17, 1.0
	v_fmac_f32_e32 v17, v19, v17
	v_mul_f32_e32 v19, v18, v17
	v_fma_f32 v20, -v16, v19, v18
	v_fmac_f32_e32 v19, v20, v17
	v_fma_f32 v16, -v16, v19, v18
	v_div_fmas_f32 v16, v16, v17, v19
	v_div_fixup_f32 v15, v16, v5, v15
	v_bfe_u32 v16, v15, 16, 1
	v_add3_u32 v16, v15, v16, s2
	v_lshrrev_b32_e32 v16, 16, v16
	v_mov_b32_e32 v17, 0x7fc0
	v_cmp_o_f32_e32 vcc, v15, v15
	v_cndmask_b32_e32 v16, v17, v16, vcc
.LBB481_279:
	s_or_b64 exec, exec, s[0:1]
	v_readlane_b32 s0, v78, 14
	v_readlane_b32 s1, v78, 15
	global_store_short v[0:1], v16, off offset:3136
	s_and_b64 exec, exec, s[0:1]
	s_cbranch_execz .LBB481_322
; %bb.280:
	v_mov_b32_e32 v15, 0x7fc0
	s_and_saveexec_b64 s[0:1], s[40:41]
	s_cbranch_execz .LBB481_282
; %bb.281:
	v_div_scale_f32 v15, s[2:3], v5, v5, v14
	v_rcp_f32_e32 v16, v15
	v_div_scale_f32 v17, vcc, v14, v5, v14
	s_movk_i32 s2, 0x7fff
	v_fma_f32 v18, -v15, v16, 1.0
	v_fmac_f32_e32 v16, v18, v16
	v_mul_f32_e32 v18, v17, v16
	v_fma_f32 v19, -v15, v18, v17
	v_fmac_f32_e32 v18, v19, v16
	v_fma_f32 v15, -v15, v18, v17
	v_div_fmas_f32 v15, v15, v16, v18
	v_div_fixup_f32 v14, v15, v5, v14
	v_bfe_u32 v15, v14, 16, 1
	v_add3_u32 v15, v14, v15, s2
	v_lshrrev_b32_e32 v15, 16, v15
	v_mov_b32_e32 v16, 0x7fc0
	v_cmp_o_f32_e32 vcc, v14, v14
	v_cndmask_b32_e32 v15, v16, v15, vcc
.LBB481_282:
	s_or_b64 exec, exec, s[0:1]
	v_readlane_b32 s0, v78, 16
	v_readlane_b32 s1, v78, 17
	global_store_short v[0:1], v15, off offset:3200
	s_and_b64 exec, exec, s[0:1]
	s_cbranch_execz .LBB481_322
; %bb.283:
	v_mov_b32_e32 v14, 0x7fc0
	s_and_saveexec_b64 s[0:1], s[40:41]
	s_cbranch_execz .LBB481_285
; %bb.284:
	v_div_scale_f32 v14, s[2:3], v5, v5, v13
	v_rcp_f32_e32 v15, v14
	v_div_scale_f32 v16, vcc, v13, v5, v13
	s_movk_i32 s2, 0x7fff
	v_fma_f32 v17, -v14, v15, 1.0
	v_fmac_f32_e32 v15, v17, v15
	v_mul_f32_e32 v17, v16, v15
	v_fma_f32 v18, -v14, v17, v16
	v_fmac_f32_e32 v17, v18, v15
	v_fma_f32 v14, -v14, v17, v16
	v_div_fmas_f32 v14, v14, v15, v17
	v_div_fixup_f32 v13, v14, v5, v13
	v_bfe_u32 v14, v13, 16, 1
	v_add3_u32 v14, v13, v14, s2
	v_lshrrev_b32_e32 v14, 16, v14
	v_mov_b32_e32 v15, 0x7fc0
	v_cmp_o_f32_e32 vcc, v13, v13
	v_cndmask_b32_e32 v14, v15, v14, vcc
.LBB481_285:
	s_or_b64 exec, exec, s[0:1]
	v_readlane_b32 s0, v78, 18
	v_readlane_b32 s1, v78, 19
	global_store_short v[0:1], v14, off offset:3264
	s_and_b64 exec, exec, s[0:1]
	s_cbranch_execz .LBB481_322
; %bb.286:
	v_mov_b32_e32 v13, 0x7fc0
	s_and_saveexec_b64 s[0:1], s[40:41]
	s_cbranch_execz .LBB481_288
; %bb.287:
	v_div_scale_f32 v13, s[2:3], v5, v5, v12
	v_rcp_f32_e32 v14, v13
	v_div_scale_f32 v15, vcc, v12, v5, v12
	s_movk_i32 s2, 0x7fff
	v_fma_f32 v16, -v13, v14, 1.0
	v_fmac_f32_e32 v14, v16, v14
	v_mul_f32_e32 v16, v15, v14
	v_fma_f32 v17, -v13, v16, v15
	v_fmac_f32_e32 v16, v17, v14
	v_fma_f32 v13, -v13, v16, v15
	v_div_fmas_f32 v13, v13, v14, v16
	v_div_fixup_f32 v12, v13, v5, v12
	v_bfe_u32 v13, v12, 16, 1
	v_add3_u32 v13, v12, v13, s2
	v_lshrrev_b32_e32 v13, 16, v13
	v_mov_b32_e32 v14, 0x7fc0
	v_cmp_o_f32_e32 vcc, v12, v12
	v_cndmask_b32_e32 v13, v14, v13, vcc
.LBB481_288:
	s_or_b64 exec, exec, s[0:1]
	v_readlane_b32 s0, v78, 20
	v_readlane_b32 s1, v78, 21
	global_store_short v[0:1], v13, off offset:3328
	s_and_b64 exec, exec, s[0:1]
	s_cbranch_execz .LBB481_322
; %bb.289:
	v_mov_b32_e32 v12, 0x7fc0
	s_and_saveexec_b64 s[0:1], s[40:41]
	s_cbranch_execz .LBB481_291
; %bb.290:
	v_div_scale_f32 v12, s[2:3], v5, v5, v11
	v_rcp_f32_e32 v13, v12
	v_div_scale_f32 v14, vcc, v11, v5, v11
	s_movk_i32 s2, 0x7fff
	v_fma_f32 v15, -v12, v13, 1.0
	v_fmac_f32_e32 v13, v15, v13
	v_mul_f32_e32 v15, v14, v13
	v_fma_f32 v16, -v12, v15, v14
	v_fmac_f32_e32 v15, v16, v13
	v_fma_f32 v12, -v12, v15, v14
	v_div_fmas_f32 v12, v12, v13, v15
	v_div_fixup_f32 v11, v12, v5, v11
	v_bfe_u32 v12, v11, 16, 1
	v_add3_u32 v12, v11, v12, s2
	v_lshrrev_b32_e32 v12, 16, v12
	v_mov_b32_e32 v13, 0x7fc0
	v_cmp_o_f32_e32 vcc, v11, v11
	v_cndmask_b32_e32 v12, v13, v12, vcc
.LBB481_291:
	s_or_b64 exec, exec, s[0:1]
	v_readlane_b32 s0, v78, 22
	v_readlane_b32 s1, v78, 23
	global_store_short v[0:1], v12, off offset:3392
	s_and_b64 exec, exec, s[0:1]
	s_cbranch_execz .LBB481_322
; %bb.292:
	v_mov_b32_e32 v11, 0x7fc0
	s_and_saveexec_b64 s[0:1], s[40:41]
	s_cbranch_execz .LBB481_294
; %bb.293:
	v_div_scale_f32 v11, s[2:3], v5, v5, v10
	v_rcp_f32_e32 v12, v11
	v_div_scale_f32 v13, vcc, v10, v5, v10
	s_movk_i32 s2, 0x7fff
	v_fma_f32 v14, -v11, v12, 1.0
	v_fmac_f32_e32 v12, v14, v12
	v_mul_f32_e32 v14, v13, v12
	v_fma_f32 v15, -v11, v14, v13
	v_fmac_f32_e32 v14, v15, v12
	v_fma_f32 v11, -v11, v14, v13
	v_div_fmas_f32 v11, v11, v12, v14
	v_div_fixup_f32 v10, v11, v5, v10
	v_bfe_u32 v11, v10, 16, 1
	v_add3_u32 v11, v10, v11, s2
	v_lshrrev_b32_e32 v11, 16, v11
	v_mov_b32_e32 v12, 0x7fc0
	v_cmp_o_f32_e32 vcc, v10, v10
	v_cndmask_b32_e32 v11, v12, v11, vcc
.LBB481_294:
	s_or_b64 exec, exec, s[0:1]
	v_readlane_b32 s0, v78, 24
	v_readlane_b32 s1, v78, 25
	global_store_short v[0:1], v11, off offset:3456
	s_and_b64 exec, exec, s[0:1]
	s_cbranch_execz .LBB481_322
; %bb.295:
	v_mov_b32_e32 v10, 0x7fc0
	s_and_saveexec_b64 s[0:1], s[40:41]
	s_cbranch_execz .LBB481_297
; %bb.296:
	v_div_scale_f32 v10, s[2:3], v5, v5, v9
	v_rcp_f32_e32 v11, v10
	v_div_scale_f32 v12, vcc, v9, v5, v9
	s_movk_i32 s2, 0x7fff
	v_fma_f32 v13, -v10, v11, 1.0
	v_fmac_f32_e32 v11, v13, v11
	v_mul_f32_e32 v13, v12, v11
	v_fma_f32 v14, -v10, v13, v12
	v_fmac_f32_e32 v13, v14, v11
	v_fma_f32 v10, -v10, v13, v12
	v_div_fmas_f32 v10, v10, v11, v13
	v_div_fixup_f32 v9, v10, v5, v9
	v_bfe_u32 v10, v9, 16, 1
	v_add3_u32 v10, v9, v10, s2
	v_lshrrev_b32_e32 v10, 16, v10
	v_mov_b32_e32 v11, 0x7fc0
	v_cmp_o_f32_e32 vcc, v9, v9
	v_cndmask_b32_e32 v10, v11, v10, vcc
.LBB481_297:
	s_or_b64 exec, exec, s[0:1]
	v_readlane_b32 s0, v78, 26
	v_readlane_b32 s1, v78, 27
	global_store_short v[0:1], v10, off offset:3520
	s_and_b64 exec, exec, s[0:1]
	s_cbranch_execz .LBB481_322
; %bb.298:
	v_mov_b32_e32 v9, 0x7fc0
	s_and_saveexec_b64 s[0:1], s[40:41]
	s_cbranch_execz .LBB481_300
; %bb.299:
	v_div_scale_f32 v9, s[2:3], v5, v5, v8
	v_rcp_f32_e32 v10, v9
	v_div_scale_f32 v11, vcc, v8, v5, v8
	s_movk_i32 s2, 0x7fff
	v_fma_f32 v12, -v9, v10, 1.0
	v_fmac_f32_e32 v10, v12, v10
	v_mul_f32_e32 v12, v11, v10
	v_fma_f32 v13, -v9, v12, v11
	v_fmac_f32_e32 v12, v13, v10
	v_fma_f32 v9, -v9, v12, v11
	v_div_fmas_f32 v9, v9, v10, v12
	v_div_fixup_f32 v8, v9, v5, v8
	v_bfe_u32 v9, v8, 16, 1
	v_add3_u32 v9, v8, v9, s2
	v_lshrrev_b32_e32 v9, 16, v9
	v_mov_b32_e32 v10, 0x7fc0
	v_cmp_o_f32_e32 vcc, v8, v8
	v_cndmask_b32_e32 v9, v10, v9, vcc
.LBB481_300:
	s_or_b64 exec, exec, s[0:1]
	v_readlane_b32 s0, v78, 28
	v_readlane_b32 s1, v78, 29
	global_store_short v[0:1], v9, off offset:3584
	s_and_b64 exec, exec, s[0:1]
	s_cbranch_execz .LBB481_322
; %bb.301:
	v_mov_b32_e32 v8, 0x7fc0
	s_and_saveexec_b64 s[0:1], s[40:41]
	s_cbranch_execz .LBB481_303
; %bb.302:
	v_div_scale_f32 v8, s[2:3], v5, v5, v7
	v_rcp_f32_e32 v9, v8
	v_div_scale_f32 v10, vcc, v7, v5, v7
	s_movk_i32 s2, 0x7fff
	v_fma_f32 v11, -v8, v9, 1.0
	v_fmac_f32_e32 v9, v11, v9
	v_mul_f32_e32 v11, v10, v9
	v_fma_f32 v12, -v8, v11, v10
	v_fmac_f32_e32 v11, v12, v9
	v_fma_f32 v8, -v8, v11, v10
	v_div_fmas_f32 v8, v8, v9, v11
	v_div_fixup_f32 v7, v8, v5, v7
	v_bfe_u32 v8, v7, 16, 1
	v_add3_u32 v8, v7, v8, s2
	v_lshrrev_b32_e32 v8, 16, v8
	v_mov_b32_e32 v9, 0x7fc0
	v_cmp_o_f32_e32 vcc, v7, v7
	v_cndmask_b32_e32 v8, v9, v8, vcc
.LBB481_303:
	s_or_b64 exec, exec, s[0:1]
	v_readlane_b32 s0, v78, 30
	v_readlane_b32 s1, v78, 31
	global_store_short v[0:1], v8, off offset:3648
	s_and_b64 exec, exec, s[0:1]
	s_cbranch_execz .LBB481_322
; %bb.304:
	v_mov_b32_e32 v7, 0x7fc0
	s_and_saveexec_b64 s[0:1], s[40:41]
	s_cbranch_execz .LBB481_306
; %bb.305:
	v_div_scale_f32 v7, s[2:3], v5, v5, v6
	v_rcp_f32_e32 v8, v7
	v_div_scale_f32 v9, vcc, v6, v5, v6
	s_movk_i32 s2, 0x7fff
	v_fma_f32 v10, -v7, v8, 1.0
	v_fmac_f32_e32 v8, v10, v8
	v_mul_f32_e32 v10, v9, v8
	v_fma_f32 v11, -v7, v10, v9
	v_fmac_f32_e32 v10, v11, v8
	v_fma_f32 v7, -v7, v10, v9
	v_div_fmas_f32 v7, v7, v8, v10
	v_div_fixup_f32 v6, v7, v5, v6
	v_bfe_u32 v7, v6, 16, 1
	v_add3_u32 v7, v6, v7, s2
	v_lshrrev_b32_e32 v7, 16, v7
	v_mov_b32_e32 v8, 0x7fc0
	v_cmp_o_f32_e32 vcc, v6, v6
	v_cndmask_b32_e32 v7, v8, v7, vcc
.LBB481_306:
	s_or_b64 exec, exec, s[0:1]
	v_readlane_b32 s0, v78, 32
	v_readlane_b32 s1, v78, 33
	global_store_short v[0:1], v7, off offset:3712
	s_and_b64 exec, exec, s[0:1]
	s_cbranch_execz .LBB481_322
; %bb.307:
	v_mov_b32_e32 v6, 0x7fc0
	s_and_saveexec_b64 s[0:1], s[40:41]
	s_cbranch_execz .LBB481_309
; %bb.308:
	v_div_scale_f32 v6, s[2:3], v5, v5, v4
	v_rcp_f32_e32 v7, v6
	v_div_scale_f32 v8, vcc, v4, v5, v4
	s_movk_i32 s2, 0x7fff
	v_fma_f32 v9, -v6, v7, 1.0
	v_fmac_f32_e32 v7, v9, v7
	v_mul_f32_e32 v9, v8, v7
	v_fma_f32 v10, -v6, v9, v8
	v_fmac_f32_e32 v9, v10, v7
	v_fma_f32 v6, -v6, v9, v8
	v_div_fmas_f32 v6, v6, v7, v9
	v_div_fixup_f32 v4, v6, v5, v4
	v_bfe_u32 v6, v4, 16, 1
	v_add3_u32 v6, v4, v6, s2
	v_lshrrev_b32_e32 v6, 16, v6
	v_mov_b32_e32 v7, 0x7fc0
	v_cmp_o_f32_e32 vcc, v4, v4
	v_cndmask_b32_e32 v6, v7, v6, vcc
.LBB481_309:
	s_or_b64 exec, exec, s[0:1]
	v_readlane_b32 s0, v78, 34
	v_readlane_b32 s1, v78, 35
	global_store_short v[0:1], v6, off offset:3776
	s_and_b64 exec, exec, s[0:1]
	s_cbranch_execz .LBB481_322
; %bb.310:
	v_mov_b32_e32 v4, 0x7fc0
	s_and_saveexec_b64 s[0:1], s[40:41]
	s_cbranch_execz .LBB481_312
; %bb.311:
	v_div_scale_f32 v4, s[2:3], v5, v5, v3
	v_rcp_f32_e32 v6, v4
	v_div_scale_f32 v7, vcc, v3, v5, v3
	s_movk_i32 s2, 0x7fff
	v_fma_f32 v8, -v4, v6, 1.0
	v_fmac_f32_e32 v6, v8, v6
	v_mul_f32_e32 v8, v7, v6
	v_fma_f32 v9, -v4, v8, v7
	v_fmac_f32_e32 v8, v9, v6
	v_fma_f32 v4, -v4, v8, v7
	v_div_fmas_f32 v4, v4, v6, v8
	v_div_fixup_f32 v3, v4, v5, v3
	v_bfe_u32 v4, v3, 16, 1
	v_add3_u32 v4, v3, v4, s2
	v_lshrrev_b32_e32 v4, 16, v4
	v_mov_b32_e32 v6, 0x7fc0
	v_cmp_o_f32_e32 vcc, v3, v3
	v_cndmask_b32_e32 v4, v6, v4, vcc
.LBB481_312:
	s_or_b64 exec, exec, s[0:1]
	v_readlane_b32 s0, v78, 36
	v_readlane_b32 s1, v78, 37
	global_store_short v[0:1], v4, off offset:3840
	s_and_b64 exec, exec, s[0:1]
	s_cbranch_execz .LBB481_322
; %bb.313:
	v_mov_b32_e32 v3, 0x7fc0
	s_and_saveexec_b64 s[0:1], s[40:41]
	s_cbranch_execz .LBB481_315
; %bb.314:
	v_div_scale_f32 v3, s[2:3], v5, v5, v2
	v_rcp_f32_e32 v4, v3
	v_div_scale_f32 v6, vcc, v2, v5, v2
	s_movk_i32 s2, 0x7fff
	v_fma_f32 v7, -v3, v4, 1.0
	v_fmac_f32_e32 v4, v7, v4
	v_mul_f32_e32 v7, v6, v4
	v_fma_f32 v8, -v3, v7, v6
	v_fmac_f32_e32 v7, v8, v4
	v_fma_f32 v3, -v3, v7, v6
	v_div_fmas_f32 v3, v3, v4, v7
	v_div_fixup_f32 v2, v3, v5, v2
	v_bfe_u32 v3, v2, 16, 1
	v_add3_u32 v3, v2, v3, s2
	v_lshrrev_b32_e32 v3, 16, v3
	v_mov_b32_e32 v4, 0x7fc0
	v_cmp_o_f32_e32 vcc, v2, v2
	v_cndmask_b32_e32 v3, v4, v3, vcc
.LBB481_315:
	s_or_b64 exec, exec, s[0:1]
	v_readlane_b32 s0, v78, 38
	v_readlane_b32 s1, v78, 39
	global_store_short v[0:1], v3, off offset:3904
	s_and_b64 exec, exec, s[0:1]
	s_cbranch_execz .LBB481_322
; %bb.316:
	v_mov_b32_e32 v2, 0x7fc0
	s_and_saveexec_b64 s[0:1], s[40:41]
	s_cbranch_execz .LBB481_318
; %bb.317:
	v_div_scale_f32 v2, s[2:3], v5, v5, v33
	v_rcp_f32_e32 v3, v2
	v_div_scale_f32 v4, vcc, v33, v5, v33
	s_movk_i32 s2, 0x7fff
	v_fma_f32 v6, -v2, v3, 1.0
	v_fmac_f32_e32 v3, v6, v3
	v_mul_f32_e32 v6, v4, v3
	v_fma_f32 v7, -v2, v6, v4
	v_fmac_f32_e32 v6, v7, v3
	v_fma_f32 v2, -v2, v6, v4
	v_div_fmas_f32 v2, v2, v3, v6
	v_div_fixup_f32 v2, v2, v5, v33
	v_bfe_u32 v3, v2, 16, 1
	v_add3_u32 v3, v2, v3, s2
	v_lshrrev_b32_e32 v3, 16, v3
	v_mov_b32_e32 v4, 0x7fc0
	v_cmp_o_f32_e32 vcc, v2, v2
	v_cndmask_b32_e32 v2, v4, v3, vcc
.LBB481_318:
	s_or_b64 exec, exec, s[0:1]
	global_store_short v[0:1], v2, off offset:3968
	s_and_b64 exec, exec, s[42:43]
	s_cbranch_execz .LBB481_322
; %bb.319:
	v_mov_b32_e32 v2, 0x7fc0
	s_and_saveexec_b64 s[0:1], s[40:41]
	s_cbranch_execz .LBB481_321
; %bb.320:
	v_div_scale_f32 v2, s[2:3], v5, v5, v50
	v_rcp_f32_e32 v3, v2
	v_div_scale_f32 v4, vcc, v50, v5, v50
	s_movk_i32 s2, 0x7fff
	v_fma_f32 v6, -v2, v3, 1.0
	v_fmac_f32_e32 v3, v6, v3
	v_mul_f32_e32 v6, v4, v3
	v_fma_f32 v7, -v2, v6, v4
	v_fmac_f32_e32 v6, v7, v3
	v_fma_f32 v2, -v2, v6, v4
	v_div_fmas_f32 v2, v2, v3, v6
	v_div_fixup_f32 v2, v2, v5, v50
	v_bfe_u32 v3, v2, 16, 1
	v_add3_u32 v3, v2, v3, s2
	v_lshrrev_b32_e32 v3, 16, v3
	v_mov_b32_e32 v4, 0x7fc0
	v_cmp_o_f32_e32 vcc, v2, v2
	v_cndmask_b32_e32 v2, v4, v3, vcc
.LBB481_321:
	s_or_b64 exec, exec, s[0:1]
	global_store_short v[0:1], v2, off offset:4032
.LBB481_322:
	s_endpgm
	.section	.rodata,"a",@progbits
	.p2align	6, 0x0
	.amdhsa_kernel _ZN12_GLOBAL__N_120softmax_warp_forwardIN3c108BFloat16ES2_fLi11ELb0ELb0ELi32EEEvPT0_PKT_iiiPKbib
		.amdhsa_group_segment_fixed_size 0
		.amdhsa_private_segment_fixed_size 0
		.amdhsa_kernarg_size 304
		.amdhsa_user_sgpr_count 6
		.amdhsa_user_sgpr_private_segment_buffer 1
		.amdhsa_user_sgpr_dispatch_ptr 0
		.amdhsa_user_sgpr_queue_ptr 0
		.amdhsa_user_sgpr_kernarg_segment_ptr 1
		.amdhsa_user_sgpr_dispatch_id 0
		.amdhsa_user_sgpr_flat_scratch_init 0
		.amdhsa_user_sgpr_kernarg_preload_length 0
		.amdhsa_user_sgpr_kernarg_preload_offset 0
		.amdhsa_user_sgpr_private_segment_size 0
		.amdhsa_uses_dynamic_stack 0
		.amdhsa_system_sgpr_private_segment_wavefront_offset 0
		.amdhsa_system_sgpr_workgroup_id_x 1
		.amdhsa_system_sgpr_workgroup_id_y 0
		.amdhsa_system_sgpr_workgroup_id_z 0
		.amdhsa_system_sgpr_workgroup_info 0
		.amdhsa_system_vgpr_workitem_id 1
		.amdhsa_next_free_vgpr 79
		.amdhsa_next_free_sgpr 96
		.amdhsa_accum_offset 80
		.amdhsa_reserve_vcc 1
		.amdhsa_reserve_flat_scratch 0
		.amdhsa_float_round_mode_32 0
		.amdhsa_float_round_mode_16_64 0
		.amdhsa_float_denorm_mode_32 3
		.amdhsa_float_denorm_mode_16_64 3
		.amdhsa_dx10_clamp 1
		.amdhsa_ieee_mode 1
		.amdhsa_fp16_overflow 0
		.amdhsa_tg_split 0
		.amdhsa_exception_fp_ieee_invalid_op 0
		.amdhsa_exception_fp_denorm_src 0
		.amdhsa_exception_fp_ieee_div_zero 0
		.amdhsa_exception_fp_ieee_overflow 0
		.amdhsa_exception_fp_ieee_underflow 0
		.amdhsa_exception_fp_ieee_inexact 0
		.amdhsa_exception_int_div_zero 0
	.end_amdhsa_kernel
	.section	.text._ZN12_GLOBAL__N_120softmax_warp_forwardIN3c108BFloat16ES2_fLi11ELb0ELb0ELi32EEEvPT0_PKT_iiiPKbib,"axG",@progbits,_ZN12_GLOBAL__N_120softmax_warp_forwardIN3c108BFloat16ES2_fLi11ELb0ELb0ELi32EEEvPT0_PKT_iiiPKbib,comdat
.Lfunc_end481:
	.size	_ZN12_GLOBAL__N_120softmax_warp_forwardIN3c108BFloat16ES2_fLi11ELb0ELb0ELi32EEEvPT0_PKT_iiiPKbib, .Lfunc_end481-_ZN12_GLOBAL__N_120softmax_warp_forwardIN3c108BFloat16ES2_fLi11ELb0ELb0ELi32EEEvPT0_PKT_iiiPKbib
                                        ; -- End function
	.section	.AMDGPU.csdata,"",@progbits
; Kernel info:
; codeLenInByte = 19488
; NumSgprs: 100
; NumVgprs: 79
; NumAgprs: 0
; TotalNumVgprs: 79
; ScratchSize: 0
; MemoryBound: 0
; FloatMode: 240
; IeeeMode: 1
; LDSByteSize: 0 bytes/workgroup (compile time only)
; SGPRBlocks: 12
; VGPRBlocks: 9
; NumSGPRsForWavesPerEU: 100
; NumVGPRsForWavesPerEU: 79
; AccumOffset: 80
; Occupancy: 6
; WaveLimiterHint : 0
; COMPUTE_PGM_RSRC2:SCRATCH_EN: 0
; COMPUTE_PGM_RSRC2:USER_SGPR: 6
; COMPUTE_PGM_RSRC2:TRAP_HANDLER: 0
; COMPUTE_PGM_RSRC2:TGID_X_EN: 1
; COMPUTE_PGM_RSRC2:TGID_Y_EN: 0
; COMPUTE_PGM_RSRC2:TGID_Z_EN: 0
; COMPUTE_PGM_RSRC2:TIDIG_COMP_CNT: 1
; COMPUTE_PGM_RSRC3_GFX90A:ACCUM_OFFSET: 19
; COMPUTE_PGM_RSRC3_GFX90A:TG_SPLIT: 0
	.section	.text._ZN2at6native12_GLOBAL__N_123cunn_SoftMaxForwardGmemILi8EN3c108BFloat16EfS4_NS1_29SoftMaxForwardWithMulEpilogueElEEvPT2_PKT0_T4_,"axG",@progbits,_ZN2at6native12_GLOBAL__N_123cunn_SoftMaxForwardGmemILi8EN3c108BFloat16EfS4_NS1_29SoftMaxForwardWithMulEpilogueElEEvPT2_PKT0_T4_,comdat
	.globl	_ZN2at6native12_GLOBAL__N_123cunn_SoftMaxForwardGmemILi8EN3c108BFloat16EfS4_NS1_29SoftMaxForwardWithMulEpilogueElEEvPT2_PKT0_T4_ ; -- Begin function _ZN2at6native12_GLOBAL__N_123cunn_SoftMaxForwardGmemILi8EN3c108BFloat16EfS4_NS1_29SoftMaxForwardWithMulEpilogueElEEvPT2_PKT0_T4_
	.p2align	8
	.type	_ZN2at6native12_GLOBAL__N_123cunn_SoftMaxForwardGmemILi8EN3c108BFloat16EfS4_NS1_29SoftMaxForwardWithMulEpilogueElEEvPT2_PKT0_T4_,@function
_ZN2at6native12_GLOBAL__N_123cunn_SoftMaxForwardGmemILi8EN3c108BFloat16EfS4_NS1_29SoftMaxForwardWithMulEpilogueElEEvPT2_PKT0_T4_: ; @_ZN2at6native12_GLOBAL__N_123cunn_SoftMaxForwardGmemILi8EN3c108BFloat16EfS4_NS1_29SoftMaxForwardWithMulEpilogueElEEvPT2_PKT0_T4_
; %bb.0:
	s_load_dwordx2 s[16:17], s[4:5], 0x10
	s_load_dwordx4 s[12:15], s[4:5], 0x0
	v_mov_b32_e32 v1, 0
	v_lshlrev_b32_e32 v2, 3, v0
	v_mov_b32_e32 v3, v1
	s_waitcnt lgkmcnt(0)
	s_mul_i32 s0, s6, s17
	s_mul_hi_u32 s1, s6, s16
	s_add_i32 s11, s1, s0
	s_mul_i32 s10, s6, s16
	s_mov_b32 s18, 0
	v_cmp_gt_i64_e64 s[0:1], s[16:17], v[2:3]
	v_mov_b32_e32 v3, 0xff7fffff
	v_lshlrev_b32_e32 v2, 4, v0
	s_and_saveexec_b64 s[2:3], s[0:1]
	s_cbranch_execz .LBB482_4
; %bb.1:
	s_load_dword s8, s[4:5], 0x24
	s_lshl_b64 s[6:7], s[10:11], 1
	v_mov_b32_e32 v8, s18
	v_mov_b32_e32 v9, s18
	v_pk_mov_b32 v[6:7], v[0:1], v[0:1] op_sel:[0,1]
	s_waitcnt lgkmcnt(0)
	s_and_b32 s8, s8, 0xffff
	s_add_u32 s6, s14, s6
	s_addc_u32 s7, s15, s7
	v_mov_b32_e32 v3, s7
	v_add_co_u32_e32 v4, vcc, s6, v2
	v_addc_co_u32_e32 v3, vcc, 0, v3, vcc
	v_add_co_u32_e32 v4, vcc, 14, v4
	v_addc_co_u32_e32 v5, vcc, 0, v3, vcc
	s_lshl_b32 s9, s8, 4
	s_mov_b64 s[6:7], 0
	v_mov_b32_e32 v3, 0xff7fffff
.LBB482_2:                              ; =>This Inner Loop Header: Depth=1
	global_load_dwordx4 v[10:13], v[4:5], off offset:-14
	v_add_co_u32_e32 v6, vcc, s8, v6
	v_addc_co_u32_e32 v7, vcc, v7, v8, vcc
	v_add_co_u32_e32 v4, vcc, s9, v4
	v_addc_co_u32_e32 v5, vcc, v5, v9, vcc
	v_lshlrev_b64 v[14:15], 3, v[6:7]
	v_cmp_le_i64_e32 vcc, s[16:17], v[14:15]
	s_or_b64 s[6:7], vcc, s[6:7]
	s_waitcnt vmcnt(0)
	v_lshlrev_b32_e32 v14, 16, v10
	v_and_b32_e32 v10, 0xffff0000, v10
	v_lshlrev_b32_e32 v15, 16, v11
	v_and_b32_e32 v11, 0xffff0000, v11
	v_max3_f32 v3, v3, v14, v10
	v_lshlrev_b32_e32 v16, 16, v12
	v_and_b32_e32 v12, 0xffff0000, v12
	v_max3_f32 v3, v3, v15, v11
	;; [unrolled: 3-line block ×3, first 2 shown]
	v_max3_f32 v3, v3, v17, v13
	s_andn2_b64 exec, exec, s[6:7]
	s_cbranch_execnz .LBB482_2
; %bb.3:
	s_or_b64 exec, exec, s[6:7]
.LBB482_4:
	s_or_b64 exec, exec, s[2:3]
	v_mbcnt_lo_u32_b32 v4, -1, 0
	v_mbcnt_hi_u32_b32 v5, -1, v4
	v_and_b32_e32 v6, 63, v5
	v_cmp_gt_u32_e32 vcc, 32, v6
	v_cndmask_b32_e64 v4, 0, 1, vcc
	v_lshlrev_b32_e32 v4, 5, v4
	v_add_lshl_u32 v8, v4, v5, 2
	ds_bpermute_b32 v4, v8, v3
	v_cmp_gt_u32_e32 vcc, 48, v6
	v_cndmask_b32_e64 v7, 0, 1, vcc
	v_lshrrev_b32_e32 v14, 4, v0
	s_waitcnt lgkmcnt(0)
	v_cmp_lt_f32_e32 vcc, v3, v4
	v_cndmask_b32_e32 v3, v3, v4, vcc
	v_lshlrev_b32_e32 v4, 4, v7
	v_add_lshl_u32 v9, v4, v5, 2
	ds_bpermute_b32 v4, v9, v3
	s_barrier
	s_waitcnt lgkmcnt(0)
	v_cmp_lt_f32_e32 vcc, v3, v4
	v_cndmask_b32_e32 v3, v3, v4, vcc
	v_cmp_gt_u32_e32 vcc, 56, v6
	v_cndmask_b32_e64 v4, 0, 1, vcc
	v_lshlrev_b32_e32 v4, 3, v4
	v_add_lshl_u32 v10, v4, v5, 2
	ds_bpermute_b32 v4, v10, v3
	s_waitcnt lgkmcnt(0)
	v_cmp_lt_f32_e32 vcc, v3, v4
	v_cndmask_b32_e32 v3, v3, v4, vcc
	v_cmp_gt_u32_e32 vcc, 60, v6
	v_cndmask_b32_e64 v4, 0, 1, vcc
	v_lshlrev_b32_e32 v4, 2, v4
	v_add_lshl_u32 v11, v4, v5, 2
	ds_bpermute_b32 v4, v11, v3
	;; [unrolled: 8-line block ×3, first 2 shown]
	v_and_b32_e32 v4, 63, v0
	s_waitcnt lgkmcnt(0)
	v_cmp_lt_f32_e32 vcc, v3, v7
	v_cndmask_b32_e32 v3, v3, v7, vcc
	v_cmp_ne_u32_e32 vcc, 63, v6
	v_addc_co_u32_e32 v5, vcc, 0, v5, vcc
	v_lshlrev_b32_e32 v13, 2, v5
	ds_bpermute_b32 v5, v13, v3
	v_cmp_eq_u32_e32 vcc, 0, v4
	s_and_saveexec_b64 s[6:7], vcc
	s_cbranch_execz .LBB482_6
; %bb.5:
	s_waitcnt lgkmcnt(0)
	v_cmp_lt_f32_e64 s[2:3], v3, v5
	v_add_u32_e32 v6, 0, v14
	v_cndmask_b32_e64 v3, v3, v5, s[2:3]
	ds_write_b32 v6, v3
.LBB482_6:
	s_or_b64 exec, exec, s[6:7]
	s_waitcnt lgkmcnt(0)
	s_barrier
	s_load_dword s22, s[4:5], 0x24
	v_mov_b32_e32 v3, 0xff7fffff
	v_lshl_add_u32 v15, v4, 2, 0
	s_waitcnt lgkmcnt(0)
	s_bfe_u32 s2, s22, 0xa0006
	v_cmp_gt_u32_e64 s[2:3], s2, v0
	s_and_saveexec_b64 s[4:5], s[2:3]
	s_cbranch_execnz .LBB482_24
; %bb.7:
	s_or_b64 exec, exec, s[4:5]
	v_cmp_gt_u32_e64 s[4:5], 64, v0
	s_and_saveexec_b64 s[8:9], s[4:5]
	s_cbranch_execnz .LBB482_25
.LBB482_8:
	s_or_b64 exec, exec, s[8:9]
	v_cmp_eq_u32_e64 s[6:7], 0, v0
	s_and_saveexec_b64 s[8:9], s[6:7]
	s_cbranch_execz .LBB482_10
.LBB482_9:
	v_mov_b32_e32 v4, 0
	s_waitcnt lgkmcnt(0)
	ds_write_b32 v4, v3
.LBB482_10:
	s_or_b64 exec, exec, s[8:9]
	v_mov_b32_e32 v16, 0
	s_waitcnt lgkmcnt(0)
	s_barrier
	ds_read_b32 v3, v16
	s_mov_b32 s25, 0
	s_and_saveexec_b64 s[18:19], s[0:1]
	s_cbranch_execz .LBB482_14
; %bb.11:
	s_and_b32 s23, s22, 0xffff
	s_lshl_b64 s[8:9], s[10:11], 1
	s_add_u32 s8, s14, s8
	s_addc_u32 s9, s15, s9
	v_mov_b32_e32 v4, s9
	v_add_co_u32_e64 v5, s[8:9], s8, v2
	v_addc_co_u32_e64 v6, s[8:9], 0, v4, s[8:9]
	v_add_co_u32_e64 v4, s[8:9], 14, v5
	v_addc_co_u32_e64 v5, s[8:9], 0, v6, s[8:9]
	s_lshl_b32 s24, s23, 4
	s_mov_b64 s[20:21], 0
	v_mov_b32_e32 v16, 0
	v_mov_b32_e32 v17, s25
	;; [unrolled: 1-line block ×3, first 2 shown]
	v_pk_mov_b32 v[6:7], v[0:1], v[0:1] op_sel:[0,1]
.LBB482_12:                             ; =>This Inner Loop Header: Depth=1
	global_load_dwordx4 v[20:23], v[4:5], off offset:-14
	v_add_co_u32_e64 v6, s[8:9], s23, v6
	v_addc_co_u32_e64 v7, s[8:9], v7, v17, s[8:9]
	v_add_co_u32_e64 v4, s[8:9], s24, v4
	v_addc_co_u32_e64 v5, s[8:9], v5, v18, s[8:9]
	v_lshlrev_b64 v[24:25], 3, v[6:7]
	v_cmp_le_i64_e64 s[8:9], s[16:17], v[24:25]
	s_or_b64 s[20:21], s[8:9], s[20:21]
	s_waitcnt vmcnt(0)
	v_lshlrev_b32_e32 v19, 16, v20
	v_and_b32_e32 v20, 0xffff0000, v20
	s_waitcnt lgkmcnt(0)
	v_sub_f32_e32 v19, v19, v3
	v_lshlrev_b32_e32 v24, 16, v21
	v_sub_f32_e32 v20, v20, v3
	v_mul_f32_e32 v19, 0x3fb8aa3b, v19
	v_and_b32_e32 v21, 0xffff0000, v21
	v_sub_f32_e32 v24, v24, v3
	v_mul_f32_e32 v20, 0x3fb8aa3b, v20
	v_exp_f32_e32 v19, v19
	v_lshlrev_b32_e32 v25, 16, v22
	v_sub_f32_e32 v21, v21, v3
	v_mul_f32_e32 v24, 0x3fb8aa3b, v24
	v_exp_f32_e32 v20, v20
	v_and_b32_e32 v22, 0xffff0000, v22
	v_sub_f32_e32 v25, v25, v3
	v_mul_f32_e32 v21, 0x3fb8aa3b, v21
	v_exp_f32_e32 v24, v24
	v_lshlrev_b32_e32 v26, 16, v23
	v_sub_f32_e32 v22, v22, v3
	v_mul_f32_e32 v25, 0x3fb8aa3b, v25
	v_exp_f32_e32 v21, v21
	v_and_b32_e32 v23, 0xffff0000, v23
	v_sub_f32_e32 v26, v26, v3
	v_mul_f32_e32 v22, 0x3fb8aa3b, v22
	v_exp_f32_e32 v25, v25
	v_add_f32_e32 v16, v16, v19
	v_sub_f32_e32 v23, v23, v3
	v_mul_f32_e32 v26, 0x3fb8aa3b, v26
	v_exp_f32_e32 v22, v22
	v_add_f32_e32 v16, v16, v20
	v_mul_f32_e32 v23, 0x3fb8aa3b, v23
	v_exp_f32_e32 v26, v26
	v_add_f32_e32 v16, v16, v24
	v_exp_f32_e32 v23, v23
	v_add_f32_e32 v16, v16, v21
	v_add_f32_e32 v16, v16, v25
	;; [unrolled: 1-line block ×5, first 2 shown]
	s_andn2_b64 exec, exec, s[20:21]
	s_cbranch_execnz .LBB482_12
; %bb.13:
	s_or_b64 exec, exec, s[20:21]
.LBB482_14:
	s_or_b64 exec, exec, s[18:19]
	ds_bpermute_b32 v4, v8, v16
	s_waitcnt lgkmcnt(0)
	s_barrier
	v_add_f32_e32 v4, v16, v4
	ds_bpermute_b32 v5, v9, v4
	s_waitcnt lgkmcnt(0)
	v_add_f32_e32 v4, v4, v5
	ds_bpermute_b32 v5, v10, v4
	s_waitcnt lgkmcnt(0)
	;; [unrolled: 3-line block ×4, first 2 shown]
	v_add_f32_e32 v4, v4, v5
	ds_bpermute_b32 v5, v13, v4
	s_and_saveexec_b64 s[8:9], vcc
	s_cbranch_execz .LBB482_16
; %bb.15:
	v_add_u32_e32 v6, 0, v14
	s_waitcnt lgkmcnt(0)
	v_add_f32_e32 v4, v4, v5
	ds_write_b32 v6, v4
.LBB482_16:
	s_or_b64 exec, exec, s[8:9]
	v_mov_b32_e32 v4, 0
	s_waitcnt lgkmcnt(0)
	s_barrier
	s_and_saveexec_b64 s[8:9], s[2:3]
	s_cbranch_execnz .LBB482_26
; %bb.17:
	s_or_b64 exec, exec, s[8:9]
	s_and_saveexec_b64 s[2:3], s[4:5]
	s_cbranch_execnz .LBB482_27
.LBB482_18:
	s_or_b64 exec, exec, s[2:3]
	s_and_saveexec_b64 s[2:3], s[6:7]
	s_cbranch_execz .LBB482_20
.LBB482_19:
	s_waitcnt lgkmcnt(0)
	v_div_scale_f32 v5, s[4:5], v4, v4, 1.0
	v_rcp_f32_e32 v6, v5
	v_div_scale_f32 v7, vcc, 1.0, v4, 1.0
	v_fma_f32 v8, -v5, v6, 1.0
	v_fmac_f32_e32 v6, v8, v6
	v_mul_f32_e32 v8, v7, v6
	v_fma_f32 v9, -v5, v8, v7
	v_fmac_f32_e32 v8, v9, v6
	v_fma_f32 v5, -v5, v8, v7
	v_div_fmas_f32 v5, v5, v6, v8
	v_div_fixup_f32 v4, v5, v4, 1.0
	v_mov_b32_e32 v5, 0
	ds_write_b32 v5, v4
.LBB482_20:
	s_or_b64 exec, exec, s[2:3]
	s_waitcnt lgkmcnt(0)
	s_barrier
	s_and_saveexec_b64 s[2:3], s[0:1]
	s_cbranch_execz .LBB482_23
; %bb.21:
	s_lshl_b64 s[0:1], s[10:11], 1
	v_mov_b32_e32 v4, 0
	s_add_u32 s18, s14, s0
	ds_read_b32 v4, v4
	s_addc_u32 s19, s15, s1
	s_and_b32 s20, s22, 0xffff
	s_lshl_b32 s21, s20, 4
	s_add_u32 s0, s0, s12
	s_addc_u32 s1, s1, s13
	s_mov_b32 s2, 0
	s_add_u32 s22, s0, 8
	s_waitcnt lgkmcnt(0)
	v_mov_b32_e32 v5, v4
	s_addc_u32 s23, s1, 0
	s_mov_b64 s[14:15], 0
	v_mov_b32_e32 v6, v4
	v_mov_b32_e32 v7, v4
	s_movk_i32 s24, 0x7fff
	v_mov_b32_e32 v8, 0x7fc0
	s_mov_b32 s25, 0x5040100
	v_mov_b32_e32 v9, s2
.LBB482_22:                             ; =>This Inner Loop Header: Depth=1
	v_mov_b32_e32 v11, s19
	v_add_co_u32_e64 v10, s[0:1], s18, v2
	v_addc_co_u32_e64 v11, s[0:1], 0, v11, s[0:1]
	global_load_dwordx4 v[10:13], v[10:11], off
	v_add_co_u32_e32 v0, vcc, s20, v0
	v_addc_co_u32_e32 v1, vcc, v1, v9, vcc
	v_mov_b32_e32 v15, s23
	v_add_co_u32_e32 v14, vcc, s22, v2
	v_addc_co_u32_e32 v15, vcc, 0, v15, vcc
	v_lshlrev_b64 v[16:17], 3, v[0:1]
	v_cmp_le_i64_e32 vcc, s[16:17], v[16:17]
	s_add_u32 s18, s18, s21
	s_addc_u32 s19, s19, 0
	s_add_u32 s22, s22, s21
	s_addc_u32 s23, s23, 0
	s_or_b64 s[14:15], vcc, s[14:15]
	s_waitcnt vmcnt(0)
	v_lshlrev_b32_e32 v16, 16, v10
	v_and_b32_e32 v10, 0xffff0000, v10
	v_lshlrev_b32_e32 v17, 16, v11
	v_and_b32_e32 v11, 0xffff0000, v11
	;; [unrolled: 2-line block ×4, first 2 shown]
	v_sub_f32_e32 v16, v16, v3
	v_sub_f32_e32 v10, v10, v3
	;; [unrolled: 1-line block ×8, first 2 shown]
	v_mul_f32_e32 v16, 0x3fb8aa3b, v16
	v_mul_f32_e32 v20, 0x3fb8aa3b, v10
	;; [unrolled: 1-line block ×8, first 2 shown]
	v_exp_f32_e32 v10, v16
	v_exp_f32_e32 v11, v20
	;; [unrolled: 1-line block ×8, first 2 shown]
	v_pk_mul_f32 v[10:11], v[4:5], v[10:11]
	v_pk_mul_f32 v[12:13], v[6:7], v[12:13]
	;; [unrolled: 1-line block ×4, first 2 shown]
	v_bfe_u32 v20, v10, 16, 1
	v_bfe_u32 v21, v11, 16, 1
	;; [unrolled: 1-line block ×8, first 2 shown]
	v_add3_u32 v23, v13, v23, s24
	v_add3_u32 v22, v12, v22, s24
	v_add3_u32 v21, v11, v21, s24
	v_add3_u32 v20, v10, v20, s24
	v_add3_u32 v27, v19, v27, s24
	v_add3_u32 v26, v18, v26, s24
	v_add3_u32 v25, v17, v25, s24
	v_add3_u32 v24, v16, v24, s24
	v_lshrrev_b32_e32 v20, 16, v20
	v_lshrrev_b32_e32 v21, 16, v21
	;; [unrolled: 1-line block ×4, first 2 shown]
	v_cmp_o_f32_e32 vcc, v11, v11
	v_cmp_o_f32_e64 s[0:1], v12, v12
	v_cmp_o_f32_e64 s[2:3], v13, v13
	v_lshrrev_b32_e32 v11, 16, v24
	v_lshrrev_b32_e32 v12, 16, v25
	;; [unrolled: 1-line block ×4, first 2 shown]
	v_cmp_o_f32_e64 s[4:5], v16, v16
	v_cmp_o_f32_e64 s[6:7], v17, v17
	;; [unrolled: 1-line block ×5, first 2 shown]
	v_cndmask_b32_e64 v10, v8, v20, s[12:13]
	v_cndmask_b32_e32 v16, v8, v21, vcc
	v_cndmask_b32_e64 v17, v8, v22, s[0:1]
	v_cndmask_b32_e64 v18, v8, v23, s[2:3]
	;; [unrolled: 1-line block ×6, first 2 shown]
	v_perm_b32 v13, v19, v13, s25
	v_perm_b32 v12, v12, v11, s25
	;; [unrolled: 1-line block ×4, first 2 shown]
	global_store_dwordx4 v[14:15], v[10:13], off offset:-8
	s_andn2_b64 exec, exec, s[14:15]
	s_cbranch_execnz .LBB482_22
.LBB482_23:
	s_endpgm
.LBB482_24:
	ds_read_b32 v3, v15
	s_or_b64 exec, exec, s[4:5]
	v_cmp_gt_u32_e64 s[4:5], 64, v0
	s_and_saveexec_b64 s[8:9], s[4:5]
	s_cbranch_execz .LBB482_8
.LBB482_25:
	s_waitcnt lgkmcnt(0)
	ds_bpermute_b32 v4, v8, v3
	s_waitcnt lgkmcnt(0)
	v_cmp_lt_f32_e64 s[6:7], v3, v4
	v_cndmask_b32_e64 v3, v3, v4, s[6:7]
	ds_bpermute_b32 v4, v9, v3
	s_waitcnt lgkmcnt(0)
	v_cmp_lt_f32_e64 s[6:7], v3, v4
	v_cndmask_b32_e64 v3, v3, v4, s[6:7]
	;; [unrolled: 4-line block ×6, first 2 shown]
	s_or_b64 exec, exec, s[8:9]
	v_cmp_eq_u32_e64 s[6:7], 0, v0
	s_and_saveexec_b64 s[8:9], s[6:7]
	s_cbranch_execnz .LBB482_9
	s_branch .LBB482_10
.LBB482_26:
	ds_read_b32 v4, v15
	s_or_b64 exec, exec, s[8:9]
	s_and_saveexec_b64 s[2:3], s[4:5]
	s_cbranch_execz .LBB482_18
.LBB482_27:
	s_waitcnt lgkmcnt(0)
	ds_bpermute_b32 v5, v8, v4
	s_waitcnt lgkmcnt(0)
	v_add_f32_e32 v4, v4, v5
	ds_bpermute_b32 v5, v9, v4
	s_waitcnt lgkmcnt(0)
	v_add_f32_e32 v4, v4, v5
	ds_bpermute_b32 v5, v10, v4
	s_waitcnt lgkmcnt(0)
	v_add_f32_e32 v4, v4, v5
	ds_bpermute_b32 v5, v11, v4
	s_waitcnt lgkmcnt(0)
	v_add_f32_e32 v4, v4, v5
	ds_bpermute_b32 v5, v12, v4
	s_waitcnt lgkmcnt(0)
	v_add_f32_e32 v4, v4, v5
	ds_bpermute_b32 v5, v13, v4
	s_waitcnt lgkmcnt(0)
	v_add_f32_e32 v4, v4, v5
	s_or_b64 exec, exec, s[2:3]
	s_and_saveexec_b64 s[2:3], s[6:7]
	s_cbranch_execnz .LBB482_19
	s_branch .LBB482_20
	.section	.rodata,"a",@progbits
	.p2align	6, 0x0
	.amdhsa_kernel _ZN2at6native12_GLOBAL__N_123cunn_SoftMaxForwardGmemILi8EN3c108BFloat16EfS4_NS1_29SoftMaxForwardWithMulEpilogueElEEvPT2_PKT0_T4_
		.amdhsa_group_segment_fixed_size 0
		.amdhsa_private_segment_fixed_size 0
		.amdhsa_kernarg_size 280
		.amdhsa_user_sgpr_count 6
		.amdhsa_user_sgpr_private_segment_buffer 1
		.amdhsa_user_sgpr_dispatch_ptr 0
		.amdhsa_user_sgpr_queue_ptr 0
		.amdhsa_user_sgpr_kernarg_segment_ptr 1
		.amdhsa_user_sgpr_dispatch_id 0
		.amdhsa_user_sgpr_flat_scratch_init 0
		.amdhsa_user_sgpr_kernarg_preload_length 0
		.amdhsa_user_sgpr_kernarg_preload_offset 0
		.amdhsa_user_sgpr_private_segment_size 0
		.amdhsa_uses_dynamic_stack 0
		.amdhsa_system_sgpr_private_segment_wavefront_offset 0
		.amdhsa_system_sgpr_workgroup_id_x 1
		.amdhsa_system_sgpr_workgroup_id_y 0
		.amdhsa_system_sgpr_workgroup_id_z 0
		.amdhsa_system_sgpr_workgroup_info 0
		.amdhsa_system_vgpr_workitem_id 0
		.amdhsa_next_free_vgpr 28
		.amdhsa_next_free_sgpr 26
		.amdhsa_accum_offset 28
		.amdhsa_reserve_vcc 1
		.amdhsa_reserve_flat_scratch 0
		.amdhsa_float_round_mode_32 0
		.amdhsa_float_round_mode_16_64 0
		.amdhsa_float_denorm_mode_32 3
		.amdhsa_float_denorm_mode_16_64 3
		.amdhsa_dx10_clamp 1
		.amdhsa_ieee_mode 1
		.amdhsa_fp16_overflow 0
		.amdhsa_tg_split 0
		.amdhsa_exception_fp_ieee_invalid_op 0
		.amdhsa_exception_fp_denorm_src 0
		.amdhsa_exception_fp_ieee_div_zero 0
		.amdhsa_exception_fp_ieee_overflow 0
		.amdhsa_exception_fp_ieee_underflow 0
		.amdhsa_exception_fp_ieee_inexact 0
		.amdhsa_exception_int_div_zero 0
	.end_amdhsa_kernel
	.section	.text._ZN2at6native12_GLOBAL__N_123cunn_SoftMaxForwardGmemILi8EN3c108BFloat16EfS4_NS1_29SoftMaxForwardWithMulEpilogueElEEvPT2_PKT0_T4_,"axG",@progbits,_ZN2at6native12_GLOBAL__N_123cunn_SoftMaxForwardGmemILi8EN3c108BFloat16EfS4_NS1_29SoftMaxForwardWithMulEpilogueElEEvPT2_PKT0_T4_,comdat
.Lfunc_end482:
	.size	_ZN2at6native12_GLOBAL__N_123cunn_SoftMaxForwardGmemILi8EN3c108BFloat16EfS4_NS1_29SoftMaxForwardWithMulEpilogueElEEvPT2_PKT0_T4_, .Lfunc_end482-_ZN2at6native12_GLOBAL__N_123cunn_SoftMaxForwardGmemILi8EN3c108BFloat16EfS4_NS1_29SoftMaxForwardWithMulEpilogueElEEvPT2_PKT0_T4_
                                        ; -- End function
	.section	.AMDGPU.csdata,"",@progbits
; Kernel info:
; codeLenInByte = 2512
; NumSgprs: 30
; NumVgprs: 28
; NumAgprs: 0
; TotalNumVgprs: 28
; ScratchSize: 0
; MemoryBound: 0
; FloatMode: 240
; IeeeMode: 1
; LDSByteSize: 0 bytes/workgroup (compile time only)
; SGPRBlocks: 3
; VGPRBlocks: 3
; NumSGPRsForWavesPerEU: 30
; NumVGPRsForWavesPerEU: 28
; AccumOffset: 28
; Occupancy: 8
; WaveLimiterHint : 0
; COMPUTE_PGM_RSRC2:SCRATCH_EN: 0
; COMPUTE_PGM_RSRC2:USER_SGPR: 6
; COMPUTE_PGM_RSRC2:TRAP_HANDLER: 0
; COMPUTE_PGM_RSRC2:TGID_X_EN: 1
; COMPUTE_PGM_RSRC2:TGID_Y_EN: 0
; COMPUTE_PGM_RSRC2:TGID_Z_EN: 0
; COMPUTE_PGM_RSRC2:TIDIG_COMP_CNT: 0
; COMPUTE_PGM_RSRC3_GFX90A:ACCUM_OFFSET: 6
; COMPUTE_PGM_RSRC3_GFX90A:TG_SPLIT: 0
	.section	.text._ZN2at6native12_GLOBAL__N_123cunn_SoftMaxForwardFastILi8EN3c108BFloat16EfS4_NS1_29SoftMaxForwardWithMulEpilogueEEEvPT2_PKT0_i,"axG",@progbits,_ZN2at6native12_GLOBAL__N_123cunn_SoftMaxForwardFastILi8EN3c108BFloat16EfS4_NS1_29SoftMaxForwardWithMulEpilogueEEEvPT2_PKT0_i,comdat
	.globl	_ZN2at6native12_GLOBAL__N_123cunn_SoftMaxForwardFastILi8EN3c108BFloat16EfS4_NS1_29SoftMaxForwardWithMulEpilogueEEEvPT2_PKT0_i ; -- Begin function _ZN2at6native12_GLOBAL__N_123cunn_SoftMaxForwardFastILi8EN3c108BFloat16EfS4_NS1_29SoftMaxForwardWithMulEpilogueEEEvPT2_PKT0_i
	.p2align	8
	.type	_ZN2at6native12_GLOBAL__N_123cunn_SoftMaxForwardFastILi8EN3c108BFloat16EfS4_NS1_29SoftMaxForwardWithMulEpilogueEEEvPT2_PKT0_i,@function
_ZN2at6native12_GLOBAL__N_123cunn_SoftMaxForwardFastILi8EN3c108BFloat16EfS4_NS1_29SoftMaxForwardWithMulEpilogueEEEvPT2_PKT0_i: ; @_ZN2at6native12_GLOBAL__N_123cunn_SoftMaxForwardFastILi8EN3c108BFloat16EfS4_NS1_29SoftMaxForwardWithMulEpilogueEEEvPT2_PKT0_i
; %bb.0:
	s_load_dword s24, s[4:5], 0x10
	s_load_dwordx4 s[12:15], s[4:5], 0x0
	s_mov_b32 s11, 0
	s_waitcnt lgkmcnt(0)
	s_ashr_i32 s0, s24, 31
	s_mul_hi_u32 s1, s24, s6
	s_mul_i32 s0, s0, s6
	s_add_i32 s1, s1, s0
	s_mul_i32 s0, s24, s6
	s_lshl_b64 s[16:17], s[0:1], 1
	s_add_u32 s14, s14, s16
	s_addc_u32 s15, s15, s17
	s_bfe_u32 s10, s14, 0x30001
	s_cmp_lg_u32 s10, 0
	s_cselect_b64 s[18:19], -1, 0
	s_and_b64 vcc, exec, s[18:19]
	v_cmp_le_u32_e64 s[0:1], s10, v0
	s_cbranch_vccz .LBB483_25
; %bb.1:
	s_lshl_b64 s[2:3], s[10:11], 1
	s_sub_u32 s8, s14, s2
	s_subb_u32 s9, s15, s3
	s_add_i32 s7, s10, s24
	v_cmp_gt_i32_e32 vcc, s7, v0
	s_and_b64 s[2:3], s[0:1], vcc
	v_mov_b32_e32 v4, 0xff7fffff
	s_and_saveexec_b64 s[0:1], s[2:3]
	s_cbranch_execz .LBB483_3
; %bb.2:
	v_lshlrev_b32_e32 v1, 1, v0
	global_load_ushort v1, v1, s[8:9]
	s_waitcnt vmcnt(0)
	v_lshlrev_b32_e32 v1, 16, v1
	v_max_f32_e32 v1, v1, v1
	v_max_f32_e32 v4, 0xff7fffff, v1
.LBB483_3:
	s_or_b64 exec, exec, s[0:1]
	s_load_dword s0, s[4:5], 0x24
	s_add_u32 s2, s4, 24
	s_addc_u32 s3, s5, 0
	s_waitcnt lgkmcnt(0)
	s_and_b32 s0, s0, 0xffff
	v_mov_b32_e32 v1, s0
	s_lshl_b32 s0, s0, 1
	v_sub_u32_e64 v1, s7, v1 clamp
	s_add_u32 s0, s8, s0
	v_readfirstlane_b32 s7, v1
	s_addc_u32 s1, s9, 0
	s_branch .LBB483_5
.LBB483_4:
	s_add_u32 s2, s4, 24
	s_addc_u32 s3, s5, 0
	v_mov_b32_e32 v4, 0xff7fffff
	s_mov_b32 s7, s24
	s_mov_b64 s[0:1], s[14:15]
.LBB483_5:
	s_load_dword s8, s[2:3], 0x0
	v_mov_b32_e32 v1, 0
	v_lshlrev_b32_e32 v12, 3, v0
	s_waitcnt lgkmcnt(0)
	s_cmp_lt_u32 s6, s8
	s_cselect_b32 s8, 12, 18
	s_add_u32 s2, s2, s8
	s_addc_u32 s3, s3, 0
	global_load_ushort v1, v1, s[2:3]
	s_waitcnt vmcnt(0)
	v_readfirstlane_b32 s2, v1
	s_lshl_b32 s2, s2, 3
	v_cvt_f32_u32_e32 v2, s2
	s_sub_i32 s3, 0, s2
	v_rcp_iflag_f32_e32 v2, v2
	v_mul_f32_e32 v2, 0x4f7ffffe, v2
	v_cvt_u32_f32_e32 v2, v2
	v_readfirstlane_b32 s8, v2
	s_mul_i32 s3, s3, s8
	s_mul_hi_u32 s3, s8, s3
	s_add_i32 s8, s8, s3
	s_mul_hi_u32 s3, s7, s8
	s_mul_i32 s3, s3, s2
	s_sub_i32 s3, s7, s3
	s_sub_i32 s8, s3, s2
	s_cmp_ge_u32 s3, s2
	s_cselect_b32 s3, s8, s3
	s_sub_i32 s8, s3, s2
	s_cmp_ge_u32 s3, s2
	s_cselect_b32 s2, s8, s3
	s_sub_i32 s11, s7, s2
	v_cmp_gt_i32_e32 vcc, s11, v12
	s_and_saveexec_b64 s[2:3], vcc
	s_cbranch_execz .LBB483_9
; %bb.6:
	s_mov_b64 s[8:9], 0
	v_mov_b32_e32 v5, s1
	v_mov_b32_e32 v2, v0
.LBB483_7:                              ; =>This Inner Loop Header: Depth=1
	v_ashrrev_i32_e32 v3, 31, v2
	v_lshlrev_b64 v[6:7], 4, v[2:3]
	v_add_co_u32_e32 v6, vcc, s0, v6
	v_addc_co_u32_e32 v7, vcc, v5, v7, vcc
	global_load_dwordx4 v[6:9], v[6:7], off
	v_add_u32_e32 v2, v2, v1
	v_lshlrev_b32_e32 v3, 3, v2
	v_cmp_le_i32_e32 vcc, s11, v3
	s_or_b64 s[8:9], vcc, s[8:9]
	s_waitcnt vmcnt(0)
	v_lshlrev_b32_e32 v3, 16, v6
	v_and_b32_e32 v6, 0xffff0000, v6
	v_lshlrev_b32_e32 v10, 16, v7
	v_and_b32_e32 v7, 0xffff0000, v7
	v_max3_f32 v3, v4, v3, v6
	v_lshlrev_b32_e32 v11, 16, v8
	v_and_b32_e32 v8, 0xffff0000, v8
	v_max3_f32 v3, v3, v10, v7
	;; [unrolled: 3-line block ×3, first 2 shown]
	v_max3_f32 v4, v3, v13, v9
	s_andn2_b64 exec, exec, s[8:9]
	s_cbranch_execnz .LBB483_7
; %bb.8:
	s_or_b64 exec, exec, s[8:9]
.LBB483_9:
	s_or_b64 exec, exec, s[2:3]
	v_add_u32_e32 v2, s11, v0
	v_cmp_gt_i32_e32 vcc, s7, v2
	s_and_saveexec_b64 s[2:3], vcc
	s_cbranch_execz .LBB483_13
; %bb.10:
	s_mov_b64 s[8:9], 0
	v_mov_b32_e32 v5, s1
.LBB483_11:                             ; =>This Inner Loop Header: Depth=1
	v_ashrrev_i32_e32 v3, 31, v2
	v_lshlrev_b64 v[6:7], 1, v[2:3]
	v_add_co_u32_e32 v6, vcc, s0, v6
	v_addc_co_u32_e32 v7, vcc, v5, v7, vcc
	global_load_ushort v3, v[6:7], off
	v_add_u32_e32 v2, v2, v1
	v_max_f32_e32 v4, v4, v4
	v_cmp_le_i32_e32 vcc, s7, v2
	s_or_b64 s[8:9], vcc, s[8:9]
	s_waitcnt vmcnt(0)
	v_lshlrev_b32_e32 v3, 16, v3
	v_max_f32_e32 v3, v3, v3
	v_max_f32_e32 v4, v4, v3
	s_andn2_b64 exec, exec, s[8:9]
	s_cbranch_execnz .LBB483_11
; %bb.12:
	s_or_b64 exec, exec, s[8:9]
.LBB483_13:
	s_or_b64 exec, exec, s[2:3]
	v_mbcnt_lo_u32_b32 v1, -1, 0
	v_mbcnt_hi_u32_b32 v6, -1, v1
	v_and_b32_e32 v9, 63, v6
	v_cmp_gt_u32_e32 vcc, 32, v9
	v_cndmask_b32_e64 v1, 0, 1, vcc
	v_lshlrev_b32_e32 v1, 5, v1
	v_add_lshl_u32 v1, v1, v6, 2
	ds_bpermute_b32 v2, v1, v4
	v_cmp_gt_u32_e32 vcc, 48, v9
	v_cndmask_b32_e64 v3, 0, 1, vcc
	v_lshlrev_b32_e32 v3, 4, v3
	s_waitcnt lgkmcnt(0)
	v_cmp_lt_f32_e32 vcc, v4, v2
	v_cndmask_b32_e32 v2, v4, v2, vcc
	v_add_lshl_u32 v4, v3, v6, 2
	ds_bpermute_b32 v3, v4, v2
	s_barrier
	s_waitcnt lgkmcnt(0)
	v_cmp_lt_f32_e32 vcc, v2, v3
	v_cndmask_b32_e32 v2, v2, v3, vcc
	v_cmp_gt_u32_e32 vcc, 56, v9
	v_cndmask_b32_e64 v3, 0, 1, vcc
	v_lshlrev_b32_e32 v3, 3, v3
	v_add_lshl_u32 v5, v3, v6, 2
	ds_bpermute_b32 v3, v5, v2
	s_waitcnt lgkmcnt(0)
	v_cmp_lt_f32_e32 vcc, v2, v3
	v_cndmask_b32_e32 v2, v2, v3, vcc
	v_cmp_gt_u32_e32 vcc, 60, v9
	v_cndmask_b32_e64 v3, 0, 1, vcc
	v_lshlrev_b32_e32 v3, 2, v3
	v_add_lshl_u32 v7, v3, v6, 2
	ds_bpermute_b32 v3, v7, v2
	;; [unrolled: 8-line block ×3, first 2 shown]
	v_and_b32_e32 v3, 63, v0
	v_cmp_eq_u32_e64 s[0:1], 0, v3
	s_waitcnt lgkmcnt(0)
	v_cmp_lt_f32_e32 vcc, v2, v10
	v_cndmask_b32_e32 v2, v2, v10, vcc
	v_cmp_ne_u32_e32 vcc, 63, v9
	v_addc_co_u32_e32 v6, vcc, 0, v6, vcc
	v_lshlrev_b32_e32 v9, 2, v6
	ds_bpermute_b32 v6, v9, v2
	v_lshrrev_b32_e32 v10, 4, v0
	s_and_saveexec_b64 s[2:3], s[0:1]
	s_cbranch_execz .LBB483_15
; %bb.14:
	s_waitcnt lgkmcnt(0)
	v_cmp_lt_f32_e32 vcc, v2, v6
	v_add_u32_e32 v11, 0, v10
	v_cndmask_b32_e32 v2, v2, v6, vcc
	ds_write_b32 v11, v2
.LBB483_15:
	s_or_b64 exec, exec, s[2:3]
	s_waitcnt lgkmcnt(0)
	s_barrier
	s_load_dword s7, s[4:5], 0x24
	s_add_u32 s20, s4, 24
	s_addc_u32 s21, s5, 0
	v_mov_b32_e32 v2, 0xff7fffff
	v_lshl_add_u32 v11, v3, 2, 0
	s_waitcnt lgkmcnt(0)
	s_bfe_u32 s2, s7, 0xa0006
	v_cmp_gt_u32_e64 s[2:3], s2, v0
	s_and_saveexec_b64 s[4:5], s[2:3]
	s_cbranch_execnz .LBB483_23
; %bb.16:
	s_or_b64 exec, exec, s[4:5]
	v_cmp_gt_u32_e64 s[4:5], 64, v0
	s_and_saveexec_b64 s[8:9], s[4:5]
	s_cbranch_execnz .LBB483_24
.LBB483_17:
	s_or_b64 exec, exec, s[8:9]
	v_cmp_eq_u32_e64 s[8:9], 0, v0
	s_and_saveexec_b64 s[22:23], s[8:9]
	s_cbranch_execz .LBB483_19
.LBB483_18:
	v_mov_b32_e32 v3, 0
	s_waitcnt lgkmcnt(0)
	ds_write_b32 v3, v2
.LBB483_19:
	s_or_b64 exec, exec, s[22:23]
	v_mov_b32_e32 v13, 0
	s_waitcnt lgkmcnt(0)
	s_barrier
	ds_read_b32 v6, v13
	s_and_b32 s22, s7, 0xffff
	s_andn2_b64 vcc, exec, s[18:19]
	s_mov_b32 s11, 0
	s_cbranch_vccnz .LBB483_26
; %bb.20:
	s_lshl_b64 s[18:19], s[10:11], 1
	s_sub_u32 s18, s14, s18
	s_subb_u32 s19, s15, s19
	s_add_i32 s7, s10, s24
	v_cmp_le_u32_e32 vcc, s10, v0
	v_cmp_gt_i32_e64 s[10:11], s7, v0
	s_and_b64 s[26:27], vcc, s[10:11]
	v_mov_b32_e32 v13, 0
	s_and_saveexec_b64 s[10:11], s[26:27]
	s_cbranch_execz .LBB483_22
; %bb.21:
	v_lshlrev_b32_e32 v2, 1, v0
	global_load_ushort v2, v2, s[18:19]
	s_waitcnt vmcnt(0)
	v_lshlrev_b32_e32 v2, 16, v2
	s_waitcnt lgkmcnt(0)
	v_sub_f32_e32 v2, v2, v6
	v_mul_f32_e32 v2, 0x3fb8aa3b, v2
	v_exp_f32_e32 v2, v2
	v_add_f32_e32 v13, 0, v2
.LBB483_22:
	s_or_b64 exec, exec, s[10:11]
	v_mov_b32_e32 v2, s22
	v_sub_u32_e64 v2, s7, v2 clamp
	s_lshl_b32 s7, s22, 1
	s_add_u32 s10, s18, s7
	v_readfirstlane_b32 s23, v2
	s_addc_u32 s11, s19, 0
	s_branch .LBB483_27
.LBB483_23:
	ds_read_b32 v2, v11
	s_or_b64 exec, exec, s[4:5]
	v_cmp_gt_u32_e64 s[4:5], 64, v0
	s_and_saveexec_b64 s[8:9], s[4:5]
	s_cbranch_execz .LBB483_17
.LBB483_24:
	s_waitcnt lgkmcnt(0)
	ds_bpermute_b32 v3, v1, v2
	s_waitcnt lgkmcnt(0)
	v_cmp_lt_f32_e32 vcc, v2, v3
	v_cndmask_b32_e32 v2, v2, v3, vcc
	ds_bpermute_b32 v3, v4, v2
	s_waitcnt lgkmcnt(0)
	v_cmp_lt_f32_e32 vcc, v2, v3
	v_cndmask_b32_e32 v2, v2, v3, vcc
	;; [unrolled: 4-line block ×6, first 2 shown]
	s_or_b64 exec, exec, s[8:9]
	v_cmp_eq_u32_e64 s[8:9], 0, v0
	s_and_saveexec_b64 s[22:23], s[8:9]
	s_cbranch_execnz .LBB483_18
	s_branch .LBB483_19
.LBB483_25:
                                        ; implicit-def: $sgpr0_sgpr1
                                        ; implicit-def: $sgpr7
                                        ; implicit-def: $vgpr4
                                        ; implicit-def: $sgpr2_sgpr3
	s_cbranch_execnz .LBB483_4
	s_branch .LBB483_5
.LBB483_26:
	s_mov_b64 s[10:11], s[14:15]
	s_mov_b32 s23, s24
.LBB483_27:
	s_load_dword s7, s[20:21], 0x0
	v_mov_b32_e32 v2, 0
	s_waitcnt lgkmcnt(0)
	s_cmp_lt_u32 s6, s7
	s_cselect_b32 s6, 12, 18
	s_add_u32 s6, s20, s6
	s_addc_u32 s7, s21, 0
	global_load_ushort v14, v2, s[6:7]
	s_waitcnt vmcnt(0)
	v_readfirstlane_b32 s6, v14
	s_lshl_b32 s6, s6, 3
	v_cvt_f32_u32_e32 v2, s6
	s_sub_i32 s7, 0, s6
	v_rcp_iflag_f32_e32 v2, v2
	v_mul_f32_e32 v2, 0x4f7ffffe, v2
	v_cvt_u32_f32_e32 v2, v2
	v_readfirstlane_b32 s18, v2
	s_mul_i32 s7, s7, s18
	s_mul_hi_u32 s7, s18, s7
	s_add_i32 s18, s18, s7
	s_mul_hi_u32 s7, s23, s18
	s_mul_i32 s7, s7, s6
	s_sub_i32 s7, s23, s7
	s_sub_i32 s18, s7, s6
	s_cmp_ge_u32 s7, s6
	s_cselect_b32 s7, s18, s7
	s_sub_i32 s18, s7, s6
	s_cmp_ge_u32 s7, s6
	s_cselect_b32 s6, s18, s7
	s_sub_i32 s20, s23, s6
	v_cmp_gt_i32_e32 vcc, s20, v12
	s_and_saveexec_b64 s[6:7], vcc
	s_cbranch_execz .LBB483_31
; %bb.28:
	s_mov_b64 s[18:19], 0
	v_mov_b32_e32 v12, s11
	v_mov_b32_e32 v2, v0
.LBB483_29:                             ; =>This Inner Loop Header: Depth=1
	v_ashrrev_i32_e32 v3, 31, v2
	v_lshlrev_b64 v[16:17], 4, v[2:3]
	v_add_co_u32_e32 v16, vcc, s10, v16
	v_addc_co_u32_e32 v17, vcc, v12, v17, vcc
	global_load_dwordx4 v[16:19], v[16:17], off
	v_add_u32_e32 v2, v2, v14
	v_lshlrev_b32_e32 v3, 3, v2
	v_cmp_le_i32_e32 vcc, s20, v3
	s_or_b64 s[18:19], vcc, s[18:19]
	s_waitcnt vmcnt(0)
	v_lshlrev_b32_e32 v3, 16, v16
	v_and_b32_e32 v15, 0xffff0000, v16
	v_sub_f32_e32 v3, v3, v6
	v_lshlrev_b32_e32 v16, 16, v17
	v_sub_f32_e32 v15, v15, v6
	v_mul_f32_e32 v3, 0x3fb8aa3b, v3
	v_and_b32_e32 v17, 0xffff0000, v17
	v_sub_f32_e32 v16, v16, v6
	v_mul_f32_e32 v15, 0x3fb8aa3b, v15
	v_exp_f32_e32 v3, v3
	v_lshlrev_b32_e32 v20, 16, v18
	v_sub_f32_e32 v17, v17, v6
	v_mul_f32_e32 v16, 0x3fb8aa3b, v16
	v_exp_f32_e32 v15, v15
	v_and_b32_e32 v18, 0xffff0000, v18
	v_sub_f32_e32 v20, v20, v6
	v_mul_f32_e32 v17, 0x3fb8aa3b, v17
	v_exp_f32_e32 v16, v16
	v_lshlrev_b32_e32 v21, 16, v19
	v_sub_f32_e32 v18, v18, v6
	v_mul_f32_e32 v20, 0x3fb8aa3b, v20
	v_exp_f32_e32 v17, v17
	v_and_b32_e32 v19, 0xffff0000, v19
	v_sub_f32_e32 v21, v21, v6
	v_mul_f32_e32 v18, 0x3fb8aa3b, v18
	v_exp_f32_e32 v20, v20
	v_add_f32_e32 v3, v13, v3
	v_sub_f32_e32 v19, v19, v6
	v_mul_f32_e32 v21, 0x3fb8aa3b, v21
	v_exp_f32_e32 v18, v18
	v_add_f32_e32 v3, v3, v15
	v_mul_f32_e32 v19, 0x3fb8aa3b, v19
	v_exp_f32_e32 v21, v21
	v_add_f32_e32 v3, v3, v16
	v_exp_f32_e32 v19, v19
	v_add_f32_e32 v3, v3, v17
	v_add_f32_e32 v3, v3, v20
	;; [unrolled: 1-line block ×5, first 2 shown]
	s_andn2_b64 exec, exec, s[18:19]
	s_cbranch_execnz .LBB483_29
; %bb.30:
	s_or_b64 exec, exec, s[18:19]
.LBB483_31:
	s_or_b64 exec, exec, s[6:7]
	v_add_u32_e32 v2, s20, v0
	v_cmp_gt_i32_e32 vcc, s23, v2
	s_and_saveexec_b64 s[6:7], vcc
	s_cbranch_execz .LBB483_35
; %bb.32:
	s_mov_b64 s[18:19], 0
	v_mov_b32_e32 v12, s11
.LBB483_33:                             ; =>This Inner Loop Header: Depth=1
	v_ashrrev_i32_e32 v3, 31, v2
	v_lshlrev_b64 v[16:17], 1, v[2:3]
	v_add_co_u32_e32 v16, vcc, s10, v16
	v_addc_co_u32_e32 v17, vcc, v12, v17, vcc
	global_load_ushort v3, v[16:17], off
	v_add_u32_e32 v2, v2, v14
	v_cmp_le_i32_e32 vcc, s23, v2
	s_or_b64 s[18:19], vcc, s[18:19]
	s_waitcnt vmcnt(0)
	v_lshlrev_b32_e32 v3, 16, v3
	v_sub_f32_e32 v3, v3, v6
	v_mul_f32_e32 v3, 0x3fb8aa3b, v3
	v_exp_f32_e32 v3, v3
	v_add_f32_e32 v13, v13, v3
	s_andn2_b64 exec, exec, s[18:19]
	s_cbranch_execnz .LBB483_33
; %bb.34:
	s_or_b64 exec, exec, s[18:19]
.LBB483_35:
	s_or_b64 exec, exec, s[6:7]
	ds_bpermute_b32 v2, v1, v13
	s_waitcnt lgkmcnt(0)
	s_barrier
	v_add_f32_e32 v2, v13, v2
	ds_bpermute_b32 v3, v4, v2
	s_waitcnt lgkmcnt(0)
	v_add_f32_e32 v2, v2, v3
	ds_bpermute_b32 v3, v5, v2
	s_waitcnt lgkmcnt(0)
	;; [unrolled: 3-line block ×4, first 2 shown]
	v_add_f32_e32 v2, v2, v3
	ds_bpermute_b32 v3, v9, v2
	s_and_saveexec_b64 s[6:7], s[0:1]
	s_cbranch_execz .LBB483_37
; %bb.36:
	v_add_u32_e32 v10, 0, v10
	s_waitcnt lgkmcnt(0)
	v_add_f32_e32 v2, v2, v3
	ds_write_b32 v10, v2
.LBB483_37:
	s_or_b64 exec, exec, s[6:7]
	v_mov_b32_e32 v2, 0
	s_waitcnt lgkmcnt(0)
	s_barrier
	s_and_saveexec_b64 s[0:1], s[2:3]
	s_cbranch_execnz .LBB483_45
; %bb.38:
	s_or_b64 exec, exec, s[0:1]
	s_and_saveexec_b64 s[0:1], s[4:5]
	s_cbranch_execnz .LBB483_46
.LBB483_39:
	s_or_b64 exec, exec, s[0:1]
	s_and_saveexec_b64 s[0:1], s[8:9]
	s_cbranch_execz .LBB483_41
.LBB483_40:
	s_waitcnt lgkmcnt(0)
	v_div_scale_f32 v1, s[2:3], v2, v2, 1.0
	v_rcp_f32_e32 v3, v1
	v_div_scale_f32 v4, vcc, 1.0, v2, 1.0
	v_fma_f32 v5, -v1, v3, 1.0
	v_fmac_f32_e32 v3, v5, v3
	v_mul_f32_e32 v5, v4, v3
	v_fma_f32 v7, -v1, v5, v4
	v_fmac_f32_e32 v5, v7, v3
	v_fma_f32 v1, -v1, v5, v4
	v_div_fmas_f32 v1, v1, v3, v5
	v_div_fixup_f32 v1, v1, v2, 1.0
	v_mov_b32_e32 v2, 0
	ds_write_b32 v2, v1
.LBB483_41:
	s_or_b64 exec, exec, s[0:1]
	v_cmp_gt_i32_e32 vcc, s24, v0
	s_waitcnt lgkmcnt(0)
	s_barrier
	s_and_saveexec_b64 s[0:1], vcc
	s_cbranch_execz .LBB483_44
; %bb.42:
	v_mov_b32_e32 v1, 0
	ds_read_b32 v2, v1
	s_add_u32 s4, s12, s16
	s_addc_u32 s0, s13, s17
	s_mov_b64 s[2:3], 0
	v_mov_b32_e32 v3, s15
	s_movk_i32 s5, 0x7fff
	v_mov_b32_e32 v4, 0x7fc0
	v_mov_b32_e32 v5, s0
.LBB483_43:                             ; =>This Inner Loop Header: Depth=1
	v_ashrrev_i32_e32 v1, 31, v0
	v_lshlrev_b64 v[8:9], 1, v[0:1]
	v_add_co_u32_e32 v10, vcc, s14, v8
	v_addc_co_u32_e32 v11, vcc, v3, v9, vcc
	global_load_ushort v1, v[10:11], off
	v_add_co_u32_e32 v8, vcc, s4, v8
	v_add_u32_e32 v0, s22, v0
	v_addc_co_u32_e32 v9, vcc, v5, v9, vcc
	v_cmp_le_i32_e32 vcc, s24, v0
	s_or_b64 s[2:3], vcc, s[2:3]
	s_waitcnt vmcnt(0)
	v_lshlrev_b32_e32 v1, 16, v1
	v_sub_f32_e32 v1, v1, v6
	v_mul_f32_e32 v1, 0x3fb8aa3b, v1
	v_exp_f32_e32 v1, v1
	s_waitcnt lgkmcnt(0)
	v_mul_f32_e32 v1, v2, v1
	v_bfe_u32 v7, v1, 16, 1
	v_add3_u32 v7, v1, v7, s5
	v_lshrrev_b32_e32 v7, 16, v7
	v_cmp_o_f32_e64 s[0:1], v1, v1
	v_cndmask_b32_e64 v1, v4, v7, s[0:1]
	global_store_short v[8:9], v1, off
	s_andn2_b64 exec, exec, s[2:3]
	s_cbranch_execnz .LBB483_43
.LBB483_44:
	s_endpgm
.LBB483_45:
	ds_read_b32 v2, v11
	s_or_b64 exec, exec, s[0:1]
	s_and_saveexec_b64 s[0:1], s[4:5]
	s_cbranch_execz .LBB483_39
.LBB483_46:
	s_waitcnt lgkmcnt(0)
	ds_bpermute_b32 v1, v1, v2
	s_waitcnt lgkmcnt(0)
	v_add_f32_e32 v1, v2, v1
	ds_bpermute_b32 v2, v4, v1
	s_waitcnt lgkmcnt(0)
	v_add_f32_e32 v1, v1, v2
	;; [unrolled: 3-line block ×6, first 2 shown]
	s_or_b64 exec, exec, s[0:1]
	s_and_saveexec_b64 s[0:1], s[8:9]
	s_cbranch_execnz .LBB483_40
	s_branch .LBB483_41
	.section	.rodata,"a",@progbits
	.p2align	6, 0x0
	.amdhsa_kernel _ZN2at6native12_GLOBAL__N_123cunn_SoftMaxForwardFastILi8EN3c108BFloat16EfS4_NS1_29SoftMaxForwardWithMulEpilogueEEEvPT2_PKT0_i
		.amdhsa_group_segment_fixed_size 0
		.amdhsa_private_segment_fixed_size 0
		.amdhsa_kernarg_size 280
		.amdhsa_user_sgpr_count 6
		.amdhsa_user_sgpr_private_segment_buffer 1
		.amdhsa_user_sgpr_dispatch_ptr 0
		.amdhsa_user_sgpr_queue_ptr 0
		.amdhsa_user_sgpr_kernarg_segment_ptr 1
		.amdhsa_user_sgpr_dispatch_id 0
		.amdhsa_user_sgpr_flat_scratch_init 0
		.amdhsa_user_sgpr_kernarg_preload_length 0
		.amdhsa_user_sgpr_kernarg_preload_offset 0
		.amdhsa_user_sgpr_private_segment_size 0
		.amdhsa_uses_dynamic_stack 0
		.amdhsa_system_sgpr_private_segment_wavefront_offset 0
		.amdhsa_system_sgpr_workgroup_id_x 1
		.amdhsa_system_sgpr_workgroup_id_y 0
		.amdhsa_system_sgpr_workgroup_id_z 0
		.amdhsa_system_sgpr_workgroup_info 0
		.amdhsa_system_vgpr_workitem_id 0
		.amdhsa_next_free_vgpr 22
		.amdhsa_next_free_sgpr 28
		.amdhsa_accum_offset 24
		.amdhsa_reserve_vcc 1
		.amdhsa_reserve_flat_scratch 0
		.amdhsa_float_round_mode_32 0
		.amdhsa_float_round_mode_16_64 0
		.amdhsa_float_denorm_mode_32 3
		.amdhsa_float_denorm_mode_16_64 3
		.amdhsa_dx10_clamp 1
		.amdhsa_ieee_mode 1
		.amdhsa_fp16_overflow 0
		.amdhsa_tg_split 0
		.amdhsa_exception_fp_ieee_invalid_op 0
		.amdhsa_exception_fp_denorm_src 0
		.amdhsa_exception_fp_ieee_div_zero 0
		.amdhsa_exception_fp_ieee_overflow 0
		.amdhsa_exception_fp_ieee_underflow 0
		.amdhsa_exception_fp_ieee_inexact 0
		.amdhsa_exception_int_div_zero 0
	.end_amdhsa_kernel
	.section	.text._ZN2at6native12_GLOBAL__N_123cunn_SoftMaxForwardFastILi8EN3c108BFloat16EfS4_NS1_29SoftMaxForwardWithMulEpilogueEEEvPT2_PKT0_i,"axG",@progbits,_ZN2at6native12_GLOBAL__N_123cunn_SoftMaxForwardFastILi8EN3c108BFloat16EfS4_NS1_29SoftMaxForwardWithMulEpilogueEEEvPT2_PKT0_i,comdat
.Lfunc_end483:
	.size	_ZN2at6native12_GLOBAL__N_123cunn_SoftMaxForwardFastILi8EN3c108BFloat16EfS4_NS1_29SoftMaxForwardWithMulEpilogueEEEvPT2_PKT0_i, .Lfunc_end483-_ZN2at6native12_GLOBAL__N_123cunn_SoftMaxForwardFastILi8EN3c108BFloat16EfS4_NS1_29SoftMaxForwardWithMulEpilogueEEEvPT2_PKT0_i
                                        ; -- End function
	.section	.AMDGPU.csdata,"",@progbits
; Kernel info:
; codeLenInByte = 2584
; NumSgprs: 32
; NumVgprs: 22
; NumAgprs: 0
; TotalNumVgprs: 22
; ScratchSize: 0
; MemoryBound: 0
; FloatMode: 240
; IeeeMode: 1
; LDSByteSize: 0 bytes/workgroup (compile time only)
; SGPRBlocks: 3
; VGPRBlocks: 2
; NumSGPRsForWavesPerEU: 32
; NumVGPRsForWavesPerEU: 22
; AccumOffset: 24
; Occupancy: 8
; WaveLimiterHint : 0
; COMPUTE_PGM_RSRC2:SCRATCH_EN: 0
; COMPUTE_PGM_RSRC2:USER_SGPR: 6
; COMPUTE_PGM_RSRC2:TRAP_HANDLER: 0
; COMPUTE_PGM_RSRC2:TGID_X_EN: 1
; COMPUTE_PGM_RSRC2:TGID_Y_EN: 0
; COMPUTE_PGM_RSRC2:TGID_Z_EN: 0
; COMPUTE_PGM_RSRC2:TIDIG_COMP_CNT: 0
; COMPUTE_PGM_RSRC3_GFX90A:ACCUM_OFFSET: 5
; COMPUTE_PGM_RSRC3_GFX90A:TG_SPLIT: 0
	.section	.text._ZN12_GLOBAL__N_120softmax_warp_forwardIN3c108BFloat16EffLi0ELb0ELb0ELi64EEEvPT0_PKT_iiiPKbib,"axG",@progbits,_ZN12_GLOBAL__N_120softmax_warp_forwardIN3c108BFloat16EffLi0ELb0ELb0ELi64EEEvPT0_PKT_iiiPKbib,comdat
	.globl	_ZN12_GLOBAL__N_120softmax_warp_forwardIN3c108BFloat16EffLi0ELb0ELb0ELi64EEEvPT0_PKT_iiiPKbib ; -- Begin function _ZN12_GLOBAL__N_120softmax_warp_forwardIN3c108BFloat16EffLi0ELb0ELb0ELi64EEEvPT0_PKT_iiiPKbib
	.p2align	8
	.type	_ZN12_GLOBAL__N_120softmax_warp_forwardIN3c108BFloat16EffLi0ELb0ELb0ELi64EEEvPT0_PKT_iiiPKbib,@function
_ZN12_GLOBAL__N_120softmax_warp_forwardIN3c108BFloat16EffLi0ELb0ELb0ELi64EEEvPT0_PKT_iiiPKbib: ; @_ZN12_GLOBAL__N_120softmax_warp_forwardIN3c108BFloat16EffLi0ELb0ELb0ELi64EEEvPT0_PKT_iiiPKbib
; %bb.0:
	s_load_dword s0, s[4:5], 0x3c
	s_load_dwordx8 s[8:15], s[4:5], 0x0
	v_bfe_u32 v1, v0, 10, 10
	v_and_b32_e32 v2, 0x3ff, v0
	s_waitcnt lgkmcnt(0)
	s_lshr_b32 s0, s0, 16
	s_mul_i32 s6, s6, s0
	v_add_lshl_u32 v1, s6, v1, 1
	v_sub_u32_e32 v6, s12, v1
	v_mad_u64_u32 v[0:1], s[0:1], v1, s13, v[2:3]
	v_ashrrev_i32_e32 v1, 31, v0
	v_lshlrev_b64 v[4:5], 1, v[0:1]
	v_mov_b32_e32 v3, s11
	v_add_co_u32_e32 v4, vcc, s10, v4
	v_addc_co_u32_e32 v5, vcc, v3, v5, vcc
	v_cmp_gt_i32_e64 s[0:1], s14, v2
	v_cmp_lt_i32_e32 vcc, 0, v6
	s_and_b64 s[4:5], s[0:1], vcc
	v_mov_b32_e32 v3, 0xff800000
	v_mov_b32_e32 v2, 0xff800000
	s_and_saveexec_b64 s[2:3], s[4:5]
	s_cbranch_execz .LBB484_2
; %bb.1:
	global_load_ushort v2, v[4:5], off
	s_waitcnt vmcnt(0)
	v_lshlrev_b32_e32 v2, 16, v2
.LBB484_2:
	s_or_b64 exec, exec, s[2:3]
	v_cmp_lt_i32_e64 s[2:3], 1, v6
	s_and_b64 s[2:3], s[0:1], s[2:3]
	s_and_saveexec_b64 s[4:5], s[2:3]
	s_cbranch_execz .LBB484_4
; %bb.3:
	s_mov_b32 s15, 0
	s_lshl_b64 s[2:3], s[14:15], 1
	v_mov_b32_e32 v3, s3
	v_add_co_u32_e64 v4, s[2:3], s2, v4
	v_addc_co_u32_e64 v5, s[2:3], v5, v3, s[2:3]
	global_load_ushort v3, v[4:5], off
	s_waitcnt vmcnt(0)
	v_lshlrev_b32_e32 v3, 16, v3
.LBB484_4:
	s_or_b64 exec, exec, s[4:5]
	s_and_saveexec_b64 s[2:3], vcc
	s_cbranch_execz .LBB484_12
; %bb.5:
	v_pk_add_f32 v[4:5], v[2:3], v[2:3] neg_lo:[0,1] neg_hi:[0,1]
	s_mov_b32 s2, 0x3fb8aa3b
	v_mul_f32_e32 v2, 0x3fb8aa3b, v5
	v_fma_f32 v3, v5, s2, -v2
	v_rndne_f32_e32 v7, v2
	v_fmac_f32_e32 v3, 0x32a5705f, v5
	v_sub_f32_e32 v2, v2, v7
	v_add_f32_e32 v2, v2, v3
	v_exp_f32_e32 v2, v2
	v_cvt_i32_f32_e32 v3, v7
	s_mov_b32 s3, 0xc2ce8ed0
	v_cmp_ngt_f32_e32 vcc, s3, v5
	s_mov_b32 s4, 0x42b17218
	v_ldexp_f32 v2, v2, v3
	v_mul_f32_e32 v3, 0x3fb8aa3b, v4
	v_fma_f32 v7, v4, s2, -v3
	v_rndne_f32_e32 v8, v3
	v_fmac_f32_e32 v7, 0x32a5705f, v4
	v_sub_f32_e32 v3, v3, v8
	v_add_f32_e32 v3, v3, v7
	v_exp_f32_e32 v3, v3
	v_cvt_i32_f32_e32 v7, v8
	v_cndmask_b32_e32 v2, 0, v2, vcc
	v_mov_b32_e32 v8, 0x7f800000
	v_cmp_nlt_f32_e32 vcc, s4, v5
	v_cndmask_b32_e32 v2, v8, v2, vcc
	v_ldexp_f32 v3, v3, v7
	v_cmp_ngt_f32_e32 vcc, s3, v4
	v_cndmask_b32_e32 v3, 0, v3, vcc
	v_cmp_nlt_f32_e32 vcc, s4, v4
	v_lshlrev_b64 v[0:1], 2, v[0:1]
	v_cndmask_b32_e32 v3, v8, v3, vcc
	v_mov_b32_e32 v4, s9
	v_add_co_u32_e32 v0, vcc, s8, v0
	v_addc_co_u32_e32 v1, vcc, v4, v1, vcc
	s_and_saveexec_b64 s[2:3], s[0:1]
	s_cbranch_execz .LBB484_9
; %bb.6:
	v_cmp_neq_f32_e32 vcc, 0, v3
	v_mov_b32_e32 v4, 0x7fc00000
	s_and_saveexec_b64 s[4:5], vcc
; %bb.7:
	v_div_scale_f32 v4, vcc, v3, v3, v3
	v_rcp_f32_e32 v5, v4
	v_fma_f32 v7, -v4, v5, 1.0
	v_fmac_f32_e32 v5, v7, v5
	v_mul_f32_e32 v7, v4, v5
	v_fma_f32 v8, -v4, v7, v4
	v_fmac_f32_e32 v7, v8, v5
	v_fma_f32 v4, -v4, v7, v4
	v_div_fmas_f32 v4, v4, v5, v7
	v_div_fixup_f32 v4, v4, v3, v3
; %bb.8:
	s_or_b64 exec, exec, s[4:5]
	global_store_dword v[0:1], v4, off
.LBB484_9:
	s_or_b64 exec, exec, s[2:3]
	v_cmp_ne_u32_e32 vcc, 1, v6
	s_and_b64 exec, exec, vcc
	s_cbranch_execz .LBB484_12
; %bb.10:
	s_and_b64 exec, exec, s[0:1]
	s_cbranch_execz .LBB484_12
; %bb.11:
	v_div_scale_f32 v3, vcc, v2, v2, v2
	v_rcp_f32_e32 v4, v3
	s_mov_b32 s15, 0
	s_lshl_b64 s[0:1], s[14:15], 2
	v_fma_f32 v5, -v3, v4, 1.0
	v_fmac_f32_e32 v4, v5, v4
	v_mul_f32_e32 v5, v3, v4
	v_fma_f32 v6, -v3, v5, v3
	v_fmac_f32_e32 v5, v6, v4
	v_fma_f32 v3, -v3, v5, v3
	v_div_fmas_f32 v3, v3, v4, v5
	v_mov_b32_e32 v4, s1
	v_add_co_u32_e32 v0, vcc, s0, v0
	v_addc_co_u32_e32 v1, vcc, v1, v4, vcc
	v_div_fixup_f32 v3, v3, v2, v2
	v_mov_b32_e32 v4, 0x7fc00000
	v_cmp_neq_f32_e32 vcc, 0, v2
	v_cndmask_b32_e32 v2, v4, v3, vcc
	global_store_dword v[0:1], v2, off
.LBB484_12:
	s_endpgm
	.section	.rodata,"a",@progbits
	.p2align	6, 0x0
	.amdhsa_kernel _ZN12_GLOBAL__N_120softmax_warp_forwardIN3c108BFloat16EffLi0ELb0ELb0ELi64EEEvPT0_PKT_iiiPKbib
		.amdhsa_group_segment_fixed_size 0
		.amdhsa_private_segment_fixed_size 0
		.amdhsa_kernarg_size 304
		.amdhsa_user_sgpr_count 6
		.amdhsa_user_sgpr_private_segment_buffer 1
		.amdhsa_user_sgpr_dispatch_ptr 0
		.amdhsa_user_sgpr_queue_ptr 0
		.amdhsa_user_sgpr_kernarg_segment_ptr 1
		.amdhsa_user_sgpr_dispatch_id 0
		.amdhsa_user_sgpr_flat_scratch_init 0
		.amdhsa_user_sgpr_kernarg_preload_length 0
		.amdhsa_user_sgpr_kernarg_preload_offset 0
		.amdhsa_user_sgpr_private_segment_size 0
		.amdhsa_uses_dynamic_stack 0
		.amdhsa_system_sgpr_private_segment_wavefront_offset 0
		.amdhsa_system_sgpr_workgroup_id_x 1
		.amdhsa_system_sgpr_workgroup_id_y 0
		.amdhsa_system_sgpr_workgroup_id_z 0
		.amdhsa_system_sgpr_workgroup_info 0
		.amdhsa_system_vgpr_workitem_id 1
		.amdhsa_next_free_vgpr 9
		.amdhsa_next_free_sgpr 16
		.amdhsa_accum_offset 12
		.amdhsa_reserve_vcc 1
		.amdhsa_reserve_flat_scratch 0
		.amdhsa_float_round_mode_32 0
		.amdhsa_float_round_mode_16_64 0
		.amdhsa_float_denorm_mode_32 3
		.amdhsa_float_denorm_mode_16_64 3
		.amdhsa_dx10_clamp 1
		.amdhsa_ieee_mode 1
		.amdhsa_fp16_overflow 0
		.amdhsa_tg_split 0
		.amdhsa_exception_fp_ieee_invalid_op 0
		.amdhsa_exception_fp_denorm_src 0
		.amdhsa_exception_fp_ieee_div_zero 0
		.amdhsa_exception_fp_ieee_overflow 0
		.amdhsa_exception_fp_ieee_underflow 0
		.amdhsa_exception_fp_ieee_inexact 0
		.amdhsa_exception_int_div_zero 0
	.end_amdhsa_kernel
	.section	.text._ZN12_GLOBAL__N_120softmax_warp_forwardIN3c108BFloat16EffLi0ELb0ELb0ELi64EEEvPT0_PKT_iiiPKbib,"axG",@progbits,_ZN12_GLOBAL__N_120softmax_warp_forwardIN3c108BFloat16EffLi0ELb0ELb0ELi64EEEvPT0_PKT_iiiPKbib,comdat
.Lfunc_end484:
	.size	_ZN12_GLOBAL__N_120softmax_warp_forwardIN3c108BFloat16EffLi0ELb0ELb0ELi64EEEvPT0_PKT_iiiPKbib, .Lfunc_end484-_ZN12_GLOBAL__N_120softmax_warp_forwardIN3c108BFloat16EffLi0ELb0ELb0ELi64EEEvPT0_PKT_iiiPKbib
                                        ; -- End function
	.section	.AMDGPU.csdata,"",@progbits
; Kernel info:
; codeLenInByte = 656
; NumSgprs: 20
; NumVgprs: 9
; NumAgprs: 0
; TotalNumVgprs: 9
; ScratchSize: 0
; MemoryBound: 0
; FloatMode: 240
; IeeeMode: 1
; LDSByteSize: 0 bytes/workgroup (compile time only)
; SGPRBlocks: 2
; VGPRBlocks: 1
; NumSGPRsForWavesPerEU: 20
; NumVGPRsForWavesPerEU: 9
; AccumOffset: 12
; Occupancy: 8
; WaveLimiterHint : 0
; COMPUTE_PGM_RSRC2:SCRATCH_EN: 0
; COMPUTE_PGM_RSRC2:USER_SGPR: 6
; COMPUTE_PGM_RSRC2:TRAP_HANDLER: 0
; COMPUTE_PGM_RSRC2:TGID_X_EN: 1
; COMPUTE_PGM_RSRC2:TGID_Y_EN: 0
; COMPUTE_PGM_RSRC2:TGID_Z_EN: 0
; COMPUTE_PGM_RSRC2:TIDIG_COMP_CNT: 1
; COMPUTE_PGM_RSRC3_GFX90A:ACCUM_OFFSET: 2
; COMPUTE_PGM_RSRC3_GFX90A:TG_SPLIT: 0
	.section	.text._ZN12_GLOBAL__N_120softmax_warp_forwardIN3c108BFloat16EffLi0ELb0ELb0ELi32EEEvPT0_PKT_iiiPKbib,"axG",@progbits,_ZN12_GLOBAL__N_120softmax_warp_forwardIN3c108BFloat16EffLi0ELb0ELb0ELi32EEEvPT0_PKT_iiiPKbib,comdat
	.globl	_ZN12_GLOBAL__N_120softmax_warp_forwardIN3c108BFloat16EffLi0ELb0ELb0ELi32EEEvPT0_PKT_iiiPKbib ; -- Begin function _ZN12_GLOBAL__N_120softmax_warp_forwardIN3c108BFloat16EffLi0ELb0ELb0ELi32EEEvPT0_PKT_iiiPKbib
	.p2align	8
	.type	_ZN12_GLOBAL__N_120softmax_warp_forwardIN3c108BFloat16EffLi0ELb0ELb0ELi32EEEvPT0_PKT_iiiPKbib,@function
_ZN12_GLOBAL__N_120softmax_warp_forwardIN3c108BFloat16EffLi0ELb0ELb0ELi32EEEvPT0_PKT_iiiPKbib: ; @_ZN12_GLOBAL__N_120softmax_warp_forwardIN3c108BFloat16EffLi0ELb0ELb0ELi32EEEvPT0_PKT_iiiPKbib
; %bb.0:
	s_load_dword s0, s[4:5], 0x3c
	s_load_dwordx8 s[8:15], s[4:5], 0x0
	v_bfe_u32 v1, v0, 10, 10
	v_and_b32_e32 v2, 0x3ff, v0
	s_waitcnt lgkmcnt(0)
	s_lshr_b32 s0, s0, 16
	s_mul_i32 s6, s6, s0
	v_add_lshl_u32 v1, s6, v1, 1
	v_sub_u32_e32 v6, s12, v1
	v_mad_u64_u32 v[0:1], s[0:1], v1, s13, v[2:3]
	v_ashrrev_i32_e32 v1, 31, v0
	v_lshlrev_b64 v[4:5], 1, v[0:1]
	v_mov_b32_e32 v3, s11
	v_add_co_u32_e32 v4, vcc, s10, v4
	v_addc_co_u32_e32 v5, vcc, v3, v5, vcc
	v_cmp_gt_i32_e64 s[0:1], s14, v2
	v_cmp_lt_i32_e32 vcc, 0, v6
	s_and_b64 s[4:5], s[0:1], vcc
	v_mov_b32_e32 v3, 0xff800000
	v_mov_b32_e32 v2, 0xff800000
	s_and_saveexec_b64 s[2:3], s[4:5]
	s_cbranch_execz .LBB485_2
; %bb.1:
	global_load_ushort v2, v[4:5], off
	s_waitcnt vmcnt(0)
	v_lshlrev_b32_e32 v2, 16, v2
.LBB485_2:
	s_or_b64 exec, exec, s[2:3]
	v_cmp_lt_i32_e64 s[2:3], 1, v6
	s_and_b64 s[2:3], s[0:1], s[2:3]
	s_and_saveexec_b64 s[4:5], s[2:3]
	s_cbranch_execz .LBB485_4
; %bb.3:
	s_mov_b32 s15, 0
	s_lshl_b64 s[2:3], s[14:15], 1
	v_mov_b32_e32 v3, s3
	v_add_co_u32_e64 v4, s[2:3], s2, v4
	v_addc_co_u32_e64 v5, s[2:3], v5, v3, s[2:3]
	global_load_ushort v3, v[4:5], off
	s_waitcnt vmcnt(0)
	v_lshlrev_b32_e32 v3, 16, v3
.LBB485_4:
	s_or_b64 exec, exec, s[4:5]
	s_and_saveexec_b64 s[2:3], vcc
	s_cbranch_execz .LBB485_12
; %bb.5:
	v_pk_add_f32 v[4:5], v[2:3], v[2:3] neg_lo:[0,1] neg_hi:[0,1]
	s_mov_b32 s2, 0x3fb8aa3b
	v_mul_f32_e32 v2, 0x3fb8aa3b, v5
	v_fma_f32 v3, v5, s2, -v2
	v_rndne_f32_e32 v7, v2
	v_fmac_f32_e32 v3, 0x32a5705f, v5
	v_sub_f32_e32 v2, v2, v7
	v_add_f32_e32 v2, v2, v3
	v_exp_f32_e32 v2, v2
	v_cvt_i32_f32_e32 v3, v7
	s_mov_b32 s3, 0xc2ce8ed0
	v_cmp_ngt_f32_e32 vcc, s3, v5
	s_mov_b32 s4, 0x42b17218
	v_ldexp_f32 v2, v2, v3
	v_mul_f32_e32 v3, 0x3fb8aa3b, v4
	v_fma_f32 v7, v4, s2, -v3
	v_rndne_f32_e32 v8, v3
	v_fmac_f32_e32 v7, 0x32a5705f, v4
	v_sub_f32_e32 v3, v3, v8
	v_add_f32_e32 v3, v3, v7
	v_exp_f32_e32 v3, v3
	v_cvt_i32_f32_e32 v7, v8
	v_cndmask_b32_e32 v2, 0, v2, vcc
	v_mov_b32_e32 v8, 0x7f800000
	v_cmp_nlt_f32_e32 vcc, s4, v5
	v_cndmask_b32_e32 v2, v8, v2, vcc
	v_ldexp_f32 v3, v3, v7
	v_cmp_ngt_f32_e32 vcc, s3, v4
	v_cndmask_b32_e32 v3, 0, v3, vcc
	v_cmp_nlt_f32_e32 vcc, s4, v4
	v_lshlrev_b64 v[0:1], 2, v[0:1]
	v_cndmask_b32_e32 v3, v8, v3, vcc
	v_mov_b32_e32 v4, s9
	v_add_co_u32_e32 v0, vcc, s8, v0
	v_addc_co_u32_e32 v1, vcc, v4, v1, vcc
	s_and_saveexec_b64 s[2:3], s[0:1]
	s_cbranch_execz .LBB485_9
; %bb.6:
	v_cmp_neq_f32_e32 vcc, 0, v3
	v_mov_b32_e32 v4, 0x7fc00000
	s_and_saveexec_b64 s[4:5], vcc
; %bb.7:
	v_div_scale_f32 v4, vcc, v3, v3, v3
	v_rcp_f32_e32 v5, v4
	v_fma_f32 v7, -v4, v5, 1.0
	v_fmac_f32_e32 v5, v7, v5
	v_mul_f32_e32 v7, v4, v5
	v_fma_f32 v8, -v4, v7, v4
	v_fmac_f32_e32 v7, v8, v5
	v_fma_f32 v4, -v4, v7, v4
	v_div_fmas_f32 v4, v4, v5, v7
	v_div_fixup_f32 v4, v4, v3, v3
; %bb.8:
	s_or_b64 exec, exec, s[4:5]
	global_store_dword v[0:1], v4, off
.LBB485_9:
	s_or_b64 exec, exec, s[2:3]
	v_cmp_ne_u32_e32 vcc, 1, v6
	s_and_b64 exec, exec, vcc
	s_cbranch_execz .LBB485_12
; %bb.10:
	s_and_b64 exec, exec, s[0:1]
	s_cbranch_execz .LBB485_12
; %bb.11:
	v_div_scale_f32 v3, vcc, v2, v2, v2
	v_rcp_f32_e32 v4, v3
	s_mov_b32 s15, 0
	s_lshl_b64 s[0:1], s[14:15], 2
	v_fma_f32 v5, -v3, v4, 1.0
	v_fmac_f32_e32 v4, v5, v4
	v_mul_f32_e32 v5, v3, v4
	v_fma_f32 v6, -v3, v5, v3
	v_fmac_f32_e32 v5, v6, v4
	v_fma_f32 v3, -v3, v5, v3
	v_div_fmas_f32 v3, v3, v4, v5
	v_mov_b32_e32 v4, s1
	v_add_co_u32_e32 v0, vcc, s0, v0
	v_addc_co_u32_e32 v1, vcc, v1, v4, vcc
	v_div_fixup_f32 v3, v3, v2, v2
	v_mov_b32_e32 v4, 0x7fc00000
	v_cmp_neq_f32_e32 vcc, 0, v2
	v_cndmask_b32_e32 v2, v4, v3, vcc
	global_store_dword v[0:1], v2, off
.LBB485_12:
	s_endpgm
	.section	.rodata,"a",@progbits
	.p2align	6, 0x0
	.amdhsa_kernel _ZN12_GLOBAL__N_120softmax_warp_forwardIN3c108BFloat16EffLi0ELb0ELb0ELi32EEEvPT0_PKT_iiiPKbib
		.amdhsa_group_segment_fixed_size 0
		.amdhsa_private_segment_fixed_size 0
		.amdhsa_kernarg_size 304
		.amdhsa_user_sgpr_count 6
		.amdhsa_user_sgpr_private_segment_buffer 1
		.amdhsa_user_sgpr_dispatch_ptr 0
		.amdhsa_user_sgpr_queue_ptr 0
		.amdhsa_user_sgpr_kernarg_segment_ptr 1
		.amdhsa_user_sgpr_dispatch_id 0
		.amdhsa_user_sgpr_flat_scratch_init 0
		.amdhsa_user_sgpr_kernarg_preload_length 0
		.amdhsa_user_sgpr_kernarg_preload_offset 0
		.amdhsa_user_sgpr_private_segment_size 0
		.amdhsa_uses_dynamic_stack 0
		.amdhsa_system_sgpr_private_segment_wavefront_offset 0
		.amdhsa_system_sgpr_workgroup_id_x 1
		.amdhsa_system_sgpr_workgroup_id_y 0
		.amdhsa_system_sgpr_workgroup_id_z 0
		.amdhsa_system_sgpr_workgroup_info 0
		.amdhsa_system_vgpr_workitem_id 1
		.amdhsa_next_free_vgpr 9
		.amdhsa_next_free_sgpr 16
		.amdhsa_accum_offset 12
		.amdhsa_reserve_vcc 1
		.amdhsa_reserve_flat_scratch 0
		.amdhsa_float_round_mode_32 0
		.amdhsa_float_round_mode_16_64 0
		.amdhsa_float_denorm_mode_32 3
		.amdhsa_float_denorm_mode_16_64 3
		.amdhsa_dx10_clamp 1
		.amdhsa_ieee_mode 1
		.amdhsa_fp16_overflow 0
		.amdhsa_tg_split 0
		.amdhsa_exception_fp_ieee_invalid_op 0
		.amdhsa_exception_fp_denorm_src 0
		.amdhsa_exception_fp_ieee_div_zero 0
		.amdhsa_exception_fp_ieee_overflow 0
		.amdhsa_exception_fp_ieee_underflow 0
		.amdhsa_exception_fp_ieee_inexact 0
		.amdhsa_exception_int_div_zero 0
	.end_amdhsa_kernel
	.section	.text._ZN12_GLOBAL__N_120softmax_warp_forwardIN3c108BFloat16EffLi0ELb0ELb0ELi32EEEvPT0_PKT_iiiPKbib,"axG",@progbits,_ZN12_GLOBAL__N_120softmax_warp_forwardIN3c108BFloat16EffLi0ELb0ELb0ELi32EEEvPT0_PKT_iiiPKbib,comdat
.Lfunc_end485:
	.size	_ZN12_GLOBAL__N_120softmax_warp_forwardIN3c108BFloat16EffLi0ELb0ELb0ELi32EEEvPT0_PKT_iiiPKbib, .Lfunc_end485-_ZN12_GLOBAL__N_120softmax_warp_forwardIN3c108BFloat16EffLi0ELb0ELb0ELi32EEEvPT0_PKT_iiiPKbib
                                        ; -- End function
	.section	.AMDGPU.csdata,"",@progbits
; Kernel info:
; codeLenInByte = 656
; NumSgprs: 20
; NumVgprs: 9
; NumAgprs: 0
; TotalNumVgprs: 9
; ScratchSize: 0
; MemoryBound: 0
; FloatMode: 240
; IeeeMode: 1
; LDSByteSize: 0 bytes/workgroup (compile time only)
; SGPRBlocks: 2
; VGPRBlocks: 1
; NumSGPRsForWavesPerEU: 20
; NumVGPRsForWavesPerEU: 9
; AccumOffset: 12
; Occupancy: 8
; WaveLimiterHint : 0
; COMPUTE_PGM_RSRC2:SCRATCH_EN: 0
; COMPUTE_PGM_RSRC2:USER_SGPR: 6
; COMPUTE_PGM_RSRC2:TRAP_HANDLER: 0
; COMPUTE_PGM_RSRC2:TGID_X_EN: 1
; COMPUTE_PGM_RSRC2:TGID_Y_EN: 0
; COMPUTE_PGM_RSRC2:TGID_Z_EN: 0
; COMPUTE_PGM_RSRC2:TIDIG_COMP_CNT: 1
; COMPUTE_PGM_RSRC3_GFX90A:ACCUM_OFFSET: 2
; COMPUTE_PGM_RSRC3_GFX90A:TG_SPLIT: 0
	.section	.text._ZN12_GLOBAL__N_120softmax_warp_forwardIN3c108BFloat16EffLi1ELb0ELb0ELi64EEEvPT0_PKT_iiiPKbib,"axG",@progbits,_ZN12_GLOBAL__N_120softmax_warp_forwardIN3c108BFloat16EffLi1ELb0ELb0ELi64EEEvPT0_PKT_iiiPKbib,comdat
	.globl	_ZN12_GLOBAL__N_120softmax_warp_forwardIN3c108BFloat16EffLi1ELb0ELb0ELi64EEEvPT0_PKT_iiiPKbib ; -- Begin function _ZN12_GLOBAL__N_120softmax_warp_forwardIN3c108BFloat16EffLi1ELb0ELb0ELi64EEEvPT0_PKT_iiiPKbib
	.p2align	8
	.type	_ZN12_GLOBAL__N_120softmax_warp_forwardIN3c108BFloat16EffLi1ELb0ELb0ELi64EEEvPT0_PKT_iiiPKbib,@function
_ZN12_GLOBAL__N_120softmax_warp_forwardIN3c108BFloat16EffLi1ELb0ELb0ELi64EEEvPT0_PKT_iiiPKbib: ; @_ZN12_GLOBAL__N_120softmax_warp_forwardIN3c108BFloat16EffLi1ELb0ELb0ELi64EEEvPT0_PKT_iiiPKbib
; %bb.0:
	s_load_dword s0, s[4:5], 0x3c
	s_load_dwordx8 s[8:15], s[4:5], 0x0
	v_bfe_u32 v1, v0, 10, 10
	v_and_b32_e32 v2, 0x3ff, v0
	s_waitcnt lgkmcnt(0)
	s_lshr_b32 s0, s0, 16
	s_mul_i32 s6, s6, s0
	v_add_lshl_u32 v1, s6, v1, 1
	v_sub_u32_e32 v6, s12, v1
	v_mad_u64_u32 v[0:1], s[0:1], v1, s13, v[2:3]
	v_ashrrev_i32_e32 v1, 31, v0
	v_lshlrev_b64 v[4:5], 1, v[0:1]
	v_mov_b32_e32 v3, s11
	v_add_co_u32_e32 v4, vcc, s10, v4
	v_addc_co_u32_e32 v5, vcc, v3, v5, vcc
	v_cmp_gt_i32_e64 s[0:1], s14, v2
	v_cmp_lt_i32_e32 vcc, 0, v6
	s_and_b64 s[4:5], s[0:1], vcc
	v_mov_b32_e32 v3, 0xff800000
	v_mov_b32_e32 v2, 0xff800000
	s_and_saveexec_b64 s[2:3], s[4:5]
	s_cbranch_execz .LBB486_2
; %bb.1:
	global_load_ushort v2, v[4:5], off
	s_waitcnt vmcnt(0)
	v_lshlrev_b32_e32 v2, 16, v2
.LBB486_2:
	s_or_b64 exec, exec, s[2:3]
	v_cmp_lt_i32_e64 s[2:3], 1, v6
	s_and_b64 s[2:3], s[0:1], s[2:3]
	s_and_saveexec_b64 s[4:5], s[2:3]
	s_cbranch_execz .LBB486_4
; %bb.3:
	s_mov_b32 s15, 0
	s_lshl_b64 s[2:3], s[14:15], 1
	v_mov_b32_e32 v3, s3
	v_add_co_u32_e64 v4, s[2:3], s2, v4
	v_addc_co_u32_e64 v5, s[2:3], v5, v3, s[2:3]
	global_load_ushort v3, v[4:5], off
	s_waitcnt vmcnt(0)
	v_lshlrev_b32_e32 v3, 16, v3
.LBB486_4:
	s_or_b64 exec, exec, s[4:5]
	v_mbcnt_lo_u32_b32 v4, -1, 0
	v_mbcnt_hi_u32_b32 v4, -1, v4
	v_and_b32_e32 v7, 0x7e, v4
	v_xor_b32_e32 v5, 1, v4
	v_add_u32_e32 v7, 2, v7
	v_cmp_lt_i32_e64 s[2:3], v5, v7
	v_cndmask_b32_e64 v4, v4, v5, s[2:3]
	v_lshlrev_b32_e32 v7, 2, v4
	ds_bpermute_b32 v4, v7, v3
	ds_bpermute_b32 v8, v7, v2
	s_mov_b32 s4, 0x3fb8aa3b
	s_mov_b32 s5, 0xc2ce8ed0
	;; [unrolled: 1-line block ×3, first 2 shown]
	s_waitcnt lgkmcnt(1)
	v_cmp_lt_f32_e64 s[2:3], v3, v4
	v_cndmask_b32_e64 v5, v3, v4, s[2:3]
	s_waitcnt lgkmcnt(0)
	v_cmp_lt_f32_e64 s[2:3], v2, v8
	v_cndmask_b32_e64 v4, v2, v8, s[2:3]
	v_pk_add_f32 v[2:3], v[2:3], v[4:5] neg_lo:[0,1] neg_hi:[0,1]
	v_mul_f32_e32 v4, 0x3fb8aa3b, v3
	v_fma_f32 v5, v3, s4, -v4
	v_rndne_f32_e32 v8, v4
	v_fmac_f32_e32 v5, 0x32a5705f, v3
	v_sub_f32_e32 v4, v4, v8
	v_add_f32_e32 v4, v4, v5
	v_exp_f32_e32 v4, v4
	v_cvt_i32_f32_e32 v5, v8
	v_cmp_ngt_f32_e64 s[2:3], s5, v3
	v_ldexp_f32 v4, v4, v5
	v_mul_f32_e32 v5, 0x3fb8aa3b, v2
	v_fma_f32 v8, v2, s4, -v5
	v_rndne_f32_e32 v9, v5
	v_fmac_f32_e32 v8, 0x32a5705f, v2
	v_sub_f32_e32 v5, v5, v9
	v_add_f32_e32 v5, v5, v8
	v_exp_f32_e32 v5, v5
	v_cvt_i32_f32_e32 v8, v9
	v_cndmask_b32_e64 v4, 0, v4, s[2:3]
	v_mov_b32_e32 v9, 0x7f800000
	v_cmp_nlt_f32_e64 s[2:3], s6, v3
	v_cndmask_b32_e64 v3, v9, v4, s[2:3]
	v_ldexp_f32 v4, v5, v8
	v_cmp_ngt_f32_e64 s[2:3], s5, v2
	v_cndmask_b32_e64 v4, 0, v4, s[2:3]
	v_cmp_nlt_f32_e64 s[2:3], s6, v2
	v_cndmask_b32_e64 v2, v9, v4, s[2:3]
	ds_bpermute_b32 v4, v7, v2
	ds_bpermute_b32 v5, v7, v3
	s_and_saveexec_b64 s[2:3], vcc
	s_cbranch_execz .LBB486_12
; %bb.5:
	v_lshlrev_b64 v[0:1], 2, v[0:1]
	v_mov_b32_e32 v7, s9
	v_add_co_u32_e32 v0, vcc, s8, v0
	v_addc_co_u32_e32 v1, vcc, v7, v1, vcc
	s_waitcnt lgkmcnt(0)
	v_pk_add_f32 v[4:5], v[2:3], v[4:5]
	s_and_saveexec_b64 s[2:3], s[0:1]
	s_cbranch_execz .LBB486_9
; %bb.6:
	v_cmp_neq_f32_e32 vcc, 0, v4
	v_mov_b32_e32 v7, 0x7fc00000
	s_and_saveexec_b64 s[4:5], vcc
; %bb.7:
	v_div_scale_f32 v7, s[6:7], v4, v4, v2
	v_rcp_f32_e32 v8, v7
	v_div_scale_f32 v9, vcc, v2, v4, v2
	v_fma_f32 v10, -v7, v8, 1.0
	v_fmac_f32_e32 v8, v10, v8
	v_mul_f32_e32 v10, v9, v8
	v_fma_f32 v11, -v7, v10, v9
	v_fmac_f32_e32 v10, v11, v8
	v_fma_f32 v7, -v7, v10, v9
	v_div_fmas_f32 v7, v7, v8, v10
	v_div_fixup_f32 v7, v7, v4, v2
; %bb.8:
	s_or_b64 exec, exec, s[4:5]
	global_store_dword v[0:1], v7, off
.LBB486_9:
	s_or_b64 exec, exec, s[2:3]
	v_cmp_ne_u32_e32 vcc, 1, v6
	s_and_b64 exec, exec, vcc
	s_cbranch_execz .LBB486_12
; %bb.10:
	s_and_b64 exec, exec, s[0:1]
	s_cbranch_execz .LBB486_12
; %bb.11:
	v_div_scale_f32 v2, s[0:1], v5, v5, v3
	v_rcp_f32_e32 v4, v2
	v_div_scale_f32 v6, vcc, v3, v5, v3
	s_mov_b32 s15, 0
	v_fma_f32 v7, -v2, v4, 1.0
	v_fmac_f32_e32 v4, v7, v4
	v_mul_f32_e32 v7, v6, v4
	v_fma_f32 v8, -v2, v7, v6
	v_fmac_f32_e32 v7, v8, v4
	v_fma_f32 v2, -v2, v7, v6
	v_div_fmas_f32 v2, v2, v4, v7
	s_lshl_b64 s[0:1], s[14:15], 2
	v_div_fixup_f32 v2, v2, v5, v3
	v_mov_b32_e32 v3, s1
	v_add_co_u32_e32 v0, vcc, s0, v0
	v_addc_co_u32_e32 v1, vcc, v1, v3, vcc
	v_mov_b32_e32 v3, 0x7fc00000
	v_cmp_neq_f32_e32 vcc, 0, v5
	v_cndmask_b32_e32 v2, v3, v2, vcc
	global_store_dword v[0:1], v2, off
.LBB486_12:
	s_endpgm
	.section	.rodata,"a",@progbits
	.p2align	6, 0x0
	.amdhsa_kernel _ZN12_GLOBAL__N_120softmax_warp_forwardIN3c108BFloat16EffLi1ELb0ELb0ELi64EEEvPT0_PKT_iiiPKbib
		.amdhsa_group_segment_fixed_size 0
		.amdhsa_private_segment_fixed_size 0
		.amdhsa_kernarg_size 304
		.amdhsa_user_sgpr_count 6
		.amdhsa_user_sgpr_private_segment_buffer 1
		.amdhsa_user_sgpr_dispatch_ptr 0
		.amdhsa_user_sgpr_queue_ptr 0
		.amdhsa_user_sgpr_kernarg_segment_ptr 1
		.amdhsa_user_sgpr_dispatch_id 0
		.amdhsa_user_sgpr_flat_scratch_init 0
		.amdhsa_user_sgpr_kernarg_preload_length 0
		.amdhsa_user_sgpr_kernarg_preload_offset 0
		.amdhsa_user_sgpr_private_segment_size 0
		.amdhsa_uses_dynamic_stack 0
		.amdhsa_system_sgpr_private_segment_wavefront_offset 0
		.amdhsa_system_sgpr_workgroup_id_x 1
		.amdhsa_system_sgpr_workgroup_id_y 0
		.amdhsa_system_sgpr_workgroup_id_z 0
		.amdhsa_system_sgpr_workgroup_info 0
		.amdhsa_system_vgpr_workitem_id 1
		.amdhsa_next_free_vgpr 12
		.amdhsa_next_free_sgpr 16
		.amdhsa_accum_offset 12
		.amdhsa_reserve_vcc 1
		.amdhsa_reserve_flat_scratch 0
		.amdhsa_float_round_mode_32 0
		.amdhsa_float_round_mode_16_64 0
		.amdhsa_float_denorm_mode_32 3
		.amdhsa_float_denorm_mode_16_64 3
		.amdhsa_dx10_clamp 1
		.amdhsa_ieee_mode 1
		.amdhsa_fp16_overflow 0
		.amdhsa_tg_split 0
		.amdhsa_exception_fp_ieee_invalid_op 0
		.amdhsa_exception_fp_denorm_src 0
		.amdhsa_exception_fp_ieee_div_zero 0
		.amdhsa_exception_fp_ieee_overflow 0
		.amdhsa_exception_fp_ieee_underflow 0
		.amdhsa_exception_fp_ieee_inexact 0
		.amdhsa_exception_int_div_zero 0
	.end_amdhsa_kernel
	.section	.text._ZN12_GLOBAL__N_120softmax_warp_forwardIN3c108BFloat16EffLi1ELb0ELb0ELi64EEEvPT0_PKT_iiiPKbib,"axG",@progbits,_ZN12_GLOBAL__N_120softmax_warp_forwardIN3c108BFloat16EffLi1ELb0ELb0ELi64EEEvPT0_PKT_iiiPKbib,comdat
.Lfunc_end486:
	.size	_ZN12_GLOBAL__N_120softmax_warp_forwardIN3c108BFloat16EffLi1ELb0ELb0ELi64EEEvPT0_PKT_iiiPKbib, .Lfunc_end486-_ZN12_GLOBAL__N_120softmax_warp_forwardIN3c108BFloat16EffLi1ELb0ELb0ELi64EEEvPT0_PKT_iiiPKbib
                                        ; -- End function
	.section	.AMDGPU.csdata,"",@progbits
; Kernel info:
; codeLenInByte = 840
; NumSgprs: 20
; NumVgprs: 12
; NumAgprs: 0
; TotalNumVgprs: 12
; ScratchSize: 0
; MemoryBound: 0
; FloatMode: 240
; IeeeMode: 1
; LDSByteSize: 0 bytes/workgroup (compile time only)
; SGPRBlocks: 2
; VGPRBlocks: 1
; NumSGPRsForWavesPerEU: 20
; NumVGPRsForWavesPerEU: 12
; AccumOffset: 12
; Occupancy: 8
; WaveLimiterHint : 0
; COMPUTE_PGM_RSRC2:SCRATCH_EN: 0
; COMPUTE_PGM_RSRC2:USER_SGPR: 6
; COMPUTE_PGM_RSRC2:TRAP_HANDLER: 0
; COMPUTE_PGM_RSRC2:TGID_X_EN: 1
; COMPUTE_PGM_RSRC2:TGID_Y_EN: 0
; COMPUTE_PGM_RSRC2:TGID_Z_EN: 0
; COMPUTE_PGM_RSRC2:TIDIG_COMP_CNT: 1
; COMPUTE_PGM_RSRC3_GFX90A:ACCUM_OFFSET: 2
; COMPUTE_PGM_RSRC3_GFX90A:TG_SPLIT: 0
	.section	.text._ZN12_GLOBAL__N_120softmax_warp_forwardIN3c108BFloat16EffLi1ELb0ELb0ELi32EEEvPT0_PKT_iiiPKbib,"axG",@progbits,_ZN12_GLOBAL__N_120softmax_warp_forwardIN3c108BFloat16EffLi1ELb0ELb0ELi32EEEvPT0_PKT_iiiPKbib,comdat
	.globl	_ZN12_GLOBAL__N_120softmax_warp_forwardIN3c108BFloat16EffLi1ELb0ELb0ELi32EEEvPT0_PKT_iiiPKbib ; -- Begin function _ZN12_GLOBAL__N_120softmax_warp_forwardIN3c108BFloat16EffLi1ELb0ELb0ELi32EEEvPT0_PKT_iiiPKbib
	.p2align	8
	.type	_ZN12_GLOBAL__N_120softmax_warp_forwardIN3c108BFloat16EffLi1ELb0ELb0ELi32EEEvPT0_PKT_iiiPKbib,@function
_ZN12_GLOBAL__N_120softmax_warp_forwardIN3c108BFloat16EffLi1ELb0ELb0ELi32EEEvPT0_PKT_iiiPKbib: ; @_ZN12_GLOBAL__N_120softmax_warp_forwardIN3c108BFloat16EffLi1ELb0ELb0ELi32EEEvPT0_PKT_iiiPKbib
; %bb.0:
	s_load_dword s0, s[4:5], 0x3c
	s_load_dwordx8 s[8:15], s[4:5], 0x0
	v_bfe_u32 v1, v0, 10, 10
	v_and_b32_e32 v2, 0x3ff, v0
	s_waitcnt lgkmcnt(0)
	s_lshr_b32 s0, s0, 16
	s_mul_i32 s6, s6, s0
	v_add_lshl_u32 v1, s6, v1, 1
	v_sub_u32_e32 v6, s12, v1
	v_mad_u64_u32 v[0:1], s[0:1], v1, s13, v[2:3]
	v_ashrrev_i32_e32 v1, 31, v0
	v_lshlrev_b64 v[4:5], 1, v[0:1]
	v_mov_b32_e32 v3, s11
	v_add_co_u32_e32 v4, vcc, s10, v4
	v_addc_co_u32_e32 v5, vcc, v3, v5, vcc
	v_cmp_gt_i32_e64 s[0:1], s14, v2
	v_cmp_lt_i32_e32 vcc, 0, v6
	s_and_b64 s[4:5], s[0:1], vcc
	v_mov_b32_e32 v3, 0xff800000
	v_mov_b32_e32 v2, 0xff800000
	s_and_saveexec_b64 s[2:3], s[4:5]
	s_cbranch_execz .LBB487_2
; %bb.1:
	global_load_ushort v2, v[4:5], off
	s_waitcnt vmcnt(0)
	v_lshlrev_b32_e32 v2, 16, v2
.LBB487_2:
	s_or_b64 exec, exec, s[2:3]
	v_cmp_lt_i32_e64 s[2:3], 1, v6
	s_and_b64 s[2:3], s[0:1], s[2:3]
	s_and_saveexec_b64 s[4:5], s[2:3]
	s_cbranch_execz .LBB487_4
; %bb.3:
	s_mov_b32 s15, 0
	s_lshl_b64 s[2:3], s[14:15], 1
	v_mov_b32_e32 v3, s3
	v_add_co_u32_e64 v4, s[2:3], s2, v4
	v_addc_co_u32_e64 v5, s[2:3], v5, v3, s[2:3]
	global_load_ushort v3, v[4:5], off
	s_waitcnt vmcnt(0)
	v_lshlrev_b32_e32 v3, 16, v3
.LBB487_4:
	s_or_b64 exec, exec, s[4:5]
	v_mbcnt_lo_u32_b32 v4, -1, 0
	v_mbcnt_hi_u32_b32 v4, -1, v4
	v_and_b32_e32 v7, 0x7e, v4
	v_xor_b32_e32 v5, 1, v4
	v_add_u32_e32 v7, 2, v7
	v_cmp_lt_i32_e64 s[2:3], v5, v7
	v_cndmask_b32_e64 v4, v4, v5, s[2:3]
	v_lshlrev_b32_e32 v7, 2, v4
	ds_bpermute_b32 v4, v7, v3
	ds_bpermute_b32 v8, v7, v2
	s_mov_b32 s4, 0x3fb8aa3b
	s_mov_b32 s5, 0xc2ce8ed0
	;; [unrolled: 1-line block ×3, first 2 shown]
	s_waitcnt lgkmcnt(1)
	v_cmp_lt_f32_e64 s[2:3], v3, v4
	v_cndmask_b32_e64 v5, v3, v4, s[2:3]
	s_waitcnt lgkmcnt(0)
	v_cmp_lt_f32_e64 s[2:3], v2, v8
	v_cndmask_b32_e64 v4, v2, v8, s[2:3]
	v_pk_add_f32 v[2:3], v[2:3], v[4:5] neg_lo:[0,1] neg_hi:[0,1]
	v_mul_f32_e32 v4, 0x3fb8aa3b, v3
	v_fma_f32 v5, v3, s4, -v4
	v_rndne_f32_e32 v8, v4
	v_fmac_f32_e32 v5, 0x32a5705f, v3
	v_sub_f32_e32 v4, v4, v8
	v_add_f32_e32 v4, v4, v5
	v_exp_f32_e32 v4, v4
	v_cvt_i32_f32_e32 v5, v8
	v_cmp_ngt_f32_e64 s[2:3], s5, v3
	v_ldexp_f32 v4, v4, v5
	v_mul_f32_e32 v5, 0x3fb8aa3b, v2
	v_fma_f32 v8, v2, s4, -v5
	v_rndne_f32_e32 v9, v5
	v_fmac_f32_e32 v8, 0x32a5705f, v2
	v_sub_f32_e32 v5, v5, v9
	v_add_f32_e32 v5, v5, v8
	v_exp_f32_e32 v5, v5
	v_cvt_i32_f32_e32 v8, v9
	v_cndmask_b32_e64 v4, 0, v4, s[2:3]
	v_mov_b32_e32 v9, 0x7f800000
	v_cmp_nlt_f32_e64 s[2:3], s6, v3
	v_cndmask_b32_e64 v3, v9, v4, s[2:3]
	v_ldexp_f32 v4, v5, v8
	v_cmp_ngt_f32_e64 s[2:3], s5, v2
	v_cndmask_b32_e64 v4, 0, v4, s[2:3]
	v_cmp_nlt_f32_e64 s[2:3], s6, v2
	v_cndmask_b32_e64 v2, v9, v4, s[2:3]
	ds_bpermute_b32 v4, v7, v2
	ds_bpermute_b32 v5, v7, v3
	s_and_saveexec_b64 s[2:3], vcc
	s_cbranch_execz .LBB487_12
; %bb.5:
	v_lshlrev_b64 v[0:1], 2, v[0:1]
	v_mov_b32_e32 v7, s9
	v_add_co_u32_e32 v0, vcc, s8, v0
	v_addc_co_u32_e32 v1, vcc, v7, v1, vcc
	s_waitcnt lgkmcnt(0)
	v_pk_add_f32 v[4:5], v[2:3], v[4:5]
	s_and_saveexec_b64 s[2:3], s[0:1]
	s_cbranch_execz .LBB487_9
; %bb.6:
	v_cmp_neq_f32_e32 vcc, 0, v4
	v_mov_b32_e32 v7, 0x7fc00000
	s_and_saveexec_b64 s[4:5], vcc
; %bb.7:
	v_div_scale_f32 v7, s[6:7], v4, v4, v2
	v_rcp_f32_e32 v8, v7
	v_div_scale_f32 v9, vcc, v2, v4, v2
	v_fma_f32 v10, -v7, v8, 1.0
	v_fmac_f32_e32 v8, v10, v8
	v_mul_f32_e32 v10, v9, v8
	v_fma_f32 v11, -v7, v10, v9
	v_fmac_f32_e32 v10, v11, v8
	v_fma_f32 v7, -v7, v10, v9
	v_div_fmas_f32 v7, v7, v8, v10
	v_div_fixup_f32 v7, v7, v4, v2
; %bb.8:
	s_or_b64 exec, exec, s[4:5]
	global_store_dword v[0:1], v7, off
.LBB487_9:
	s_or_b64 exec, exec, s[2:3]
	v_cmp_ne_u32_e32 vcc, 1, v6
	s_and_b64 exec, exec, vcc
	s_cbranch_execz .LBB487_12
; %bb.10:
	s_and_b64 exec, exec, s[0:1]
	s_cbranch_execz .LBB487_12
; %bb.11:
	v_div_scale_f32 v2, s[0:1], v5, v5, v3
	v_rcp_f32_e32 v4, v2
	v_div_scale_f32 v6, vcc, v3, v5, v3
	s_mov_b32 s15, 0
	v_fma_f32 v7, -v2, v4, 1.0
	v_fmac_f32_e32 v4, v7, v4
	v_mul_f32_e32 v7, v6, v4
	v_fma_f32 v8, -v2, v7, v6
	v_fmac_f32_e32 v7, v8, v4
	v_fma_f32 v2, -v2, v7, v6
	v_div_fmas_f32 v2, v2, v4, v7
	s_lshl_b64 s[0:1], s[14:15], 2
	v_div_fixup_f32 v2, v2, v5, v3
	v_mov_b32_e32 v3, s1
	v_add_co_u32_e32 v0, vcc, s0, v0
	v_addc_co_u32_e32 v1, vcc, v1, v3, vcc
	v_mov_b32_e32 v3, 0x7fc00000
	v_cmp_neq_f32_e32 vcc, 0, v5
	v_cndmask_b32_e32 v2, v3, v2, vcc
	global_store_dword v[0:1], v2, off
.LBB487_12:
	s_endpgm
	.section	.rodata,"a",@progbits
	.p2align	6, 0x0
	.amdhsa_kernel _ZN12_GLOBAL__N_120softmax_warp_forwardIN3c108BFloat16EffLi1ELb0ELb0ELi32EEEvPT0_PKT_iiiPKbib
		.amdhsa_group_segment_fixed_size 0
		.amdhsa_private_segment_fixed_size 0
		.amdhsa_kernarg_size 304
		.amdhsa_user_sgpr_count 6
		.amdhsa_user_sgpr_private_segment_buffer 1
		.amdhsa_user_sgpr_dispatch_ptr 0
		.amdhsa_user_sgpr_queue_ptr 0
		.amdhsa_user_sgpr_kernarg_segment_ptr 1
		.amdhsa_user_sgpr_dispatch_id 0
		.amdhsa_user_sgpr_flat_scratch_init 0
		.amdhsa_user_sgpr_kernarg_preload_length 0
		.amdhsa_user_sgpr_kernarg_preload_offset 0
		.amdhsa_user_sgpr_private_segment_size 0
		.amdhsa_uses_dynamic_stack 0
		.amdhsa_system_sgpr_private_segment_wavefront_offset 0
		.amdhsa_system_sgpr_workgroup_id_x 1
		.amdhsa_system_sgpr_workgroup_id_y 0
		.amdhsa_system_sgpr_workgroup_id_z 0
		.amdhsa_system_sgpr_workgroup_info 0
		.amdhsa_system_vgpr_workitem_id 1
		.amdhsa_next_free_vgpr 12
		.amdhsa_next_free_sgpr 16
		.amdhsa_accum_offset 12
		.amdhsa_reserve_vcc 1
		.amdhsa_reserve_flat_scratch 0
		.amdhsa_float_round_mode_32 0
		.amdhsa_float_round_mode_16_64 0
		.amdhsa_float_denorm_mode_32 3
		.amdhsa_float_denorm_mode_16_64 3
		.amdhsa_dx10_clamp 1
		.amdhsa_ieee_mode 1
		.amdhsa_fp16_overflow 0
		.amdhsa_tg_split 0
		.amdhsa_exception_fp_ieee_invalid_op 0
		.amdhsa_exception_fp_denorm_src 0
		.amdhsa_exception_fp_ieee_div_zero 0
		.amdhsa_exception_fp_ieee_overflow 0
		.amdhsa_exception_fp_ieee_underflow 0
		.amdhsa_exception_fp_ieee_inexact 0
		.amdhsa_exception_int_div_zero 0
	.end_amdhsa_kernel
	.section	.text._ZN12_GLOBAL__N_120softmax_warp_forwardIN3c108BFloat16EffLi1ELb0ELb0ELi32EEEvPT0_PKT_iiiPKbib,"axG",@progbits,_ZN12_GLOBAL__N_120softmax_warp_forwardIN3c108BFloat16EffLi1ELb0ELb0ELi32EEEvPT0_PKT_iiiPKbib,comdat
.Lfunc_end487:
	.size	_ZN12_GLOBAL__N_120softmax_warp_forwardIN3c108BFloat16EffLi1ELb0ELb0ELi32EEEvPT0_PKT_iiiPKbib, .Lfunc_end487-_ZN12_GLOBAL__N_120softmax_warp_forwardIN3c108BFloat16EffLi1ELb0ELb0ELi32EEEvPT0_PKT_iiiPKbib
                                        ; -- End function
	.section	.AMDGPU.csdata,"",@progbits
; Kernel info:
; codeLenInByte = 840
; NumSgprs: 20
; NumVgprs: 12
; NumAgprs: 0
; TotalNumVgprs: 12
; ScratchSize: 0
; MemoryBound: 0
; FloatMode: 240
; IeeeMode: 1
; LDSByteSize: 0 bytes/workgroup (compile time only)
; SGPRBlocks: 2
; VGPRBlocks: 1
; NumSGPRsForWavesPerEU: 20
; NumVGPRsForWavesPerEU: 12
; AccumOffset: 12
; Occupancy: 8
; WaveLimiterHint : 0
; COMPUTE_PGM_RSRC2:SCRATCH_EN: 0
; COMPUTE_PGM_RSRC2:USER_SGPR: 6
; COMPUTE_PGM_RSRC2:TRAP_HANDLER: 0
; COMPUTE_PGM_RSRC2:TGID_X_EN: 1
; COMPUTE_PGM_RSRC2:TGID_Y_EN: 0
; COMPUTE_PGM_RSRC2:TGID_Z_EN: 0
; COMPUTE_PGM_RSRC2:TIDIG_COMP_CNT: 1
; COMPUTE_PGM_RSRC3_GFX90A:ACCUM_OFFSET: 2
; COMPUTE_PGM_RSRC3_GFX90A:TG_SPLIT: 0
	.section	.text._ZN12_GLOBAL__N_120softmax_warp_forwardIN3c108BFloat16EffLi2ELb0ELb0ELi64EEEvPT0_PKT_iiiPKbib,"axG",@progbits,_ZN12_GLOBAL__N_120softmax_warp_forwardIN3c108BFloat16EffLi2ELb0ELb0ELi64EEEvPT0_PKT_iiiPKbib,comdat
	.globl	_ZN12_GLOBAL__N_120softmax_warp_forwardIN3c108BFloat16EffLi2ELb0ELb0ELi64EEEvPT0_PKT_iiiPKbib ; -- Begin function _ZN12_GLOBAL__N_120softmax_warp_forwardIN3c108BFloat16EffLi2ELb0ELb0ELi64EEEvPT0_PKT_iiiPKbib
	.p2align	8
	.type	_ZN12_GLOBAL__N_120softmax_warp_forwardIN3c108BFloat16EffLi2ELb0ELb0ELi64EEEvPT0_PKT_iiiPKbib,@function
_ZN12_GLOBAL__N_120softmax_warp_forwardIN3c108BFloat16EffLi2ELb0ELb0ELi64EEEvPT0_PKT_iiiPKbib: ; @_ZN12_GLOBAL__N_120softmax_warp_forwardIN3c108BFloat16EffLi2ELb0ELb0ELi64EEEvPT0_PKT_iiiPKbib
; %bb.0:
	s_load_dword s0, s[4:5], 0x3c
	s_load_dwordx8 s[8:15], s[4:5], 0x0
	v_bfe_u32 v1, v0, 10, 10
	v_and_b32_e32 v2, 0x3ff, v0
	s_waitcnt lgkmcnt(0)
	s_lshr_b32 s0, s0, 16
	s_mul_i32 s6, s6, s0
	v_add_lshl_u32 v1, s6, v1, 1
	v_sub_u32_e32 v8, s12, v1
	v_mad_u64_u32 v[0:1], s[0:1], v1, s13, v[2:3]
	v_ashrrev_i32_e32 v1, 31, v0
	v_lshlrev_b64 v[4:5], 1, v[0:1]
	v_mov_b32_e32 v3, s11
	v_add_co_u32_e32 v4, vcc, s10, v4
	v_addc_co_u32_e32 v5, vcc, v3, v5, vcc
	v_cmp_gt_i32_e64 s[0:1], s14, v2
	v_cmp_lt_i32_e32 vcc, 0, v8
	s_and_b64 s[4:5], s[0:1], vcc
	v_mov_b32_e32 v3, 0xff800000
	v_mov_b32_e32 v2, 0xff800000
	s_and_saveexec_b64 s[2:3], s[4:5]
	s_cbranch_execz .LBB488_2
; %bb.1:
	global_load_ushort v2, v[4:5], off
	s_waitcnt vmcnt(0)
	v_lshlrev_b32_e32 v2, 16, v2
.LBB488_2:
	s_or_b64 exec, exec, s[2:3]
	v_cmp_lt_i32_e64 s[2:3], 1, v8
	s_and_b64 s[2:3], s[0:1], s[2:3]
	s_and_saveexec_b64 s[4:5], s[2:3]
	s_cbranch_execz .LBB488_4
; %bb.3:
	s_mov_b32 s15, 0
	s_lshl_b64 s[2:3], s[14:15], 1
	v_mov_b32_e32 v3, s3
	v_add_co_u32_e64 v4, s[2:3], s2, v4
	v_addc_co_u32_e64 v5, s[2:3], v5, v3, s[2:3]
	global_load_ushort v3, v[4:5], off
	s_waitcnt vmcnt(0)
	v_lshlrev_b32_e32 v3, 16, v3
.LBB488_4:
	s_or_b64 exec, exec, s[4:5]
	v_mbcnt_lo_u32_b32 v4, -1, 0
	v_mbcnt_hi_u32_b32 v4, -1, v4
	v_and_b32_e32 v5, 0x7c, v4
	v_add_u32_e32 v5, 4, v5
	v_xor_b32_e32 v6, 2, v4
	v_cmp_lt_i32_e64 s[2:3], v6, v5
	v_cndmask_b32_e64 v6, v4, v6, s[2:3]
	v_lshlrev_b32_e32 v6, 2, v6
	ds_bpermute_b32 v9, v6, v3
	ds_bpermute_b32 v7, v6, v2
	v_xor_b32_e32 v10, 1, v4
	v_cmp_lt_i32_e64 s[2:3], v10, v5
	v_cndmask_b32_e64 v4, v4, v10, s[2:3]
	s_waitcnt lgkmcnt(1)
	v_cmp_lt_f32_e64 s[2:3], v3, v9
	v_lshlrev_b32_e32 v10, 2, v4
	v_cndmask_b32_e64 v4, v3, v9, s[2:3]
	s_waitcnt lgkmcnt(0)
	v_cmp_lt_f32_e64 s[2:3], v2, v7
	ds_bpermute_b32 v5, v10, v4
	v_cndmask_b32_e64 v7, v2, v7, s[2:3]
	ds_bpermute_b32 v9, v10, v7
	s_mov_b32 s4, 0x3fb8aa3b
	s_mov_b32 s5, 0xc2ce8ed0
	s_waitcnt lgkmcnt(1)
	v_cmp_lt_f32_e64 s[2:3], v4, v5
	v_cndmask_b32_e64 v5, v4, v5, s[2:3]
	s_waitcnt lgkmcnt(0)
	v_cmp_lt_f32_e64 s[2:3], v7, v9
	v_cndmask_b32_e64 v4, v7, v9, s[2:3]
	v_pk_add_f32 v[2:3], v[2:3], v[4:5] neg_lo:[0,1] neg_hi:[0,1]
	v_mul_f32_e32 v4, 0x3fb8aa3b, v3
	v_fma_f32 v5, v3, s4, -v4
	v_rndne_f32_e32 v7, v4
	v_fmac_f32_e32 v5, 0x32a5705f, v3
	v_sub_f32_e32 v4, v4, v7
	v_add_f32_e32 v4, v4, v5
	v_exp_f32_e32 v4, v4
	v_cvt_i32_f32_e32 v5, v7
	v_cmp_ngt_f32_e64 s[2:3], s5, v3
	s_mov_b32 s6, 0x42b17218
	v_ldexp_f32 v4, v4, v5
	v_mul_f32_e32 v5, 0x3fb8aa3b, v2
	v_fma_f32 v7, v2, s4, -v5
	v_rndne_f32_e32 v9, v5
	v_fmac_f32_e32 v7, 0x32a5705f, v2
	v_sub_f32_e32 v5, v5, v9
	v_add_f32_e32 v5, v5, v7
	v_exp_f32_e32 v5, v5
	v_cvt_i32_f32_e32 v7, v9
	v_cndmask_b32_e64 v4, 0, v4, s[2:3]
	v_mov_b32_e32 v9, 0x7f800000
	v_cmp_nlt_f32_e64 s[2:3], s6, v3
	v_cndmask_b32_e64 v3, v9, v4, s[2:3]
	v_ldexp_f32 v4, v5, v7
	v_cmp_ngt_f32_e64 s[2:3], s5, v2
	v_cndmask_b32_e64 v4, 0, v4, s[2:3]
	v_cmp_nlt_f32_e64 s[2:3], s6, v2
	v_cndmask_b32_e64 v2, v9, v4, s[2:3]
	ds_bpermute_b32 v4, v6, v2
	ds_bpermute_b32 v5, v6, v3
	s_waitcnt lgkmcnt(0)
	v_pk_add_f32 v[4:5], v[2:3], v[4:5]
	ds_bpermute_b32 v6, v10, v4
	ds_bpermute_b32 v7, v10, v5
	s_and_saveexec_b64 s[2:3], vcc
	s_cbranch_execz .LBB488_12
; %bb.5:
	v_lshlrev_b64 v[0:1], 2, v[0:1]
	v_mov_b32_e32 v9, s9
	v_add_co_u32_e32 v0, vcc, s8, v0
	v_addc_co_u32_e32 v1, vcc, v9, v1, vcc
	s_waitcnt lgkmcnt(0)
	v_pk_add_f32 v[4:5], v[4:5], v[6:7]
	s_and_saveexec_b64 s[2:3], s[0:1]
	s_cbranch_execz .LBB488_9
; %bb.6:
	v_cmp_neq_f32_e32 vcc, 0, v4
	v_mov_b32_e32 v6, 0x7fc00000
	s_and_saveexec_b64 s[4:5], vcc
; %bb.7:
	v_div_scale_f32 v6, s[6:7], v4, v4, v2
	v_rcp_f32_e32 v7, v6
	v_div_scale_f32 v9, vcc, v2, v4, v2
	v_fma_f32 v10, -v6, v7, 1.0
	v_fmac_f32_e32 v7, v10, v7
	v_mul_f32_e32 v10, v9, v7
	v_fma_f32 v11, -v6, v10, v9
	v_fmac_f32_e32 v10, v11, v7
	v_fma_f32 v6, -v6, v10, v9
	v_div_fmas_f32 v6, v6, v7, v10
	v_div_fixup_f32 v6, v6, v4, v2
; %bb.8:
	s_or_b64 exec, exec, s[4:5]
	global_store_dword v[0:1], v6, off
.LBB488_9:
	s_or_b64 exec, exec, s[2:3]
	v_cmp_ne_u32_e32 vcc, 1, v8
	s_and_b64 exec, exec, vcc
	s_cbranch_execz .LBB488_12
; %bb.10:
	s_and_b64 exec, exec, s[0:1]
	s_cbranch_execz .LBB488_12
; %bb.11:
	v_div_scale_f32 v2, s[0:1], v5, v5, v3
	v_rcp_f32_e32 v4, v2
	v_div_scale_f32 v6, vcc, v3, v5, v3
	s_mov_b32 s15, 0
	v_fma_f32 v7, -v2, v4, 1.0
	v_fmac_f32_e32 v4, v7, v4
	v_mul_f32_e32 v7, v6, v4
	v_fma_f32 v8, -v2, v7, v6
	v_fmac_f32_e32 v7, v8, v4
	v_fma_f32 v2, -v2, v7, v6
	v_div_fmas_f32 v2, v2, v4, v7
	s_lshl_b64 s[0:1], s[14:15], 2
	v_div_fixup_f32 v2, v2, v5, v3
	v_mov_b32_e32 v3, s1
	v_add_co_u32_e32 v0, vcc, s0, v0
	v_addc_co_u32_e32 v1, vcc, v1, v3, vcc
	v_mov_b32_e32 v3, 0x7fc00000
	v_cmp_neq_f32_e32 vcc, 0, v5
	v_cndmask_b32_e32 v2, v3, v2, vcc
	global_store_dword v[0:1], v2, off
.LBB488_12:
	s_endpgm
	.section	.rodata,"a",@progbits
	.p2align	6, 0x0
	.amdhsa_kernel _ZN12_GLOBAL__N_120softmax_warp_forwardIN3c108BFloat16EffLi2ELb0ELb0ELi64EEEvPT0_PKT_iiiPKbib
		.amdhsa_group_segment_fixed_size 0
		.amdhsa_private_segment_fixed_size 0
		.amdhsa_kernarg_size 304
		.amdhsa_user_sgpr_count 6
		.amdhsa_user_sgpr_private_segment_buffer 1
		.amdhsa_user_sgpr_dispatch_ptr 0
		.amdhsa_user_sgpr_queue_ptr 0
		.amdhsa_user_sgpr_kernarg_segment_ptr 1
		.amdhsa_user_sgpr_dispatch_id 0
		.amdhsa_user_sgpr_flat_scratch_init 0
		.amdhsa_user_sgpr_kernarg_preload_length 0
		.amdhsa_user_sgpr_kernarg_preload_offset 0
		.amdhsa_user_sgpr_private_segment_size 0
		.amdhsa_uses_dynamic_stack 0
		.amdhsa_system_sgpr_private_segment_wavefront_offset 0
		.amdhsa_system_sgpr_workgroup_id_x 1
		.amdhsa_system_sgpr_workgroup_id_y 0
		.amdhsa_system_sgpr_workgroup_id_z 0
		.amdhsa_system_sgpr_workgroup_info 0
		.amdhsa_system_vgpr_workitem_id 1
		.amdhsa_next_free_vgpr 12
		.amdhsa_next_free_sgpr 16
		.amdhsa_accum_offset 12
		.amdhsa_reserve_vcc 1
		.amdhsa_reserve_flat_scratch 0
		.amdhsa_float_round_mode_32 0
		.amdhsa_float_round_mode_16_64 0
		.amdhsa_float_denorm_mode_32 3
		.amdhsa_float_denorm_mode_16_64 3
		.amdhsa_dx10_clamp 1
		.amdhsa_ieee_mode 1
		.amdhsa_fp16_overflow 0
		.amdhsa_tg_split 0
		.amdhsa_exception_fp_ieee_invalid_op 0
		.amdhsa_exception_fp_denorm_src 0
		.amdhsa_exception_fp_ieee_div_zero 0
		.amdhsa_exception_fp_ieee_overflow 0
		.amdhsa_exception_fp_ieee_underflow 0
		.amdhsa_exception_fp_ieee_inexact 0
		.amdhsa_exception_int_div_zero 0
	.end_amdhsa_kernel
	.section	.text._ZN12_GLOBAL__N_120softmax_warp_forwardIN3c108BFloat16EffLi2ELb0ELb0ELi64EEEvPT0_PKT_iiiPKbib,"axG",@progbits,_ZN12_GLOBAL__N_120softmax_warp_forwardIN3c108BFloat16EffLi2ELb0ELb0ELi64EEEvPT0_PKT_iiiPKbib,comdat
.Lfunc_end488:
	.size	_ZN12_GLOBAL__N_120softmax_warp_forwardIN3c108BFloat16EffLi2ELb0ELb0ELi64EEEvPT0_PKT_iiiPKbib, .Lfunc_end488-_ZN12_GLOBAL__N_120softmax_warp_forwardIN3c108BFloat16EffLi2ELb0ELb0ELi64EEEvPT0_PKT_iiiPKbib
                                        ; -- End function
	.section	.AMDGPU.csdata,"",@progbits
; Kernel info:
; codeLenInByte = 948
; NumSgprs: 20
; NumVgprs: 12
; NumAgprs: 0
; TotalNumVgprs: 12
; ScratchSize: 0
; MemoryBound: 0
; FloatMode: 240
; IeeeMode: 1
; LDSByteSize: 0 bytes/workgroup (compile time only)
; SGPRBlocks: 2
; VGPRBlocks: 1
; NumSGPRsForWavesPerEU: 20
; NumVGPRsForWavesPerEU: 12
; AccumOffset: 12
; Occupancy: 8
; WaveLimiterHint : 0
; COMPUTE_PGM_RSRC2:SCRATCH_EN: 0
; COMPUTE_PGM_RSRC2:USER_SGPR: 6
; COMPUTE_PGM_RSRC2:TRAP_HANDLER: 0
; COMPUTE_PGM_RSRC2:TGID_X_EN: 1
; COMPUTE_PGM_RSRC2:TGID_Y_EN: 0
; COMPUTE_PGM_RSRC2:TGID_Z_EN: 0
; COMPUTE_PGM_RSRC2:TIDIG_COMP_CNT: 1
; COMPUTE_PGM_RSRC3_GFX90A:ACCUM_OFFSET: 2
; COMPUTE_PGM_RSRC3_GFX90A:TG_SPLIT: 0
	.section	.text._ZN12_GLOBAL__N_120softmax_warp_forwardIN3c108BFloat16EffLi2ELb0ELb0ELi32EEEvPT0_PKT_iiiPKbib,"axG",@progbits,_ZN12_GLOBAL__N_120softmax_warp_forwardIN3c108BFloat16EffLi2ELb0ELb0ELi32EEEvPT0_PKT_iiiPKbib,comdat
	.globl	_ZN12_GLOBAL__N_120softmax_warp_forwardIN3c108BFloat16EffLi2ELb0ELb0ELi32EEEvPT0_PKT_iiiPKbib ; -- Begin function _ZN12_GLOBAL__N_120softmax_warp_forwardIN3c108BFloat16EffLi2ELb0ELb0ELi32EEEvPT0_PKT_iiiPKbib
	.p2align	8
	.type	_ZN12_GLOBAL__N_120softmax_warp_forwardIN3c108BFloat16EffLi2ELb0ELb0ELi32EEEvPT0_PKT_iiiPKbib,@function
_ZN12_GLOBAL__N_120softmax_warp_forwardIN3c108BFloat16EffLi2ELb0ELb0ELi32EEEvPT0_PKT_iiiPKbib: ; @_ZN12_GLOBAL__N_120softmax_warp_forwardIN3c108BFloat16EffLi2ELb0ELb0ELi32EEEvPT0_PKT_iiiPKbib
; %bb.0:
	s_load_dword s0, s[4:5], 0x3c
	s_load_dwordx8 s[8:15], s[4:5], 0x0
	v_bfe_u32 v1, v0, 10, 10
	v_and_b32_e32 v2, 0x3ff, v0
	s_waitcnt lgkmcnt(0)
	s_lshr_b32 s0, s0, 16
	s_mul_i32 s6, s6, s0
	v_add_lshl_u32 v1, s6, v1, 1
	v_sub_u32_e32 v8, s12, v1
	v_mad_u64_u32 v[0:1], s[0:1], v1, s13, v[2:3]
	v_ashrrev_i32_e32 v1, 31, v0
	v_lshlrev_b64 v[4:5], 1, v[0:1]
	v_mov_b32_e32 v3, s11
	v_add_co_u32_e32 v4, vcc, s10, v4
	v_addc_co_u32_e32 v5, vcc, v3, v5, vcc
	v_cmp_gt_i32_e64 s[0:1], s14, v2
	v_cmp_lt_i32_e32 vcc, 0, v8
	s_and_b64 s[4:5], s[0:1], vcc
	v_mov_b32_e32 v3, 0xff800000
	v_mov_b32_e32 v2, 0xff800000
	s_and_saveexec_b64 s[2:3], s[4:5]
	s_cbranch_execz .LBB489_2
; %bb.1:
	global_load_ushort v2, v[4:5], off
	s_waitcnt vmcnt(0)
	v_lshlrev_b32_e32 v2, 16, v2
.LBB489_2:
	s_or_b64 exec, exec, s[2:3]
	v_cmp_lt_i32_e64 s[2:3], 1, v8
	s_and_b64 s[2:3], s[0:1], s[2:3]
	s_and_saveexec_b64 s[4:5], s[2:3]
	s_cbranch_execz .LBB489_4
; %bb.3:
	s_mov_b32 s15, 0
	s_lshl_b64 s[2:3], s[14:15], 1
	v_mov_b32_e32 v3, s3
	v_add_co_u32_e64 v4, s[2:3], s2, v4
	v_addc_co_u32_e64 v5, s[2:3], v5, v3, s[2:3]
	global_load_ushort v3, v[4:5], off
	s_waitcnt vmcnt(0)
	v_lshlrev_b32_e32 v3, 16, v3
.LBB489_4:
	s_or_b64 exec, exec, s[4:5]
	v_mbcnt_lo_u32_b32 v4, -1, 0
	v_mbcnt_hi_u32_b32 v4, -1, v4
	v_and_b32_e32 v5, 0x7c, v4
	v_add_u32_e32 v5, 4, v5
	v_xor_b32_e32 v6, 2, v4
	v_cmp_lt_i32_e64 s[2:3], v6, v5
	v_cndmask_b32_e64 v6, v4, v6, s[2:3]
	v_lshlrev_b32_e32 v6, 2, v6
	ds_bpermute_b32 v9, v6, v3
	ds_bpermute_b32 v7, v6, v2
	v_xor_b32_e32 v10, 1, v4
	v_cmp_lt_i32_e64 s[2:3], v10, v5
	v_cndmask_b32_e64 v4, v4, v10, s[2:3]
	s_waitcnt lgkmcnt(1)
	v_cmp_lt_f32_e64 s[2:3], v3, v9
	v_lshlrev_b32_e32 v10, 2, v4
	v_cndmask_b32_e64 v4, v3, v9, s[2:3]
	s_waitcnt lgkmcnt(0)
	v_cmp_lt_f32_e64 s[2:3], v2, v7
	ds_bpermute_b32 v5, v10, v4
	v_cndmask_b32_e64 v7, v2, v7, s[2:3]
	ds_bpermute_b32 v9, v10, v7
	s_mov_b32 s4, 0x3fb8aa3b
	s_mov_b32 s5, 0xc2ce8ed0
	s_waitcnt lgkmcnt(1)
	v_cmp_lt_f32_e64 s[2:3], v4, v5
	v_cndmask_b32_e64 v5, v4, v5, s[2:3]
	s_waitcnt lgkmcnt(0)
	v_cmp_lt_f32_e64 s[2:3], v7, v9
	v_cndmask_b32_e64 v4, v7, v9, s[2:3]
	v_pk_add_f32 v[2:3], v[2:3], v[4:5] neg_lo:[0,1] neg_hi:[0,1]
	v_mul_f32_e32 v4, 0x3fb8aa3b, v3
	v_fma_f32 v5, v3, s4, -v4
	v_rndne_f32_e32 v7, v4
	v_fmac_f32_e32 v5, 0x32a5705f, v3
	v_sub_f32_e32 v4, v4, v7
	v_add_f32_e32 v4, v4, v5
	v_exp_f32_e32 v4, v4
	v_cvt_i32_f32_e32 v5, v7
	v_cmp_ngt_f32_e64 s[2:3], s5, v3
	s_mov_b32 s6, 0x42b17218
	v_ldexp_f32 v4, v4, v5
	v_mul_f32_e32 v5, 0x3fb8aa3b, v2
	v_fma_f32 v7, v2, s4, -v5
	v_rndne_f32_e32 v9, v5
	v_fmac_f32_e32 v7, 0x32a5705f, v2
	v_sub_f32_e32 v5, v5, v9
	v_add_f32_e32 v5, v5, v7
	v_exp_f32_e32 v5, v5
	v_cvt_i32_f32_e32 v7, v9
	v_cndmask_b32_e64 v4, 0, v4, s[2:3]
	v_mov_b32_e32 v9, 0x7f800000
	v_cmp_nlt_f32_e64 s[2:3], s6, v3
	v_cndmask_b32_e64 v3, v9, v4, s[2:3]
	v_ldexp_f32 v4, v5, v7
	v_cmp_ngt_f32_e64 s[2:3], s5, v2
	v_cndmask_b32_e64 v4, 0, v4, s[2:3]
	v_cmp_nlt_f32_e64 s[2:3], s6, v2
	v_cndmask_b32_e64 v2, v9, v4, s[2:3]
	ds_bpermute_b32 v4, v6, v2
	ds_bpermute_b32 v5, v6, v3
	s_waitcnt lgkmcnt(0)
	v_pk_add_f32 v[4:5], v[2:3], v[4:5]
	ds_bpermute_b32 v6, v10, v4
	ds_bpermute_b32 v7, v10, v5
	s_and_saveexec_b64 s[2:3], vcc
	s_cbranch_execz .LBB489_12
; %bb.5:
	v_lshlrev_b64 v[0:1], 2, v[0:1]
	v_mov_b32_e32 v9, s9
	v_add_co_u32_e32 v0, vcc, s8, v0
	v_addc_co_u32_e32 v1, vcc, v9, v1, vcc
	s_waitcnt lgkmcnt(0)
	v_pk_add_f32 v[4:5], v[4:5], v[6:7]
	s_and_saveexec_b64 s[2:3], s[0:1]
	s_cbranch_execz .LBB489_9
; %bb.6:
	v_cmp_neq_f32_e32 vcc, 0, v4
	v_mov_b32_e32 v6, 0x7fc00000
	s_and_saveexec_b64 s[4:5], vcc
; %bb.7:
	v_div_scale_f32 v6, s[6:7], v4, v4, v2
	v_rcp_f32_e32 v7, v6
	v_div_scale_f32 v9, vcc, v2, v4, v2
	v_fma_f32 v10, -v6, v7, 1.0
	v_fmac_f32_e32 v7, v10, v7
	v_mul_f32_e32 v10, v9, v7
	v_fma_f32 v11, -v6, v10, v9
	v_fmac_f32_e32 v10, v11, v7
	v_fma_f32 v6, -v6, v10, v9
	v_div_fmas_f32 v6, v6, v7, v10
	v_div_fixup_f32 v6, v6, v4, v2
; %bb.8:
	s_or_b64 exec, exec, s[4:5]
	global_store_dword v[0:1], v6, off
.LBB489_9:
	s_or_b64 exec, exec, s[2:3]
	v_cmp_ne_u32_e32 vcc, 1, v8
	s_and_b64 exec, exec, vcc
	s_cbranch_execz .LBB489_12
; %bb.10:
	s_and_b64 exec, exec, s[0:1]
	s_cbranch_execz .LBB489_12
; %bb.11:
	v_div_scale_f32 v2, s[0:1], v5, v5, v3
	v_rcp_f32_e32 v4, v2
	v_div_scale_f32 v6, vcc, v3, v5, v3
	s_mov_b32 s15, 0
	v_fma_f32 v7, -v2, v4, 1.0
	v_fmac_f32_e32 v4, v7, v4
	v_mul_f32_e32 v7, v6, v4
	v_fma_f32 v8, -v2, v7, v6
	v_fmac_f32_e32 v7, v8, v4
	v_fma_f32 v2, -v2, v7, v6
	v_div_fmas_f32 v2, v2, v4, v7
	s_lshl_b64 s[0:1], s[14:15], 2
	v_div_fixup_f32 v2, v2, v5, v3
	v_mov_b32_e32 v3, s1
	v_add_co_u32_e32 v0, vcc, s0, v0
	v_addc_co_u32_e32 v1, vcc, v1, v3, vcc
	v_mov_b32_e32 v3, 0x7fc00000
	v_cmp_neq_f32_e32 vcc, 0, v5
	v_cndmask_b32_e32 v2, v3, v2, vcc
	global_store_dword v[0:1], v2, off
.LBB489_12:
	s_endpgm
	.section	.rodata,"a",@progbits
	.p2align	6, 0x0
	.amdhsa_kernel _ZN12_GLOBAL__N_120softmax_warp_forwardIN3c108BFloat16EffLi2ELb0ELb0ELi32EEEvPT0_PKT_iiiPKbib
		.amdhsa_group_segment_fixed_size 0
		.amdhsa_private_segment_fixed_size 0
		.amdhsa_kernarg_size 304
		.amdhsa_user_sgpr_count 6
		.amdhsa_user_sgpr_private_segment_buffer 1
		.amdhsa_user_sgpr_dispatch_ptr 0
		.amdhsa_user_sgpr_queue_ptr 0
		.amdhsa_user_sgpr_kernarg_segment_ptr 1
		.amdhsa_user_sgpr_dispatch_id 0
		.amdhsa_user_sgpr_flat_scratch_init 0
		.amdhsa_user_sgpr_kernarg_preload_length 0
		.amdhsa_user_sgpr_kernarg_preload_offset 0
		.amdhsa_user_sgpr_private_segment_size 0
		.amdhsa_uses_dynamic_stack 0
		.amdhsa_system_sgpr_private_segment_wavefront_offset 0
		.amdhsa_system_sgpr_workgroup_id_x 1
		.amdhsa_system_sgpr_workgroup_id_y 0
		.amdhsa_system_sgpr_workgroup_id_z 0
		.amdhsa_system_sgpr_workgroup_info 0
		.amdhsa_system_vgpr_workitem_id 1
		.amdhsa_next_free_vgpr 12
		.amdhsa_next_free_sgpr 16
		.amdhsa_accum_offset 12
		.amdhsa_reserve_vcc 1
		.amdhsa_reserve_flat_scratch 0
		.amdhsa_float_round_mode_32 0
		.amdhsa_float_round_mode_16_64 0
		.amdhsa_float_denorm_mode_32 3
		.amdhsa_float_denorm_mode_16_64 3
		.amdhsa_dx10_clamp 1
		.amdhsa_ieee_mode 1
		.amdhsa_fp16_overflow 0
		.amdhsa_tg_split 0
		.amdhsa_exception_fp_ieee_invalid_op 0
		.amdhsa_exception_fp_denorm_src 0
		.amdhsa_exception_fp_ieee_div_zero 0
		.amdhsa_exception_fp_ieee_overflow 0
		.amdhsa_exception_fp_ieee_underflow 0
		.amdhsa_exception_fp_ieee_inexact 0
		.amdhsa_exception_int_div_zero 0
	.end_amdhsa_kernel
	.section	.text._ZN12_GLOBAL__N_120softmax_warp_forwardIN3c108BFloat16EffLi2ELb0ELb0ELi32EEEvPT0_PKT_iiiPKbib,"axG",@progbits,_ZN12_GLOBAL__N_120softmax_warp_forwardIN3c108BFloat16EffLi2ELb0ELb0ELi32EEEvPT0_PKT_iiiPKbib,comdat
.Lfunc_end489:
	.size	_ZN12_GLOBAL__N_120softmax_warp_forwardIN3c108BFloat16EffLi2ELb0ELb0ELi32EEEvPT0_PKT_iiiPKbib, .Lfunc_end489-_ZN12_GLOBAL__N_120softmax_warp_forwardIN3c108BFloat16EffLi2ELb0ELb0ELi32EEEvPT0_PKT_iiiPKbib
                                        ; -- End function
	.section	.AMDGPU.csdata,"",@progbits
; Kernel info:
; codeLenInByte = 948
; NumSgprs: 20
; NumVgprs: 12
; NumAgprs: 0
; TotalNumVgprs: 12
; ScratchSize: 0
; MemoryBound: 0
; FloatMode: 240
; IeeeMode: 1
; LDSByteSize: 0 bytes/workgroup (compile time only)
; SGPRBlocks: 2
; VGPRBlocks: 1
; NumSGPRsForWavesPerEU: 20
; NumVGPRsForWavesPerEU: 12
; AccumOffset: 12
; Occupancy: 8
; WaveLimiterHint : 0
; COMPUTE_PGM_RSRC2:SCRATCH_EN: 0
; COMPUTE_PGM_RSRC2:USER_SGPR: 6
; COMPUTE_PGM_RSRC2:TRAP_HANDLER: 0
; COMPUTE_PGM_RSRC2:TGID_X_EN: 1
; COMPUTE_PGM_RSRC2:TGID_Y_EN: 0
; COMPUTE_PGM_RSRC2:TGID_Z_EN: 0
; COMPUTE_PGM_RSRC2:TIDIG_COMP_CNT: 1
; COMPUTE_PGM_RSRC3_GFX90A:ACCUM_OFFSET: 2
; COMPUTE_PGM_RSRC3_GFX90A:TG_SPLIT: 0
	.section	.text._ZN12_GLOBAL__N_120softmax_warp_forwardIN3c108BFloat16EffLi3ELb0ELb0ELi64EEEvPT0_PKT_iiiPKbib,"axG",@progbits,_ZN12_GLOBAL__N_120softmax_warp_forwardIN3c108BFloat16EffLi3ELb0ELb0ELi64EEEvPT0_PKT_iiiPKbib,comdat
	.globl	_ZN12_GLOBAL__N_120softmax_warp_forwardIN3c108BFloat16EffLi3ELb0ELb0ELi64EEEvPT0_PKT_iiiPKbib ; -- Begin function _ZN12_GLOBAL__N_120softmax_warp_forwardIN3c108BFloat16EffLi3ELb0ELb0ELi64EEEvPT0_PKT_iiiPKbib
	.p2align	8
	.type	_ZN12_GLOBAL__N_120softmax_warp_forwardIN3c108BFloat16EffLi3ELb0ELb0ELi64EEEvPT0_PKT_iiiPKbib,@function
_ZN12_GLOBAL__N_120softmax_warp_forwardIN3c108BFloat16EffLi3ELb0ELb0ELi64EEEvPT0_PKT_iiiPKbib: ; @_ZN12_GLOBAL__N_120softmax_warp_forwardIN3c108BFloat16EffLi3ELb0ELb0ELi64EEEvPT0_PKT_iiiPKbib
; %bb.0:
	s_load_dword s0, s[4:5], 0x3c
	s_load_dwordx8 s[8:15], s[4:5], 0x0
	v_bfe_u32 v1, v0, 10, 10
	v_and_b32_e32 v2, 0x3ff, v0
	s_waitcnt lgkmcnt(0)
	s_lshr_b32 s0, s0, 16
	s_mul_i32 s6, s6, s0
	v_add_lshl_u32 v1, s6, v1, 1
	v_sub_u32_e32 v8, s12, v1
	v_mad_u64_u32 v[0:1], s[0:1], v1, s13, v[2:3]
	v_ashrrev_i32_e32 v1, 31, v0
	v_lshlrev_b64 v[4:5], 1, v[0:1]
	v_mov_b32_e32 v3, s11
	v_add_co_u32_e32 v4, vcc, s10, v4
	v_addc_co_u32_e32 v5, vcc, v3, v5, vcc
	v_cmp_gt_i32_e64 s[0:1], s14, v2
	v_cmp_lt_i32_e32 vcc, 0, v8
	s_and_b64 s[4:5], s[0:1], vcc
	v_mov_b32_e32 v3, 0xff800000
	v_mov_b32_e32 v2, 0xff800000
	s_and_saveexec_b64 s[2:3], s[4:5]
	s_cbranch_execz .LBB490_2
; %bb.1:
	global_load_ushort v2, v[4:5], off
	s_waitcnt vmcnt(0)
	v_lshlrev_b32_e32 v2, 16, v2
.LBB490_2:
	s_or_b64 exec, exec, s[2:3]
	v_cmp_lt_i32_e64 s[2:3], 1, v8
	s_and_b64 s[2:3], s[0:1], s[2:3]
	s_and_saveexec_b64 s[4:5], s[2:3]
	s_cbranch_execz .LBB490_4
; %bb.3:
	s_mov_b32 s15, 0
	s_lshl_b64 s[2:3], s[14:15], 1
	v_mov_b32_e32 v3, s3
	v_add_co_u32_e64 v4, s[2:3], s2, v4
	v_addc_co_u32_e64 v5, s[2:3], v5, v3, s[2:3]
	global_load_ushort v3, v[4:5], off
	s_waitcnt vmcnt(0)
	v_lshlrev_b32_e32 v3, 16, v3
.LBB490_4:
	s_or_b64 exec, exec, s[4:5]
	v_mbcnt_lo_u32_b32 v4, -1, 0
	v_mbcnt_hi_u32_b32 v4, -1, v4
	v_and_b32_e32 v5, 0x78, v4
	v_add_u32_e32 v5, 8, v5
	v_xor_b32_e32 v6, 4, v4
	v_cmp_lt_i32_e64 s[2:3], v6, v5
	v_cndmask_b32_e64 v6, v4, v6, s[2:3]
	v_lshlrev_b32_e32 v6, 2, v6
	ds_bpermute_b32 v9, v6, v3
	ds_bpermute_b32 v7, v6, v2
	v_xor_b32_e32 v10, 2, v4
	v_cmp_lt_i32_e64 s[2:3], v10, v5
	v_xor_b32_e32 v11, 1, v4
	v_cndmask_b32_e64 v10, v4, v10, s[2:3]
	v_cmp_lt_i32_e64 s[2:3], v11, v5
	v_cndmask_b32_e64 v4, v4, v11, s[2:3]
	s_waitcnt lgkmcnt(1)
	v_cmp_lt_f32_e64 s[2:3], v3, v9
	v_lshlrev_b32_e32 v10, 2, v10
	v_cndmask_b32_e64 v5, v3, v9, s[2:3]
	s_waitcnt lgkmcnt(0)
	v_cmp_lt_f32_e64 s[2:3], v2, v7
	ds_bpermute_b32 v9, v10, v5
	v_cndmask_b32_e64 v7, v2, v7, s[2:3]
	ds_bpermute_b32 v11, v10, v7
	v_lshlrev_b32_e32 v12, 2, v4
	s_mov_b32 s4, 0x3fb8aa3b
	s_waitcnt lgkmcnt(1)
	v_cmp_lt_f32_e64 s[2:3], v5, v9
	v_cndmask_b32_e64 v4, v5, v9, s[2:3]
	s_waitcnt lgkmcnt(0)
	v_cmp_lt_f32_e64 s[2:3], v7, v11
	ds_bpermute_b32 v5, v12, v4
	v_cndmask_b32_e64 v7, v7, v11, s[2:3]
	ds_bpermute_b32 v9, v12, v7
	s_mov_b32 s5, 0xc2ce8ed0
	s_mov_b32 s6, 0x42b17218
	s_waitcnt lgkmcnt(1)
	v_cmp_lt_f32_e64 s[2:3], v4, v5
	v_cndmask_b32_e64 v5, v4, v5, s[2:3]
	s_waitcnt lgkmcnt(0)
	v_cmp_lt_f32_e64 s[2:3], v7, v9
	v_cndmask_b32_e64 v4, v7, v9, s[2:3]
	v_pk_add_f32 v[2:3], v[2:3], v[4:5] neg_lo:[0,1] neg_hi:[0,1]
	v_mul_f32_e32 v4, 0x3fb8aa3b, v3
	v_fma_f32 v5, v3, s4, -v4
	v_rndne_f32_e32 v7, v4
	v_fmac_f32_e32 v5, 0x32a5705f, v3
	v_sub_f32_e32 v4, v4, v7
	v_add_f32_e32 v4, v4, v5
	v_exp_f32_e32 v4, v4
	v_cvt_i32_f32_e32 v5, v7
	v_cmp_ngt_f32_e64 s[2:3], s5, v3
	v_ldexp_f32 v4, v4, v5
	v_mul_f32_e32 v5, 0x3fb8aa3b, v2
	v_fma_f32 v7, v2, s4, -v5
	v_rndne_f32_e32 v9, v5
	v_fmac_f32_e32 v7, 0x32a5705f, v2
	v_sub_f32_e32 v5, v5, v9
	v_add_f32_e32 v5, v5, v7
	v_exp_f32_e32 v5, v5
	v_cvt_i32_f32_e32 v7, v9
	v_cndmask_b32_e64 v4, 0, v4, s[2:3]
	v_mov_b32_e32 v9, 0x7f800000
	v_cmp_nlt_f32_e64 s[2:3], s6, v3
	v_cndmask_b32_e64 v3, v9, v4, s[2:3]
	v_ldexp_f32 v4, v5, v7
	v_cmp_ngt_f32_e64 s[2:3], s5, v2
	v_cndmask_b32_e64 v4, 0, v4, s[2:3]
	v_cmp_nlt_f32_e64 s[2:3], s6, v2
	v_cndmask_b32_e64 v2, v9, v4, s[2:3]
	ds_bpermute_b32 v4, v6, v2
	ds_bpermute_b32 v5, v6, v3
	s_waitcnt lgkmcnt(0)
	v_pk_add_f32 v[4:5], v[2:3], v[4:5]
	ds_bpermute_b32 v6, v10, v4
	ds_bpermute_b32 v7, v10, v5
	s_waitcnt lgkmcnt(0)
	v_pk_add_f32 v[4:5], v[4:5], v[6:7]
	ds_bpermute_b32 v6, v12, v4
	ds_bpermute_b32 v7, v12, v5
	s_and_saveexec_b64 s[2:3], vcc
	s_cbranch_execz .LBB490_12
; %bb.5:
	v_lshlrev_b64 v[0:1], 2, v[0:1]
	v_mov_b32_e32 v9, s9
	v_add_co_u32_e32 v0, vcc, s8, v0
	v_addc_co_u32_e32 v1, vcc, v9, v1, vcc
	s_waitcnt lgkmcnt(0)
	v_pk_add_f32 v[4:5], v[4:5], v[6:7]
	s_and_saveexec_b64 s[2:3], s[0:1]
	s_cbranch_execz .LBB490_9
; %bb.6:
	v_cmp_neq_f32_e32 vcc, 0, v4
	v_mov_b32_e32 v6, 0x7fc00000
	s_and_saveexec_b64 s[4:5], vcc
; %bb.7:
	v_div_scale_f32 v6, s[6:7], v4, v4, v2
	v_rcp_f32_e32 v7, v6
	v_div_scale_f32 v9, vcc, v2, v4, v2
	v_fma_f32 v10, -v6, v7, 1.0
	v_fmac_f32_e32 v7, v10, v7
	v_mul_f32_e32 v10, v9, v7
	v_fma_f32 v11, -v6, v10, v9
	v_fmac_f32_e32 v10, v11, v7
	v_fma_f32 v6, -v6, v10, v9
	v_div_fmas_f32 v6, v6, v7, v10
	v_div_fixup_f32 v6, v6, v4, v2
; %bb.8:
	s_or_b64 exec, exec, s[4:5]
	global_store_dword v[0:1], v6, off
.LBB490_9:
	s_or_b64 exec, exec, s[2:3]
	v_cmp_ne_u32_e32 vcc, 1, v8
	s_and_b64 exec, exec, vcc
	s_cbranch_execz .LBB490_12
; %bb.10:
	s_and_b64 exec, exec, s[0:1]
	s_cbranch_execz .LBB490_12
; %bb.11:
	v_div_scale_f32 v2, s[0:1], v5, v5, v3
	v_rcp_f32_e32 v4, v2
	v_div_scale_f32 v6, vcc, v3, v5, v3
	s_mov_b32 s15, 0
	v_fma_f32 v7, -v2, v4, 1.0
	v_fmac_f32_e32 v4, v7, v4
	v_mul_f32_e32 v7, v6, v4
	v_fma_f32 v8, -v2, v7, v6
	v_fmac_f32_e32 v7, v8, v4
	v_fma_f32 v2, -v2, v7, v6
	v_div_fmas_f32 v2, v2, v4, v7
	s_lshl_b64 s[0:1], s[14:15], 2
	v_div_fixup_f32 v2, v2, v5, v3
	v_mov_b32_e32 v3, s1
	v_add_co_u32_e32 v0, vcc, s0, v0
	v_addc_co_u32_e32 v1, vcc, v1, v3, vcc
	v_mov_b32_e32 v3, 0x7fc00000
	v_cmp_neq_f32_e32 vcc, 0, v5
	v_cndmask_b32_e32 v2, v3, v2, vcc
	global_store_dword v[0:1], v2, off
.LBB490_12:
	s_endpgm
	.section	.rodata,"a",@progbits
	.p2align	6, 0x0
	.amdhsa_kernel _ZN12_GLOBAL__N_120softmax_warp_forwardIN3c108BFloat16EffLi3ELb0ELb0ELi64EEEvPT0_PKT_iiiPKbib
		.amdhsa_group_segment_fixed_size 0
		.amdhsa_private_segment_fixed_size 0
		.amdhsa_kernarg_size 304
		.amdhsa_user_sgpr_count 6
		.amdhsa_user_sgpr_private_segment_buffer 1
		.amdhsa_user_sgpr_dispatch_ptr 0
		.amdhsa_user_sgpr_queue_ptr 0
		.amdhsa_user_sgpr_kernarg_segment_ptr 1
		.amdhsa_user_sgpr_dispatch_id 0
		.amdhsa_user_sgpr_flat_scratch_init 0
		.amdhsa_user_sgpr_kernarg_preload_length 0
		.amdhsa_user_sgpr_kernarg_preload_offset 0
		.amdhsa_user_sgpr_private_segment_size 0
		.amdhsa_uses_dynamic_stack 0
		.amdhsa_system_sgpr_private_segment_wavefront_offset 0
		.amdhsa_system_sgpr_workgroup_id_x 1
		.amdhsa_system_sgpr_workgroup_id_y 0
		.amdhsa_system_sgpr_workgroup_id_z 0
		.amdhsa_system_sgpr_workgroup_info 0
		.amdhsa_system_vgpr_workitem_id 1
		.amdhsa_next_free_vgpr 13
		.amdhsa_next_free_sgpr 16
		.amdhsa_accum_offset 16
		.amdhsa_reserve_vcc 1
		.amdhsa_reserve_flat_scratch 0
		.amdhsa_float_round_mode_32 0
		.amdhsa_float_round_mode_16_64 0
		.amdhsa_float_denorm_mode_32 3
		.amdhsa_float_denorm_mode_16_64 3
		.amdhsa_dx10_clamp 1
		.amdhsa_ieee_mode 1
		.amdhsa_fp16_overflow 0
		.amdhsa_tg_split 0
		.amdhsa_exception_fp_ieee_invalid_op 0
		.amdhsa_exception_fp_denorm_src 0
		.amdhsa_exception_fp_ieee_div_zero 0
		.amdhsa_exception_fp_ieee_overflow 0
		.amdhsa_exception_fp_ieee_underflow 0
		.amdhsa_exception_fp_ieee_inexact 0
		.amdhsa_exception_int_div_zero 0
	.end_amdhsa_kernel
	.section	.text._ZN12_GLOBAL__N_120softmax_warp_forwardIN3c108BFloat16EffLi3ELb0ELb0ELi64EEEvPT0_PKT_iiiPKbib,"axG",@progbits,_ZN12_GLOBAL__N_120softmax_warp_forwardIN3c108BFloat16EffLi3ELb0ELb0ELi64EEEvPT0_PKT_iiiPKbib,comdat
.Lfunc_end490:
	.size	_ZN12_GLOBAL__N_120softmax_warp_forwardIN3c108BFloat16EffLi3ELb0ELb0ELi64EEEvPT0_PKT_iiiPKbib, .Lfunc_end490-_ZN12_GLOBAL__N_120softmax_warp_forwardIN3c108BFloat16EffLi3ELb0ELb0ELi64EEEvPT0_PKT_iiiPKbib
                                        ; -- End function
	.section	.AMDGPU.csdata,"",@progbits
; Kernel info:
; codeLenInByte = 1056
; NumSgprs: 20
; NumVgprs: 13
; NumAgprs: 0
; TotalNumVgprs: 13
; ScratchSize: 0
; MemoryBound: 0
; FloatMode: 240
; IeeeMode: 1
; LDSByteSize: 0 bytes/workgroup (compile time only)
; SGPRBlocks: 2
; VGPRBlocks: 1
; NumSGPRsForWavesPerEU: 20
; NumVGPRsForWavesPerEU: 13
; AccumOffset: 16
; Occupancy: 8
; WaveLimiterHint : 0
; COMPUTE_PGM_RSRC2:SCRATCH_EN: 0
; COMPUTE_PGM_RSRC2:USER_SGPR: 6
; COMPUTE_PGM_RSRC2:TRAP_HANDLER: 0
; COMPUTE_PGM_RSRC2:TGID_X_EN: 1
; COMPUTE_PGM_RSRC2:TGID_Y_EN: 0
; COMPUTE_PGM_RSRC2:TGID_Z_EN: 0
; COMPUTE_PGM_RSRC2:TIDIG_COMP_CNT: 1
; COMPUTE_PGM_RSRC3_GFX90A:ACCUM_OFFSET: 3
; COMPUTE_PGM_RSRC3_GFX90A:TG_SPLIT: 0
	.section	.text._ZN12_GLOBAL__N_120softmax_warp_forwardIN3c108BFloat16EffLi3ELb0ELb0ELi32EEEvPT0_PKT_iiiPKbib,"axG",@progbits,_ZN12_GLOBAL__N_120softmax_warp_forwardIN3c108BFloat16EffLi3ELb0ELb0ELi32EEEvPT0_PKT_iiiPKbib,comdat
	.globl	_ZN12_GLOBAL__N_120softmax_warp_forwardIN3c108BFloat16EffLi3ELb0ELb0ELi32EEEvPT0_PKT_iiiPKbib ; -- Begin function _ZN12_GLOBAL__N_120softmax_warp_forwardIN3c108BFloat16EffLi3ELb0ELb0ELi32EEEvPT0_PKT_iiiPKbib
	.p2align	8
	.type	_ZN12_GLOBAL__N_120softmax_warp_forwardIN3c108BFloat16EffLi3ELb0ELb0ELi32EEEvPT0_PKT_iiiPKbib,@function
_ZN12_GLOBAL__N_120softmax_warp_forwardIN3c108BFloat16EffLi3ELb0ELb0ELi32EEEvPT0_PKT_iiiPKbib: ; @_ZN12_GLOBAL__N_120softmax_warp_forwardIN3c108BFloat16EffLi3ELb0ELb0ELi32EEEvPT0_PKT_iiiPKbib
; %bb.0:
	s_load_dword s0, s[4:5], 0x3c
	s_load_dwordx8 s[8:15], s[4:5], 0x0
	v_bfe_u32 v1, v0, 10, 10
	v_and_b32_e32 v2, 0x3ff, v0
	s_waitcnt lgkmcnt(0)
	s_lshr_b32 s0, s0, 16
	s_mul_i32 s6, s6, s0
	v_add_lshl_u32 v1, s6, v1, 1
	v_sub_u32_e32 v8, s12, v1
	v_mad_u64_u32 v[0:1], s[0:1], v1, s13, v[2:3]
	v_ashrrev_i32_e32 v1, 31, v0
	v_lshlrev_b64 v[4:5], 1, v[0:1]
	v_mov_b32_e32 v3, s11
	v_add_co_u32_e32 v4, vcc, s10, v4
	v_addc_co_u32_e32 v5, vcc, v3, v5, vcc
	v_cmp_gt_i32_e64 s[0:1], s14, v2
	v_cmp_lt_i32_e32 vcc, 0, v8
	s_and_b64 s[4:5], s[0:1], vcc
	v_mov_b32_e32 v3, 0xff800000
	v_mov_b32_e32 v2, 0xff800000
	s_and_saveexec_b64 s[2:3], s[4:5]
	s_cbranch_execz .LBB491_2
; %bb.1:
	global_load_ushort v2, v[4:5], off
	s_waitcnt vmcnt(0)
	v_lshlrev_b32_e32 v2, 16, v2
.LBB491_2:
	s_or_b64 exec, exec, s[2:3]
	v_cmp_lt_i32_e64 s[2:3], 1, v8
	s_and_b64 s[2:3], s[0:1], s[2:3]
	s_and_saveexec_b64 s[4:5], s[2:3]
	s_cbranch_execz .LBB491_4
; %bb.3:
	s_mov_b32 s15, 0
	s_lshl_b64 s[2:3], s[14:15], 1
	v_mov_b32_e32 v3, s3
	v_add_co_u32_e64 v4, s[2:3], s2, v4
	v_addc_co_u32_e64 v5, s[2:3], v5, v3, s[2:3]
	global_load_ushort v3, v[4:5], off
	s_waitcnt vmcnt(0)
	v_lshlrev_b32_e32 v3, 16, v3
.LBB491_4:
	s_or_b64 exec, exec, s[4:5]
	v_mbcnt_lo_u32_b32 v4, -1, 0
	v_mbcnt_hi_u32_b32 v4, -1, v4
	v_and_b32_e32 v5, 0x78, v4
	v_add_u32_e32 v5, 8, v5
	v_xor_b32_e32 v6, 4, v4
	v_cmp_lt_i32_e64 s[2:3], v6, v5
	v_cndmask_b32_e64 v6, v4, v6, s[2:3]
	v_lshlrev_b32_e32 v6, 2, v6
	ds_bpermute_b32 v9, v6, v3
	ds_bpermute_b32 v7, v6, v2
	v_xor_b32_e32 v10, 2, v4
	v_cmp_lt_i32_e64 s[2:3], v10, v5
	v_xor_b32_e32 v11, 1, v4
	v_cndmask_b32_e64 v10, v4, v10, s[2:3]
	v_cmp_lt_i32_e64 s[2:3], v11, v5
	v_cndmask_b32_e64 v4, v4, v11, s[2:3]
	s_waitcnt lgkmcnt(1)
	v_cmp_lt_f32_e64 s[2:3], v3, v9
	v_lshlrev_b32_e32 v10, 2, v10
	v_cndmask_b32_e64 v5, v3, v9, s[2:3]
	s_waitcnt lgkmcnt(0)
	v_cmp_lt_f32_e64 s[2:3], v2, v7
	ds_bpermute_b32 v9, v10, v5
	v_cndmask_b32_e64 v7, v2, v7, s[2:3]
	ds_bpermute_b32 v11, v10, v7
	v_lshlrev_b32_e32 v12, 2, v4
	s_mov_b32 s4, 0x3fb8aa3b
	s_waitcnt lgkmcnt(1)
	v_cmp_lt_f32_e64 s[2:3], v5, v9
	v_cndmask_b32_e64 v4, v5, v9, s[2:3]
	s_waitcnt lgkmcnt(0)
	v_cmp_lt_f32_e64 s[2:3], v7, v11
	ds_bpermute_b32 v5, v12, v4
	v_cndmask_b32_e64 v7, v7, v11, s[2:3]
	ds_bpermute_b32 v9, v12, v7
	s_mov_b32 s5, 0xc2ce8ed0
	s_mov_b32 s6, 0x42b17218
	s_waitcnt lgkmcnt(1)
	v_cmp_lt_f32_e64 s[2:3], v4, v5
	v_cndmask_b32_e64 v5, v4, v5, s[2:3]
	s_waitcnt lgkmcnt(0)
	v_cmp_lt_f32_e64 s[2:3], v7, v9
	v_cndmask_b32_e64 v4, v7, v9, s[2:3]
	v_pk_add_f32 v[2:3], v[2:3], v[4:5] neg_lo:[0,1] neg_hi:[0,1]
	v_mul_f32_e32 v4, 0x3fb8aa3b, v3
	v_fma_f32 v5, v3, s4, -v4
	v_rndne_f32_e32 v7, v4
	v_fmac_f32_e32 v5, 0x32a5705f, v3
	v_sub_f32_e32 v4, v4, v7
	v_add_f32_e32 v4, v4, v5
	v_exp_f32_e32 v4, v4
	v_cvt_i32_f32_e32 v5, v7
	v_cmp_ngt_f32_e64 s[2:3], s5, v3
	v_ldexp_f32 v4, v4, v5
	v_mul_f32_e32 v5, 0x3fb8aa3b, v2
	v_fma_f32 v7, v2, s4, -v5
	v_rndne_f32_e32 v9, v5
	v_fmac_f32_e32 v7, 0x32a5705f, v2
	v_sub_f32_e32 v5, v5, v9
	v_add_f32_e32 v5, v5, v7
	v_exp_f32_e32 v5, v5
	v_cvt_i32_f32_e32 v7, v9
	v_cndmask_b32_e64 v4, 0, v4, s[2:3]
	v_mov_b32_e32 v9, 0x7f800000
	v_cmp_nlt_f32_e64 s[2:3], s6, v3
	v_cndmask_b32_e64 v3, v9, v4, s[2:3]
	v_ldexp_f32 v4, v5, v7
	v_cmp_ngt_f32_e64 s[2:3], s5, v2
	v_cndmask_b32_e64 v4, 0, v4, s[2:3]
	v_cmp_nlt_f32_e64 s[2:3], s6, v2
	v_cndmask_b32_e64 v2, v9, v4, s[2:3]
	ds_bpermute_b32 v4, v6, v2
	ds_bpermute_b32 v5, v6, v3
	s_waitcnt lgkmcnt(0)
	v_pk_add_f32 v[4:5], v[2:3], v[4:5]
	ds_bpermute_b32 v6, v10, v4
	ds_bpermute_b32 v7, v10, v5
	s_waitcnt lgkmcnt(0)
	v_pk_add_f32 v[4:5], v[4:5], v[6:7]
	ds_bpermute_b32 v6, v12, v4
	ds_bpermute_b32 v7, v12, v5
	s_and_saveexec_b64 s[2:3], vcc
	s_cbranch_execz .LBB491_12
; %bb.5:
	v_lshlrev_b64 v[0:1], 2, v[0:1]
	v_mov_b32_e32 v9, s9
	v_add_co_u32_e32 v0, vcc, s8, v0
	v_addc_co_u32_e32 v1, vcc, v9, v1, vcc
	s_waitcnt lgkmcnt(0)
	v_pk_add_f32 v[4:5], v[4:5], v[6:7]
	s_and_saveexec_b64 s[2:3], s[0:1]
	s_cbranch_execz .LBB491_9
; %bb.6:
	v_cmp_neq_f32_e32 vcc, 0, v4
	v_mov_b32_e32 v6, 0x7fc00000
	s_and_saveexec_b64 s[4:5], vcc
; %bb.7:
	v_div_scale_f32 v6, s[6:7], v4, v4, v2
	v_rcp_f32_e32 v7, v6
	v_div_scale_f32 v9, vcc, v2, v4, v2
	v_fma_f32 v10, -v6, v7, 1.0
	v_fmac_f32_e32 v7, v10, v7
	v_mul_f32_e32 v10, v9, v7
	v_fma_f32 v11, -v6, v10, v9
	v_fmac_f32_e32 v10, v11, v7
	v_fma_f32 v6, -v6, v10, v9
	v_div_fmas_f32 v6, v6, v7, v10
	v_div_fixup_f32 v6, v6, v4, v2
; %bb.8:
	s_or_b64 exec, exec, s[4:5]
	global_store_dword v[0:1], v6, off
.LBB491_9:
	s_or_b64 exec, exec, s[2:3]
	v_cmp_ne_u32_e32 vcc, 1, v8
	s_and_b64 exec, exec, vcc
	s_cbranch_execz .LBB491_12
; %bb.10:
	s_and_b64 exec, exec, s[0:1]
	s_cbranch_execz .LBB491_12
; %bb.11:
	v_div_scale_f32 v2, s[0:1], v5, v5, v3
	v_rcp_f32_e32 v4, v2
	v_div_scale_f32 v6, vcc, v3, v5, v3
	s_mov_b32 s15, 0
	v_fma_f32 v7, -v2, v4, 1.0
	v_fmac_f32_e32 v4, v7, v4
	v_mul_f32_e32 v7, v6, v4
	v_fma_f32 v8, -v2, v7, v6
	v_fmac_f32_e32 v7, v8, v4
	v_fma_f32 v2, -v2, v7, v6
	v_div_fmas_f32 v2, v2, v4, v7
	s_lshl_b64 s[0:1], s[14:15], 2
	v_div_fixup_f32 v2, v2, v5, v3
	v_mov_b32_e32 v3, s1
	v_add_co_u32_e32 v0, vcc, s0, v0
	v_addc_co_u32_e32 v1, vcc, v1, v3, vcc
	v_mov_b32_e32 v3, 0x7fc00000
	v_cmp_neq_f32_e32 vcc, 0, v5
	v_cndmask_b32_e32 v2, v3, v2, vcc
	global_store_dword v[0:1], v2, off
.LBB491_12:
	s_endpgm
	.section	.rodata,"a",@progbits
	.p2align	6, 0x0
	.amdhsa_kernel _ZN12_GLOBAL__N_120softmax_warp_forwardIN3c108BFloat16EffLi3ELb0ELb0ELi32EEEvPT0_PKT_iiiPKbib
		.amdhsa_group_segment_fixed_size 0
		.amdhsa_private_segment_fixed_size 0
		.amdhsa_kernarg_size 304
		.amdhsa_user_sgpr_count 6
		.amdhsa_user_sgpr_private_segment_buffer 1
		.amdhsa_user_sgpr_dispatch_ptr 0
		.amdhsa_user_sgpr_queue_ptr 0
		.amdhsa_user_sgpr_kernarg_segment_ptr 1
		.amdhsa_user_sgpr_dispatch_id 0
		.amdhsa_user_sgpr_flat_scratch_init 0
		.amdhsa_user_sgpr_kernarg_preload_length 0
		.amdhsa_user_sgpr_kernarg_preload_offset 0
		.amdhsa_user_sgpr_private_segment_size 0
		.amdhsa_uses_dynamic_stack 0
		.amdhsa_system_sgpr_private_segment_wavefront_offset 0
		.amdhsa_system_sgpr_workgroup_id_x 1
		.amdhsa_system_sgpr_workgroup_id_y 0
		.amdhsa_system_sgpr_workgroup_id_z 0
		.amdhsa_system_sgpr_workgroup_info 0
		.amdhsa_system_vgpr_workitem_id 1
		.amdhsa_next_free_vgpr 13
		.amdhsa_next_free_sgpr 16
		.amdhsa_accum_offset 16
		.amdhsa_reserve_vcc 1
		.amdhsa_reserve_flat_scratch 0
		.amdhsa_float_round_mode_32 0
		.amdhsa_float_round_mode_16_64 0
		.amdhsa_float_denorm_mode_32 3
		.amdhsa_float_denorm_mode_16_64 3
		.amdhsa_dx10_clamp 1
		.amdhsa_ieee_mode 1
		.amdhsa_fp16_overflow 0
		.amdhsa_tg_split 0
		.amdhsa_exception_fp_ieee_invalid_op 0
		.amdhsa_exception_fp_denorm_src 0
		.amdhsa_exception_fp_ieee_div_zero 0
		.amdhsa_exception_fp_ieee_overflow 0
		.amdhsa_exception_fp_ieee_underflow 0
		.amdhsa_exception_fp_ieee_inexact 0
		.amdhsa_exception_int_div_zero 0
	.end_amdhsa_kernel
	.section	.text._ZN12_GLOBAL__N_120softmax_warp_forwardIN3c108BFloat16EffLi3ELb0ELb0ELi32EEEvPT0_PKT_iiiPKbib,"axG",@progbits,_ZN12_GLOBAL__N_120softmax_warp_forwardIN3c108BFloat16EffLi3ELb0ELb0ELi32EEEvPT0_PKT_iiiPKbib,comdat
.Lfunc_end491:
	.size	_ZN12_GLOBAL__N_120softmax_warp_forwardIN3c108BFloat16EffLi3ELb0ELb0ELi32EEEvPT0_PKT_iiiPKbib, .Lfunc_end491-_ZN12_GLOBAL__N_120softmax_warp_forwardIN3c108BFloat16EffLi3ELb0ELb0ELi32EEEvPT0_PKT_iiiPKbib
                                        ; -- End function
	.section	.AMDGPU.csdata,"",@progbits
; Kernel info:
; codeLenInByte = 1056
; NumSgprs: 20
; NumVgprs: 13
; NumAgprs: 0
; TotalNumVgprs: 13
; ScratchSize: 0
; MemoryBound: 0
; FloatMode: 240
; IeeeMode: 1
; LDSByteSize: 0 bytes/workgroup (compile time only)
; SGPRBlocks: 2
; VGPRBlocks: 1
; NumSGPRsForWavesPerEU: 20
; NumVGPRsForWavesPerEU: 13
; AccumOffset: 16
; Occupancy: 8
; WaveLimiterHint : 0
; COMPUTE_PGM_RSRC2:SCRATCH_EN: 0
; COMPUTE_PGM_RSRC2:USER_SGPR: 6
; COMPUTE_PGM_RSRC2:TRAP_HANDLER: 0
; COMPUTE_PGM_RSRC2:TGID_X_EN: 1
; COMPUTE_PGM_RSRC2:TGID_Y_EN: 0
; COMPUTE_PGM_RSRC2:TGID_Z_EN: 0
; COMPUTE_PGM_RSRC2:TIDIG_COMP_CNT: 1
; COMPUTE_PGM_RSRC3_GFX90A:ACCUM_OFFSET: 3
; COMPUTE_PGM_RSRC3_GFX90A:TG_SPLIT: 0
	.section	.text._ZN12_GLOBAL__N_120softmax_warp_forwardIN3c108BFloat16EffLi4ELb0ELb0ELi64EEEvPT0_PKT_iiiPKbib,"axG",@progbits,_ZN12_GLOBAL__N_120softmax_warp_forwardIN3c108BFloat16EffLi4ELb0ELb0ELi64EEEvPT0_PKT_iiiPKbib,comdat
	.globl	_ZN12_GLOBAL__N_120softmax_warp_forwardIN3c108BFloat16EffLi4ELb0ELb0ELi64EEEvPT0_PKT_iiiPKbib ; -- Begin function _ZN12_GLOBAL__N_120softmax_warp_forwardIN3c108BFloat16EffLi4ELb0ELb0ELi64EEEvPT0_PKT_iiiPKbib
	.p2align	8
	.type	_ZN12_GLOBAL__N_120softmax_warp_forwardIN3c108BFloat16EffLi4ELb0ELb0ELi64EEEvPT0_PKT_iiiPKbib,@function
_ZN12_GLOBAL__N_120softmax_warp_forwardIN3c108BFloat16EffLi4ELb0ELb0ELi64EEEvPT0_PKT_iiiPKbib: ; @_ZN12_GLOBAL__N_120softmax_warp_forwardIN3c108BFloat16EffLi4ELb0ELb0ELi64EEEvPT0_PKT_iiiPKbib
; %bb.0:
	s_load_dword s0, s[4:5], 0x3c
	s_load_dwordx8 s[8:15], s[4:5], 0x0
	v_bfe_u32 v1, v0, 10, 10
	v_and_b32_e32 v2, 0x3ff, v0
	s_waitcnt lgkmcnt(0)
	s_lshr_b32 s0, s0, 16
	s_mul_i32 s6, s6, s0
	v_add_lshl_u32 v1, s6, v1, 1
	v_sub_u32_e32 v8, s12, v1
	v_mad_u64_u32 v[0:1], s[0:1], v1, s13, v[2:3]
	v_ashrrev_i32_e32 v1, 31, v0
	v_lshlrev_b64 v[4:5], 1, v[0:1]
	v_mov_b32_e32 v3, s11
	v_add_co_u32_e32 v4, vcc, s10, v4
	v_addc_co_u32_e32 v5, vcc, v3, v5, vcc
	v_cmp_gt_i32_e64 s[0:1], s14, v2
	v_cmp_lt_i32_e32 vcc, 0, v8
	s_and_b64 s[4:5], s[0:1], vcc
	v_mov_b32_e32 v3, 0xff800000
	v_mov_b32_e32 v2, 0xff800000
	s_and_saveexec_b64 s[2:3], s[4:5]
	s_cbranch_execz .LBB492_2
; %bb.1:
	global_load_ushort v2, v[4:5], off
	s_waitcnt vmcnt(0)
	v_lshlrev_b32_e32 v2, 16, v2
.LBB492_2:
	s_or_b64 exec, exec, s[2:3]
	v_cmp_lt_i32_e64 s[2:3], 1, v8
	s_and_b64 s[2:3], s[0:1], s[2:3]
	s_and_saveexec_b64 s[4:5], s[2:3]
	s_cbranch_execz .LBB492_4
; %bb.3:
	s_mov_b32 s15, 0
	s_lshl_b64 s[2:3], s[14:15], 1
	v_mov_b32_e32 v3, s3
	v_add_co_u32_e64 v4, s[2:3], s2, v4
	v_addc_co_u32_e64 v5, s[2:3], v5, v3, s[2:3]
	global_load_ushort v3, v[4:5], off
	s_waitcnt vmcnt(0)
	v_lshlrev_b32_e32 v3, 16, v3
.LBB492_4:
	s_or_b64 exec, exec, s[4:5]
	v_mbcnt_lo_u32_b32 v4, -1, 0
	v_mbcnt_hi_u32_b32 v4, -1, v4
	v_and_b32_e32 v5, 0x70, v4
	v_add_u32_e32 v5, 16, v5
	v_xor_b32_e32 v6, 8, v4
	v_cmp_lt_i32_e64 s[2:3], v6, v5
	v_cndmask_b32_e64 v6, v4, v6, s[2:3]
	v_lshlrev_b32_e32 v6, 2, v6
	ds_bpermute_b32 v9, v6, v3
	ds_bpermute_b32 v7, v6, v2
	v_xor_b32_e32 v10, 4, v4
	v_cmp_lt_i32_e64 s[2:3], v10, v5
	v_xor_b32_e32 v11, 2, v4
	v_cndmask_b32_e64 v10, v4, v10, s[2:3]
	v_cmp_lt_i32_e64 s[2:3], v11, v5
	v_cndmask_b32_e64 v11, v4, v11, s[2:3]
	s_waitcnt lgkmcnt(1)
	v_cmp_lt_f32_e64 s[2:3], v3, v9
	v_lshlrev_b32_e32 v10, 2, v10
	v_cndmask_b32_e64 v9, v3, v9, s[2:3]
	s_waitcnt lgkmcnt(0)
	v_cmp_lt_f32_e64 s[2:3], v2, v7
	ds_bpermute_b32 v13, v10, v9
	v_cndmask_b32_e64 v7, v2, v7, s[2:3]
	ds_bpermute_b32 v14, v10, v7
	v_xor_b32_e32 v12, 1, v4
	v_cmp_lt_i32_e64 s[2:3], v12, v5
	v_cndmask_b32_e64 v4, v4, v12, s[2:3]
	s_waitcnt lgkmcnt(1)
	v_cmp_lt_f32_e64 s[2:3], v9, v13
	v_lshlrev_b32_e32 v11, 2, v11
	v_cndmask_b32_e64 v5, v9, v13, s[2:3]
	s_waitcnt lgkmcnt(0)
	v_cmp_lt_f32_e64 s[2:3], v7, v14
	ds_bpermute_b32 v9, v11, v5
	v_cndmask_b32_e64 v7, v7, v14, s[2:3]
	ds_bpermute_b32 v12, v11, v7
	v_lshlrev_b32_e32 v13, 2, v4
	s_mov_b32 s4, 0x3fb8aa3b
	s_waitcnt lgkmcnt(1)
	v_cmp_lt_f32_e64 s[2:3], v5, v9
	v_cndmask_b32_e64 v4, v5, v9, s[2:3]
	s_waitcnt lgkmcnt(0)
	v_cmp_lt_f32_e64 s[2:3], v7, v12
	ds_bpermute_b32 v5, v13, v4
	v_cndmask_b32_e64 v7, v7, v12, s[2:3]
	ds_bpermute_b32 v9, v13, v7
	s_mov_b32 s5, 0xc2ce8ed0
	s_mov_b32 s6, 0x42b17218
	s_waitcnt lgkmcnt(1)
	v_cmp_lt_f32_e64 s[2:3], v4, v5
	v_cndmask_b32_e64 v5, v4, v5, s[2:3]
	s_waitcnt lgkmcnt(0)
	v_cmp_lt_f32_e64 s[2:3], v7, v9
	v_cndmask_b32_e64 v4, v7, v9, s[2:3]
	v_pk_add_f32 v[2:3], v[2:3], v[4:5] neg_lo:[0,1] neg_hi:[0,1]
	v_mul_f32_e32 v4, 0x3fb8aa3b, v3
	v_fma_f32 v5, v3, s4, -v4
	v_rndne_f32_e32 v7, v4
	v_fmac_f32_e32 v5, 0x32a5705f, v3
	v_sub_f32_e32 v4, v4, v7
	v_add_f32_e32 v4, v4, v5
	v_exp_f32_e32 v4, v4
	v_cvt_i32_f32_e32 v5, v7
	v_cmp_ngt_f32_e64 s[2:3], s5, v3
	v_ldexp_f32 v4, v4, v5
	v_mul_f32_e32 v5, 0x3fb8aa3b, v2
	v_fma_f32 v7, v2, s4, -v5
	v_rndne_f32_e32 v9, v5
	v_fmac_f32_e32 v7, 0x32a5705f, v2
	v_sub_f32_e32 v5, v5, v9
	v_add_f32_e32 v5, v5, v7
	v_exp_f32_e32 v5, v5
	v_cvt_i32_f32_e32 v7, v9
	v_cndmask_b32_e64 v4, 0, v4, s[2:3]
	v_mov_b32_e32 v9, 0x7f800000
	v_cmp_nlt_f32_e64 s[2:3], s6, v3
	v_cndmask_b32_e64 v3, v9, v4, s[2:3]
	v_ldexp_f32 v4, v5, v7
	v_cmp_ngt_f32_e64 s[2:3], s5, v2
	v_cndmask_b32_e64 v4, 0, v4, s[2:3]
	v_cmp_nlt_f32_e64 s[2:3], s6, v2
	v_cndmask_b32_e64 v2, v9, v4, s[2:3]
	ds_bpermute_b32 v4, v6, v2
	ds_bpermute_b32 v5, v6, v3
	s_waitcnt lgkmcnt(0)
	v_pk_add_f32 v[4:5], v[2:3], v[4:5]
	ds_bpermute_b32 v6, v10, v4
	ds_bpermute_b32 v7, v10, v5
	s_waitcnt lgkmcnt(0)
	v_pk_add_f32 v[4:5], v[4:5], v[6:7]
	;; [unrolled: 4-line block ×3, first 2 shown]
	ds_bpermute_b32 v6, v13, v4
	ds_bpermute_b32 v7, v13, v5
	s_and_saveexec_b64 s[2:3], vcc
	s_cbranch_execz .LBB492_12
; %bb.5:
	v_lshlrev_b64 v[0:1], 2, v[0:1]
	v_mov_b32_e32 v9, s9
	v_add_co_u32_e32 v0, vcc, s8, v0
	v_addc_co_u32_e32 v1, vcc, v9, v1, vcc
	s_waitcnt lgkmcnt(0)
	v_pk_add_f32 v[4:5], v[4:5], v[6:7]
	s_and_saveexec_b64 s[2:3], s[0:1]
	s_cbranch_execz .LBB492_9
; %bb.6:
	v_cmp_neq_f32_e32 vcc, 0, v4
	v_mov_b32_e32 v6, 0x7fc00000
	s_and_saveexec_b64 s[4:5], vcc
; %bb.7:
	v_div_scale_f32 v6, s[6:7], v4, v4, v2
	v_rcp_f32_e32 v7, v6
	v_div_scale_f32 v9, vcc, v2, v4, v2
	v_fma_f32 v10, -v6, v7, 1.0
	v_fmac_f32_e32 v7, v10, v7
	v_mul_f32_e32 v10, v9, v7
	v_fma_f32 v11, -v6, v10, v9
	v_fmac_f32_e32 v10, v11, v7
	v_fma_f32 v6, -v6, v10, v9
	v_div_fmas_f32 v6, v6, v7, v10
	v_div_fixup_f32 v6, v6, v4, v2
; %bb.8:
	s_or_b64 exec, exec, s[4:5]
	global_store_dword v[0:1], v6, off
.LBB492_9:
	s_or_b64 exec, exec, s[2:3]
	v_cmp_ne_u32_e32 vcc, 1, v8
	s_and_b64 exec, exec, vcc
	s_cbranch_execz .LBB492_12
; %bb.10:
	s_and_b64 exec, exec, s[0:1]
	s_cbranch_execz .LBB492_12
; %bb.11:
	v_div_scale_f32 v2, s[0:1], v5, v5, v3
	v_rcp_f32_e32 v4, v2
	v_div_scale_f32 v6, vcc, v3, v5, v3
	s_mov_b32 s15, 0
	v_fma_f32 v7, -v2, v4, 1.0
	v_fmac_f32_e32 v4, v7, v4
	v_mul_f32_e32 v7, v6, v4
	v_fma_f32 v8, -v2, v7, v6
	v_fmac_f32_e32 v7, v8, v4
	v_fma_f32 v2, -v2, v7, v6
	v_div_fmas_f32 v2, v2, v4, v7
	s_lshl_b64 s[0:1], s[14:15], 2
	v_div_fixup_f32 v2, v2, v5, v3
	v_mov_b32_e32 v3, s1
	v_add_co_u32_e32 v0, vcc, s0, v0
	v_addc_co_u32_e32 v1, vcc, v1, v3, vcc
	v_mov_b32_e32 v3, 0x7fc00000
	v_cmp_neq_f32_e32 vcc, 0, v5
	v_cndmask_b32_e32 v2, v3, v2, vcc
	global_store_dword v[0:1], v2, off
.LBB492_12:
	s_endpgm
	.section	.rodata,"a",@progbits
	.p2align	6, 0x0
	.amdhsa_kernel _ZN12_GLOBAL__N_120softmax_warp_forwardIN3c108BFloat16EffLi4ELb0ELb0ELi64EEEvPT0_PKT_iiiPKbib
		.amdhsa_group_segment_fixed_size 0
		.amdhsa_private_segment_fixed_size 0
		.amdhsa_kernarg_size 304
		.amdhsa_user_sgpr_count 6
		.amdhsa_user_sgpr_private_segment_buffer 1
		.amdhsa_user_sgpr_dispatch_ptr 0
		.amdhsa_user_sgpr_queue_ptr 0
		.amdhsa_user_sgpr_kernarg_segment_ptr 1
		.amdhsa_user_sgpr_dispatch_id 0
		.amdhsa_user_sgpr_flat_scratch_init 0
		.amdhsa_user_sgpr_kernarg_preload_length 0
		.amdhsa_user_sgpr_kernarg_preload_offset 0
		.amdhsa_user_sgpr_private_segment_size 0
		.amdhsa_uses_dynamic_stack 0
		.amdhsa_system_sgpr_private_segment_wavefront_offset 0
		.amdhsa_system_sgpr_workgroup_id_x 1
		.amdhsa_system_sgpr_workgroup_id_y 0
		.amdhsa_system_sgpr_workgroup_id_z 0
		.amdhsa_system_sgpr_workgroup_info 0
		.amdhsa_system_vgpr_workitem_id 1
		.amdhsa_next_free_vgpr 15
		.amdhsa_next_free_sgpr 16
		.amdhsa_accum_offset 16
		.amdhsa_reserve_vcc 1
		.amdhsa_reserve_flat_scratch 0
		.amdhsa_float_round_mode_32 0
		.amdhsa_float_round_mode_16_64 0
		.amdhsa_float_denorm_mode_32 3
		.amdhsa_float_denorm_mode_16_64 3
		.amdhsa_dx10_clamp 1
		.amdhsa_ieee_mode 1
		.amdhsa_fp16_overflow 0
		.amdhsa_tg_split 0
		.amdhsa_exception_fp_ieee_invalid_op 0
		.amdhsa_exception_fp_denorm_src 0
		.amdhsa_exception_fp_ieee_div_zero 0
		.amdhsa_exception_fp_ieee_overflow 0
		.amdhsa_exception_fp_ieee_underflow 0
		.amdhsa_exception_fp_ieee_inexact 0
		.amdhsa_exception_int_div_zero 0
	.end_amdhsa_kernel
	.section	.text._ZN12_GLOBAL__N_120softmax_warp_forwardIN3c108BFloat16EffLi4ELb0ELb0ELi64EEEvPT0_PKT_iiiPKbib,"axG",@progbits,_ZN12_GLOBAL__N_120softmax_warp_forwardIN3c108BFloat16EffLi4ELb0ELb0ELi64EEEvPT0_PKT_iiiPKbib,comdat
.Lfunc_end492:
	.size	_ZN12_GLOBAL__N_120softmax_warp_forwardIN3c108BFloat16EffLi4ELb0ELb0ELi64EEEvPT0_PKT_iiiPKbib, .Lfunc_end492-_ZN12_GLOBAL__N_120softmax_warp_forwardIN3c108BFloat16EffLi4ELb0ELb0ELi64EEEvPT0_PKT_iiiPKbib
                                        ; -- End function
	.section	.AMDGPU.csdata,"",@progbits
; Kernel info:
; codeLenInByte = 1164
; NumSgprs: 20
; NumVgprs: 15
; NumAgprs: 0
; TotalNumVgprs: 15
; ScratchSize: 0
; MemoryBound: 0
; FloatMode: 240
; IeeeMode: 1
; LDSByteSize: 0 bytes/workgroup (compile time only)
; SGPRBlocks: 2
; VGPRBlocks: 1
; NumSGPRsForWavesPerEU: 20
; NumVGPRsForWavesPerEU: 15
; AccumOffset: 16
; Occupancy: 8
; WaveLimiterHint : 0
; COMPUTE_PGM_RSRC2:SCRATCH_EN: 0
; COMPUTE_PGM_RSRC2:USER_SGPR: 6
; COMPUTE_PGM_RSRC2:TRAP_HANDLER: 0
; COMPUTE_PGM_RSRC2:TGID_X_EN: 1
; COMPUTE_PGM_RSRC2:TGID_Y_EN: 0
; COMPUTE_PGM_RSRC2:TGID_Z_EN: 0
; COMPUTE_PGM_RSRC2:TIDIG_COMP_CNT: 1
; COMPUTE_PGM_RSRC3_GFX90A:ACCUM_OFFSET: 3
; COMPUTE_PGM_RSRC3_GFX90A:TG_SPLIT: 0
	.section	.text._ZN12_GLOBAL__N_120softmax_warp_forwardIN3c108BFloat16EffLi4ELb0ELb0ELi32EEEvPT0_PKT_iiiPKbib,"axG",@progbits,_ZN12_GLOBAL__N_120softmax_warp_forwardIN3c108BFloat16EffLi4ELb0ELb0ELi32EEEvPT0_PKT_iiiPKbib,comdat
	.globl	_ZN12_GLOBAL__N_120softmax_warp_forwardIN3c108BFloat16EffLi4ELb0ELb0ELi32EEEvPT0_PKT_iiiPKbib ; -- Begin function _ZN12_GLOBAL__N_120softmax_warp_forwardIN3c108BFloat16EffLi4ELb0ELb0ELi32EEEvPT0_PKT_iiiPKbib
	.p2align	8
	.type	_ZN12_GLOBAL__N_120softmax_warp_forwardIN3c108BFloat16EffLi4ELb0ELb0ELi32EEEvPT0_PKT_iiiPKbib,@function
_ZN12_GLOBAL__N_120softmax_warp_forwardIN3c108BFloat16EffLi4ELb0ELb0ELi32EEEvPT0_PKT_iiiPKbib: ; @_ZN12_GLOBAL__N_120softmax_warp_forwardIN3c108BFloat16EffLi4ELb0ELb0ELi32EEEvPT0_PKT_iiiPKbib
; %bb.0:
	s_load_dword s0, s[4:5], 0x3c
	s_load_dwordx8 s[8:15], s[4:5], 0x0
	v_bfe_u32 v1, v0, 10, 10
	v_and_b32_e32 v2, 0x3ff, v0
	s_waitcnt lgkmcnt(0)
	s_lshr_b32 s0, s0, 16
	s_mul_i32 s6, s6, s0
	v_add_lshl_u32 v1, s6, v1, 1
	v_sub_u32_e32 v8, s12, v1
	v_mad_u64_u32 v[0:1], s[0:1], v1, s13, v[2:3]
	v_ashrrev_i32_e32 v1, 31, v0
	v_lshlrev_b64 v[4:5], 1, v[0:1]
	v_mov_b32_e32 v3, s11
	v_add_co_u32_e32 v4, vcc, s10, v4
	v_addc_co_u32_e32 v5, vcc, v3, v5, vcc
	v_cmp_gt_i32_e64 s[0:1], s14, v2
	v_cmp_lt_i32_e32 vcc, 0, v8
	s_and_b64 s[4:5], s[0:1], vcc
	v_mov_b32_e32 v3, 0xff800000
	v_mov_b32_e32 v2, 0xff800000
	s_and_saveexec_b64 s[2:3], s[4:5]
	s_cbranch_execz .LBB493_2
; %bb.1:
	global_load_ushort v2, v[4:5], off
	s_waitcnt vmcnt(0)
	v_lshlrev_b32_e32 v2, 16, v2
.LBB493_2:
	s_or_b64 exec, exec, s[2:3]
	v_cmp_lt_i32_e64 s[2:3], 1, v8
	s_and_b64 s[2:3], s[0:1], s[2:3]
	s_and_saveexec_b64 s[4:5], s[2:3]
	s_cbranch_execz .LBB493_4
; %bb.3:
	s_mov_b32 s15, 0
	s_lshl_b64 s[2:3], s[14:15], 1
	v_mov_b32_e32 v3, s3
	v_add_co_u32_e64 v4, s[2:3], s2, v4
	v_addc_co_u32_e64 v5, s[2:3], v5, v3, s[2:3]
	global_load_ushort v3, v[4:5], off
	s_waitcnt vmcnt(0)
	v_lshlrev_b32_e32 v3, 16, v3
.LBB493_4:
	s_or_b64 exec, exec, s[4:5]
	v_mbcnt_lo_u32_b32 v4, -1, 0
	v_mbcnt_hi_u32_b32 v4, -1, v4
	v_and_b32_e32 v5, 0x70, v4
	v_add_u32_e32 v5, 16, v5
	v_xor_b32_e32 v6, 8, v4
	v_cmp_lt_i32_e64 s[2:3], v6, v5
	v_cndmask_b32_e64 v6, v4, v6, s[2:3]
	v_lshlrev_b32_e32 v6, 2, v6
	ds_bpermute_b32 v9, v6, v3
	ds_bpermute_b32 v7, v6, v2
	v_xor_b32_e32 v10, 4, v4
	v_cmp_lt_i32_e64 s[2:3], v10, v5
	v_xor_b32_e32 v11, 2, v4
	v_cndmask_b32_e64 v10, v4, v10, s[2:3]
	v_cmp_lt_i32_e64 s[2:3], v11, v5
	v_cndmask_b32_e64 v11, v4, v11, s[2:3]
	s_waitcnt lgkmcnt(1)
	v_cmp_lt_f32_e64 s[2:3], v3, v9
	v_lshlrev_b32_e32 v10, 2, v10
	v_cndmask_b32_e64 v9, v3, v9, s[2:3]
	s_waitcnt lgkmcnt(0)
	v_cmp_lt_f32_e64 s[2:3], v2, v7
	ds_bpermute_b32 v13, v10, v9
	v_cndmask_b32_e64 v7, v2, v7, s[2:3]
	ds_bpermute_b32 v14, v10, v7
	v_xor_b32_e32 v12, 1, v4
	v_cmp_lt_i32_e64 s[2:3], v12, v5
	v_cndmask_b32_e64 v4, v4, v12, s[2:3]
	s_waitcnt lgkmcnt(1)
	v_cmp_lt_f32_e64 s[2:3], v9, v13
	v_lshlrev_b32_e32 v11, 2, v11
	v_cndmask_b32_e64 v5, v9, v13, s[2:3]
	s_waitcnt lgkmcnt(0)
	v_cmp_lt_f32_e64 s[2:3], v7, v14
	ds_bpermute_b32 v9, v11, v5
	v_cndmask_b32_e64 v7, v7, v14, s[2:3]
	ds_bpermute_b32 v12, v11, v7
	v_lshlrev_b32_e32 v13, 2, v4
	s_mov_b32 s4, 0x3fb8aa3b
	s_waitcnt lgkmcnt(1)
	v_cmp_lt_f32_e64 s[2:3], v5, v9
	v_cndmask_b32_e64 v4, v5, v9, s[2:3]
	s_waitcnt lgkmcnt(0)
	v_cmp_lt_f32_e64 s[2:3], v7, v12
	ds_bpermute_b32 v5, v13, v4
	v_cndmask_b32_e64 v7, v7, v12, s[2:3]
	ds_bpermute_b32 v9, v13, v7
	s_mov_b32 s5, 0xc2ce8ed0
	s_mov_b32 s6, 0x42b17218
	s_waitcnt lgkmcnt(1)
	v_cmp_lt_f32_e64 s[2:3], v4, v5
	v_cndmask_b32_e64 v5, v4, v5, s[2:3]
	s_waitcnt lgkmcnt(0)
	v_cmp_lt_f32_e64 s[2:3], v7, v9
	v_cndmask_b32_e64 v4, v7, v9, s[2:3]
	v_pk_add_f32 v[2:3], v[2:3], v[4:5] neg_lo:[0,1] neg_hi:[0,1]
	v_mul_f32_e32 v4, 0x3fb8aa3b, v3
	v_fma_f32 v5, v3, s4, -v4
	v_rndne_f32_e32 v7, v4
	v_fmac_f32_e32 v5, 0x32a5705f, v3
	v_sub_f32_e32 v4, v4, v7
	v_add_f32_e32 v4, v4, v5
	v_exp_f32_e32 v4, v4
	v_cvt_i32_f32_e32 v5, v7
	v_cmp_ngt_f32_e64 s[2:3], s5, v3
	v_ldexp_f32 v4, v4, v5
	v_mul_f32_e32 v5, 0x3fb8aa3b, v2
	v_fma_f32 v7, v2, s4, -v5
	v_rndne_f32_e32 v9, v5
	v_fmac_f32_e32 v7, 0x32a5705f, v2
	v_sub_f32_e32 v5, v5, v9
	v_add_f32_e32 v5, v5, v7
	v_exp_f32_e32 v5, v5
	v_cvt_i32_f32_e32 v7, v9
	v_cndmask_b32_e64 v4, 0, v4, s[2:3]
	v_mov_b32_e32 v9, 0x7f800000
	v_cmp_nlt_f32_e64 s[2:3], s6, v3
	v_cndmask_b32_e64 v3, v9, v4, s[2:3]
	v_ldexp_f32 v4, v5, v7
	v_cmp_ngt_f32_e64 s[2:3], s5, v2
	v_cndmask_b32_e64 v4, 0, v4, s[2:3]
	v_cmp_nlt_f32_e64 s[2:3], s6, v2
	v_cndmask_b32_e64 v2, v9, v4, s[2:3]
	ds_bpermute_b32 v4, v6, v2
	ds_bpermute_b32 v5, v6, v3
	s_waitcnt lgkmcnt(0)
	v_pk_add_f32 v[4:5], v[2:3], v[4:5]
	ds_bpermute_b32 v6, v10, v4
	ds_bpermute_b32 v7, v10, v5
	s_waitcnt lgkmcnt(0)
	v_pk_add_f32 v[4:5], v[4:5], v[6:7]
	;; [unrolled: 4-line block ×3, first 2 shown]
	ds_bpermute_b32 v6, v13, v4
	ds_bpermute_b32 v7, v13, v5
	s_and_saveexec_b64 s[2:3], vcc
	s_cbranch_execz .LBB493_12
; %bb.5:
	v_lshlrev_b64 v[0:1], 2, v[0:1]
	v_mov_b32_e32 v9, s9
	v_add_co_u32_e32 v0, vcc, s8, v0
	v_addc_co_u32_e32 v1, vcc, v9, v1, vcc
	s_waitcnt lgkmcnt(0)
	v_pk_add_f32 v[4:5], v[4:5], v[6:7]
	s_and_saveexec_b64 s[2:3], s[0:1]
	s_cbranch_execz .LBB493_9
; %bb.6:
	v_cmp_neq_f32_e32 vcc, 0, v4
	v_mov_b32_e32 v6, 0x7fc00000
	s_and_saveexec_b64 s[4:5], vcc
; %bb.7:
	v_div_scale_f32 v6, s[6:7], v4, v4, v2
	v_rcp_f32_e32 v7, v6
	v_div_scale_f32 v9, vcc, v2, v4, v2
	v_fma_f32 v10, -v6, v7, 1.0
	v_fmac_f32_e32 v7, v10, v7
	v_mul_f32_e32 v10, v9, v7
	v_fma_f32 v11, -v6, v10, v9
	v_fmac_f32_e32 v10, v11, v7
	v_fma_f32 v6, -v6, v10, v9
	v_div_fmas_f32 v6, v6, v7, v10
	v_div_fixup_f32 v6, v6, v4, v2
; %bb.8:
	s_or_b64 exec, exec, s[4:5]
	global_store_dword v[0:1], v6, off
.LBB493_9:
	s_or_b64 exec, exec, s[2:3]
	v_cmp_ne_u32_e32 vcc, 1, v8
	s_and_b64 exec, exec, vcc
	s_cbranch_execz .LBB493_12
; %bb.10:
	s_and_b64 exec, exec, s[0:1]
	s_cbranch_execz .LBB493_12
; %bb.11:
	v_div_scale_f32 v2, s[0:1], v5, v5, v3
	v_rcp_f32_e32 v4, v2
	v_div_scale_f32 v6, vcc, v3, v5, v3
	s_mov_b32 s15, 0
	v_fma_f32 v7, -v2, v4, 1.0
	v_fmac_f32_e32 v4, v7, v4
	v_mul_f32_e32 v7, v6, v4
	v_fma_f32 v8, -v2, v7, v6
	v_fmac_f32_e32 v7, v8, v4
	v_fma_f32 v2, -v2, v7, v6
	v_div_fmas_f32 v2, v2, v4, v7
	s_lshl_b64 s[0:1], s[14:15], 2
	v_div_fixup_f32 v2, v2, v5, v3
	v_mov_b32_e32 v3, s1
	v_add_co_u32_e32 v0, vcc, s0, v0
	v_addc_co_u32_e32 v1, vcc, v1, v3, vcc
	v_mov_b32_e32 v3, 0x7fc00000
	v_cmp_neq_f32_e32 vcc, 0, v5
	v_cndmask_b32_e32 v2, v3, v2, vcc
	global_store_dword v[0:1], v2, off
.LBB493_12:
	s_endpgm
	.section	.rodata,"a",@progbits
	.p2align	6, 0x0
	.amdhsa_kernel _ZN12_GLOBAL__N_120softmax_warp_forwardIN3c108BFloat16EffLi4ELb0ELb0ELi32EEEvPT0_PKT_iiiPKbib
		.amdhsa_group_segment_fixed_size 0
		.amdhsa_private_segment_fixed_size 0
		.amdhsa_kernarg_size 304
		.amdhsa_user_sgpr_count 6
		.amdhsa_user_sgpr_private_segment_buffer 1
		.amdhsa_user_sgpr_dispatch_ptr 0
		.amdhsa_user_sgpr_queue_ptr 0
		.amdhsa_user_sgpr_kernarg_segment_ptr 1
		.amdhsa_user_sgpr_dispatch_id 0
		.amdhsa_user_sgpr_flat_scratch_init 0
		.amdhsa_user_sgpr_kernarg_preload_length 0
		.amdhsa_user_sgpr_kernarg_preload_offset 0
		.amdhsa_user_sgpr_private_segment_size 0
		.amdhsa_uses_dynamic_stack 0
		.amdhsa_system_sgpr_private_segment_wavefront_offset 0
		.amdhsa_system_sgpr_workgroup_id_x 1
		.amdhsa_system_sgpr_workgroup_id_y 0
		.amdhsa_system_sgpr_workgroup_id_z 0
		.amdhsa_system_sgpr_workgroup_info 0
		.amdhsa_system_vgpr_workitem_id 1
		.amdhsa_next_free_vgpr 15
		.amdhsa_next_free_sgpr 16
		.amdhsa_accum_offset 16
		.amdhsa_reserve_vcc 1
		.amdhsa_reserve_flat_scratch 0
		.amdhsa_float_round_mode_32 0
		.amdhsa_float_round_mode_16_64 0
		.amdhsa_float_denorm_mode_32 3
		.amdhsa_float_denorm_mode_16_64 3
		.amdhsa_dx10_clamp 1
		.amdhsa_ieee_mode 1
		.amdhsa_fp16_overflow 0
		.amdhsa_tg_split 0
		.amdhsa_exception_fp_ieee_invalid_op 0
		.amdhsa_exception_fp_denorm_src 0
		.amdhsa_exception_fp_ieee_div_zero 0
		.amdhsa_exception_fp_ieee_overflow 0
		.amdhsa_exception_fp_ieee_underflow 0
		.amdhsa_exception_fp_ieee_inexact 0
		.amdhsa_exception_int_div_zero 0
	.end_amdhsa_kernel
	.section	.text._ZN12_GLOBAL__N_120softmax_warp_forwardIN3c108BFloat16EffLi4ELb0ELb0ELi32EEEvPT0_PKT_iiiPKbib,"axG",@progbits,_ZN12_GLOBAL__N_120softmax_warp_forwardIN3c108BFloat16EffLi4ELb0ELb0ELi32EEEvPT0_PKT_iiiPKbib,comdat
.Lfunc_end493:
	.size	_ZN12_GLOBAL__N_120softmax_warp_forwardIN3c108BFloat16EffLi4ELb0ELb0ELi32EEEvPT0_PKT_iiiPKbib, .Lfunc_end493-_ZN12_GLOBAL__N_120softmax_warp_forwardIN3c108BFloat16EffLi4ELb0ELb0ELi32EEEvPT0_PKT_iiiPKbib
                                        ; -- End function
	.section	.AMDGPU.csdata,"",@progbits
; Kernel info:
; codeLenInByte = 1164
; NumSgprs: 20
; NumVgprs: 15
; NumAgprs: 0
; TotalNumVgprs: 15
; ScratchSize: 0
; MemoryBound: 0
; FloatMode: 240
; IeeeMode: 1
; LDSByteSize: 0 bytes/workgroup (compile time only)
; SGPRBlocks: 2
; VGPRBlocks: 1
; NumSGPRsForWavesPerEU: 20
; NumVGPRsForWavesPerEU: 15
; AccumOffset: 16
; Occupancy: 8
; WaveLimiterHint : 0
; COMPUTE_PGM_RSRC2:SCRATCH_EN: 0
; COMPUTE_PGM_RSRC2:USER_SGPR: 6
; COMPUTE_PGM_RSRC2:TRAP_HANDLER: 0
; COMPUTE_PGM_RSRC2:TGID_X_EN: 1
; COMPUTE_PGM_RSRC2:TGID_Y_EN: 0
; COMPUTE_PGM_RSRC2:TGID_Z_EN: 0
; COMPUTE_PGM_RSRC2:TIDIG_COMP_CNT: 1
; COMPUTE_PGM_RSRC3_GFX90A:ACCUM_OFFSET: 3
; COMPUTE_PGM_RSRC3_GFX90A:TG_SPLIT: 0
	.section	.text._ZN12_GLOBAL__N_120softmax_warp_forwardIN3c108BFloat16EffLi5ELb0ELb0ELi64EEEvPT0_PKT_iiiPKbib,"axG",@progbits,_ZN12_GLOBAL__N_120softmax_warp_forwardIN3c108BFloat16EffLi5ELb0ELb0ELi64EEEvPT0_PKT_iiiPKbib,comdat
	.globl	_ZN12_GLOBAL__N_120softmax_warp_forwardIN3c108BFloat16EffLi5ELb0ELb0ELi64EEEvPT0_PKT_iiiPKbib ; -- Begin function _ZN12_GLOBAL__N_120softmax_warp_forwardIN3c108BFloat16EffLi5ELb0ELb0ELi64EEEvPT0_PKT_iiiPKbib
	.p2align	8
	.type	_ZN12_GLOBAL__N_120softmax_warp_forwardIN3c108BFloat16EffLi5ELb0ELb0ELi64EEEvPT0_PKT_iiiPKbib,@function
_ZN12_GLOBAL__N_120softmax_warp_forwardIN3c108BFloat16EffLi5ELb0ELb0ELi64EEEvPT0_PKT_iiiPKbib: ; @_ZN12_GLOBAL__N_120softmax_warp_forwardIN3c108BFloat16EffLi5ELb0ELb0ELi64EEEvPT0_PKT_iiiPKbib
; %bb.0:
	s_load_dword s0, s[4:5], 0x3c
	s_load_dwordx8 s[8:15], s[4:5], 0x0
	v_bfe_u32 v1, v0, 10, 10
	v_and_b32_e32 v2, 0x3ff, v0
	s_waitcnt lgkmcnt(0)
	s_lshr_b32 s0, s0, 16
	s_mul_i32 s6, s6, s0
	v_add_lshl_u32 v1, s6, v1, 1
	v_sub_u32_e32 v8, s12, v1
	v_mad_u64_u32 v[0:1], s[0:1], v1, s13, v[2:3]
	v_ashrrev_i32_e32 v1, 31, v0
	v_lshlrev_b64 v[4:5], 1, v[0:1]
	v_mov_b32_e32 v3, s11
	v_add_co_u32_e32 v4, vcc, s10, v4
	v_addc_co_u32_e32 v5, vcc, v3, v5, vcc
	v_cmp_gt_i32_e64 s[0:1], s14, v2
	v_cmp_lt_i32_e32 vcc, 0, v8
	s_and_b64 s[4:5], s[0:1], vcc
	v_mov_b32_e32 v3, 0xff800000
	v_mov_b32_e32 v2, 0xff800000
	s_and_saveexec_b64 s[2:3], s[4:5]
	s_cbranch_execz .LBB494_2
; %bb.1:
	global_load_ushort v2, v[4:5], off
	s_waitcnt vmcnt(0)
	v_lshlrev_b32_e32 v2, 16, v2
.LBB494_2:
	s_or_b64 exec, exec, s[2:3]
	v_cmp_lt_i32_e64 s[2:3], 1, v8
	s_and_b64 s[2:3], s[0:1], s[2:3]
	s_and_saveexec_b64 s[4:5], s[2:3]
	s_cbranch_execz .LBB494_4
; %bb.3:
	s_mov_b32 s15, 0
	s_lshl_b64 s[2:3], s[14:15], 1
	v_mov_b32_e32 v3, s3
	v_add_co_u32_e64 v4, s[2:3], s2, v4
	v_addc_co_u32_e64 v5, s[2:3], v5, v3, s[2:3]
	global_load_ushort v3, v[4:5], off
	s_waitcnt vmcnt(0)
	v_lshlrev_b32_e32 v3, 16, v3
.LBB494_4:
	s_or_b64 exec, exec, s[4:5]
	v_mbcnt_lo_u32_b32 v4, -1, 0
	v_mbcnt_hi_u32_b32 v4, -1, v4
	v_and_b32_e32 v5, 0x60, v4
	v_add_u32_e32 v5, 32, v5
	v_xor_b32_e32 v6, 16, v4
	v_cmp_lt_i32_e64 s[2:3], v6, v5
	v_cndmask_b32_e64 v6, v4, v6, s[2:3]
	v_lshlrev_b32_e32 v6, 2, v6
	ds_bpermute_b32 v9, v6, v3
	ds_bpermute_b32 v7, v6, v2
	v_xor_b32_e32 v10, 8, v4
	v_cmp_lt_i32_e64 s[2:3], v10, v5
	v_xor_b32_e32 v11, 4, v4
	v_cndmask_b32_e64 v10, v4, v10, s[2:3]
	v_cmp_lt_i32_e64 s[2:3], v11, v5
	v_xor_b32_e32 v12, 2, v4
	v_cndmask_b32_e64 v11, v4, v11, s[2:3]
	v_cmp_lt_i32_e64 s[2:3], v12, v5
	v_cndmask_b32_e64 v12, v4, v12, s[2:3]
	s_waitcnt lgkmcnt(1)
	v_cmp_lt_f32_e64 s[2:3], v3, v9
	v_lshlrev_b32_e32 v10, 2, v10
	v_cndmask_b32_e64 v9, v3, v9, s[2:3]
	s_waitcnt lgkmcnt(0)
	v_cmp_lt_f32_e64 s[2:3], v2, v7
	ds_bpermute_b32 v13, v10, v9
	v_cndmask_b32_e64 v7, v2, v7, s[2:3]
	ds_bpermute_b32 v14, v10, v7
	v_lshlrev_b32_e32 v11, 2, v11
	v_xor_b32_e32 v15, 1, v4
	s_waitcnt lgkmcnt(1)
	v_cmp_lt_f32_e64 s[2:3], v9, v13
	v_cndmask_b32_e64 v9, v9, v13, s[2:3]
	s_waitcnt lgkmcnt(0)
	v_cmp_lt_f32_e64 s[2:3], v7, v14
	ds_bpermute_b32 v13, v11, v9
	v_cndmask_b32_e64 v7, v7, v14, s[2:3]
	ds_bpermute_b32 v14, v11, v7
	v_cmp_lt_i32_e64 s[2:3], v15, v5
	v_cndmask_b32_e64 v4, v4, v15, s[2:3]
	s_waitcnt lgkmcnt(1)
	v_cmp_lt_f32_e64 s[2:3], v9, v13
	v_lshlrev_b32_e32 v12, 2, v12
	v_cndmask_b32_e64 v5, v9, v13, s[2:3]
	s_waitcnt lgkmcnt(0)
	v_cmp_lt_f32_e64 s[2:3], v7, v14
	ds_bpermute_b32 v9, v12, v5
	v_cndmask_b32_e64 v7, v7, v14, s[2:3]
	ds_bpermute_b32 v13, v12, v7
	v_lshlrev_b32_e32 v14, 2, v4
	s_mov_b32 s4, 0x3fb8aa3b
	s_waitcnt lgkmcnt(1)
	v_cmp_lt_f32_e64 s[2:3], v5, v9
	v_cndmask_b32_e64 v4, v5, v9, s[2:3]
	s_waitcnt lgkmcnt(0)
	v_cmp_lt_f32_e64 s[2:3], v7, v13
	ds_bpermute_b32 v5, v14, v4
	v_cndmask_b32_e64 v7, v7, v13, s[2:3]
	ds_bpermute_b32 v9, v14, v7
	s_mov_b32 s5, 0xc2ce8ed0
	s_mov_b32 s6, 0x42b17218
	s_waitcnt lgkmcnt(1)
	v_cmp_lt_f32_e64 s[2:3], v4, v5
	v_cndmask_b32_e64 v5, v4, v5, s[2:3]
	s_waitcnt lgkmcnt(0)
	v_cmp_lt_f32_e64 s[2:3], v7, v9
	v_cndmask_b32_e64 v4, v7, v9, s[2:3]
	v_pk_add_f32 v[2:3], v[2:3], v[4:5] neg_lo:[0,1] neg_hi:[0,1]
	v_mul_f32_e32 v4, 0x3fb8aa3b, v3
	v_fma_f32 v5, v3, s4, -v4
	v_rndne_f32_e32 v7, v4
	v_fmac_f32_e32 v5, 0x32a5705f, v3
	v_sub_f32_e32 v4, v4, v7
	v_add_f32_e32 v4, v4, v5
	v_exp_f32_e32 v4, v4
	v_cvt_i32_f32_e32 v5, v7
	v_cmp_ngt_f32_e64 s[2:3], s5, v3
	v_ldexp_f32 v4, v4, v5
	v_mul_f32_e32 v5, 0x3fb8aa3b, v2
	v_fma_f32 v7, v2, s4, -v5
	v_rndne_f32_e32 v9, v5
	v_fmac_f32_e32 v7, 0x32a5705f, v2
	v_sub_f32_e32 v5, v5, v9
	v_add_f32_e32 v5, v5, v7
	v_exp_f32_e32 v5, v5
	v_cvt_i32_f32_e32 v7, v9
	v_cndmask_b32_e64 v4, 0, v4, s[2:3]
	v_mov_b32_e32 v9, 0x7f800000
	v_cmp_nlt_f32_e64 s[2:3], s6, v3
	v_cndmask_b32_e64 v3, v9, v4, s[2:3]
	v_ldexp_f32 v4, v5, v7
	v_cmp_ngt_f32_e64 s[2:3], s5, v2
	v_cndmask_b32_e64 v4, 0, v4, s[2:3]
	v_cmp_nlt_f32_e64 s[2:3], s6, v2
	v_cndmask_b32_e64 v2, v9, v4, s[2:3]
	ds_bpermute_b32 v4, v6, v2
	ds_bpermute_b32 v5, v6, v3
	s_waitcnt lgkmcnt(0)
	v_pk_add_f32 v[4:5], v[2:3], v[4:5]
	ds_bpermute_b32 v6, v10, v4
	ds_bpermute_b32 v7, v10, v5
	s_waitcnt lgkmcnt(0)
	v_pk_add_f32 v[4:5], v[4:5], v[6:7]
	ds_bpermute_b32 v6, v11, v4
	ds_bpermute_b32 v7, v11, v5
	s_waitcnt lgkmcnt(0)
	v_pk_add_f32 v[4:5], v[4:5], v[6:7]
	ds_bpermute_b32 v6, v12, v4
	ds_bpermute_b32 v7, v12, v5
	s_waitcnt lgkmcnt(0)
	v_pk_add_f32 v[4:5], v[4:5], v[6:7]
	ds_bpermute_b32 v6, v14, v4
	ds_bpermute_b32 v7, v14, v5
	s_and_saveexec_b64 s[2:3], vcc
	s_cbranch_execz .LBB494_12
; %bb.5:
	v_lshlrev_b64 v[0:1], 2, v[0:1]
	v_mov_b32_e32 v9, s9
	v_add_co_u32_e32 v0, vcc, s8, v0
	v_addc_co_u32_e32 v1, vcc, v9, v1, vcc
	s_waitcnt lgkmcnt(0)
	v_pk_add_f32 v[4:5], v[4:5], v[6:7]
	s_and_saveexec_b64 s[2:3], s[0:1]
	s_cbranch_execz .LBB494_9
; %bb.6:
	v_cmp_neq_f32_e32 vcc, 0, v4
	v_mov_b32_e32 v6, 0x7fc00000
	s_and_saveexec_b64 s[4:5], vcc
; %bb.7:
	v_div_scale_f32 v6, s[6:7], v4, v4, v2
	v_rcp_f32_e32 v7, v6
	v_div_scale_f32 v9, vcc, v2, v4, v2
	v_fma_f32 v10, -v6, v7, 1.0
	v_fmac_f32_e32 v7, v10, v7
	v_mul_f32_e32 v10, v9, v7
	v_fma_f32 v11, -v6, v10, v9
	v_fmac_f32_e32 v10, v11, v7
	v_fma_f32 v6, -v6, v10, v9
	v_div_fmas_f32 v6, v6, v7, v10
	v_div_fixup_f32 v6, v6, v4, v2
; %bb.8:
	s_or_b64 exec, exec, s[4:5]
	global_store_dword v[0:1], v6, off
.LBB494_9:
	s_or_b64 exec, exec, s[2:3]
	v_cmp_ne_u32_e32 vcc, 1, v8
	s_and_b64 exec, exec, vcc
	s_cbranch_execz .LBB494_12
; %bb.10:
	s_and_b64 exec, exec, s[0:1]
	s_cbranch_execz .LBB494_12
; %bb.11:
	v_div_scale_f32 v2, s[0:1], v5, v5, v3
	v_rcp_f32_e32 v4, v2
	v_div_scale_f32 v6, vcc, v3, v5, v3
	s_mov_b32 s15, 0
	v_fma_f32 v7, -v2, v4, 1.0
	v_fmac_f32_e32 v4, v7, v4
	v_mul_f32_e32 v7, v6, v4
	v_fma_f32 v8, -v2, v7, v6
	v_fmac_f32_e32 v7, v8, v4
	v_fma_f32 v2, -v2, v7, v6
	v_div_fmas_f32 v2, v2, v4, v7
	s_lshl_b64 s[0:1], s[14:15], 2
	v_div_fixup_f32 v2, v2, v5, v3
	v_mov_b32_e32 v3, s1
	v_add_co_u32_e32 v0, vcc, s0, v0
	v_addc_co_u32_e32 v1, vcc, v1, v3, vcc
	v_mov_b32_e32 v3, 0x7fc00000
	v_cmp_neq_f32_e32 vcc, 0, v5
	v_cndmask_b32_e32 v2, v3, v2, vcc
	global_store_dword v[0:1], v2, off
.LBB494_12:
	s_endpgm
	.section	.rodata,"a",@progbits
	.p2align	6, 0x0
	.amdhsa_kernel _ZN12_GLOBAL__N_120softmax_warp_forwardIN3c108BFloat16EffLi5ELb0ELb0ELi64EEEvPT0_PKT_iiiPKbib
		.amdhsa_group_segment_fixed_size 0
		.amdhsa_private_segment_fixed_size 0
		.amdhsa_kernarg_size 304
		.amdhsa_user_sgpr_count 6
		.amdhsa_user_sgpr_private_segment_buffer 1
		.amdhsa_user_sgpr_dispatch_ptr 0
		.amdhsa_user_sgpr_queue_ptr 0
		.amdhsa_user_sgpr_kernarg_segment_ptr 1
		.amdhsa_user_sgpr_dispatch_id 0
		.amdhsa_user_sgpr_flat_scratch_init 0
		.amdhsa_user_sgpr_kernarg_preload_length 0
		.amdhsa_user_sgpr_kernarg_preload_offset 0
		.amdhsa_user_sgpr_private_segment_size 0
		.amdhsa_uses_dynamic_stack 0
		.amdhsa_system_sgpr_private_segment_wavefront_offset 0
		.amdhsa_system_sgpr_workgroup_id_x 1
		.amdhsa_system_sgpr_workgroup_id_y 0
		.amdhsa_system_sgpr_workgroup_id_z 0
		.amdhsa_system_sgpr_workgroup_info 0
		.amdhsa_system_vgpr_workitem_id 1
		.amdhsa_next_free_vgpr 16
		.amdhsa_next_free_sgpr 16
		.amdhsa_accum_offset 16
		.amdhsa_reserve_vcc 1
		.amdhsa_reserve_flat_scratch 0
		.amdhsa_float_round_mode_32 0
		.amdhsa_float_round_mode_16_64 0
		.amdhsa_float_denorm_mode_32 3
		.amdhsa_float_denorm_mode_16_64 3
		.amdhsa_dx10_clamp 1
		.amdhsa_ieee_mode 1
		.amdhsa_fp16_overflow 0
		.amdhsa_tg_split 0
		.amdhsa_exception_fp_ieee_invalid_op 0
		.amdhsa_exception_fp_denorm_src 0
		.amdhsa_exception_fp_ieee_div_zero 0
		.amdhsa_exception_fp_ieee_overflow 0
		.amdhsa_exception_fp_ieee_underflow 0
		.amdhsa_exception_fp_ieee_inexact 0
		.amdhsa_exception_int_div_zero 0
	.end_amdhsa_kernel
	.section	.text._ZN12_GLOBAL__N_120softmax_warp_forwardIN3c108BFloat16EffLi5ELb0ELb0ELi64EEEvPT0_PKT_iiiPKbib,"axG",@progbits,_ZN12_GLOBAL__N_120softmax_warp_forwardIN3c108BFloat16EffLi5ELb0ELb0ELi64EEEvPT0_PKT_iiiPKbib,comdat
.Lfunc_end494:
	.size	_ZN12_GLOBAL__N_120softmax_warp_forwardIN3c108BFloat16EffLi5ELb0ELb0ELi64EEEvPT0_PKT_iiiPKbib, .Lfunc_end494-_ZN12_GLOBAL__N_120softmax_warp_forwardIN3c108BFloat16EffLi5ELb0ELb0ELi64EEEvPT0_PKT_iiiPKbib
                                        ; -- End function
	.section	.AMDGPU.csdata,"",@progbits
; Kernel info:
; codeLenInByte = 1272
; NumSgprs: 20
; NumVgprs: 16
; NumAgprs: 0
; TotalNumVgprs: 16
; ScratchSize: 0
; MemoryBound: 0
; FloatMode: 240
; IeeeMode: 1
; LDSByteSize: 0 bytes/workgroup (compile time only)
; SGPRBlocks: 2
; VGPRBlocks: 1
; NumSGPRsForWavesPerEU: 20
; NumVGPRsForWavesPerEU: 16
; AccumOffset: 16
; Occupancy: 8
; WaveLimiterHint : 0
; COMPUTE_PGM_RSRC2:SCRATCH_EN: 0
; COMPUTE_PGM_RSRC2:USER_SGPR: 6
; COMPUTE_PGM_RSRC2:TRAP_HANDLER: 0
; COMPUTE_PGM_RSRC2:TGID_X_EN: 1
; COMPUTE_PGM_RSRC2:TGID_Y_EN: 0
; COMPUTE_PGM_RSRC2:TGID_Z_EN: 0
; COMPUTE_PGM_RSRC2:TIDIG_COMP_CNT: 1
; COMPUTE_PGM_RSRC3_GFX90A:ACCUM_OFFSET: 3
; COMPUTE_PGM_RSRC3_GFX90A:TG_SPLIT: 0
	.section	.text._ZN12_GLOBAL__N_120softmax_warp_forwardIN3c108BFloat16EffLi5ELb0ELb0ELi32EEEvPT0_PKT_iiiPKbib,"axG",@progbits,_ZN12_GLOBAL__N_120softmax_warp_forwardIN3c108BFloat16EffLi5ELb0ELb0ELi32EEEvPT0_PKT_iiiPKbib,comdat
	.globl	_ZN12_GLOBAL__N_120softmax_warp_forwardIN3c108BFloat16EffLi5ELb0ELb0ELi32EEEvPT0_PKT_iiiPKbib ; -- Begin function _ZN12_GLOBAL__N_120softmax_warp_forwardIN3c108BFloat16EffLi5ELb0ELb0ELi32EEEvPT0_PKT_iiiPKbib
	.p2align	8
	.type	_ZN12_GLOBAL__N_120softmax_warp_forwardIN3c108BFloat16EffLi5ELb0ELb0ELi32EEEvPT0_PKT_iiiPKbib,@function
_ZN12_GLOBAL__N_120softmax_warp_forwardIN3c108BFloat16EffLi5ELb0ELb0ELi32EEEvPT0_PKT_iiiPKbib: ; @_ZN12_GLOBAL__N_120softmax_warp_forwardIN3c108BFloat16EffLi5ELb0ELb0ELi32EEEvPT0_PKT_iiiPKbib
; %bb.0:
	s_load_dword s0, s[4:5], 0x3c
	s_load_dwordx8 s[8:15], s[4:5], 0x0
	v_bfe_u32 v1, v0, 10, 10
	v_and_b32_e32 v2, 0x3ff, v0
	s_waitcnt lgkmcnt(0)
	s_lshr_b32 s0, s0, 16
	s_mul_i32 s6, s6, s0
	v_add_lshl_u32 v1, s6, v1, 1
	v_sub_u32_e32 v8, s12, v1
	v_mad_u64_u32 v[0:1], s[0:1], v1, s13, v[2:3]
	v_ashrrev_i32_e32 v1, 31, v0
	v_lshlrev_b64 v[4:5], 1, v[0:1]
	v_mov_b32_e32 v3, s11
	v_add_co_u32_e32 v4, vcc, s10, v4
	v_addc_co_u32_e32 v5, vcc, v3, v5, vcc
	v_cmp_gt_i32_e64 s[0:1], s14, v2
	v_cmp_lt_i32_e32 vcc, 0, v8
	s_and_b64 s[4:5], s[0:1], vcc
	v_mov_b32_e32 v3, 0xff800000
	v_mov_b32_e32 v2, 0xff800000
	s_and_saveexec_b64 s[2:3], s[4:5]
	s_cbranch_execz .LBB495_2
; %bb.1:
	global_load_ushort v2, v[4:5], off
	s_waitcnt vmcnt(0)
	v_lshlrev_b32_e32 v2, 16, v2
.LBB495_2:
	s_or_b64 exec, exec, s[2:3]
	v_cmp_lt_i32_e64 s[2:3], 1, v8
	s_and_b64 s[2:3], s[0:1], s[2:3]
	s_and_saveexec_b64 s[4:5], s[2:3]
	s_cbranch_execz .LBB495_4
; %bb.3:
	s_mov_b32 s15, 0
	s_lshl_b64 s[2:3], s[14:15], 1
	v_mov_b32_e32 v3, s3
	v_add_co_u32_e64 v4, s[2:3], s2, v4
	v_addc_co_u32_e64 v5, s[2:3], v5, v3, s[2:3]
	global_load_ushort v3, v[4:5], off
	s_waitcnt vmcnt(0)
	v_lshlrev_b32_e32 v3, 16, v3
.LBB495_4:
	s_or_b64 exec, exec, s[4:5]
	v_mbcnt_lo_u32_b32 v4, -1, 0
	v_mbcnt_hi_u32_b32 v4, -1, v4
	v_and_b32_e32 v5, 0x60, v4
	v_add_u32_e32 v5, 32, v5
	v_xor_b32_e32 v6, 16, v4
	v_cmp_lt_i32_e64 s[2:3], v6, v5
	v_cndmask_b32_e64 v6, v4, v6, s[2:3]
	v_lshlrev_b32_e32 v6, 2, v6
	ds_bpermute_b32 v9, v6, v3
	ds_bpermute_b32 v7, v6, v2
	v_xor_b32_e32 v10, 8, v4
	v_cmp_lt_i32_e64 s[2:3], v10, v5
	v_xor_b32_e32 v11, 4, v4
	v_cndmask_b32_e64 v10, v4, v10, s[2:3]
	v_cmp_lt_i32_e64 s[2:3], v11, v5
	v_xor_b32_e32 v12, 2, v4
	v_cndmask_b32_e64 v11, v4, v11, s[2:3]
	v_cmp_lt_i32_e64 s[2:3], v12, v5
	v_cndmask_b32_e64 v12, v4, v12, s[2:3]
	s_waitcnt lgkmcnt(1)
	v_cmp_lt_f32_e64 s[2:3], v3, v9
	v_lshlrev_b32_e32 v10, 2, v10
	v_cndmask_b32_e64 v9, v3, v9, s[2:3]
	s_waitcnt lgkmcnt(0)
	v_cmp_lt_f32_e64 s[2:3], v2, v7
	ds_bpermute_b32 v13, v10, v9
	v_cndmask_b32_e64 v7, v2, v7, s[2:3]
	ds_bpermute_b32 v14, v10, v7
	v_lshlrev_b32_e32 v11, 2, v11
	v_xor_b32_e32 v15, 1, v4
	s_waitcnt lgkmcnt(1)
	v_cmp_lt_f32_e64 s[2:3], v9, v13
	v_cndmask_b32_e64 v9, v9, v13, s[2:3]
	s_waitcnt lgkmcnt(0)
	v_cmp_lt_f32_e64 s[2:3], v7, v14
	ds_bpermute_b32 v13, v11, v9
	v_cndmask_b32_e64 v7, v7, v14, s[2:3]
	ds_bpermute_b32 v14, v11, v7
	v_cmp_lt_i32_e64 s[2:3], v15, v5
	v_cndmask_b32_e64 v4, v4, v15, s[2:3]
	s_waitcnt lgkmcnt(1)
	v_cmp_lt_f32_e64 s[2:3], v9, v13
	v_lshlrev_b32_e32 v12, 2, v12
	v_cndmask_b32_e64 v5, v9, v13, s[2:3]
	s_waitcnt lgkmcnt(0)
	v_cmp_lt_f32_e64 s[2:3], v7, v14
	ds_bpermute_b32 v9, v12, v5
	v_cndmask_b32_e64 v7, v7, v14, s[2:3]
	ds_bpermute_b32 v13, v12, v7
	v_lshlrev_b32_e32 v14, 2, v4
	s_mov_b32 s4, 0x3fb8aa3b
	s_waitcnt lgkmcnt(1)
	v_cmp_lt_f32_e64 s[2:3], v5, v9
	v_cndmask_b32_e64 v4, v5, v9, s[2:3]
	s_waitcnt lgkmcnt(0)
	v_cmp_lt_f32_e64 s[2:3], v7, v13
	ds_bpermute_b32 v5, v14, v4
	v_cndmask_b32_e64 v7, v7, v13, s[2:3]
	ds_bpermute_b32 v9, v14, v7
	s_mov_b32 s5, 0xc2ce8ed0
	s_mov_b32 s6, 0x42b17218
	s_waitcnt lgkmcnt(1)
	v_cmp_lt_f32_e64 s[2:3], v4, v5
	v_cndmask_b32_e64 v5, v4, v5, s[2:3]
	s_waitcnt lgkmcnt(0)
	v_cmp_lt_f32_e64 s[2:3], v7, v9
	v_cndmask_b32_e64 v4, v7, v9, s[2:3]
	v_pk_add_f32 v[2:3], v[2:3], v[4:5] neg_lo:[0,1] neg_hi:[0,1]
	v_mul_f32_e32 v4, 0x3fb8aa3b, v3
	v_fma_f32 v5, v3, s4, -v4
	v_rndne_f32_e32 v7, v4
	v_fmac_f32_e32 v5, 0x32a5705f, v3
	v_sub_f32_e32 v4, v4, v7
	v_add_f32_e32 v4, v4, v5
	v_exp_f32_e32 v4, v4
	v_cvt_i32_f32_e32 v5, v7
	v_cmp_ngt_f32_e64 s[2:3], s5, v3
	v_ldexp_f32 v4, v4, v5
	v_mul_f32_e32 v5, 0x3fb8aa3b, v2
	v_fma_f32 v7, v2, s4, -v5
	v_rndne_f32_e32 v9, v5
	v_fmac_f32_e32 v7, 0x32a5705f, v2
	v_sub_f32_e32 v5, v5, v9
	v_add_f32_e32 v5, v5, v7
	v_exp_f32_e32 v5, v5
	v_cvt_i32_f32_e32 v7, v9
	v_cndmask_b32_e64 v4, 0, v4, s[2:3]
	v_mov_b32_e32 v9, 0x7f800000
	v_cmp_nlt_f32_e64 s[2:3], s6, v3
	v_cndmask_b32_e64 v3, v9, v4, s[2:3]
	v_ldexp_f32 v4, v5, v7
	v_cmp_ngt_f32_e64 s[2:3], s5, v2
	v_cndmask_b32_e64 v4, 0, v4, s[2:3]
	v_cmp_nlt_f32_e64 s[2:3], s6, v2
	v_cndmask_b32_e64 v2, v9, v4, s[2:3]
	ds_bpermute_b32 v4, v6, v2
	ds_bpermute_b32 v5, v6, v3
	s_waitcnt lgkmcnt(0)
	v_pk_add_f32 v[4:5], v[2:3], v[4:5]
	ds_bpermute_b32 v6, v10, v4
	ds_bpermute_b32 v7, v10, v5
	s_waitcnt lgkmcnt(0)
	v_pk_add_f32 v[4:5], v[4:5], v[6:7]
	;; [unrolled: 4-line block ×4, first 2 shown]
	ds_bpermute_b32 v6, v14, v4
	ds_bpermute_b32 v7, v14, v5
	s_and_saveexec_b64 s[2:3], vcc
	s_cbranch_execz .LBB495_12
; %bb.5:
	v_lshlrev_b64 v[0:1], 2, v[0:1]
	v_mov_b32_e32 v9, s9
	v_add_co_u32_e32 v0, vcc, s8, v0
	v_addc_co_u32_e32 v1, vcc, v9, v1, vcc
	s_waitcnt lgkmcnt(0)
	v_pk_add_f32 v[4:5], v[4:5], v[6:7]
	s_and_saveexec_b64 s[2:3], s[0:1]
	s_cbranch_execz .LBB495_9
; %bb.6:
	v_cmp_neq_f32_e32 vcc, 0, v4
	v_mov_b32_e32 v6, 0x7fc00000
	s_and_saveexec_b64 s[4:5], vcc
; %bb.7:
	v_div_scale_f32 v6, s[6:7], v4, v4, v2
	v_rcp_f32_e32 v7, v6
	v_div_scale_f32 v9, vcc, v2, v4, v2
	v_fma_f32 v10, -v6, v7, 1.0
	v_fmac_f32_e32 v7, v10, v7
	v_mul_f32_e32 v10, v9, v7
	v_fma_f32 v11, -v6, v10, v9
	v_fmac_f32_e32 v10, v11, v7
	v_fma_f32 v6, -v6, v10, v9
	v_div_fmas_f32 v6, v6, v7, v10
	v_div_fixup_f32 v6, v6, v4, v2
; %bb.8:
	s_or_b64 exec, exec, s[4:5]
	global_store_dword v[0:1], v6, off
.LBB495_9:
	s_or_b64 exec, exec, s[2:3]
	v_cmp_ne_u32_e32 vcc, 1, v8
	s_and_b64 exec, exec, vcc
	s_cbranch_execz .LBB495_12
; %bb.10:
	s_and_b64 exec, exec, s[0:1]
	s_cbranch_execz .LBB495_12
; %bb.11:
	v_div_scale_f32 v2, s[0:1], v5, v5, v3
	v_rcp_f32_e32 v4, v2
	v_div_scale_f32 v6, vcc, v3, v5, v3
	s_mov_b32 s15, 0
	v_fma_f32 v7, -v2, v4, 1.0
	v_fmac_f32_e32 v4, v7, v4
	v_mul_f32_e32 v7, v6, v4
	v_fma_f32 v8, -v2, v7, v6
	v_fmac_f32_e32 v7, v8, v4
	v_fma_f32 v2, -v2, v7, v6
	v_div_fmas_f32 v2, v2, v4, v7
	s_lshl_b64 s[0:1], s[14:15], 2
	v_div_fixup_f32 v2, v2, v5, v3
	v_mov_b32_e32 v3, s1
	v_add_co_u32_e32 v0, vcc, s0, v0
	v_addc_co_u32_e32 v1, vcc, v1, v3, vcc
	v_mov_b32_e32 v3, 0x7fc00000
	v_cmp_neq_f32_e32 vcc, 0, v5
	v_cndmask_b32_e32 v2, v3, v2, vcc
	global_store_dword v[0:1], v2, off
.LBB495_12:
	s_endpgm
	.section	.rodata,"a",@progbits
	.p2align	6, 0x0
	.amdhsa_kernel _ZN12_GLOBAL__N_120softmax_warp_forwardIN3c108BFloat16EffLi5ELb0ELb0ELi32EEEvPT0_PKT_iiiPKbib
		.amdhsa_group_segment_fixed_size 0
		.amdhsa_private_segment_fixed_size 0
		.amdhsa_kernarg_size 304
		.amdhsa_user_sgpr_count 6
		.amdhsa_user_sgpr_private_segment_buffer 1
		.amdhsa_user_sgpr_dispatch_ptr 0
		.amdhsa_user_sgpr_queue_ptr 0
		.amdhsa_user_sgpr_kernarg_segment_ptr 1
		.amdhsa_user_sgpr_dispatch_id 0
		.amdhsa_user_sgpr_flat_scratch_init 0
		.amdhsa_user_sgpr_kernarg_preload_length 0
		.amdhsa_user_sgpr_kernarg_preload_offset 0
		.amdhsa_user_sgpr_private_segment_size 0
		.amdhsa_uses_dynamic_stack 0
		.amdhsa_system_sgpr_private_segment_wavefront_offset 0
		.amdhsa_system_sgpr_workgroup_id_x 1
		.amdhsa_system_sgpr_workgroup_id_y 0
		.amdhsa_system_sgpr_workgroup_id_z 0
		.amdhsa_system_sgpr_workgroup_info 0
		.amdhsa_system_vgpr_workitem_id 1
		.amdhsa_next_free_vgpr 16
		.amdhsa_next_free_sgpr 16
		.amdhsa_accum_offset 16
		.amdhsa_reserve_vcc 1
		.amdhsa_reserve_flat_scratch 0
		.amdhsa_float_round_mode_32 0
		.amdhsa_float_round_mode_16_64 0
		.amdhsa_float_denorm_mode_32 3
		.amdhsa_float_denorm_mode_16_64 3
		.amdhsa_dx10_clamp 1
		.amdhsa_ieee_mode 1
		.amdhsa_fp16_overflow 0
		.amdhsa_tg_split 0
		.amdhsa_exception_fp_ieee_invalid_op 0
		.amdhsa_exception_fp_denorm_src 0
		.amdhsa_exception_fp_ieee_div_zero 0
		.amdhsa_exception_fp_ieee_overflow 0
		.amdhsa_exception_fp_ieee_underflow 0
		.amdhsa_exception_fp_ieee_inexact 0
		.amdhsa_exception_int_div_zero 0
	.end_amdhsa_kernel
	.section	.text._ZN12_GLOBAL__N_120softmax_warp_forwardIN3c108BFloat16EffLi5ELb0ELb0ELi32EEEvPT0_PKT_iiiPKbib,"axG",@progbits,_ZN12_GLOBAL__N_120softmax_warp_forwardIN3c108BFloat16EffLi5ELb0ELb0ELi32EEEvPT0_PKT_iiiPKbib,comdat
.Lfunc_end495:
	.size	_ZN12_GLOBAL__N_120softmax_warp_forwardIN3c108BFloat16EffLi5ELb0ELb0ELi32EEEvPT0_PKT_iiiPKbib, .Lfunc_end495-_ZN12_GLOBAL__N_120softmax_warp_forwardIN3c108BFloat16EffLi5ELb0ELb0ELi32EEEvPT0_PKT_iiiPKbib
                                        ; -- End function
	.section	.AMDGPU.csdata,"",@progbits
; Kernel info:
; codeLenInByte = 1272
; NumSgprs: 20
; NumVgprs: 16
; NumAgprs: 0
; TotalNumVgprs: 16
; ScratchSize: 0
; MemoryBound: 0
; FloatMode: 240
; IeeeMode: 1
; LDSByteSize: 0 bytes/workgroup (compile time only)
; SGPRBlocks: 2
; VGPRBlocks: 1
; NumSGPRsForWavesPerEU: 20
; NumVGPRsForWavesPerEU: 16
; AccumOffset: 16
; Occupancy: 8
; WaveLimiterHint : 0
; COMPUTE_PGM_RSRC2:SCRATCH_EN: 0
; COMPUTE_PGM_RSRC2:USER_SGPR: 6
; COMPUTE_PGM_RSRC2:TRAP_HANDLER: 0
; COMPUTE_PGM_RSRC2:TGID_X_EN: 1
; COMPUTE_PGM_RSRC2:TGID_Y_EN: 0
; COMPUTE_PGM_RSRC2:TGID_Z_EN: 0
; COMPUTE_PGM_RSRC2:TIDIG_COMP_CNT: 1
; COMPUTE_PGM_RSRC3_GFX90A:ACCUM_OFFSET: 3
; COMPUTE_PGM_RSRC3_GFX90A:TG_SPLIT: 0
	.section	.text._ZN12_GLOBAL__N_120softmax_warp_forwardIN3c108BFloat16EffLi6ELb0ELb0ELi64EEEvPT0_PKT_iiiPKbib,"axG",@progbits,_ZN12_GLOBAL__N_120softmax_warp_forwardIN3c108BFloat16EffLi6ELb0ELb0ELi64EEEvPT0_PKT_iiiPKbib,comdat
	.globl	_ZN12_GLOBAL__N_120softmax_warp_forwardIN3c108BFloat16EffLi6ELb0ELb0ELi64EEEvPT0_PKT_iiiPKbib ; -- Begin function _ZN12_GLOBAL__N_120softmax_warp_forwardIN3c108BFloat16EffLi6ELb0ELb0ELi64EEEvPT0_PKT_iiiPKbib
	.p2align	8
	.type	_ZN12_GLOBAL__N_120softmax_warp_forwardIN3c108BFloat16EffLi6ELb0ELb0ELi64EEEvPT0_PKT_iiiPKbib,@function
_ZN12_GLOBAL__N_120softmax_warp_forwardIN3c108BFloat16EffLi6ELb0ELb0ELi64EEEvPT0_PKT_iiiPKbib: ; @_ZN12_GLOBAL__N_120softmax_warp_forwardIN3c108BFloat16EffLi6ELb0ELb0ELi64EEEvPT0_PKT_iiiPKbib
; %bb.0:
	s_load_dword s0, s[4:5], 0x3c
	s_load_dwordx8 s[8:15], s[4:5], 0x0
	v_bfe_u32 v1, v0, 10, 10
	v_and_b32_e32 v2, 0x3ff, v0
	s_waitcnt lgkmcnt(0)
	s_lshr_b32 s0, s0, 16
	s_mul_i32 s6, s6, s0
	v_add_lshl_u32 v1, s6, v1, 1
	v_sub_u32_e32 v8, s12, v1
	v_mad_u64_u32 v[0:1], s[0:1], v1, s13, v[2:3]
	v_ashrrev_i32_e32 v1, 31, v0
	v_lshlrev_b64 v[4:5], 1, v[0:1]
	v_mov_b32_e32 v3, s11
	v_add_co_u32_e32 v4, vcc, s10, v4
	v_addc_co_u32_e32 v5, vcc, v3, v5, vcc
	v_cmp_gt_i32_e64 s[0:1], s14, v2
	v_cmp_lt_i32_e32 vcc, 0, v8
	s_and_b64 s[4:5], s[0:1], vcc
	v_mov_b32_e32 v3, 0xff800000
	v_mov_b32_e32 v2, 0xff800000
	s_and_saveexec_b64 s[2:3], s[4:5]
	s_cbranch_execz .LBB496_2
; %bb.1:
	global_load_ushort v2, v[4:5], off
	s_waitcnt vmcnt(0)
	v_lshlrev_b32_e32 v2, 16, v2
.LBB496_2:
	s_or_b64 exec, exec, s[2:3]
	v_cmp_lt_i32_e64 s[2:3], 1, v8
	s_and_b64 s[2:3], s[0:1], s[2:3]
	s_and_saveexec_b64 s[4:5], s[2:3]
	s_cbranch_execz .LBB496_4
; %bb.3:
	s_mov_b32 s15, 0
	s_lshl_b64 s[2:3], s[14:15], 1
	v_mov_b32_e32 v3, s3
	v_add_co_u32_e64 v4, s[2:3], s2, v4
	v_addc_co_u32_e64 v5, s[2:3], v5, v3, s[2:3]
	global_load_ushort v3, v[4:5], off
	s_waitcnt vmcnt(0)
	v_lshlrev_b32_e32 v3, 16, v3
.LBB496_4:
	s_or_b64 exec, exec, s[4:5]
	v_mbcnt_lo_u32_b32 v4, -1, 0
	v_mbcnt_hi_u32_b32 v4, -1, v4
	v_and_b32_e32 v5, 64, v4
	v_add_u32_e32 v5, 64, v5
	v_xor_b32_e32 v6, 32, v4
	v_cmp_lt_i32_e64 s[2:3], v6, v5
	v_cndmask_b32_e64 v6, v4, v6, s[2:3]
	v_lshlrev_b32_e32 v6, 2, v6
	ds_bpermute_b32 v7, v6, v3
	ds_bpermute_b32 v9, v6, v2
	v_xor_b32_e32 v10, 16, v4
	v_xor_b32_e32 v13, 8, v4
	;; [unrolled: 1-line block ×3, first 2 shown]
	s_waitcnt lgkmcnt(1)
	v_cmp_lt_f32_e64 s[2:3], v3, v7
	v_cndmask_b32_e64 v7, v3, v7, s[2:3]
	s_waitcnt lgkmcnt(0)
	v_cmp_lt_f32_e64 s[2:3], v2, v9
	v_cndmask_b32_e64 v9, v2, v9, s[2:3]
	v_cmp_lt_i32_e64 s[2:3], v10, v5
	v_cndmask_b32_e64 v10, v4, v10, s[2:3]
	v_lshlrev_b32_e32 v10, 2, v10
	ds_bpermute_b32 v12, v10, v7
	ds_bpermute_b32 v11, v10, v9
	v_cmp_lt_i32_e64 s[2:3], v13, v5
	v_cndmask_b32_e64 v13, v4, v13, s[2:3]
	v_cmp_lt_i32_e64 s[2:3], v14, v5
	v_xor_b32_e32 v15, 2, v4
	v_cndmask_b32_e64 v14, v4, v14, s[2:3]
	v_cmp_lt_i32_e64 s[2:3], v15, v5
	v_cndmask_b32_e64 v15, v4, v15, s[2:3]
	s_waitcnt lgkmcnt(1)
	v_cmp_lt_f32_e64 s[2:3], v7, v12
	v_lshlrev_b32_e32 v13, 2, v13
	v_cndmask_b32_e64 v7, v7, v12, s[2:3]
	s_waitcnt lgkmcnt(0)
	v_cmp_lt_f32_e64 s[2:3], v9, v11
	ds_bpermute_b32 v12, v13, v7
	v_cndmask_b32_e64 v9, v9, v11, s[2:3]
	ds_bpermute_b32 v11, v13, v9
	v_lshlrev_b32_e32 v14, 2, v14
	v_xor_b32_e32 v16, 1, v4
	s_waitcnt lgkmcnt(1)
	v_cmp_lt_f32_e64 s[2:3], v7, v12
	v_cndmask_b32_e64 v7, v7, v12, s[2:3]
	s_waitcnt lgkmcnt(0)
	v_cmp_lt_f32_e64 s[2:3], v9, v11
	ds_bpermute_b32 v12, v14, v7
	v_cndmask_b32_e64 v9, v9, v11, s[2:3]
	ds_bpermute_b32 v11, v14, v9
	v_cmp_lt_i32_e64 s[2:3], v16, v5
	v_cndmask_b32_e64 v4, v4, v16, s[2:3]
	s_waitcnt lgkmcnt(1)
	v_cmp_lt_f32_e64 s[2:3], v7, v12
	v_lshlrev_b32_e32 v15, 2, v15
	v_cndmask_b32_e64 v5, v7, v12, s[2:3]
	s_waitcnt lgkmcnt(0)
	v_cmp_lt_f32_e64 s[2:3], v9, v11
	ds_bpermute_b32 v7, v15, v5
	v_cndmask_b32_e64 v9, v9, v11, s[2:3]
	ds_bpermute_b32 v11, v15, v9
	v_lshlrev_b32_e32 v12, 2, v4
	s_mov_b32 s4, 0x3fb8aa3b
	s_waitcnt lgkmcnt(1)
	v_cmp_lt_f32_e64 s[2:3], v5, v7
	v_cndmask_b32_e64 v4, v5, v7, s[2:3]
	s_waitcnt lgkmcnt(0)
	v_cmp_lt_f32_e64 s[2:3], v9, v11
	ds_bpermute_b32 v5, v12, v4
	v_cndmask_b32_e64 v7, v9, v11, s[2:3]
	ds_bpermute_b32 v9, v12, v7
	s_mov_b32 s5, 0xc2ce8ed0
	s_mov_b32 s6, 0x42b17218
	s_waitcnt lgkmcnt(1)
	v_cmp_lt_f32_e64 s[2:3], v4, v5
	v_cndmask_b32_e64 v5, v4, v5, s[2:3]
	s_waitcnt lgkmcnt(0)
	v_cmp_lt_f32_e64 s[2:3], v7, v9
	v_cndmask_b32_e64 v4, v7, v9, s[2:3]
	v_pk_add_f32 v[2:3], v[2:3], v[4:5] neg_lo:[0,1] neg_hi:[0,1]
	v_mul_f32_e32 v4, 0x3fb8aa3b, v3
	v_fma_f32 v5, v3, s4, -v4
	v_rndne_f32_e32 v7, v4
	v_fmac_f32_e32 v5, 0x32a5705f, v3
	v_sub_f32_e32 v4, v4, v7
	v_add_f32_e32 v4, v4, v5
	v_exp_f32_e32 v4, v4
	v_cvt_i32_f32_e32 v5, v7
	v_cmp_ngt_f32_e64 s[2:3], s5, v3
	v_ldexp_f32 v4, v4, v5
	v_mul_f32_e32 v5, 0x3fb8aa3b, v2
	v_fma_f32 v7, v2, s4, -v5
	v_rndne_f32_e32 v9, v5
	v_fmac_f32_e32 v7, 0x32a5705f, v2
	v_sub_f32_e32 v5, v5, v9
	v_add_f32_e32 v5, v5, v7
	v_exp_f32_e32 v5, v5
	v_cvt_i32_f32_e32 v7, v9
	v_cndmask_b32_e64 v4, 0, v4, s[2:3]
	v_mov_b32_e32 v9, 0x7f800000
	v_cmp_nlt_f32_e64 s[2:3], s6, v3
	v_cndmask_b32_e64 v3, v9, v4, s[2:3]
	v_ldexp_f32 v4, v5, v7
	v_cmp_ngt_f32_e64 s[2:3], s5, v2
	v_cndmask_b32_e64 v4, 0, v4, s[2:3]
	v_cmp_nlt_f32_e64 s[2:3], s6, v2
	v_cndmask_b32_e64 v2, v9, v4, s[2:3]
	ds_bpermute_b32 v4, v6, v2
	ds_bpermute_b32 v5, v6, v3
	s_waitcnt lgkmcnt(0)
	v_pk_add_f32 v[4:5], v[2:3], v[4:5]
	ds_bpermute_b32 v6, v10, v4
	ds_bpermute_b32 v7, v10, v5
	s_waitcnt lgkmcnt(0)
	v_pk_add_f32 v[4:5], v[4:5], v[6:7]
	;; [unrolled: 4-line block ×5, first 2 shown]
	ds_bpermute_b32 v6, v12, v4
	ds_bpermute_b32 v7, v12, v5
	s_and_saveexec_b64 s[2:3], vcc
	s_cbranch_execz .LBB496_12
; %bb.5:
	v_lshlrev_b64 v[0:1], 2, v[0:1]
	v_mov_b32_e32 v9, s9
	v_add_co_u32_e32 v0, vcc, s8, v0
	v_addc_co_u32_e32 v1, vcc, v9, v1, vcc
	s_waitcnt lgkmcnt(0)
	v_pk_add_f32 v[4:5], v[4:5], v[6:7]
	s_and_saveexec_b64 s[2:3], s[0:1]
	s_cbranch_execz .LBB496_9
; %bb.6:
	v_cmp_neq_f32_e32 vcc, 0, v4
	v_mov_b32_e32 v6, 0x7fc00000
	s_and_saveexec_b64 s[4:5], vcc
; %bb.7:
	v_div_scale_f32 v6, s[6:7], v4, v4, v2
	v_rcp_f32_e32 v7, v6
	v_div_scale_f32 v9, vcc, v2, v4, v2
	v_fma_f32 v10, -v6, v7, 1.0
	v_fmac_f32_e32 v7, v10, v7
	v_mul_f32_e32 v10, v9, v7
	v_fma_f32 v11, -v6, v10, v9
	v_fmac_f32_e32 v10, v11, v7
	v_fma_f32 v6, -v6, v10, v9
	v_div_fmas_f32 v6, v6, v7, v10
	v_div_fixup_f32 v6, v6, v4, v2
; %bb.8:
	s_or_b64 exec, exec, s[4:5]
	global_store_dword v[0:1], v6, off
.LBB496_9:
	s_or_b64 exec, exec, s[2:3]
	v_cmp_ne_u32_e32 vcc, 1, v8
	s_and_b64 exec, exec, vcc
	s_cbranch_execz .LBB496_12
; %bb.10:
	s_and_b64 exec, exec, s[0:1]
	s_cbranch_execz .LBB496_12
; %bb.11:
	v_div_scale_f32 v2, s[0:1], v5, v5, v3
	v_rcp_f32_e32 v4, v2
	v_div_scale_f32 v6, vcc, v3, v5, v3
	s_mov_b32 s15, 0
	v_fma_f32 v7, -v2, v4, 1.0
	v_fmac_f32_e32 v4, v7, v4
	v_mul_f32_e32 v7, v6, v4
	v_fma_f32 v8, -v2, v7, v6
	v_fmac_f32_e32 v7, v8, v4
	v_fma_f32 v2, -v2, v7, v6
	v_div_fmas_f32 v2, v2, v4, v7
	s_lshl_b64 s[0:1], s[14:15], 2
	v_div_fixup_f32 v2, v2, v5, v3
	v_mov_b32_e32 v3, s1
	v_add_co_u32_e32 v0, vcc, s0, v0
	v_addc_co_u32_e32 v1, vcc, v1, v3, vcc
	v_mov_b32_e32 v3, 0x7fc00000
	v_cmp_neq_f32_e32 vcc, 0, v5
	v_cndmask_b32_e32 v2, v3, v2, vcc
	global_store_dword v[0:1], v2, off
.LBB496_12:
	s_endpgm
	.section	.rodata,"a",@progbits
	.p2align	6, 0x0
	.amdhsa_kernel _ZN12_GLOBAL__N_120softmax_warp_forwardIN3c108BFloat16EffLi6ELb0ELb0ELi64EEEvPT0_PKT_iiiPKbib
		.amdhsa_group_segment_fixed_size 0
		.amdhsa_private_segment_fixed_size 0
		.amdhsa_kernarg_size 304
		.amdhsa_user_sgpr_count 6
		.amdhsa_user_sgpr_private_segment_buffer 1
		.amdhsa_user_sgpr_dispatch_ptr 0
		.amdhsa_user_sgpr_queue_ptr 0
		.amdhsa_user_sgpr_kernarg_segment_ptr 1
		.amdhsa_user_sgpr_dispatch_id 0
		.amdhsa_user_sgpr_flat_scratch_init 0
		.amdhsa_user_sgpr_kernarg_preload_length 0
		.amdhsa_user_sgpr_kernarg_preload_offset 0
		.amdhsa_user_sgpr_private_segment_size 0
		.amdhsa_uses_dynamic_stack 0
		.amdhsa_system_sgpr_private_segment_wavefront_offset 0
		.amdhsa_system_sgpr_workgroup_id_x 1
		.amdhsa_system_sgpr_workgroup_id_y 0
		.amdhsa_system_sgpr_workgroup_id_z 0
		.amdhsa_system_sgpr_workgroup_info 0
		.amdhsa_system_vgpr_workitem_id 1
		.amdhsa_next_free_vgpr 17
		.amdhsa_next_free_sgpr 16
		.amdhsa_accum_offset 20
		.amdhsa_reserve_vcc 1
		.amdhsa_reserve_flat_scratch 0
		.amdhsa_float_round_mode_32 0
		.amdhsa_float_round_mode_16_64 0
		.amdhsa_float_denorm_mode_32 3
		.amdhsa_float_denorm_mode_16_64 3
		.amdhsa_dx10_clamp 1
		.amdhsa_ieee_mode 1
		.amdhsa_fp16_overflow 0
		.amdhsa_tg_split 0
		.amdhsa_exception_fp_ieee_invalid_op 0
		.amdhsa_exception_fp_denorm_src 0
		.amdhsa_exception_fp_ieee_div_zero 0
		.amdhsa_exception_fp_ieee_overflow 0
		.amdhsa_exception_fp_ieee_underflow 0
		.amdhsa_exception_fp_ieee_inexact 0
		.amdhsa_exception_int_div_zero 0
	.end_amdhsa_kernel
	.section	.text._ZN12_GLOBAL__N_120softmax_warp_forwardIN3c108BFloat16EffLi6ELb0ELb0ELi64EEEvPT0_PKT_iiiPKbib,"axG",@progbits,_ZN12_GLOBAL__N_120softmax_warp_forwardIN3c108BFloat16EffLi6ELb0ELb0ELi64EEEvPT0_PKT_iiiPKbib,comdat
.Lfunc_end496:
	.size	_ZN12_GLOBAL__N_120softmax_warp_forwardIN3c108BFloat16EffLi6ELb0ELb0ELi64EEEvPT0_PKT_iiiPKbib, .Lfunc_end496-_ZN12_GLOBAL__N_120softmax_warp_forwardIN3c108BFloat16EffLi6ELb0ELb0ELi64EEEvPT0_PKT_iiiPKbib
                                        ; -- End function
	.section	.AMDGPU.csdata,"",@progbits
; Kernel info:
; codeLenInByte = 1376
; NumSgprs: 20
; NumVgprs: 17
; NumAgprs: 0
; TotalNumVgprs: 17
; ScratchSize: 0
; MemoryBound: 0
; FloatMode: 240
; IeeeMode: 1
; LDSByteSize: 0 bytes/workgroup (compile time only)
; SGPRBlocks: 2
; VGPRBlocks: 2
; NumSGPRsForWavesPerEU: 20
; NumVGPRsForWavesPerEU: 17
; AccumOffset: 20
; Occupancy: 8
; WaveLimiterHint : 0
; COMPUTE_PGM_RSRC2:SCRATCH_EN: 0
; COMPUTE_PGM_RSRC2:USER_SGPR: 6
; COMPUTE_PGM_RSRC2:TRAP_HANDLER: 0
; COMPUTE_PGM_RSRC2:TGID_X_EN: 1
; COMPUTE_PGM_RSRC2:TGID_Y_EN: 0
; COMPUTE_PGM_RSRC2:TGID_Z_EN: 0
; COMPUTE_PGM_RSRC2:TIDIG_COMP_CNT: 1
; COMPUTE_PGM_RSRC3_GFX90A:ACCUM_OFFSET: 4
; COMPUTE_PGM_RSRC3_GFX90A:TG_SPLIT: 0
	.section	.text._ZN12_GLOBAL__N_120softmax_warp_forwardIN3c108BFloat16EffLi6ELb0ELb0ELi32EEEvPT0_PKT_iiiPKbib,"axG",@progbits,_ZN12_GLOBAL__N_120softmax_warp_forwardIN3c108BFloat16EffLi6ELb0ELb0ELi32EEEvPT0_PKT_iiiPKbib,comdat
	.globl	_ZN12_GLOBAL__N_120softmax_warp_forwardIN3c108BFloat16EffLi6ELb0ELb0ELi32EEEvPT0_PKT_iiiPKbib ; -- Begin function _ZN12_GLOBAL__N_120softmax_warp_forwardIN3c108BFloat16EffLi6ELb0ELb0ELi32EEEvPT0_PKT_iiiPKbib
	.p2align	8
	.type	_ZN12_GLOBAL__N_120softmax_warp_forwardIN3c108BFloat16EffLi6ELb0ELb0ELi32EEEvPT0_PKT_iiiPKbib,@function
_ZN12_GLOBAL__N_120softmax_warp_forwardIN3c108BFloat16EffLi6ELb0ELb0ELi32EEEvPT0_PKT_iiiPKbib: ; @_ZN12_GLOBAL__N_120softmax_warp_forwardIN3c108BFloat16EffLi6ELb0ELb0ELi32EEEvPT0_PKT_iiiPKbib
; %bb.0:
	s_load_dword s0, s[4:5], 0x3c
	s_load_dwordx8 s[8:15], s[4:5], 0x0
	v_bfe_u32 v1, v0, 10, 10
	v_and_b32_e32 v4, 0x3ff, v0
	s_waitcnt lgkmcnt(0)
	s_lshr_b32 s0, s0, 16
	s_mul_i32 s6, s6, s0
	v_add_lshl_u32 v1, s6, v1, 1
	v_sub_u32_e32 v10, s12, v1
	v_mad_u64_u32 v[0:1], s[0:1], v1, s13, v[4:5]
	v_ashrrev_i32_e32 v1, 31, v0
	v_lshlrev_b64 v[2:3], 1, v[0:1]
	v_mov_b32_e32 v5, s11
	v_add_co_u32_e32 v6, vcc, s10, v2
	v_addc_co_u32_e32 v7, vcc, v5, v3, vcc
	v_cmp_lt_i32_e32 vcc, 0, v10
	v_cmp_gt_i32_e64 s[2:3], s14, v4
	s_and_b64 s[4:5], vcc, s[2:3]
	v_mov_b32_e32 v3, 0xff800000
	v_mov_b32_e32 v2, 0xff800000
	s_and_saveexec_b64 s[0:1], s[4:5]
	s_cbranch_execz .LBB497_2
; %bb.1:
	global_load_ushort v2, v[6:7], off
	s_waitcnt vmcnt(0)
	v_lshlrev_b32_e32 v2, 16, v2
.LBB497_2:
	s_or_b64 exec, exec, s[0:1]
	v_add_u32_e32 v4, 32, v4
	v_cmp_gt_i32_e64 s[0:1], s14, v4
	s_and_b64 s[6:7], vcc, s[0:1]
	s_and_saveexec_b64 s[4:5], s[6:7]
	s_cbranch_execz .LBB497_4
; %bb.3:
	global_load_ushort v3, v[6:7], off offset:64
	s_waitcnt vmcnt(0)
	v_lshlrev_b32_e32 v3, 16, v3
.LBB497_4:
	s_or_b64 exec, exec, s[4:5]
	v_cmp_lt_i32_e64 s[4:5], 1, v10
	s_and_b64 s[6:7], s[4:5], s[2:3]
	v_mov_b32_e32 v5, 0xff800000
	v_mov_b32_e32 v4, 0xff800000
	s_and_saveexec_b64 s[10:11], s[6:7]
	s_cbranch_execz .LBB497_6
; %bb.5:
	s_mov_b32 s15, 0
	s_lshl_b64 s[6:7], s[14:15], 1
	v_mov_b32_e32 v4, s7
	v_add_co_u32_e64 v8, s[6:7], s6, v6
	v_addc_co_u32_e64 v9, s[6:7], v7, v4, s[6:7]
	global_load_ushort v4, v[8:9], off
	s_waitcnt vmcnt(0)
	v_lshlrev_b32_e32 v4, 16, v4
.LBB497_6:
	s_or_b64 exec, exec, s[10:11]
	s_and_b64 s[4:5], s[4:5], s[0:1]
	s_and_saveexec_b64 s[6:7], s[4:5]
	s_cbranch_execz .LBB497_8
; %bb.7:
	s_mov_b32 s15, 0
	s_lshl_b64 s[4:5], s[14:15], 1
	v_mov_b32_e32 v5, s5
	v_add_co_u32_e64 v6, s[4:5], s4, v6
	v_addc_co_u32_e64 v7, s[4:5], v7, v5, s[4:5]
	global_load_ushort v5, v[6:7], off offset:64
	s_waitcnt vmcnt(0)
	v_lshlrev_b32_e32 v5, 16, v5
.LBB497_8:
	s_or_b64 exec, exec, s[6:7]
	v_mbcnt_lo_u32_b32 v7, -1, 0
	v_mbcnt_hi_u32_b32 v7, -1, v7
	v_and_b32_e32 v8, 0x60, v7
	v_cmp_gt_f32_e64 s[4:5], v2, v3
	v_add_u32_e32 v8, 32, v8
	v_xor_b32_e32 v9, 16, v7
	v_cndmask_b32_e64 v6, v3, v2, s[4:5]
	v_cmp_lt_i32_e64 s[4:5], v9, v8
	v_cndmask_b32_e64 v9, v7, v9, s[4:5]
	v_lshlrev_b32_e32 v11, 2, v9
	ds_bpermute_b32 v9, v11, v6
	v_cmp_gt_f32_e64 s[4:5], v4, v5
	v_cndmask_b32_e64 v12, v5, v4, s[4:5]
	v_xor_b32_e32 v13, 8, v7
	s_mov_b32 s6, 0x3fb8aa3b
	s_waitcnt lgkmcnt(0)
	v_cmp_lt_f32_e64 s[4:5], v6, v9
	v_cndmask_b32_e64 v6, v6, v9, s[4:5]
	v_cmp_lt_i32_e64 s[4:5], v13, v8
	v_cndmask_b32_e64 v13, v7, v13, s[4:5]
	ds_bpermute_b32 v9, v11, v12
	v_lshlrev_b32_e32 v13, 2, v13
	ds_bpermute_b32 v14, v13, v6
	s_mov_b32 s7, 0xc2ce8ed0
	s_mov_b32 s10, 0x42b17218
	s_waitcnt lgkmcnt(1)
	v_cmp_lt_f32_e64 s[4:5], v12, v9
	v_cndmask_b32_e64 v9, v12, v9, s[4:5]
	s_waitcnt lgkmcnt(0)
	v_cmp_lt_f32_e64 s[4:5], v6, v14
	v_cndmask_b32_e64 v6, v6, v14, s[4:5]
	v_xor_b32_e32 v14, 4, v7
	v_cmp_lt_i32_e64 s[4:5], v14, v8
	v_cndmask_b32_e64 v14, v7, v14, s[4:5]
	ds_bpermute_b32 v12, v13, v9
	v_lshlrev_b32_e32 v14, 2, v14
	ds_bpermute_b32 v15, v14, v6
	s_waitcnt lgkmcnt(1)
	v_cmp_lt_f32_e64 s[4:5], v9, v12
	v_cndmask_b32_e64 v9, v9, v12, s[4:5]
	s_waitcnt lgkmcnt(0)
	v_cmp_lt_f32_e64 s[4:5], v6, v15
	v_cndmask_b32_e64 v6, v6, v15, s[4:5]
	v_xor_b32_e32 v15, 2, v7
	v_cmp_lt_i32_e64 s[4:5], v15, v8
	v_cndmask_b32_e64 v15, v7, v15, s[4:5]
	ds_bpermute_b32 v12, v14, v9
	v_lshlrev_b32_e32 v15, 2, v15
	ds_bpermute_b32 v16, v15, v6
	;; [unrolled: 12-line block ×3, first 2 shown]
	s_waitcnt lgkmcnt(1)
	v_cmp_lt_f32_e64 s[4:5], v9, v12
	v_cndmask_b32_e64 v8, v9, v12, s[4:5]
	s_waitcnt lgkmcnt(0)
	v_cmp_lt_f32_e64 s[4:5], v6, v7
	v_cndmask_b32_e64 v6, v6, v7, s[4:5]
	v_pk_add_f32 v[6:7], v[2:3], v[6:7] op_sel_hi:[1,0] neg_lo:[0,1] neg_hi:[0,1]
	v_mul_f32_e32 v2, 0x3fb8aa3b, v7
	v_fma_f32 v3, v7, s6, -v2
	v_rndne_f32_e32 v12, v2
	v_fmac_f32_e32 v3, 0x32a5705f, v7
	v_sub_f32_e32 v2, v2, v12
	ds_bpermute_b32 v9, v16, v8
	v_add_f32_e32 v2, v2, v3
	v_exp_f32_e32 v2, v2
	v_cvt_i32_f32_e32 v3, v12
	s_waitcnt lgkmcnt(0)
	v_cmp_lt_f32_e64 s[4:5], v8, v9
	v_cndmask_b32_e64 v8, v8, v9, s[4:5]
	v_ldexp_f32 v2, v2, v3
	v_mul_f32_e32 v3, 0x3fb8aa3b, v6
	v_fma_f32 v9, v6, s6, -v3
	v_rndne_f32_e32 v12, v3
	v_fmac_f32_e32 v9, 0x32a5705f, v6
	v_sub_f32_e32 v3, v3, v12
	v_add_f32_e32 v3, v3, v9
	v_exp_f32_e32 v3, v3
	v_cvt_i32_f32_e32 v9, v12
	v_cmp_ngt_f32_e64 s[4:5], s7, v7
	v_cndmask_b32_e64 v2, 0, v2, s[4:5]
	v_cmp_nlt_f32_e64 s[4:5], s10, v7
	v_ldexp_f32 v3, v3, v9
	v_pk_add_f32 v[8:9], v[4:5], v[8:9] op_sel_hi:[1,0] neg_lo:[0,1] neg_hi:[0,1]
	v_mul_f32_e32 v4, 0x3fb8aa3b, v9
	v_fma_f32 v5, v9, s6, -v4
	v_rndne_f32_e32 v7, v4
	v_fmac_f32_e32 v5, 0x32a5705f, v9
	v_sub_f32_e32 v4, v4, v7
	v_add_f32_e32 v4, v4, v5
	v_exp_f32_e32 v5, v4
	v_cvt_i32_f32_e32 v7, v7
	v_mov_b32_e32 v12, 0x7f800000
	v_cndmask_b32_e64 v2, v12, v2, s[4:5]
	v_cmp_ngt_f32_e64 s[4:5], s7, v6
	v_cndmask_b32_e64 v3, 0, v3, s[4:5]
	v_cmp_nlt_f32_e64 s[4:5], s10, v6
	v_cndmask_b32_e64 v4, v12, v3, s[4:5]
	v_ldexp_f32 v3, v5, v7
	v_mul_f32_e32 v5, 0x3fb8aa3b, v8
	v_fma_f32 v6, v8, s6, -v5
	v_rndne_f32_e32 v7, v5
	v_fmac_f32_e32 v6, 0x32a5705f, v8
	v_sub_f32_e32 v5, v5, v7
	v_add_f32_e32 v5, v5, v6
	v_exp_f32_e32 v5, v5
	v_cvt_i32_f32_e32 v6, v7
	v_cmp_ngt_f32_e64 s[4:5], s7, v9
	v_cndmask_b32_e64 v3, 0, v3, s[4:5]
	v_cmp_nlt_f32_e64 s[4:5], s10, v9
	v_cndmask_b32_e64 v3, v12, v3, s[4:5]
	v_ldexp_f32 v5, v5, v6
	v_cmp_ngt_f32_e64 s[4:5], s7, v8
	v_cndmask_b32_e64 v5, 0, v5, s[4:5]
	v_cmp_nlt_f32_e64 s[4:5], s10, v8
	v_cndmask_b32_e64 v5, v12, v5, s[4:5]
	v_pk_add_f32 v[6:7], v[4:5], v[2:3]
	ds_bpermute_b32 v8, v11, v6
	ds_bpermute_b32 v9, v11, v7
	s_waitcnt lgkmcnt(0)
	v_pk_add_f32 v[6:7], v[6:7], v[8:9]
	ds_bpermute_b32 v8, v13, v6
	ds_bpermute_b32 v9, v13, v7
	s_waitcnt lgkmcnt(0)
	;; [unrolled: 4-line block ×4, first 2 shown]
	v_pk_add_f32 v[6:7], v[6:7], v[8:9]
	ds_bpermute_b32 v8, v16, v6
	ds_bpermute_b32 v9, v16, v7
	s_and_saveexec_b64 s[4:5], vcc
	s_cbranch_execz .LBB497_20
; %bb.9:
	v_lshlrev_b64 v[0:1], 2, v[0:1]
	v_mov_b32_e32 v11, s9
	v_add_co_u32_e32 v0, vcc, s8, v0
	v_addc_co_u32_e32 v1, vcc, v11, v1, vcc
	s_waitcnt lgkmcnt(0)
	v_pk_add_f32 v[6:7], v[6:7], v[8:9]
	s_and_saveexec_b64 s[6:7], s[2:3]
	s_cbranch_execz .LBB497_16
; %bb.10:
	v_cmp_neq_f32_e64 s[4:5], 0, v6
	v_mov_b32_e32 v8, 0x7fc00000
	s_and_saveexec_b64 s[8:9], s[4:5]
; %bb.11:
	v_div_scale_f32 v8, s[10:11], v6, v6, v4
	v_rcp_f32_e32 v9, v8
	v_div_scale_f32 v11, vcc, v4, v6, v4
	v_fma_f32 v12, -v8, v9, 1.0
	v_fmac_f32_e32 v9, v12, v9
	v_mul_f32_e32 v12, v11, v9
	v_fma_f32 v13, -v8, v12, v11
	v_fmac_f32_e32 v12, v13, v9
	v_fma_f32 v8, -v8, v12, v11
	v_div_fmas_f32 v8, v8, v9, v12
	v_div_fixup_f32 v8, v8, v6, v4
; %bb.12:
	s_or_b64 exec, exec, s[8:9]
	global_store_dword v[0:1], v8, off
	s_and_b64 exec, exec, s[0:1]
	s_cbranch_execz .LBB497_16
; %bb.13:
	v_mov_b32_e32 v4, 0x7fc00000
	s_and_saveexec_b64 s[8:9], s[4:5]
; %bb.14:
	v_div_scale_f32 v4, s[4:5], v6, v6, v2
	v_rcp_f32_e32 v8, v4
	v_div_scale_f32 v9, vcc, v2, v6, v2
	v_fma_f32 v11, -v4, v8, 1.0
	v_fmac_f32_e32 v8, v11, v8
	v_mul_f32_e32 v11, v9, v8
	v_fma_f32 v12, -v4, v11, v9
	v_fmac_f32_e32 v11, v12, v8
	v_fma_f32 v4, -v4, v11, v9
	v_div_fmas_f32 v4, v4, v8, v11
	v_div_fixup_f32 v4, v4, v6, v2
; %bb.15:
	s_or_b64 exec, exec, s[8:9]
	global_store_dword v[0:1], v4, off offset:128
.LBB497_16:
	s_or_b64 exec, exec, s[6:7]
	v_cmp_ne_u32_e32 vcc, 1, v10
	s_and_b64 exec, exec, vcc
	s_cbranch_execz .LBB497_20
; %bb.17:
	s_and_b64 exec, exec, s[2:3]
	s_cbranch_execz .LBB497_20
; %bb.18:
	v_div_scale_f32 v2, s[2:3], v7, v7, v5
	v_rcp_f32_e32 v4, v2
	s_mov_b32 s15, 0
	s_lshl_b64 s[2:3], s[14:15], 2
	v_fma_f32 v6, -v2, v4, 1.0
	v_fmac_f32_e32 v4, v6, v4
	v_div_scale_f32 v6, vcc, v5, v7, v5
	v_mul_f32_e32 v8, v6, v4
	v_fma_f32 v9, -v2, v8, v6
	v_fmac_f32_e32 v8, v9, v4
	v_fma_f32 v2, -v2, v8, v6
	v_div_fmas_f32 v2, v2, v4, v8
	v_div_fixup_f32 v6, v2, v7, v5
	v_mov_b32_e32 v2, s3
	v_add_co_u32_e32 v4, vcc, s2, v0
	v_addc_co_u32_e32 v5, vcc, v1, v2, vcc
	v_mov_b32_e32 v2, 0x7fc00000
	v_cmp_eq_f32_e64 s[2:3], 0, v7
	v_cndmask_b32_e64 v6, v6, v2, s[2:3]
	global_store_dword v[4:5], v6, off
	s_and_b64 exec, exec, s[0:1]
	s_cbranch_execz .LBB497_20
; %bb.19:
	v_div_scale_f32 v4, s[0:1], v7, v7, v3
	v_rcp_f32_e32 v5, v4
	v_div_scale_f32 v6, vcc, v3, v7, v3
	s_ashr_i32 s15, s14, 31
	v_fma_f32 v8, -v4, v5, 1.0
	v_fmac_f32_e32 v5, v8, v5
	v_mul_f32_e32 v8, v6, v5
	v_fma_f32 v9, -v4, v8, v6
	v_fmac_f32_e32 v8, v9, v5
	v_fma_f32 v4, -v4, v8, v6
	v_div_fmas_f32 v4, v4, v5, v8
	s_lshl_b64 s[0:1], s[14:15], 2
	v_div_fixup_f32 v3, v4, v7, v3
	v_mov_b32_e32 v4, s1
	v_add_co_u32_e32 v0, vcc, s0, v0
	v_addc_co_u32_e32 v1, vcc, v1, v4, vcc
	v_cndmask_b32_e64 v2, v3, v2, s[2:3]
	global_store_dword v[0:1], v2, off offset:128
.LBB497_20:
	s_endpgm
	.section	.rodata,"a",@progbits
	.p2align	6, 0x0
	.amdhsa_kernel _ZN12_GLOBAL__N_120softmax_warp_forwardIN3c108BFloat16EffLi6ELb0ELb0ELi32EEEvPT0_PKT_iiiPKbib
		.amdhsa_group_segment_fixed_size 0
		.amdhsa_private_segment_fixed_size 0
		.amdhsa_kernarg_size 304
		.amdhsa_user_sgpr_count 6
		.amdhsa_user_sgpr_private_segment_buffer 1
		.amdhsa_user_sgpr_dispatch_ptr 0
		.amdhsa_user_sgpr_queue_ptr 0
		.amdhsa_user_sgpr_kernarg_segment_ptr 1
		.amdhsa_user_sgpr_dispatch_id 0
		.amdhsa_user_sgpr_flat_scratch_init 0
		.amdhsa_user_sgpr_kernarg_preload_length 0
		.amdhsa_user_sgpr_kernarg_preload_offset 0
		.amdhsa_user_sgpr_private_segment_size 0
		.amdhsa_uses_dynamic_stack 0
		.amdhsa_system_sgpr_private_segment_wavefront_offset 0
		.amdhsa_system_sgpr_workgroup_id_x 1
		.amdhsa_system_sgpr_workgroup_id_y 0
		.amdhsa_system_sgpr_workgroup_id_z 0
		.amdhsa_system_sgpr_workgroup_info 0
		.amdhsa_system_vgpr_workitem_id 1
		.amdhsa_next_free_vgpr 17
		.amdhsa_next_free_sgpr 16
		.amdhsa_accum_offset 20
		.amdhsa_reserve_vcc 1
		.amdhsa_reserve_flat_scratch 0
		.amdhsa_float_round_mode_32 0
		.amdhsa_float_round_mode_16_64 0
		.amdhsa_float_denorm_mode_32 3
		.amdhsa_float_denorm_mode_16_64 3
		.amdhsa_dx10_clamp 1
		.amdhsa_ieee_mode 1
		.amdhsa_fp16_overflow 0
		.amdhsa_tg_split 0
		.amdhsa_exception_fp_ieee_invalid_op 0
		.amdhsa_exception_fp_denorm_src 0
		.amdhsa_exception_fp_ieee_div_zero 0
		.amdhsa_exception_fp_ieee_overflow 0
		.amdhsa_exception_fp_ieee_underflow 0
		.amdhsa_exception_fp_ieee_inexact 0
		.amdhsa_exception_int_div_zero 0
	.end_amdhsa_kernel
	.section	.text._ZN12_GLOBAL__N_120softmax_warp_forwardIN3c108BFloat16EffLi6ELb0ELb0ELi32EEEvPT0_PKT_iiiPKbib,"axG",@progbits,_ZN12_GLOBAL__N_120softmax_warp_forwardIN3c108BFloat16EffLi6ELb0ELb0ELi32EEEvPT0_PKT_iiiPKbib,comdat
.Lfunc_end497:
	.size	_ZN12_GLOBAL__N_120softmax_warp_forwardIN3c108BFloat16EffLi6ELb0ELb0ELi32EEEvPT0_PKT_iiiPKbib, .Lfunc_end497-_ZN12_GLOBAL__N_120softmax_warp_forwardIN3c108BFloat16EffLi6ELb0ELb0ELi32EEEvPT0_PKT_iiiPKbib
                                        ; -- End function
	.section	.AMDGPU.csdata,"",@progbits
; Kernel info:
; codeLenInByte = 1840
; NumSgprs: 20
; NumVgprs: 17
; NumAgprs: 0
; TotalNumVgprs: 17
; ScratchSize: 0
; MemoryBound: 0
; FloatMode: 240
; IeeeMode: 1
; LDSByteSize: 0 bytes/workgroup (compile time only)
; SGPRBlocks: 2
; VGPRBlocks: 2
; NumSGPRsForWavesPerEU: 20
; NumVGPRsForWavesPerEU: 17
; AccumOffset: 20
; Occupancy: 8
; WaveLimiterHint : 0
; COMPUTE_PGM_RSRC2:SCRATCH_EN: 0
; COMPUTE_PGM_RSRC2:USER_SGPR: 6
; COMPUTE_PGM_RSRC2:TRAP_HANDLER: 0
; COMPUTE_PGM_RSRC2:TGID_X_EN: 1
; COMPUTE_PGM_RSRC2:TGID_Y_EN: 0
; COMPUTE_PGM_RSRC2:TGID_Z_EN: 0
; COMPUTE_PGM_RSRC2:TIDIG_COMP_CNT: 1
; COMPUTE_PGM_RSRC3_GFX90A:ACCUM_OFFSET: 4
; COMPUTE_PGM_RSRC3_GFX90A:TG_SPLIT: 0
	.section	.text._ZN12_GLOBAL__N_120softmax_warp_forwardIN3c108BFloat16EffLi7ELb0ELb0ELi64EEEvPT0_PKT_iiiPKbib,"axG",@progbits,_ZN12_GLOBAL__N_120softmax_warp_forwardIN3c108BFloat16EffLi7ELb0ELb0ELi64EEEvPT0_PKT_iiiPKbib,comdat
	.globl	_ZN12_GLOBAL__N_120softmax_warp_forwardIN3c108BFloat16EffLi7ELb0ELb0ELi64EEEvPT0_PKT_iiiPKbib ; -- Begin function _ZN12_GLOBAL__N_120softmax_warp_forwardIN3c108BFloat16EffLi7ELb0ELb0ELi64EEEvPT0_PKT_iiiPKbib
	.p2align	8
	.type	_ZN12_GLOBAL__N_120softmax_warp_forwardIN3c108BFloat16EffLi7ELb0ELb0ELi64EEEvPT0_PKT_iiiPKbib,@function
_ZN12_GLOBAL__N_120softmax_warp_forwardIN3c108BFloat16EffLi7ELb0ELb0ELi64EEEvPT0_PKT_iiiPKbib: ; @_ZN12_GLOBAL__N_120softmax_warp_forwardIN3c108BFloat16EffLi7ELb0ELb0ELi64EEEvPT0_PKT_iiiPKbib
; %bb.0:
	s_load_dword s0, s[4:5], 0x3c
	s_load_dwordx8 s[8:15], s[4:5], 0x0
	v_bfe_u32 v1, v0, 10, 10
	v_and_b32_e32 v4, 0x3ff, v0
	s_waitcnt lgkmcnt(0)
	s_lshr_b32 s0, s0, 16
	s_mul_i32 s6, s6, s0
	v_add_lshl_u32 v1, s6, v1, 1
	v_sub_u32_e32 v10, s12, v1
	v_mad_u64_u32 v[0:1], s[0:1], v1, s13, v[4:5]
	v_ashrrev_i32_e32 v1, 31, v0
	v_lshlrev_b64 v[2:3], 1, v[0:1]
	v_mov_b32_e32 v5, s11
	v_add_co_u32_e32 v6, vcc, s10, v2
	v_addc_co_u32_e32 v7, vcc, v5, v3, vcc
	v_cmp_lt_i32_e32 vcc, 0, v10
	v_cmp_gt_i32_e64 s[2:3], s14, v4
	s_and_b64 s[4:5], vcc, s[2:3]
	v_mov_b32_e32 v3, 0xff800000
	v_mov_b32_e32 v2, 0xff800000
	s_and_saveexec_b64 s[0:1], s[4:5]
	s_cbranch_execz .LBB498_2
; %bb.1:
	global_load_ushort v2, v[6:7], off
	s_waitcnt vmcnt(0)
	v_lshlrev_b32_e32 v2, 16, v2
.LBB498_2:
	s_or_b64 exec, exec, s[0:1]
	v_add_u32_e32 v4, 64, v4
	v_cmp_gt_i32_e64 s[0:1], s14, v4
	s_and_b64 s[6:7], vcc, s[0:1]
	s_and_saveexec_b64 s[4:5], s[6:7]
	s_cbranch_execz .LBB498_4
; %bb.3:
	global_load_ushort v3, v[6:7], off offset:128
	s_waitcnt vmcnt(0)
	v_lshlrev_b32_e32 v3, 16, v3
.LBB498_4:
	s_or_b64 exec, exec, s[4:5]
	v_cmp_lt_i32_e64 s[4:5], 1, v10
	s_and_b64 s[6:7], s[4:5], s[2:3]
	v_mov_b32_e32 v5, 0xff800000
	v_mov_b32_e32 v4, 0xff800000
	s_and_saveexec_b64 s[10:11], s[6:7]
	s_cbranch_execz .LBB498_6
; %bb.5:
	s_mov_b32 s15, 0
	s_lshl_b64 s[6:7], s[14:15], 1
	v_mov_b32_e32 v4, s7
	v_add_co_u32_e64 v8, s[6:7], s6, v6
	v_addc_co_u32_e64 v9, s[6:7], v7, v4, s[6:7]
	global_load_ushort v4, v[8:9], off
	s_waitcnt vmcnt(0)
	v_lshlrev_b32_e32 v4, 16, v4
.LBB498_6:
	s_or_b64 exec, exec, s[10:11]
	s_and_b64 s[4:5], s[4:5], s[0:1]
	s_and_saveexec_b64 s[6:7], s[4:5]
	s_cbranch_execz .LBB498_8
; %bb.7:
	s_mov_b32 s15, 0
	s_lshl_b64 s[4:5], s[14:15], 1
	v_mov_b32_e32 v5, s5
	v_add_co_u32_e64 v6, s[4:5], s4, v6
	v_addc_co_u32_e64 v7, s[4:5], v7, v5, s[4:5]
	global_load_ushort v5, v[6:7], off offset:128
	s_waitcnt vmcnt(0)
	v_lshlrev_b32_e32 v5, 16, v5
.LBB498_8:
	s_or_b64 exec, exec, s[6:7]
	v_mbcnt_lo_u32_b32 v7, -1, 0
	v_mbcnt_hi_u32_b32 v7, -1, v7
	v_and_b32_e32 v8, 64, v7
	v_cmp_gt_f32_e64 s[4:5], v2, v3
	v_add_u32_e32 v8, 64, v8
	v_xor_b32_e32 v9, 32, v7
	v_cndmask_b32_e64 v6, v3, v2, s[4:5]
	v_cmp_lt_i32_e64 s[4:5], v9, v8
	v_cndmask_b32_e64 v9, v7, v9, s[4:5]
	v_lshlrev_b32_e32 v11, 2, v9
	ds_bpermute_b32 v9, v11, v6
	v_cmp_gt_f32_e64 s[4:5], v4, v5
	v_cndmask_b32_e64 v12, v5, v4, s[4:5]
	v_xor_b32_e32 v13, 16, v7
	s_mov_b32 s6, 0x3fb8aa3b
	s_waitcnt lgkmcnt(0)
	v_cmp_lt_f32_e64 s[4:5], v6, v9
	v_cndmask_b32_e64 v6, v6, v9, s[4:5]
	v_cmp_lt_i32_e64 s[4:5], v13, v8
	v_cndmask_b32_e64 v13, v7, v13, s[4:5]
	ds_bpermute_b32 v9, v11, v12
	v_lshlrev_b32_e32 v13, 2, v13
	ds_bpermute_b32 v14, v13, v6
	s_mov_b32 s7, 0xc2ce8ed0
	s_mov_b32 s10, 0x42b17218
	s_waitcnt lgkmcnt(1)
	v_cmp_lt_f32_e64 s[4:5], v12, v9
	v_cndmask_b32_e64 v9, v12, v9, s[4:5]
	s_waitcnt lgkmcnt(0)
	v_cmp_lt_f32_e64 s[4:5], v6, v14
	v_cndmask_b32_e64 v6, v6, v14, s[4:5]
	v_xor_b32_e32 v14, 8, v7
	v_cmp_lt_i32_e64 s[4:5], v14, v8
	v_cndmask_b32_e64 v14, v7, v14, s[4:5]
	ds_bpermute_b32 v12, v13, v9
	v_lshlrev_b32_e32 v14, 2, v14
	ds_bpermute_b32 v15, v14, v6
	s_waitcnt lgkmcnt(1)
	v_cmp_lt_f32_e64 s[4:5], v9, v12
	v_cndmask_b32_e64 v9, v9, v12, s[4:5]
	s_waitcnt lgkmcnt(0)
	v_cmp_lt_f32_e64 s[4:5], v6, v15
	v_cndmask_b32_e64 v6, v6, v15, s[4:5]
	v_xor_b32_e32 v15, 4, v7
	v_cmp_lt_i32_e64 s[4:5], v15, v8
	v_cndmask_b32_e64 v15, v7, v15, s[4:5]
	ds_bpermute_b32 v12, v14, v9
	v_lshlrev_b32_e32 v15, 2, v15
	ds_bpermute_b32 v16, v15, v6
	;; [unrolled: 12-line block ×4, first 2 shown]
	s_waitcnt lgkmcnt(1)
	v_cmp_lt_f32_e64 s[4:5], v9, v12
	v_cndmask_b32_e64 v8, v9, v12, s[4:5]
	s_waitcnt lgkmcnt(0)
	v_cmp_lt_f32_e64 s[4:5], v6, v7
	v_cndmask_b32_e64 v6, v6, v7, s[4:5]
	v_pk_add_f32 v[6:7], v[2:3], v[6:7] op_sel_hi:[1,0] neg_lo:[0,1] neg_hi:[0,1]
	v_mul_f32_e32 v2, 0x3fb8aa3b, v7
	v_fma_f32 v3, v7, s6, -v2
	v_rndne_f32_e32 v12, v2
	v_fmac_f32_e32 v3, 0x32a5705f, v7
	v_sub_f32_e32 v2, v2, v12
	ds_bpermute_b32 v9, v17, v8
	v_add_f32_e32 v2, v2, v3
	v_exp_f32_e32 v2, v2
	v_cvt_i32_f32_e32 v3, v12
	s_waitcnt lgkmcnt(0)
	v_cmp_lt_f32_e64 s[4:5], v8, v9
	v_cndmask_b32_e64 v8, v8, v9, s[4:5]
	v_ldexp_f32 v2, v2, v3
	v_mul_f32_e32 v3, 0x3fb8aa3b, v6
	v_fma_f32 v9, v6, s6, -v3
	v_rndne_f32_e32 v12, v3
	v_fmac_f32_e32 v9, 0x32a5705f, v6
	v_sub_f32_e32 v3, v3, v12
	v_add_f32_e32 v3, v3, v9
	v_exp_f32_e32 v3, v3
	v_cvt_i32_f32_e32 v9, v12
	v_cmp_ngt_f32_e64 s[4:5], s7, v7
	v_cndmask_b32_e64 v2, 0, v2, s[4:5]
	v_cmp_nlt_f32_e64 s[4:5], s10, v7
	v_ldexp_f32 v3, v3, v9
	v_pk_add_f32 v[8:9], v[4:5], v[8:9] op_sel_hi:[1,0] neg_lo:[0,1] neg_hi:[0,1]
	v_mul_f32_e32 v4, 0x3fb8aa3b, v9
	v_fma_f32 v5, v9, s6, -v4
	v_rndne_f32_e32 v7, v4
	v_fmac_f32_e32 v5, 0x32a5705f, v9
	v_sub_f32_e32 v4, v4, v7
	v_add_f32_e32 v4, v4, v5
	v_exp_f32_e32 v5, v4
	v_cvt_i32_f32_e32 v7, v7
	v_mov_b32_e32 v12, 0x7f800000
	v_cndmask_b32_e64 v2, v12, v2, s[4:5]
	v_cmp_ngt_f32_e64 s[4:5], s7, v6
	v_cndmask_b32_e64 v3, 0, v3, s[4:5]
	v_cmp_nlt_f32_e64 s[4:5], s10, v6
	v_cndmask_b32_e64 v4, v12, v3, s[4:5]
	v_ldexp_f32 v3, v5, v7
	v_mul_f32_e32 v5, 0x3fb8aa3b, v8
	v_fma_f32 v6, v8, s6, -v5
	v_rndne_f32_e32 v7, v5
	v_fmac_f32_e32 v6, 0x32a5705f, v8
	v_sub_f32_e32 v5, v5, v7
	v_add_f32_e32 v5, v5, v6
	v_exp_f32_e32 v5, v5
	v_cvt_i32_f32_e32 v6, v7
	v_cmp_ngt_f32_e64 s[4:5], s7, v9
	v_cndmask_b32_e64 v3, 0, v3, s[4:5]
	v_cmp_nlt_f32_e64 s[4:5], s10, v9
	v_cndmask_b32_e64 v3, v12, v3, s[4:5]
	v_ldexp_f32 v5, v5, v6
	v_cmp_ngt_f32_e64 s[4:5], s7, v8
	v_cndmask_b32_e64 v5, 0, v5, s[4:5]
	v_cmp_nlt_f32_e64 s[4:5], s10, v8
	v_cndmask_b32_e64 v5, v12, v5, s[4:5]
	v_pk_add_f32 v[6:7], v[4:5], v[2:3]
	ds_bpermute_b32 v8, v11, v6
	ds_bpermute_b32 v9, v11, v7
	s_waitcnt lgkmcnt(0)
	v_pk_add_f32 v[6:7], v[6:7], v[8:9]
	ds_bpermute_b32 v8, v13, v6
	ds_bpermute_b32 v9, v13, v7
	s_waitcnt lgkmcnt(0)
	;; [unrolled: 4-line block ×5, first 2 shown]
	v_pk_add_f32 v[6:7], v[6:7], v[8:9]
	ds_bpermute_b32 v8, v17, v6
	ds_bpermute_b32 v9, v17, v7
	s_and_saveexec_b64 s[4:5], vcc
	s_cbranch_execz .LBB498_20
; %bb.9:
	v_lshlrev_b64 v[0:1], 2, v[0:1]
	v_mov_b32_e32 v11, s9
	v_add_co_u32_e32 v0, vcc, s8, v0
	v_addc_co_u32_e32 v1, vcc, v11, v1, vcc
	s_waitcnt lgkmcnt(0)
	v_pk_add_f32 v[6:7], v[6:7], v[8:9]
	s_and_saveexec_b64 s[6:7], s[2:3]
	s_cbranch_execz .LBB498_16
; %bb.10:
	v_cmp_neq_f32_e64 s[4:5], 0, v6
	v_mov_b32_e32 v8, 0x7fc00000
	s_and_saveexec_b64 s[8:9], s[4:5]
; %bb.11:
	v_div_scale_f32 v8, s[10:11], v6, v6, v4
	v_rcp_f32_e32 v9, v8
	v_div_scale_f32 v11, vcc, v4, v6, v4
	v_fma_f32 v12, -v8, v9, 1.0
	v_fmac_f32_e32 v9, v12, v9
	v_mul_f32_e32 v12, v11, v9
	v_fma_f32 v13, -v8, v12, v11
	v_fmac_f32_e32 v12, v13, v9
	v_fma_f32 v8, -v8, v12, v11
	v_div_fmas_f32 v8, v8, v9, v12
	v_div_fixup_f32 v8, v8, v6, v4
; %bb.12:
	s_or_b64 exec, exec, s[8:9]
	global_store_dword v[0:1], v8, off
	s_and_b64 exec, exec, s[0:1]
	s_cbranch_execz .LBB498_16
; %bb.13:
	v_mov_b32_e32 v4, 0x7fc00000
	s_and_saveexec_b64 s[8:9], s[4:5]
; %bb.14:
	v_div_scale_f32 v4, s[4:5], v6, v6, v2
	v_rcp_f32_e32 v8, v4
	v_div_scale_f32 v9, vcc, v2, v6, v2
	v_fma_f32 v11, -v4, v8, 1.0
	v_fmac_f32_e32 v8, v11, v8
	v_mul_f32_e32 v11, v9, v8
	v_fma_f32 v12, -v4, v11, v9
	v_fmac_f32_e32 v11, v12, v8
	v_fma_f32 v4, -v4, v11, v9
	v_div_fmas_f32 v4, v4, v8, v11
	v_div_fixup_f32 v4, v4, v6, v2
; %bb.15:
	s_or_b64 exec, exec, s[8:9]
	global_store_dword v[0:1], v4, off offset:256
.LBB498_16:
	s_or_b64 exec, exec, s[6:7]
	v_cmp_ne_u32_e32 vcc, 1, v10
	s_and_b64 exec, exec, vcc
	s_cbranch_execz .LBB498_20
; %bb.17:
	s_and_b64 exec, exec, s[2:3]
	s_cbranch_execz .LBB498_20
; %bb.18:
	v_div_scale_f32 v2, s[2:3], v7, v7, v5
	v_rcp_f32_e32 v4, v2
	s_mov_b32 s15, 0
	s_lshl_b64 s[2:3], s[14:15], 2
	v_fma_f32 v6, -v2, v4, 1.0
	v_fmac_f32_e32 v4, v6, v4
	v_div_scale_f32 v6, vcc, v5, v7, v5
	v_mul_f32_e32 v8, v6, v4
	v_fma_f32 v9, -v2, v8, v6
	v_fmac_f32_e32 v8, v9, v4
	v_fma_f32 v2, -v2, v8, v6
	v_div_fmas_f32 v2, v2, v4, v8
	v_div_fixup_f32 v6, v2, v7, v5
	v_mov_b32_e32 v2, s3
	v_add_co_u32_e32 v4, vcc, s2, v0
	v_addc_co_u32_e32 v5, vcc, v1, v2, vcc
	v_mov_b32_e32 v2, 0x7fc00000
	v_cmp_eq_f32_e64 s[2:3], 0, v7
	v_cndmask_b32_e64 v6, v6, v2, s[2:3]
	global_store_dword v[4:5], v6, off
	s_and_b64 exec, exec, s[0:1]
	s_cbranch_execz .LBB498_20
; %bb.19:
	v_div_scale_f32 v4, s[0:1], v7, v7, v3
	v_rcp_f32_e32 v5, v4
	v_div_scale_f32 v6, vcc, v3, v7, v3
	s_ashr_i32 s15, s14, 31
	v_fma_f32 v8, -v4, v5, 1.0
	v_fmac_f32_e32 v5, v8, v5
	v_mul_f32_e32 v8, v6, v5
	v_fma_f32 v9, -v4, v8, v6
	v_fmac_f32_e32 v8, v9, v5
	v_fma_f32 v4, -v4, v8, v6
	v_div_fmas_f32 v4, v4, v5, v8
	s_lshl_b64 s[0:1], s[14:15], 2
	v_div_fixup_f32 v3, v4, v7, v3
	v_mov_b32_e32 v4, s1
	v_add_co_u32_e32 v0, vcc, s0, v0
	v_addc_co_u32_e32 v1, vcc, v1, v4, vcc
	v_cndmask_b32_e64 v2, v3, v2, s[2:3]
	global_store_dword v[0:1], v2, off offset:256
.LBB498_20:
	s_endpgm
	.section	.rodata,"a",@progbits
	.p2align	6, 0x0
	.amdhsa_kernel _ZN12_GLOBAL__N_120softmax_warp_forwardIN3c108BFloat16EffLi7ELb0ELb0ELi64EEEvPT0_PKT_iiiPKbib
		.amdhsa_group_segment_fixed_size 0
		.amdhsa_private_segment_fixed_size 0
		.amdhsa_kernarg_size 304
		.amdhsa_user_sgpr_count 6
		.amdhsa_user_sgpr_private_segment_buffer 1
		.amdhsa_user_sgpr_dispatch_ptr 0
		.amdhsa_user_sgpr_queue_ptr 0
		.amdhsa_user_sgpr_kernarg_segment_ptr 1
		.amdhsa_user_sgpr_dispatch_id 0
		.amdhsa_user_sgpr_flat_scratch_init 0
		.amdhsa_user_sgpr_kernarg_preload_length 0
		.amdhsa_user_sgpr_kernarg_preload_offset 0
		.amdhsa_user_sgpr_private_segment_size 0
		.amdhsa_uses_dynamic_stack 0
		.amdhsa_system_sgpr_private_segment_wavefront_offset 0
		.amdhsa_system_sgpr_workgroup_id_x 1
		.amdhsa_system_sgpr_workgroup_id_y 0
		.amdhsa_system_sgpr_workgroup_id_z 0
		.amdhsa_system_sgpr_workgroup_info 0
		.amdhsa_system_vgpr_workitem_id 1
		.amdhsa_next_free_vgpr 18
		.amdhsa_next_free_sgpr 16
		.amdhsa_accum_offset 20
		.amdhsa_reserve_vcc 1
		.amdhsa_reserve_flat_scratch 0
		.amdhsa_float_round_mode_32 0
		.amdhsa_float_round_mode_16_64 0
		.amdhsa_float_denorm_mode_32 3
		.amdhsa_float_denorm_mode_16_64 3
		.amdhsa_dx10_clamp 1
		.amdhsa_ieee_mode 1
		.amdhsa_fp16_overflow 0
		.amdhsa_tg_split 0
		.amdhsa_exception_fp_ieee_invalid_op 0
		.amdhsa_exception_fp_denorm_src 0
		.amdhsa_exception_fp_ieee_div_zero 0
		.amdhsa_exception_fp_ieee_overflow 0
		.amdhsa_exception_fp_ieee_underflow 0
		.amdhsa_exception_fp_ieee_inexact 0
		.amdhsa_exception_int_div_zero 0
	.end_amdhsa_kernel
	.section	.text._ZN12_GLOBAL__N_120softmax_warp_forwardIN3c108BFloat16EffLi7ELb0ELb0ELi64EEEvPT0_PKT_iiiPKbib,"axG",@progbits,_ZN12_GLOBAL__N_120softmax_warp_forwardIN3c108BFloat16EffLi7ELb0ELb0ELi64EEEvPT0_PKT_iiiPKbib,comdat
.Lfunc_end498:
	.size	_ZN12_GLOBAL__N_120softmax_warp_forwardIN3c108BFloat16EffLi7ELb0ELb0ELi64EEEvPT0_PKT_iiiPKbib, .Lfunc_end498-_ZN12_GLOBAL__N_120softmax_warp_forwardIN3c108BFloat16EffLi7ELb0ELb0ELi64EEEvPT0_PKT_iiiPKbib
                                        ; -- End function
	.section	.AMDGPU.csdata,"",@progbits
; Kernel info:
; codeLenInByte = 1944
; NumSgprs: 20
; NumVgprs: 18
; NumAgprs: 0
; TotalNumVgprs: 18
; ScratchSize: 0
; MemoryBound: 0
; FloatMode: 240
; IeeeMode: 1
; LDSByteSize: 0 bytes/workgroup (compile time only)
; SGPRBlocks: 2
; VGPRBlocks: 2
; NumSGPRsForWavesPerEU: 20
; NumVGPRsForWavesPerEU: 18
; AccumOffset: 20
; Occupancy: 8
; WaveLimiterHint : 0
; COMPUTE_PGM_RSRC2:SCRATCH_EN: 0
; COMPUTE_PGM_RSRC2:USER_SGPR: 6
; COMPUTE_PGM_RSRC2:TRAP_HANDLER: 0
; COMPUTE_PGM_RSRC2:TGID_X_EN: 1
; COMPUTE_PGM_RSRC2:TGID_Y_EN: 0
; COMPUTE_PGM_RSRC2:TGID_Z_EN: 0
; COMPUTE_PGM_RSRC2:TIDIG_COMP_CNT: 1
; COMPUTE_PGM_RSRC3_GFX90A:ACCUM_OFFSET: 4
; COMPUTE_PGM_RSRC3_GFX90A:TG_SPLIT: 0
	.section	.text._ZN12_GLOBAL__N_120softmax_warp_forwardIN3c108BFloat16EffLi7ELb0ELb0ELi32EEEvPT0_PKT_iiiPKbib,"axG",@progbits,_ZN12_GLOBAL__N_120softmax_warp_forwardIN3c108BFloat16EffLi7ELb0ELb0ELi32EEEvPT0_PKT_iiiPKbib,comdat
	.globl	_ZN12_GLOBAL__N_120softmax_warp_forwardIN3c108BFloat16EffLi7ELb0ELb0ELi32EEEvPT0_PKT_iiiPKbib ; -- Begin function _ZN12_GLOBAL__N_120softmax_warp_forwardIN3c108BFloat16EffLi7ELb0ELb0ELi32EEEvPT0_PKT_iiiPKbib
	.p2align	8
	.type	_ZN12_GLOBAL__N_120softmax_warp_forwardIN3c108BFloat16EffLi7ELb0ELb0ELi32EEEvPT0_PKT_iiiPKbib,@function
_ZN12_GLOBAL__N_120softmax_warp_forwardIN3c108BFloat16EffLi7ELb0ELb0ELi32EEEvPT0_PKT_iiiPKbib: ; @_ZN12_GLOBAL__N_120softmax_warp_forwardIN3c108BFloat16EffLi7ELb0ELb0ELi32EEEvPT0_PKT_iiiPKbib
; %bb.0:
	s_load_dword s0, s[4:5], 0x3c
	s_load_dwordx8 s[12:19], s[4:5], 0x0
	v_bfe_u32 v1, v0, 10, 10
	v_and_b32_e32 v6, 0x3ff, v0
	v_mov_b32_e32 v5, 0xff800000
	s_waitcnt lgkmcnt(0)
	s_lshr_b32 s0, s0, 16
	s_mul_i32 s6, s6, s0
	v_add_lshl_u32 v1, s6, v1, 1
	v_sub_u32_e32 v16, s16, v1
	v_mad_u64_u32 v[0:1], s[0:1], v1, s17, v[6:7]
	v_ashrrev_i32_e32 v1, 31, v0
	v_lshlrev_b64 v[2:3], 1, v[0:1]
	v_mov_b32_e32 v4, s15
	v_add_co_u32_e32 v8, vcc, s14, v2
	v_addc_co_u32_e32 v9, vcc, v4, v3, vcc
	v_cmp_lt_i32_e32 vcc, 0, v16
	v_cmp_gt_i32_e64 s[6:7], s18, v6
	s_and_b64 s[2:3], vcc, s[6:7]
	v_mov_b32_e32 v4, 0xff800000
	s_and_saveexec_b64 s[0:1], s[2:3]
	s_cbranch_execz .LBB499_2
; %bb.1:
	global_load_ushort v2, v[8:9], off
	s_waitcnt vmcnt(0)
	v_lshlrev_b32_e32 v4, 16, v2
.LBB499_2:
	s_or_b64 exec, exec, s[0:1]
	v_add_u32_e32 v2, 32, v6
	v_cmp_gt_i32_e64 s[4:5], s18, v2
	s_and_b64 s[2:3], vcc, s[4:5]
	s_and_saveexec_b64 s[0:1], s[2:3]
	s_cbranch_execz .LBB499_4
; %bb.3:
	global_load_ushort v2, v[8:9], off offset:64
	s_waitcnt vmcnt(0)
	v_lshlrev_b32_e32 v5, 16, v2
.LBB499_4:
	s_or_b64 exec, exec, s[0:1]
	v_add_u32_e32 v2, 64, v6
	v_cmp_gt_i32_e64 s[2:3], s18, v2
	s_and_b64 s[8:9], vcc, s[2:3]
	v_mov_b32_e32 v3, 0xff800000
	v_mov_b32_e32 v2, 0xff800000
	s_and_saveexec_b64 s[0:1], s[8:9]
	s_cbranch_execz .LBB499_6
; %bb.5:
	global_load_ushort v2, v[8:9], off offset:128
	s_waitcnt vmcnt(0)
	v_lshlrev_b32_e32 v2, 16, v2
.LBB499_6:
	s_or_b64 exec, exec, s[0:1]
	v_add_u32_e32 v6, 0x60, v6
	v_cmp_gt_i32_e64 s[0:1], s18, v6
	s_and_b64 s[10:11], vcc, s[0:1]
	s_and_saveexec_b64 s[8:9], s[10:11]
	s_cbranch_execz .LBB499_8
; %bb.7:
	global_load_ushort v3, v[8:9], off offset:192
	s_waitcnt vmcnt(0)
	v_lshlrev_b32_e32 v3, 16, v3
.LBB499_8:
	s_or_b64 exec, exec, s[8:9]
	v_cmp_lt_i32_e64 s[8:9], 1, v16
	s_and_b64 s[10:11], s[8:9], s[6:7]
	v_mov_b32_e32 v7, 0xff800000
	v_mov_b32_e32 v6, 0xff800000
	s_and_saveexec_b64 s[14:15], s[10:11]
	s_cbranch_execz .LBB499_10
; %bb.9:
	s_mov_b32 s19, 0
	s_lshl_b64 s[10:11], s[18:19], 1
	v_mov_b32_e32 v6, s11
	v_add_co_u32_e64 v10, s[10:11], s10, v8
	v_addc_co_u32_e64 v11, s[10:11], v9, v6, s[10:11]
	global_load_ushort v6, v[10:11], off
	s_waitcnt vmcnt(0)
	v_lshlrev_b32_e32 v6, 16, v6
.LBB499_10:
	s_or_b64 exec, exec, s[14:15]
	s_and_b64 s[10:11], s[8:9], s[4:5]
	s_and_saveexec_b64 s[14:15], s[10:11]
	s_cbranch_execz .LBB499_12
; %bb.11:
	s_mov_b32 s19, 0
	s_lshl_b64 s[10:11], s[18:19], 1
	v_mov_b32_e32 v7, s11
	v_add_co_u32_e64 v10, s[10:11], s10, v8
	v_addc_co_u32_e64 v11, s[10:11], v9, v7, s[10:11]
	global_load_ushort v7, v[10:11], off offset:64
	s_waitcnt vmcnt(0)
	v_lshlrev_b32_e32 v7, 16, v7
.LBB499_12:
	s_or_b64 exec, exec, s[14:15]
	s_and_b64 s[10:11], s[8:9], s[2:3]
	v_mov_b32_e32 v11, 0xff800000
	v_mov_b32_e32 v10, 0xff800000
	s_and_saveexec_b64 s[14:15], s[10:11]
	s_cbranch_execz .LBB499_14
; %bb.13:
	s_mov_b32 s19, 0
	s_lshl_b64 s[10:11], s[18:19], 1
	v_mov_b32_e32 v10, s11
	v_add_co_u32_e64 v12, s[10:11], s10, v8
	v_addc_co_u32_e64 v13, s[10:11], v9, v10, s[10:11]
	global_load_ushort v10, v[12:13], off offset:128
	s_waitcnt vmcnt(0)
	v_lshlrev_b32_e32 v10, 16, v10
.LBB499_14:
	s_or_b64 exec, exec, s[14:15]
	s_and_b64 s[8:9], s[8:9], s[0:1]
	s_and_saveexec_b64 s[10:11], s[8:9]
	s_cbranch_execz .LBB499_16
; %bb.15:
	s_mov_b32 s19, 0
	s_lshl_b64 s[8:9], s[18:19], 1
	v_mov_b32_e32 v11, s9
	v_add_co_u32_e64 v8, s[8:9], s8, v8
	v_addc_co_u32_e64 v9, s[8:9], v9, v11, s[8:9]
	global_load_ushort v8, v[8:9], off offset:192
	s_waitcnt vmcnt(0)
	v_lshlrev_b32_e32 v11, 16, v8
.LBB499_16:
	s_or_b64 exec, exec, s[10:11]
	v_cmp_gt_f32_e64 s[8:9], v4, v5
	v_cndmask_b32_e64 v8, v5, v4, s[8:9]
	v_cmp_gt_f32_e64 s[8:9], v8, v2
	v_mbcnt_lo_u32_b32 v12, -1, 0
	v_cndmask_b32_e64 v8, v2, v8, s[8:9]
	v_mbcnt_hi_u32_b32 v12, -1, v12
	v_cmp_gt_f32_e64 s[8:9], v8, v3
	v_and_b32_e32 v13, 0x60, v12
	v_cndmask_b32_e64 v8, v3, v8, s[8:9]
	v_cmp_gt_f32_e64 s[8:9], v6, v7
	v_add_u32_e32 v13, 32, v13
	v_xor_b32_e32 v14, 16, v12
	v_cndmask_b32_e64 v9, v7, v6, s[8:9]
	v_cmp_lt_i32_e64 s[8:9], v14, v13
	v_cndmask_b32_e64 v14, v12, v14, s[8:9]
	v_lshlrev_b32_e32 v15, 2, v14
	ds_bpermute_b32 v14, v15, v8
	v_cmp_gt_f32_e64 s[8:9], v9, v10
	v_cndmask_b32_e64 v9, v10, v9, s[8:9]
	v_cmp_gt_f32_e64 s[8:9], v9, v11
	v_cndmask_b32_e64 v9, v11, v9, s[8:9]
	s_waitcnt lgkmcnt(0)
	v_cmp_lt_f32_e64 s[8:9], v8, v14
	v_xor_b32_e32 v17, 8, v12
	v_cndmask_b32_e64 v8, v8, v14, s[8:9]
	v_cmp_lt_i32_e64 s[8:9], v17, v13
	v_cndmask_b32_e64 v17, v12, v17, s[8:9]
	ds_bpermute_b32 v14, v15, v9
	v_lshlrev_b32_e32 v17, 2, v17
	ds_bpermute_b32 v18, v17, v8
	s_mov_b32 s10, 0x3fb8aa3b
	s_mov_b32 s11, 0xc2ce8ed0
	s_waitcnt lgkmcnt(1)
	v_cmp_lt_f32_e64 s[8:9], v9, v14
	v_cndmask_b32_e64 v9, v9, v14, s[8:9]
	s_waitcnt lgkmcnt(0)
	v_cmp_lt_f32_e64 s[8:9], v8, v18
	v_cndmask_b32_e64 v8, v8, v18, s[8:9]
	v_xor_b32_e32 v18, 4, v12
	v_cmp_lt_i32_e64 s[8:9], v18, v13
	v_cndmask_b32_e64 v18, v12, v18, s[8:9]
	ds_bpermute_b32 v14, v17, v9
	v_lshlrev_b32_e32 v20, 2, v18
	ds_bpermute_b32 v18, v20, v8
	s_mov_b32 s14, 0x42b17218
	v_mov_b32_e32 v23, 0x7f800000
	s_waitcnt lgkmcnt(1)
	v_cmp_lt_f32_e64 s[8:9], v9, v14
	v_cndmask_b32_e64 v9, v9, v14, s[8:9]
	s_waitcnt lgkmcnt(0)
	v_cmp_lt_f32_e64 s[8:9], v8, v18
	v_cndmask_b32_e64 v8, v8, v18, s[8:9]
	v_xor_b32_e32 v18, 2, v12
	v_cmp_lt_i32_e64 s[8:9], v18, v13
	v_cndmask_b32_e64 v18, v12, v18, s[8:9]
	ds_bpermute_b32 v14, v20, v9
	v_lshlrev_b32_e32 v21, 2, v18
	ds_bpermute_b32 v18, v21, v8
	s_waitcnt lgkmcnt(1)
	v_cmp_lt_f32_e64 s[8:9], v9, v14
	v_cndmask_b32_e64 v9, v9, v14, s[8:9]
	s_waitcnt lgkmcnt(0)
	v_cmp_lt_f32_e64 s[8:9], v8, v18
	v_cndmask_b32_e64 v8, v8, v18, s[8:9]
	v_xor_b32_e32 v18, 1, v12
	v_cmp_lt_i32_e64 s[8:9], v18, v13
	v_cndmask_b32_e64 v12, v12, v18, s[8:9]
	ds_bpermute_b32 v14, v21, v9
	v_lshlrev_b32_e32 v22, 2, v12
	ds_bpermute_b32 v12, v22, v8
	s_waitcnt lgkmcnt(1)
	v_cmp_lt_f32_e64 s[8:9], v9, v14
	v_cndmask_b32_e64 v9, v9, v14, s[8:9]
	s_waitcnt lgkmcnt(0)
	v_cmp_lt_f32_e64 s[8:9], v8, v12
	v_cndmask_b32_e64 v8, v8, v12, s[8:9]
	v_pk_add_f32 v[12:13], v[4:5], v[8:9] op_sel_hi:[1,0] neg_lo:[0,1] neg_hi:[0,1]
	v_mul_f32_e32 v4, 0x3fb8aa3b, v13
	v_fma_f32 v5, v13, s10, -v4
	v_rndne_f32_e32 v18, v4
	v_fmac_f32_e32 v5, 0x32a5705f, v13
	v_sub_f32_e32 v4, v4, v18
	ds_bpermute_b32 v14, v22, v9
	v_add_f32_e32 v4, v4, v5
	v_exp_f32_e32 v4, v4
	v_cvt_i32_f32_e32 v5, v18
	s_waitcnt lgkmcnt(0)
	v_cmp_lt_f32_e64 s[8:9], v9, v14
	v_cndmask_b32_e64 v14, v9, v14, s[8:9]
	v_ldexp_f32 v4, v4, v5
	v_mul_f32_e32 v5, 0x3fb8aa3b, v12
	v_fma_f32 v9, v12, s10, -v5
	v_rndne_f32_e32 v18, v5
	v_fmac_f32_e32 v9, 0x32a5705f, v12
	v_sub_f32_e32 v5, v5, v18
	v_add_f32_e32 v5, v5, v9
	v_cvt_i32_f32_e32 v9, v18
	v_exp_f32_e32 v5, v5
	v_cmp_ngt_f32_e64 s[8:9], s11, v13
	v_cndmask_b32_e64 v4, 0, v4, s[8:9]
	v_pk_add_f32 v[18:19], v[2:3], v[8:9] op_sel_hi:[1,0] neg_lo:[0,1] neg_hi:[0,1]
	v_mul_f32_e32 v2, 0x3fb8aa3b, v19
	v_fma_f32 v3, v19, s10, -v2
	v_rndne_f32_e32 v8, v2
	v_fmac_f32_e32 v3, 0x32a5705f, v19
	v_sub_f32_e32 v2, v2, v8
	v_add_f32_e32 v2, v2, v3
	v_exp_f32_e32 v2, v2
	v_cvt_i32_f32_e32 v3, v8
	v_cmp_nlt_f32_e64 s[8:9], s14, v13
	v_cndmask_b32_e64 v4, v23, v4, s[8:9]
	v_ldexp_f32 v5, v5, v9
	v_cmp_ngt_f32_e64 s[8:9], s11, v12
	v_cndmask_b32_e64 v5, 0, v5, s[8:9]
	v_cmp_nlt_f32_e64 s[8:9], s14, v12
	v_ldexp_f32 v2, v2, v3
	v_mul_f32_e32 v3, 0x3fb8aa3b, v18
	v_cndmask_b32_e64 v8, v23, v5, s[8:9]
	v_fma_f32 v5, v18, s10, -v3
	v_rndne_f32_e32 v9, v3
	v_fmac_f32_e32 v5, 0x32a5705f, v18
	v_sub_f32_e32 v3, v3, v9
	v_add_f32_e32 v3, v3, v5
	v_exp_f32_e32 v3, v3
	v_cvt_i32_f32_e32 v5, v9
	v_pk_add_f32 v[12:13], v[6:7], v[14:15] op_sel_hi:[1,0] neg_lo:[0,1] neg_hi:[0,1]
	v_cmp_ngt_f32_e64 s[8:9], s11, v19
	v_cndmask_b32_e64 v2, 0, v2, s[8:9]
	v_ldexp_f32 v3, v3, v5
	v_mul_f32_e32 v5, 0x3fb8aa3b, v13
	v_fma_f32 v6, v13, s10, -v5
	v_rndne_f32_e32 v7, v5
	v_fmac_f32_e32 v6, 0x32a5705f, v13
	v_sub_f32_e32 v5, v5, v7
	v_add_f32_e32 v5, v5, v6
	v_exp_f32_e32 v5, v5
	v_cvt_i32_f32_e32 v7, v7
	v_cmp_nlt_f32_e64 s[8:9], s14, v19
	v_cndmask_b32_e64 v2, v23, v2, s[8:9]
	v_cmp_ngt_f32_e64 s[8:9], s11, v18
	v_cndmask_b32_e64 v3, 0, v3, s[8:9]
	v_cmp_nlt_f32_e64 s[8:9], s14, v18
	v_cndmask_b32_e64 v6, v23, v3, s[8:9]
	v_ldexp_f32 v3, v5, v7
	v_mul_f32_e32 v5, 0x3fb8aa3b, v12
	v_fma_f32 v7, v12, s10, -v5
	v_rndne_f32_e32 v9, v5
	v_fmac_f32_e32 v7, 0x32a5705f, v12
	v_sub_f32_e32 v5, v5, v9
	v_add_f32_e32 v5, v5, v7
	v_exp_f32_e32 v7, v5
	v_cvt_i32_f32_e32 v9, v9
	v_cmp_ngt_f32_e64 s[8:9], s11, v13
	v_cndmask_b32_e64 v3, 0, v3, s[8:9]
	v_cmp_nlt_f32_e64 s[8:9], s14, v13
	v_pk_add_f32 v[10:11], v[10:11], v[14:15] op_sel_hi:[1,0] neg_lo:[0,1] neg_hi:[0,1]
	v_cndmask_b32_e64 v5, v23, v3, s[8:9]
	v_ldexp_f32 v3, v7, v9
	v_mul_f32_e32 v7, 0x3fb8aa3b, v11
	v_fma_f32 v9, v11, s10, -v7
	v_rndne_f32_e32 v13, v7
	v_fmac_f32_e32 v9, 0x32a5705f, v11
	v_sub_f32_e32 v7, v7, v13
	v_add_f32_e32 v7, v7, v9
	v_exp_f32_e32 v7, v7
	v_cvt_i32_f32_e32 v13, v13
	v_cmp_ngt_f32_e64 s[8:9], s11, v12
	v_cndmask_b32_e64 v3, 0, v3, s[8:9]
	v_cmp_nlt_f32_e64 s[8:9], s14, v12
	v_cndmask_b32_e64 v9, v23, v3, s[8:9]
	v_ldexp_f32 v3, v7, v13
	v_mul_f32_e32 v7, 0x3fb8aa3b, v10
	v_fma_f32 v12, v10, s10, -v7
	v_rndne_f32_e32 v13, v7
	v_fmac_f32_e32 v12, 0x32a5705f, v10
	v_sub_f32_e32 v7, v7, v13
	v_add_f32_e32 v7, v7, v12
	v_exp_f32_e32 v7, v7
	v_cvt_i32_f32_e32 v12, v13
	v_cmp_ngt_f32_e64 s[8:9], s11, v11
	v_cndmask_b32_e64 v3, 0, v3, s[8:9]
	v_cmp_nlt_f32_e64 s[8:9], s14, v11
	v_cndmask_b32_e64 v3, v23, v3, s[8:9]
	v_ldexp_f32 v7, v7, v12
	v_cmp_ngt_f32_e64 s[8:9], s11, v10
	v_cndmask_b32_e64 v7, 0, v7, s[8:9]
	v_cmp_nlt_f32_e64 s[8:9], s14, v10
	v_cndmask_b32_e64 v7, v23, v7, s[8:9]
	v_pk_add_f32 v[10:11], v[8:9], v[4:5]
	v_pk_add_f32 v[10:11], v[10:11], v[6:7]
	;; [unrolled: 1-line block ×3, first 2 shown]
	ds_bpermute_b32 v12, v15, v10
	ds_bpermute_b32 v13, v15, v11
	s_waitcnt lgkmcnt(0)
	v_pk_add_f32 v[10:11], v[10:11], v[12:13]
	ds_bpermute_b32 v12, v17, v10
	ds_bpermute_b32 v13, v17, v11
	s_waitcnt lgkmcnt(0)
	v_pk_add_f32 v[10:11], v[10:11], v[12:13]
	;; [unrolled: 4-line block ×4, first 2 shown]
	ds_bpermute_b32 v14, v22, v12
	ds_bpermute_b32 v15, v22, v13
	s_and_saveexec_b64 s[8:9], vcc
	s_cbranch_execz .LBB499_36
; %bb.17:
	v_lshlrev_b64 v[0:1], 2, v[0:1]
	v_mov_b32_e32 v11, s13
	v_add_co_u32_e32 v10, vcc, s12, v0
	v_addc_co_u32_e32 v11, vcc, v11, v1, vcc
	s_waitcnt lgkmcnt(0)
	v_pk_add_f32 v[0:1], v[12:13], v[14:15]
	s_and_saveexec_b64 s[10:11], s[6:7]
	s_cbranch_execz .LBB499_30
; %bb.18:
	v_cmp_neq_f32_e64 s[8:9], 0, v0
	v_mov_b32_e32 v12, 0x7fc00000
	s_and_saveexec_b64 s[12:13], s[8:9]
; %bb.19:
	v_div_scale_f32 v12, s[14:15], v0, v0, v8
	v_rcp_f32_e32 v13, v12
	v_div_scale_f32 v14, vcc, v8, v0, v8
	v_fma_f32 v15, -v12, v13, 1.0
	v_fmac_f32_e32 v13, v15, v13
	v_mul_f32_e32 v15, v14, v13
	v_fma_f32 v17, -v12, v15, v14
	v_fmac_f32_e32 v15, v17, v13
	v_fma_f32 v12, -v12, v15, v14
	v_div_fmas_f32 v12, v12, v13, v15
	v_div_fixup_f32 v12, v12, v0, v8
; %bb.20:
	s_or_b64 exec, exec, s[12:13]
	global_store_dword v[10:11], v12, off
	s_and_b64 exec, exec, s[4:5]
	s_cbranch_execz .LBB499_30
; %bb.21:
	v_mov_b32_e32 v8, 0x7fc00000
	s_and_saveexec_b64 s[12:13], s[8:9]
; %bb.22:
	v_div_scale_f32 v8, s[14:15], v0, v0, v4
	v_rcp_f32_e32 v12, v8
	v_div_scale_f32 v13, vcc, v4, v0, v4
	v_fma_f32 v14, -v8, v12, 1.0
	v_fmac_f32_e32 v12, v14, v12
	v_mul_f32_e32 v14, v13, v12
	v_fma_f32 v15, -v8, v14, v13
	v_fmac_f32_e32 v14, v15, v12
	v_fma_f32 v8, -v8, v14, v13
	v_div_fmas_f32 v8, v8, v12, v14
	v_div_fixup_f32 v8, v8, v0, v4
; %bb.23:
	s_or_b64 exec, exec, s[12:13]
	global_store_dword v[10:11], v8, off offset:128
	s_and_b64 exec, exec, s[2:3]
	s_cbranch_execz .LBB499_30
; %bb.24:
	v_mov_b32_e32 v4, 0x7fc00000
	s_and_saveexec_b64 s[12:13], s[8:9]
; %bb.25:
	v_div_scale_f32 v4, s[14:15], v0, v0, v6
	v_rcp_f32_e32 v8, v4
	v_div_scale_f32 v12, vcc, v6, v0, v6
	v_fma_f32 v13, -v4, v8, 1.0
	v_fmac_f32_e32 v8, v13, v8
	v_mul_f32_e32 v13, v12, v8
	v_fma_f32 v14, -v4, v13, v12
	v_fmac_f32_e32 v13, v14, v8
	v_fma_f32 v4, -v4, v13, v12
	v_div_fmas_f32 v4, v4, v8, v13
	v_div_fixup_f32 v4, v4, v0, v6
; %bb.26:
	s_or_b64 exec, exec, s[12:13]
	global_store_dword v[10:11], v4, off offset:256
	;; [unrolled: 20-line block ×3, first 2 shown]
.LBB499_30:
	s_or_b64 exec, exec, s[10:11]
	v_cmp_ne_u32_e32 vcc, 1, v16
	s_and_b64 exec, exec, vcc
	s_cbranch_execz .LBB499_36
; %bb.31:
	s_and_b64 exec, exec, s[6:7]
	s_cbranch_execz .LBB499_36
; %bb.32:
	v_div_scale_f32 v0, s[6:7], v1, v1, v9
	v_rcp_f32_e32 v2, v0
	v_div_scale_f32 v4, vcc, v9, v1, v9
	s_ashr_i32 s19, s18, 31
	v_fma_f32 v6, -v0, v2, 1.0
	v_fmac_f32_e32 v2, v6, v2
	v_mul_f32_e32 v6, v4, v2
	v_fma_f32 v8, -v0, v6, v4
	v_fmac_f32_e32 v6, v8, v2
	v_fma_f32 v0, -v0, v6, v4
	v_div_fmas_f32 v0, v0, v2, v6
	s_lshl_b64 s[6:7], s[18:19], 2
	v_div_fixup_f32 v2, v0, v1, v9
	v_mov_b32_e32 v0, s7
	v_add_co_u32_e32 v8, vcc, s6, v10
	v_addc_co_u32_e32 v9, vcc, v11, v0, vcc
	v_mov_b32_e32 v0, 0x7fc00000
	v_cmp_eq_f32_e64 s[6:7], 0, v1
	v_cndmask_b32_e64 v2, v2, v0, s[6:7]
	global_store_dword v[8:9], v2, off
	s_and_b64 exec, exec, s[4:5]
	s_cbranch_execz .LBB499_36
; %bb.33:
	v_div_scale_f32 v2, s[4:5], v1, v1, v5
	v_rcp_f32_e32 v4, v2
	v_div_scale_f32 v6, vcc, v5, v1, v5
	v_fma_f32 v10, -v2, v4, 1.0
	v_fmac_f32_e32 v4, v10, v4
	v_mul_f32_e32 v10, v6, v4
	v_fma_f32 v11, -v2, v10, v6
	v_fmac_f32_e32 v10, v11, v4
	v_fma_f32 v2, -v2, v10, v6
	v_div_fmas_f32 v2, v2, v4, v10
	v_div_fixup_f32 v2, v2, v1, v5
	v_cndmask_b32_e64 v0, v2, v0, s[6:7]
	global_store_dword v[8:9], v0, off offset:128
	s_and_b64 exec, exec, s[2:3]
	s_cbranch_execz .LBB499_36
; %bb.34:
	v_div_scale_f32 v0, s[2:3], v1, v1, v7
	v_rcp_f32_e32 v2, v0
	v_div_scale_f32 v4, vcc, v7, v1, v7
	v_fma_f32 v5, -v0, v2, 1.0
	v_fmac_f32_e32 v2, v5, v2
	v_mul_f32_e32 v5, v4, v2
	v_fma_f32 v6, -v0, v5, v4
	v_fmac_f32_e32 v5, v6, v2
	v_fma_f32 v0, -v0, v5, v4
	v_div_fmas_f32 v0, v0, v2, v5
	v_div_fixup_f32 v2, v0, v1, v7
	v_mov_b32_e32 v0, 0x7fc00000
	v_cndmask_b32_e64 v2, v2, v0, s[6:7]
	global_store_dword v[8:9], v2, off offset:256
	s_and_b64 exec, exec, s[0:1]
	s_cbranch_execz .LBB499_36
; %bb.35:
	v_div_scale_f32 v2, s[0:1], v1, v1, v3
	v_rcp_f32_e32 v4, v2
	v_div_scale_f32 v5, vcc, v3, v1, v3
	v_fma_f32 v6, -v2, v4, 1.0
	v_fmac_f32_e32 v4, v6, v4
	v_mul_f32_e32 v6, v5, v4
	v_fma_f32 v7, -v2, v6, v5
	v_fmac_f32_e32 v6, v7, v4
	v_fma_f32 v2, -v2, v6, v5
	v_div_fmas_f32 v2, v2, v4, v6
	v_div_fixup_f32 v1, v2, v1, v3
	v_cndmask_b32_e64 v0, v1, v0, s[6:7]
	global_store_dword v[8:9], v0, off offset:384
.LBB499_36:
	s_endpgm
	.section	.rodata,"a",@progbits
	.p2align	6, 0x0
	.amdhsa_kernel _ZN12_GLOBAL__N_120softmax_warp_forwardIN3c108BFloat16EffLi7ELb0ELb0ELi32EEEvPT0_PKT_iiiPKbib
		.amdhsa_group_segment_fixed_size 0
		.amdhsa_private_segment_fixed_size 0
		.amdhsa_kernarg_size 304
		.amdhsa_user_sgpr_count 6
		.amdhsa_user_sgpr_private_segment_buffer 1
		.amdhsa_user_sgpr_dispatch_ptr 0
		.amdhsa_user_sgpr_queue_ptr 0
		.amdhsa_user_sgpr_kernarg_segment_ptr 1
		.amdhsa_user_sgpr_dispatch_id 0
		.amdhsa_user_sgpr_flat_scratch_init 0
		.amdhsa_user_sgpr_kernarg_preload_length 0
		.amdhsa_user_sgpr_kernarg_preload_offset 0
		.amdhsa_user_sgpr_private_segment_size 0
		.amdhsa_uses_dynamic_stack 0
		.amdhsa_system_sgpr_private_segment_wavefront_offset 0
		.amdhsa_system_sgpr_workgroup_id_x 1
		.amdhsa_system_sgpr_workgroup_id_y 0
		.amdhsa_system_sgpr_workgroup_id_z 0
		.amdhsa_system_sgpr_workgroup_info 0
		.amdhsa_system_vgpr_workitem_id 1
		.amdhsa_next_free_vgpr 24
		.amdhsa_next_free_sgpr 20
		.amdhsa_accum_offset 24
		.amdhsa_reserve_vcc 1
		.amdhsa_reserve_flat_scratch 0
		.amdhsa_float_round_mode_32 0
		.amdhsa_float_round_mode_16_64 0
		.amdhsa_float_denorm_mode_32 3
		.amdhsa_float_denorm_mode_16_64 3
		.amdhsa_dx10_clamp 1
		.amdhsa_ieee_mode 1
		.amdhsa_fp16_overflow 0
		.amdhsa_tg_split 0
		.amdhsa_exception_fp_ieee_invalid_op 0
		.amdhsa_exception_fp_denorm_src 0
		.amdhsa_exception_fp_ieee_div_zero 0
		.amdhsa_exception_fp_ieee_overflow 0
		.amdhsa_exception_fp_ieee_underflow 0
		.amdhsa_exception_fp_ieee_inexact 0
		.amdhsa_exception_int_div_zero 0
	.end_amdhsa_kernel
	.section	.text._ZN12_GLOBAL__N_120softmax_warp_forwardIN3c108BFloat16EffLi7ELb0ELb0ELi32EEEvPT0_PKT_iiiPKbib,"axG",@progbits,_ZN12_GLOBAL__N_120softmax_warp_forwardIN3c108BFloat16EffLi7ELb0ELb0ELi32EEEvPT0_PKT_iiiPKbib,comdat
.Lfunc_end499:
	.size	_ZN12_GLOBAL__N_120softmax_warp_forwardIN3c108BFloat16EffLi7ELb0ELb0ELi32EEEvPT0_PKT_iiiPKbib, .Lfunc_end499-_ZN12_GLOBAL__N_120softmax_warp_forwardIN3c108BFloat16EffLi7ELb0ELb0ELi32EEEvPT0_PKT_iiiPKbib
                                        ; -- End function
	.section	.AMDGPU.csdata,"",@progbits
; Kernel info:
; codeLenInByte = 2904
; NumSgprs: 24
; NumVgprs: 24
; NumAgprs: 0
; TotalNumVgprs: 24
; ScratchSize: 0
; MemoryBound: 0
; FloatMode: 240
; IeeeMode: 1
; LDSByteSize: 0 bytes/workgroup (compile time only)
; SGPRBlocks: 2
; VGPRBlocks: 2
; NumSGPRsForWavesPerEU: 24
; NumVGPRsForWavesPerEU: 24
; AccumOffset: 24
; Occupancy: 8
; WaveLimiterHint : 0
; COMPUTE_PGM_RSRC2:SCRATCH_EN: 0
; COMPUTE_PGM_RSRC2:USER_SGPR: 6
; COMPUTE_PGM_RSRC2:TRAP_HANDLER: 0
; COMPUTE_PGM_RSRC2:TGID_X_EN: 1
; COMPUTE_PGM_RSRC2:TGID_Y_EN: 0
; COMPUTE_PGM_RSRC2:TGID_Z_EN: 0
; COMPUTE_PGM_RSRC2:TIDIG_COMP_CNT: 1
; COMPUTE_PGM_RSRC3_GFX90A:ACCUM_OFFSET: 5
; COMPUTE_PGM_RSRC3_GFX90A:TG_SPLIT: 0
	.section	.text._ZN12_GLOBAL__N_120softmax_warp_forwardIN3c108BFloat16EffLi8ELb0ELb0ELi64EEEvPT0_PKT_iiiPKbib,"axG",@progbits,_ZN12_GLOBAL__N_120softmax_warp_forwardIN3c108BFloat16EffLi8ELb0ELb0ELi64EEEvPT0_PKT_iiiPKbib,comdat
	.globl	_ZN12_GLOBAL__N_120softmax_warp_forwardIN3c108BFloat16EffLi8ELb0ELb0ELi64EEEvPT0_PKT_iiiPKbib ; -- Begin function _ZN12_GLOBAL__N_120softmax_warp_forwardIN3c108BFloat16EffLi8ELb0ELb0ELi64EEEvPT0_PKT_iiiPKbib
	.p2align	8
	.type	_ZN12_GLOBAL__N_120softmax_warp_forwardIN3c108BFloat16EffLi8ELb0ELb0ELi64EEEvPT0_PKT_iiiPKbib,@function
_ZN12_GLOBAL__N_120softmax_warp_forwardIN3c108BFloat16EffLi8ELb0ELb0ELi64EEEvPT0_PKT_iiiPKbib: ; @_ZN12_GLOBAL__N_120softmax_warp_forwardIN3c108BFloat16EffLi8ELb0ELb0ELi64EEEvPT0_PKT_iiiPKbib
; %bb.0:
	s_load_dword s0, s[4:5], 0x3c
	s_load_dwordx8 s[8:15], s[4:5], 0x0
	v_bfe_u32 v1, v0, 10, 10
	v_and_b32_e32 v4, 0x3ff, v0
	v_mov_b32_e32 v7, 0xff800000
	s_waitcnt lgkmcnt(0)
	s_lshr_b32 s0, s0, 16
	s_mul_i32 s6, s6, s0
	v_add_u32_e32 v1, s6, v1
	v_sub_u32_e32 v5, s12, v1
	v_mad_u64_u32 v[0:1], s[0:1], v1, s13, v[4:5]
	v_ashrrev_i32_e32 v1, 31, v0
	v_lshlrev_b64 v[2:3], 1, v[0:1]
	v_mov_b32_e32 v6, s11
	v_add_co_u32_e32 v2, vcc, s10, v2
	v_addc_co_u32_e32 v3, vcc, v6, v3, vcc
	v_cmp_lt_i32_e64 s[6:7], 0, v5
	v_cmp_gt_i32_e32 vcc, s14, v4
	s_and_b64 s[2:3], s[6:7], vcc
	v_mov_b32_e32 v9, 0xff800000
	s_and_saveexec_b64 s[0:1], s[2:3]
	s_cbranch_execz .LBB500_2
; %bb.1:
	global_load_ushort v6, v[2:3], off
	s_waitcnt vmcnt(0)
	v_lshlrev_b32_e32 v9, 16, v6
.LBB500_2:
	s_or_b64 exec, exec, s[0:1]
	v_add_u32_e32 v6, 64, v4
	v_cmp_gt_i32_e64 s[4:5], s14, v6
	s_and_b64 s[2:3], s[6:7], s[4:5]
	s_and_saveexec_b64 s[0:1], s[2:3]
	s_cbranch_execz .LBB500_4
; %bb.3:
	global_load_ushort v6, v[2:3], off offset:128
	s_waitcnt vmcnt(0)
	v_lshlrev_b32_e32 v7, 16, v6
.LBB500_4:
	s_or_b64 exec, exec, s[0:1]
	v_add_u32_e32 v6, 0x80, v4
	v_cmp_gt_i32_e64 s[2:3], s14, v6
	s_and_b64 s[10:11], s[6:7], s[2:3]
	v_mov_b32_e32 v6, 0xff800000
	v_mov_b32_e32 v8, 0xff800000
	s_and_saveexec_b64 s[0:1], s[10:11]
	s_cbranch_execz .LBB500_6
; %bb.5:
	global_load_ushort v8, v[2:3], off offset:256
	s_waitcnt vmcnt(0)
	v_lshlrev_b32_e32 v8, 16, v8
.LBB500_6:
	s_or_b64 exec, exec, s[0:1]
	v_add_u32_e32 v4, 0xc0, v4
	v_cmp_gt_i32_e64 s[0:1], s14, v4
	s_and_b64 s[10:11], s[6:7], s[0:1]
	s_and_saveexec_b64 s[6:7], s[10:11]
	s_cbranch_execz .LBB500_8
; %bb.7:
	global_load_ushort v2, v[2:3], off offset:384
	s_waitcnt vmcnt(0)
	v_lshlrev_b32_e32 v6, 16, v2
.LBB500_8:
	s_or_b64 exec, exec, s[6:7]
	v_cmp_gt_f32_e64 s[6:7], v9, v7
	v_cndmask_b32_e64 v2, v7, v9, s[6:7]
	v_mbcnt_lo_u32_b32 v3, -1, 0
	v_cmp_gt_f32_e64 s[6:7], v2, v8
	v_mbcnt_hi_u32_b32 v3, -1, v3
	v_cndmask_b32_e64 v2, v8, v2, s[6:7]
	v_and_b32_e32 v4, 64, v3
	v_cmp_gt_f32_e64 s[6:7], v2, v6
	v_add_u32_e32 v4, 64, v4
	v_xor_b32_e32 v10, 32, v3
	v_cndmask_b32_e64 v2, v6, v2, s[6:7]
	v_cmp_lt_i32_e64 s[6:7], v10, v4
	v_cndmask_b32_e64 v10, v3, v10, s[6:7]
	v_lshlrev_b32_e32 v10, 2, v10
	ds_bpermute_b32 v11, v10, v2
	s_mov_b32 s10, 0x3fb8aa3b
	s_mov_b32 s11, 0xc2ce8ed0
	;; [unrolled: 1-line block ×3, first 2 shown]
	v_mov_b32_e32 v18, 0x7f800000
	s_waitcnt lgkmcnt(0)
	v_cmp_lt_f32_e64 s[6:7], v2, v11
	v_cndmask_b32_e64 v2, v2, v11, s[6:7]
	v_xor_b32_e32 v11, 16, v3
	v_cmp_lt_i32_e64 s[6:7], v11, v4
	v_cndmask_b32_e64 v11, v3, v11, s[6:7]
	v_lshlrev_b32_e32 v11, 2, v11
	ds_bpermute_b32 v12, v11, v2
	s_waitcnt lgkmcnt(0)
	v_cmp_lt_f32_e64 s[6:7], v2, v12
	v_cndmask_b32_e64 v2, v2, v12, s[6:7]
	v_xor_b32_e32 v12, 8, v3
	v_cmp_lt_i32_e64 s[6:7], v12, v4
	v_cndmask_b32_e64 v12, v3, v12, s[6:7]
	v_lshlrev_b32_e32 v12, 2, v12
	ds_bpermute_b32 v13, v12, v2
	;; [unrolled: 8-line block ×5, first 2 shown]
	s_waitcnt lgkmcnt(0)
	v_cmp_lt_f32_e64 s[6:7], v2, v3
	v_cndmask_b32_e64 v2, v2, v3, s[6:7]
	v_sub_f32_e32 v3, v9, v2
	v_mul_f32_e32 v4, 0x3fb8aa3b, v3
	v_fma_f32 v9, v3, s10, -v4
	v_rndne_f32_e32 v16, v4
	v_fmac_f32_e32 v9, 0x32a5705f, v3
	v_sub_f32_e32 v4, v4, v16
	v_add_f32_e32 v4, v4, v9
	v_exp_f32_e32 v4, v4
	v_cvt_i32_f32_e32 v9, v16
	v_cmp_ngt_f32_e64 s[6:7], s11, v3
	v_sub_f32_e32 v8, v8, v2
	v_ldexp_f32 v4, v4, v9
	v_sub_f32_e32 v9, v7, v2
	v_mul_f32_e32 v7, 0x3fb8aa3b, v9
	v_fma_f32 v16, v9, s10, -v7
	v_rndne_f32_e32 v17, v7
	v_fmac_f32_e32 v16, 0x32a5705f, v9
	v_sub_f32_e32 v7, v7, v17
	v_add_f32_e32 v7, v7, v16
	v_exp_f32_e32 v16, v7
	v_cvt_i32_f32_e32 v17, v17
	v_cndmask_b32_e64 v4, 0, v4, s[6:7]
	v_cmp_nlt_f32_e64 s[6:7], s12, v3
	v_cndmask_b32_e64 v7, v18, v4, s[6:7]
	v_mul_f32_e32 v4, 0x3fb8aa3b, v8
	v_ldexp_f32 v3, v16, v17
	v_fma_f32 v16, v8, s10, -v4
	v_rndne_f32_e32 v17, v4
	v_fmac_f32_e32 v16, 0x32a5705f, v8
	v_sub_f32_e32 v4, v4, v17
	v_add_f32_e32 v4, v4, v16
	v_exp_f32_e32 v16, v4
	v_cvt_i32_f32_e32 v17, v17
	v_cmp_ngt_f32_e64 s[6:7], s11, v9
	v_sub_f32_e32 v2, v6, v2
	v_cndmask_b32_e64 v3, 0, v3, s[6:7]
	v_cmp_nlt_f32_e64 s[6:7], s12, v9
	v_mul_f32_e32 v6, 0x3fb8aa3b, v2
	v_cndmask_b32_e64 v4, v18, v3, s[6:7]
	v_ldexp_f32 v3, v16, v17
	v_fma_f32 v16, v2, s10, -v6
	v_rndne_f32_e32 v17, v6
	v_fmac_f32_e32 v16, 0x32a5705f, v2
	v_sub_f32_e32 v6, v6, v17
	v_add_f32_e32 v6, v6, v16
	v_exp_f32_e32 v6, v6
	v_cvt_i32_f32_e32 v16, v17
	v_cmp_ngt_f32_e64 s[6:7], s11, v8
	v_cndmask_b32_e64 v3, 0, v3, s[6:7]
	v_cmp_nlt_f32_e64 s[6:7], s12, v8
	v_cndmask_b32_e64 v3, v18, v3, s[6:7]
	v_ldexp_f32 v6, v6, v16
	v_cmp_ngt_f32_e64 s[6:7], s11, v2
	v_add_f32_e32 v9, v7, v4
	v_cndmask_b32_e64 v6, 0, v6, s[6:7]
	v_cmp_nlt_f32_e64 s[6:7], s12, v2
	v_add_f32_e32 v8, v9, v3
	v_cndmask_b32_e64 v2, v18, v6, s[6:7]
	v_add_f32_e32 v6, v8, v2
	ds_bpermute_b32 v8, v10, v6
	v_cmp_lt_i32_e64 s[6:7], 0, v5
	s_waitcnt lgkmcnt(0)
	v_add_f32_e32 v6, v6, v8
	ds_bpermute_b32 v8, v11, v6
	s_waitcnt lgkmcnt(0)
	v_add_f32_e32 v6, v6, v8
	ds_bpermute_b32 v8, v12, v6
	;; [unrolled: 3-line block ×5, first 2 shown]
	s_and_saveexec_b64 s[10:11], s[6:7]
	s_cbranch_execz .LBB500_14
; %bb.9:
	s_and_b64 exec, exec, vcc
	s_cbranch_execz .LBB500_14
; %bb.10:
	s_waitcnt lgkmcnt(0)
	v_add_f32_e32 v5, v6, v8
	v_div_scale_f32 v8, s[6:7], v5, v5, v7
	v_rcp_f32_e32 v9, v8
	v_lshlrev_b64 v[0:1], 2, v[0:1]
	v_mov_b32_e32 v6, s9
	v_add_co_u32_e32 v0, vcc, s8, v0
	v_addc_co_u32_e32 v1, vcc, v6, v1, vcc
	v_fma_f32 v6, -v8, v9, 1.0
	v_fmac_f32_e32 v9, v6, v9
	v_div_scale_f32 v6, vcc, v7, v5, v7
	v_mul_f32_e32 v10, v6, v9
	v_fma_f32 v11, -v8, v10, v6
	v_fmac_f32_e32 v10, v11, v9
	v_fma_f32 v6, -v8, v10, v6
	v_div_fmas_f32 v6, v6, v9, v10
	v_div_fixup_f32 v7, v6, v5, v7
	v_mov_b32_e32 v6, 0x7fc00000
	v_cmp_eq_f32_e64 s[6:7], 0, v5
	v_cndmask_b32_e64 v7, v7, v6, s[6:7]
	global_store_dword v[0:1], v7, off
	s_and_b64 exec, exec, s[4:5]
	s_cbranch_execz .LBB500_14
; %bb.11:
	v_div_scale_f32 v7, s[4:5], v5, v5, v4
	v_rcp_f32_e32 v8, v7
	v_div_scale_f32 v9, vcc, v4, v5, v4
	v_fma_f32 v10, -v7, v8, 1.0
	v_fmac_f32_e32 v8, v10, v8
	v_mul_f32_e32 v10, v9, v8
	v_fma_f32 v11, -v7, v10, v9
	v_fmac_f32_e32 v10, v11, v8
	v_fma_f32 v7, -v7, v10, v9
	v_div_fmas_f32 v7, v7, v8, v10
	v_div_fixup_f32 v4, v7, v5, v4
	v_cndmask_b32_e64 v4, v4, v6, s[6:7]
	global_store_dword v[0:1], v4, off offset:256
	s_and_b64 exec, exec, s[2:3]
	s_cbranch_execz .LBB500_14
; %bb.12:
	v_div_scale_f32 v4, s[2:3], v5, v5, v3
	v_rcp_f32_e32 v6, v4
	v_div_scale_f32 v7, vcc, v3, v5, v3
	v_fma_f32 v8, -v4, v6, 1.0
	v_fmac_f32_e32 v6, v8, v6
	v_mul_f32_e32 v8, v7, v6
	v_fma_f32 v9, -v4, v8, v7
	v_fmac_f32_e32 v8, v9, v6
	v_fma_f32 v4, -v4, v8, v7
	v_div_fmas_f32 v4, v4, v6, v8
	v_div_fixup_f32 v4, v4, v5, v3
	v_mov_b32_e32 v3, 0x7fc00000
	v_cndmask_b32_e64 v4, v4, v3, s[6:7]
	global_store_dword v[0:1], v4, off offset:512
	s_and_b64 exec, exec, s[0:1]
	s_cbranch_execz .LBB500_14
; %bb.13:
	v_div_scale_f32 v4, s[0:1], v5, v5, v2
	v_rcp_f32_e32 v6, v4
	v_div_scale_f32 v7, vcc, v2, v5, v2
	v_fma_f32 v8, -v4, v6, 1.0
	v_fmac_f32_e32 v6, v8, v6
	v_mul_f32_e32 v8, v7, v6
	v_fma_f32 v9, -v4, v8, v7
	v_fmac_f32_e32 v8, v9, v6
	v_fma_f32 v4, -v4, v8, v7
	v_div_fmas_f32 v4, v4, v6, v8
	v_div_fixup_f32 v2, v4, v5, v2
	v_cndmask_b32_e64 v2, v2, v3, s[6:7]
	global_store_dword v[0:1], v2, off offset:768
.LBB500_14:
	s_endpgm
	.section	.rodata,"a",@progbits
	.p2align	6, 0x0
	.amdhsa_kernel _ZN12_GLOBAL__N_120softmax_warp_forwardIN3c108BFloat16EffLi8ELb0ELb0ELi64EEEvPT0_PKT_iiiPKbib
		.amdhsa_group_segment_fixed_size 0
		.amdhsa_private_segment_fixed_size 0
		.amdhsa_kernarg_size 304
		.amdhsa_user_sgpr_count 6
		.amdhsa_user_sgpr_private_segment_buffer 1
		.amdhsa_user_sgpr_dispatch_ptr 0
		.amdhsa_user_sgpr_queue_ptr 0
		.amdhsa_user_sgpr_kernarg_segment_ptr 1
		.amdhsa_user_sgpr_dispatch_id 0
		.amdhsa_user_sgpr_flat_scratch_init 0
		.amdhsa_user_sgpr_kernarg_preload_length 0
		.amdhsa_user_sgpr_kernarg_preload_offset 0
		.amdhsa_user_sgpr_private_segment_size 0
		.amdhsa_uses_dynamic_stack 0
		.amdhsa_system_sgpr_private_segment_wavefront_offset 0
		.amdhsa_system_sgpr_workgroup_id_x 1
		.amdhsa_system_sgpr_workgroup_id_y 0
		.amdhsa_system_sgpr_workgroup_id_z 0
		.amdhsa_system_sgpr_workgroup_info 0
		.amdhsa_system_vgpr_workitem_id 1
		.amdhsa_next_free_vgpr 19
		.amdhsa_next_free_sgpr 16
		.amdhsa_accum_offset 20
		.amdhsa_reserve_vcc 1
		.amdhsa_reserve_flat_scratch 0
		.amdhsa_float_round_mode_32 0
		.amdhsa_float_round_mode_16_64 0
		.amdhsa_float_denorm_mode_32 3
		.amdhsa_float_denorm_mode_16_64 3
		.amdhsa_dx10_clamp 1
		.amdhsa_ieee_mode 1
		.amdhsa_fp16_overflow 0
		.amdhsa_tg_split 0
		.amdhsa_exception_fp_ieee_invalid_op 0
		.amdhsa_exception_fp_denorm_src 0
		.amdhsa_exception_fp_ieee_div_zero 0
		.amdhsa_exception_fp_ieee_overflow 0
		.amdhsa_exception_fp_ieee_underflow 0
		.amdhsa_exception_fp_ieee_inexact 0
		.amdhsa_exception_int_div_zero 0
	.end_amdhsa_kernel
	.section	.text._ZN12_GLOBAL__N_120softmax_warp_forwardIN3c108BFloat16EffLi8ELb0ELb0ELi64EEEvPT0_PKT_iiiPKbib,"axG",@progbits,_ZN12_GLOBAL__N_120softmax_warp_forwardIN3c108BFloat16EffLi8ELb0ELb0ELi64EEEvPT0_PKT_iiiPKbib,comdat
.Lfunc_end500:
	.size	_ZN12_GLOBAL__N_120softmax_warp_forwardIN3c108BFloat16EffLi8ELb0ELb0ELi64EEEvPT0_PKT_iiiPKbib, .Lfunc_end500-_ZN12_GLOBAL__N_120softmax_warp_forwardIN3c108BFloat16EffLi8ELb0ELb0ELi64EEEvPT0_PKT_iiiPKbib
                                        ; -- End function
	.section	.AMDGPU.csdata,"",@progbits
; Kernel info:
; codeLenInByte = 1624
; NumSgprs: 20
; NumVgprs: 19
; NumAgprs: 0
; TotalNumVgprs: 19
; ScratchSize: 0
; MemoryBound: 0
; FloatMode: 240
; IeeeMode: 1
; LDSByteSize: 0 bytes/workgroup (compile time only)
; SGPRBlocks: 2
; VGPRBlocks: 2
; NumSGPRsForWavesPerEU: 20
; NumVGPRsForWavesPerEU: 19
; AccumOffset: 20
; Occupancy: 8
; WaveLimiterHint : 0
; COMPUTE_PGM_RSRC2:SCRATCH_EN: 0
; COMPUTE_PGM_RSRC2:USER_SGPR: 6
; COMPUTE_PGM_RSRC2:TRAP_HANDLER: 0
; COMPUTE_PGM_RSRC2:TGID_X_EN: 1
; COMPUTE_PGM_RSRC2:TGID_Y_EN: 0
; COMPUTE_PGM_RSRC2:TGID_Z_EN: 0
; COMPUTE_PGM_RSRC2:TIDIG_COMP_CNT: 1
; COMPUTE_PGM_RSRC3_GFX90A:ACCUM_OFFSET: 4
; COMPUTE_PGM_RSRC3_GFX90A:TG_SPLIT: 0
	.section	.text._ZN12_GLOBAL__N_120softmax_warp_forwardIN3c108BFloat16EffLi8ELb0ELb0ELi32EEEvPT0_PKT_iiiPKbib,"axG",@progbits,_ZN12_GLOBAL__N_120softmax_warp_forwardIN3c108BFloat16EffLi8ELb0ELb0ELi32EEEvPT0_PKT_iiiPKbib,comdat
	.globl	_ZN12_GLOBAL__N_120softmax_warp_forwardIN3c108BFloat16EffLi8ELb0ELb0ELi32EEEvPT0_PKT_iiiPKbib ; -- Begin function _ZN12_GLOBAL__N_120softmax_warp_forwardIN3c108BFloat16EffLi8ELb0ELb0ELi32EEEvPT0_PKT_iiiPKbib
	.p2align	8
	.type	_ZN12_GLOBAL__N_120softmax_warp_forwardIN3c108BFloat16EffLi8ELb0ELb0ELi32EEEvPT0_PKT_iiiPKbib,@function
_ZN12_GLOBAL__N_120softmax_warp_forwardIN3c108BFloat16EffLi8ELb0ELb0ELi32EEEvPT0_PKT_iiiPKbib: ; @_ZN12_GLOBAL__N_120softmax_warp_forwardIN3c108BFloat16EffLi8ELb0ELb0ELi32EEEvPT0_PKT_iiiPKbib
; %bb.0:
	s_load_dword s0, s[4:5], 0x3c
	s_load_dwordx8 s[16:23], s[4:5], 0x0
	v_bfe_u32 v1, v0, 10, 10
	v_and_b32_e32 v4, 0x3ff, v0
	v_mov_b32_e32 v9, 0xff800000
	s_waitcnt lgkmcnt(0)
	s_lshr_b32 s0, s0, 16
	s_mul_i32 s6, s6, s0
	v_add_u32_e32 v1, s6, v1
	v_sub_u32_e32 v5, s20, v1
	v_mad_u64_u32 v[0:1], s[0:1], v1, s21, v[4:5]
	v_ashrrev_i32_e32 v1, 31, v0
	v_lshlrev_b64 v[2:3], 1, v[0:1]
	v_mov_b32_e32 v6, s19
	v_add_co_u32_e32 v2, vcc, s18, v2
	v_addc_co_u32_e32 v3, vcc, v6, v3, vcc
	v_cmp_lt_i32_e64 s[14:15], 0, v5
	v_cmp_gt_i32_e32 vcc, s22, v4
	s_and_b64 s[2:3], s[14:15], vcc
	v_mov_b32_e32 v13, 0xff800000
	s_and_saveexec_b64 s[0:1], s[2:3]
	s_cbranch_execz .LBB501_2
; %bb.1:
	global_load_ushort v6, v[2:3], off
	s_waitcnt vmcnt(0)
	v_lshlrev_b32_e32 v13, 16, v6
.LBB501_2:
	s_or_b64 exec, exec, s[0:1]
	v_add_u32_e32 v6, 32, v4
	v_cmp_gt_i32_e64 s[12:13], s22, v6
	s_and_b64 s[2:3], s[14:15], s[12:13]
	s_and_saveexec_b64 s[0:1], s[2:3]
	s_cbranch_execz .LBB501_4
; %bb.3:
	global_load_ushort v6, v[2:3], off offset:64
	s_waitcnt vmcnt(0)
	v_lshlrev_b32_e32 v9, 16, v6
.LBB501_4:
	s_or_b64 exec, exec, s[0:1]
	v_add_u32_e32 v6, 64, v4
	v_cmp_gt_i32_e64 s[10:11], s22, v6
	s_and_b64 s[2:3], s[14:15], s[10:11]
	v_mov_b32_e32 v8, 0xff800000
	v_mov_b32_e32 v12, 0xff800000
	s_and_saveexec_b64 s[0:1], s[2:3]
	s_cbranch_execz .LBB501_6
; %bb.5:
	global_load_ushort v6, v[2:3], off offset:128
	s_waitcnt vmcnt(0)
	v_lshlrev_b32_e32 v12, 16, v6
.LBB501_6:
	s_or_b64 exec, exec, s[0:1]
	v_add_u32_e32 v6, 0x60, v4
	v_cmp_gt_i32_e64 s[8:9], s22, v6
	s_and_b64 s[2:3], s[14:15], s[8:9]
	s_and_saveexec_b64 s[0:1], s[2:3]
	s_cbranch_execz .LBB501_8
; %bb.7:
	global_load_ushort v6, v[2:3], off offset:192
	s_waitcnt vmcnt(0)
	v_lshlrev_b32_e32 v8, 16, v6
.LBB501_8:
	s_or_b64 exec, exec, s[0:1]
	v_add_u32_e32 v6, 0x80, v4
	v_cmp_gt_i32_e64 s[6:7], s22, v6
	s_and_b64 s[2:3], s[14:15], s[6:7]
	v_mov_b32_e32 v7, 0xff800000
	v_mov_b32_e32 v11, 0xff800000
	s_and_saveexec_b64 s[0:1], s[2:3]
	s_cbranch_execz .LBB501_10
; %bb.9:
	global_load_ushort v6, v[2:3], off offset:256
	s_waitcnt vmcnt(0)
	v_lshlrev_b32_e32 v11, 16, v6
.LBB501_10:
	;; [unrolled: 24-line block ×3, first 2 shown]
	s_or_b64 exec, exec, s[0:1]
	v_add_u32_e32 v4, 0xe0, v4
	v_cmp_gt_i32_e64 s[0:1], s22, v4
	s_and_b64 s[18:19], s[14:15], s[0:1]
	s_and_saveexec_b64 s[14:15], s[18:19]
	s_cbranch_execz .LBB501_16
; %bb.15:
	global_load_ushort v2, v[2:3], off offset:448
	s_waitcnt vmcnt(0)
	v_lshlrev_b32_e32 v6, 16, v2
.LBB501_16:
	s_or_b64 exec, exec, s[14:15]
	v_cmp_gt_f32_e64 s[14:15], v13, v9
	v_cndmask_b32_e64 v2, v9, v13, s[14:15]
	v_cmp_gt_f32_e64 s[14:15], v2, v12
	v_cndmask_b32_e64 v2, v12, v2, s[14:15]
	;; [unrolled: 2-line block ×5, first 2 shown]
	v_mbcnt_lo_u32_b32 v3, -1, 0
	v_cmp_gt_f32_e64 s[14:15], v2, v10
	v_mbcnt_hi_u32_b32 v3, -1, v3
	v_cndmask_b32_e64 v2, v10, v2, s[14:15]
	v_and_b32_e32 v4, 0x60, v3
	v_cmp_gt_f32_e64 s[14:15], v2, v6
	v_add_u32_e32 v4, 32, v4
	v_xor_b32_e32 v14, 16, v3
	v_cndmask_b32_e64 v2, v6, v2, s[14:15]
	v_cmp_lt_i32_e64 s[14:15], v14, v4
	v_cndmask_b32_e64 v14, v3, v14, s[14:15]
	v_lshlrev_b32_e32 v14, 2, v14
	ds_bpermute_b32 v15, v14, v2
	s_mov_b32 s18, 0x3fb8aa3b
	s_mov_b32 s19, 0xc2ce8ed0
	;; [unrolled: 1-line block ×3, first 2 shown]
	v_mov_b32_e32 v21, 0x7f800000
	s_waitcnt lgkmcnt(0)
	v_cmp_lt_f32_e64 s[14:15], v2, v15
	v_cndmask_b32_e64 v2, v2, v15, s[14:15]
	v_xor_b32_e32 v15, 8, v3
	v_cmp_lt_i32_e64 s[14:15], v15, v4
	v_cndmask_b32_e64 v15, v3, v15, s[14:15]
	v_lshlrev_b32_e32 v15, 2, v15
	ds_bpermute_b32 v16, v15, v2
	s_waitcnt lgkmcnt(0)
	v_cmp_lt_f32_e64 s[14:15], v2, v16
	v_cndmask_b32_e64 v2, v2, v16, s[14:15]
	v_xor_b32_e32 v16, 4, v3
	v_cmp_lt_i32_e64 s[14:15], v16, v4
	v_cndmask_b32_e64 v16, v3, v16, s[14:15]
	v_lshlrev_b32_e32 v16, 2, v16
	ds_bpermute_b32 v17, v16, v2
	;; [unrolled: 8-line block ×4, first 2 shown]
	s_waitcnt lgkmcnt(0)
	v_cmp_lt_f32_e64 s[14:15], v2, v3
	v_cndmask_b32_e64 v2, v2, v3, s[14:15]
	v_sub_f32_e32 v3, v13, v2
	v_mul_f32_e32 v4, 0x3fb8aa3b, v3
	v_fma_f32 v13, v3, s18, -v4
	v_rndne_f32_e32 v19, v4
	v_fmac_f32_e32 v13, 0x32a5705f, v3
	v_sub_f32_e32 v4, v4, v19
	v_add_f32_e32 v4, v4, v13
	v_exp_f32_e32 v4, v4
	v_cvt_i32_f32_e32 v13, v19
	v_sub_f32_e32 v9, v9, v2
	v_cmp_ngt_f32_e64 s[14:15], s19, v3
	v_sub_f32_e32 v8, v8, v2
	v_ldexp_f32 v4, v4, v13
	v_mul_f32_e32 v13, 0x3fb8aa3b, v9
	v_fma_f32 v19, v9, s18, -v13
	v_rndne_f32_e32 v20, v13
	v_fmac_f32_e32 v19, 0x32a5705f, v9
	v_sub_f32_e32 v13, v13, v20
	v_add_f32_e32 v13, v13, v19
	v_exp_f32_e32 v19, v13
	v_cvt_i32_f32_e32 v20, v20
	v_cndmask_b32_e64 v4, 0, v4, s[14:15]
	v_cmp_nlt_f32_e64 s[14:15], s20, v3
	v_cndmask_b32_e64 v13, v21, v4, s[14:15]
	v_sub_f32_e32 v4, v12, v2
	v_mul_f32_e32 v12, 0x3fb8aa3b, v4
	v_ldexp_f32 v3, v19, v20
	v_fma_f32 v19, v4, s18, -v12
	v_rndne_f32_e32 v20, v12
	v_fmac_f32_e32 v19, 0x32a5705f, v4
	v_sub_f32_e32 v12, v12, v20
	v_add_f32_e32 v12, v12, v19
	v_exp_f32_e32 v19, v12
	v_cvt_i32_f32_e32 v20, v20
	v_cmp_ngt_f32_e64 s[14:15], s19, v9
	v_cndmask_b32_e64 v3, 0, v3, s[14:15]
	v_cmp_nlt_f32_e64 s[14:15], s20, v9
	v_ldexp_f32 v9, v19, v20
	v_mul_f32_e32 v19, 0x3fb8aa3b, v8
	v_fma_f32 v20, v8, s18, -v19
	v_rndne_f32_e32 v22, v19
	v_fmac_f32_e32 v20, 0x32a5705f, v8
	v_sub_f32_e32 v19, v19, v22
	v_add_f32_e32 v19, v19, v20
	v_exp_f32_e32 v19, v19
	v_cvt_i32_f32_e32 v20, v22
	v_cndmask_b32_e64 v12, v21, v3, s[14:15]
	v_cmp_ngt_f32_e64 s[14:15], s19, v4
	v_sub_f32_e32 v11, v11, v2
	v_cndmask_b32_e64 v9, 0, v9, s[14:15]
	v_cmp_nlt_f32_e64 s[14:15], s20, v4
	v_ldexp_f32 v4, v19, v20
	v_mul_f32_e32 v19, 0x3fb8aa3b, v11
	v_fma_f32 v20, v11, s18, -v19
	v_rndne_f32_e32 v22, v19
	v_fmac_f32_e32 v20, 0x32a5705f, v11
	v_sub_f32_e32 v19, v19, v22
	v_add_f32_e32 v19, v19, v20
	v_exp_f32_e32 v19, v19
	v_cvt_i32_f32_e32 v20, v22
	v_cndmask_b32_e64 v9, v21, v9, s[14:15]
	v_cmp_ngt_f32_e64 s[14:15], s19, v8
	v_cndmask_b32_e64 v4, 0, v4, s[14:15]
	v_cmp_nlt_f32_e64 s[14:15], s20, v8
	v_cndmask_b32_e64 v8, v21, v4, s[14:15]
	v_ldexp_f32 v4, v19, v20
	v_sub_f32_e32 v19, v7, v2
	v_mul_f32_e32 v7, 0x3fb8aa3b, v19
	v_fma_f32 v20, v19, s18, -v7
	v_rndne_f32_e32 v22, v7
	v_fmac_f32_e32 v20, 0x32a5705f, v19
	v_sub_f32_e32 v7, v7, v22
	v_add_f32_e32 v7, v7, v20
	v_exp_f32_e32 v20, v7
	v_cvt_i32_f32_e32 v22, v22
	v_cmp_ngt_f32_e64 s[14:15], s19, v11
	v_sub_f32_e32 v10, v10, v2
	v_cndmask_b32_e64 v4, 0, v4, s[14:15]
	v_cmp_nlt_f32_e64 s[14:15], s20, v11
	v_mul_f32_e32 v11, 0x3fb8aa3b, v10
	v_cndmask_b32_e64 v7, v21, v4, s[14:15]
	v_ldexp_f32 v4, v20, v22
	v_fma_f32 v20, v10, s18, -v11
	v_rndne_f32_e32 v22, v11
	v_fmac_f32_e32 v20, 0x32a5705f, v10
	v_sub_f32_e32 v11, v11, v22
	v_add_f32_e32 v11, v11, v20
	v_add_f32_e32 v3, v13, v12
	v_exp_f32_e32 v11, v11
	v_cvt_i32_f32_e32 v20, v22
	v_add_f32_e32 v3, v3, v9
	v_cmp_ngt_f32_e64 s[14:15], s19, v19
	v_add_f32_e32 v3, v3, v8
	v_cndmask_b32_e64 v4, 0, v4, s[14:15]
	v_cmp_nlt_f32_e64 s[14:15], s20, v19
	v_sub_f32_e32 v2, v6, v2
	v_add_f32_e32 v3, v3, v7
	v_cndmask_b32_e64 v4, v21, v4, s[14:15]
	v_mul_f32_e32 v6, 0x3fb8aa3b, v2
	v_add_f32_e32 v19, v3, v4
	v_ldexp_f32 v3, v11, v20
	v_fma_f32 v11, v2, s18, -v6
	v_rndne_f32_e32 v20, v6
	v_fmac_f32_e32 v11, 0x32a5705f, v2
	v_sub_f32_e32 v6, v6, v20
	v_add_f32_e32 v6, v6, v11
	v_exp_f32_e32 v6, v6
	v_cvt_i32_f32_e32 v11, v20
	v_cmp_ngt_f32_e64 s[14:15], s19, v10
	v_cndmask_b32_e64 v3, 0, v3, s[14:15]
	v_cmp_nlt_f32_e64 s[14:15], s20, v10
	v_cndmask_b32_e64 v3, v21, v3, s[14:15]
	v_ldexp_f32 v6, v6, v11
	v_cmp_ngt_f32_e64 s[14:15], s19, v2
	v_cndmask_b32_e64 v6, 0, v6, s[14:15]
	v_cmp_nlt_f32_e64 s[14:15], s20, v2
	v_add_f32_e32 v10, v19, v3
	v_cndmask_b32_e64 v2, v21, v6, s[14:15]
	v_add_f32_e32 v6, v10, v2
	ds_bpermute_b32 v10, v14, v6
	v_cmp_lt_i32_e64 s[14:15], 0, v5
	s_waitcnt lgkmcnt(0)
	v_add_f32_e32 v6, v6, v10
	ds_bpermute_b32 v10, v15, v6
	s_waitcnt lgkmcnt(0)
	v_add_f32_e32 v6, v6, v10
	ds_bpermute_b32 v10, v16, v6
	;; [unrolled: 3-line block ×4, first 2 shown]
	s_and_saveexec_b64 s[18:19], s[14:15]
	s_cbranch_execz .LBB501_26
; %bb.17:
	s_and_b64 exec, exec, vcc
	s_cbranch_execz .LBB501_26
; %bb.18:
	s_waitcnt lgkmcnt(0)
	v_add_f32_e32 v5, v6, v10
	v_div_scale_f32 v10, s[14:15], v5, v5, v13
	v_rcp_f32_e32 v11, v10
	v_lshlrev_b64 v[0:1], 2, v[0:1]
	v_mov_b32_e32 v6, s17
	v_add_co_u32_e32 v0, vcc, s16, v0
	v_addc_co_u32_e32 v1, vcc, v6, v1, vcc
	v_fma_f32 v6, -v10, v11, 1.0
	v_fmac_f32_e32 v11, v6, v11
	v_div_scale_f32 v6, vcc, v13, v5, v13
	v_mul_f32_e32 v14, v6, v11
	v_fma_f32 v15, -v10, v14, v6
	v_fmac_f32_e32 v14, v15, v11
	v_fma_f32 v6, -v10, v14, v6
	v_div_fmas_f32 v6, v6, v11, v14
	v_div_fixup_f32 v10, v6, v5, v13
	v_mov_b32_e32 v6, 0x7fc00000
	v_cmp_eq_f32_e64 s[14:15], 0, v5
	v_cndmask_b32_e64 v10, v10, v6, s[14:15]
	global_store_dword v[0:1], v10, off
	s_and_b64 exec, exec, s[12:13]
	s_cbranch_execz .LBB501_26
; %bb.19:
	v_div_scale_f32 v10, s[12:13], v5, v5, v12
	v_rcp_f32_e32 v11, v10
	v_div_scale_f32 v13, vcc, v12, v5, v12
	v_fma_f32 v14, -v10, v11, 1.0
	v_fmac_f32_e32 v11, v14, v11
	v_mul_f32_e32 v14, v13, v11
	v_fma_f32 v15, -v10, v14, v13
	v_fmac_f32_e32 v14, v15, v11
	v_fma_f32 v10, -v10, v14, v13
	v_div_fmas_f32 v10, v10, v11, v14
	v_div_fixup_f32 v10, v10, v5, v12
	v_cndmask_b32_e64 v6, v10, v6, s[14:15]
	global_store_dword v[0:1], v6, off offset:128
	s_and_b64 exec, exec, s[10:11]
	s_cbranch_execz .LBB501_26
; %bb.20:
	v_div_scale_f32 v6, s[10:11], v5, v5, v9
	v_rcp_f32_e32 v10, v6
	v_div_scale_f32 v11, vcc, v9, v5, v9
	v_fma_f32 v12, -v6, v10, 1.0
	v_fmac_f32_e32 v10, v12, v10
	v_mul_f32_e32 v12, v11, v10
	v_fma_f32 v13, -v6, v12, v11
	v_fmac_f32_e32 v12, v13, v10
	v_fma_f32 v6, -v6, v12, v11
	v_div_fmas_f32 v6, v6, v10, v12
	v_div_fixup_f32 v9, v6, v5, v9
	v_mov_b32_e32 v6, 0x7fc00000
	v_cndmask_b32_e64 v9, v9, v6, s[14:15]
	global_store_dword v[0:1], v9, off offset:256
	s_and_b64 exec, exec, s[8:9]
	s_cbranch_execz .LBB501_26
; %bb.21:
	v_div_scale_f32 v9, s[8:9], v5, v5, v8
	v_rcp_f32_e32 v10, v9
	v_div_scale_f32 v11, vcc, v8, v5, v8
	v_fma_f32 v12, -v9, v10, 1.0
	v_fmac_f32_e32 v10, v12, v10
	v_mul_f32_e32 v12, v11, v10
	v_fma_f32 v13, -v9, v12, v11
	v_fmac_f32_e32 v12, v13, v10
	v_fma_f32 v9, -v9, v12, v11
	v_div_fmas_f32 v9, v9, v10, v12
	v_div_fixup_f32 v8, v9, v5, v8
	v_cndmask_b32_e64 v6, v8, v6, s[14:15]
	global_store_dword v[0:1], v6, off offset:384
	s_and_b64 exec, exec, s[6:7]
	s_cbranch_execz .LBB501_26
; %bb.22:
	v_div_scale_f32 v6, s[6:7], v5, v5, v7
	v_rcp_f32_e32 v8, v6
	v_div_scale_f32 v9, vcc, v7, v5, v7
	v_fma_f32 v10, -v6, v8, 1.0
	v_fmac_f32_e32 v8, v10, v8
	v_mul_f32_e32 v10, v9, v8
	v_fma_f32 v11, -v6, v10, v9
	v_fmac_f32_e32 v10, v11, v8
	v_fma_f32 v6, -v6, v10, v9
	v_div_fmas_f32 v6, v6, v8, v10
	v_div_fixup_f32 v7, v6, v5, v7
	v_mov_b32_e32 v6, 0x7fc00000
	v_cndmask_b32_e64 v7, v7, v6, s[14:15]
	global_store_dword v[0:1], v7, off offset:512
	;; [unrolled: 33-line block ×3, first 2 shown]
	s_and_b64 exec, exec, s[0:1]
	s_cbranch_execz .LBB501_26
; %bb.25:
	v_div_scale_f32 v4, s[0:1], v5, v5, v2
	v_rcp_f32_e32 v6, v4
	v_div_scale_f32 v7, vcc, v2, v5, v2
	v_fma_f32 v8, -v4, v6, 1.0
	v_fmac_f32_e32 v6, v8, v6
	v_mul_f32_e32 v8, v7, v6
	v_fma_f32 v9, -v4, v8, v7
	v_fmac_f32_e32 v8, v9, v6
	v_fma_f32 v4, -v4, v8, v7
	v_div_fmas_f32 v4, v4, v6, v8
	v_div_fixup_f32 v2, v4, v5, v2
	v_cndmask_b32_e64 v2, v2, v3, s[14:15]
	global_store_dword v[0:1], v2, off offset:896
.LBB501_26:
	s_endpgm
	.section	.rodata,"a",@progbits
	.p2align	6, 0x0
	.amdhsa_kernel _ZN12_GLOBAL__N_120softmax_warp_forwardIN3c108BFloat16EffLi8ELb0ELb0ELi32EEEvPT0_PKT_iiiPKbib
		.amdhsa_group_segment_fixed_size 0
		.amdhsa_private_segment_fixed_size 0
		.amdhsa_kernarg_size 304
		.amdhsa_user_sgpr_count 6
		.amdhsa_user_sgpr_private_segment_buffer 1
		.amdhsa_user_sgpr_dispatch_ptr 0
		.amdhsa_user_sgpr_queue_ptr 0
		.amdhsa_user_sgpr_kernarg_segment_ptr 1
		.amdhsa_user_sgpr_dispatch_id 0
		.amdhsa_user_sgpr_flat_scratch_init 0
		.amdhsa_user_sgpr_kernarg_preload_length 0
		.amdhsa_user_sgpr_kernarg_preload_offset 0
		.amdhsa_user_sgpr_private_segment_size 0
		.amdhsa_uses_dynamic_stack 0
		.amdhsa_system_sgpr_private_segment_wavefront_offset 0
		.amdhsa_system_sgpr_workgroup_id_x 1
		.amdhsa_system_sgpr_workgroup_id_y 0
		.amdhsa_system_sgpr_workgroup_id_z 0
		.amdhsa_system_sgpr_workgroup_info 0
		.amdhsa_system_vgpr_workitem_id 1
		.amdhsa_next_free_vgpr 23
		.amdhsa_next_free_sgpr 24
		.amdhsa_accum_offset 24
		.amdhsa_reserve_vcc 1
		.amdhsa_reserve_flat_scratch 0
		.amdhsa_float_round_mode_32 0
		.amdhsa_float_round_mode_16_64 0
		.amdhsa_float_denorm_mode_32 3
		.amdhsa_float_denorm_mode_16_64 3
		.amdhsa_dx10_clamp 1
		.amdhsa_ieee_mode 1
		.amdhsa_fp16_overflow 0
		.amdhsa_tg_split 0
		.amdhsa_exception_fp_ieee_invalid_op 0
		.amdhsa_exception_fp_denorm_src 0
		.amdhsa_exception_fp_ieee_div_zero 0
		.amdhsa_exception_fp_ieee_overflow 0
		.amdhsa_exception_fp_ieee_underflow 0
		.amdhsa_exception_fp_ieee_inexact 0
		.amdhsa_exception_int_div_zero 0
	.end_amdhsa_kernel
	.section	.text._ZN12_GLOBAL__N_120softmax_warp_forwardIN3c108BFloat16EffLi8ELb0ELb0ELi32EEEvPT0_PKT_iiiPKbib,"axG",@progbits,_ZN12_GLOBAL__N_120softmax_warp_forwardIN3c108BFloat16EffLi8ELb0ELb0ELi32EEEvPT0_PKT_iiiPKbib,comdat
.Lfunc_end501:
	.size	_ZN12_GLOBAL__N_120softmax_warp_forwardIN3c108BFloat16EffLi8ELb0ELb0ELi32EEEvPT0_PKT_iiiPKbib, .Lfunc_end501-_ZN12_GLOBAL__N_120softmax_warp_forwardIN3c108BFloat16EffLi8ELb0ELb0ELi32EEEvPT0_PKT_iiiPKbib
                                        ; -- End function
	.section	.AMDGPU.csdata,"",@progbits
; Kernel info:
; codeLenInByte = 2612
; NumSgprs: 28
; NumVgprs: 23
; NumAgprs: 0
; TotalNumVgprs: 23
; ScratchSize: 0
; MemoryBound: 0
; FloatMode: 240
; IeeeMode: 1
; LDSByteSize: 0 bytes/workgroup (compile time only)
; SGPRBlocks: 3
; VGPRBlocks: 2
; NumSGPRsForWavesPerEU: 28
; NumVGPRsForWavesPerEU: 23
; AccumOffset: 24
; Occupancy: 8
; WaveLimiterHint : 0
; COMPUTE_PGM_RSRC2:SCRATCH_EN: 0
; COMPUTE_PGM_RSRC2:USER_SGPR: 6
; COMPUTE_PGM_RSRC2:TRAP_HANDLER: 0
; COMPUTE_PGM_RSRC2:TGID_X_EN: 1
; COMPUTE_PGM_RSRC2:TGID_Y_EN: 0
; COMPUTE_PGM_RSRC2:TGID_Z_EN: 0
; COMPUTE_PGM_RSRC2:TIDIG_COMP_CNT: 1
; COMPUTE_PGM_RSRC3_GFX90A:ACCUM_OFFSET: 5
; COMPUTE_PGM_RSRC3_GFX90A:TG_SPLIT: 0
	.section	.text._ZN12_GLOBAL__N_120softmax_warp_forwardIN3c108BFloat16EffLi9ELb0ELb0ELi64EEEvPT0_PKT_iiiPKbib,"axG",@progbits,_ZN12_GLOBAL__N_120softmax_warp_forwardIN3c108BFloat16EffLi9ELb0ELb0ELi64EEEvPT0_PKT_iiiPKbib,comdat
	.globl	_ZN12_GLOBAL__N_120softmax_warp_forwardIN3c108BFloat16EffLi9ELb0ELb0ELi64EEEvPT0_PKT_iiiPKbib ; -- Begin function _ZN12_GLOBAL__N_120softmax_warp_forwardIN3c108BFloat16EffLi9ELb0ELb0ELi64EEEvPT0_PKT_iiiPKbib
	.p2align	8
	.type	_ZN12_GLOBAL__N_120softmax_warp_forwardIN3c108BFloat16EffLi9ELb0ELb0ELi64EEEvPT0_PKT_iiiPKbib,@function
_ZN12_GLOBAL__N_120softmax_warp_forwardIN3c108BFloat16EffLi9ELb0ELb0ELi64EEEvPT0_PKT_iiiPKbib: ; @_ZN12_GLOBAL__N_120softmax_warp_forwardIN3c108BFloat16EffLi9ELb0ELb0ELi64EEEvPT0_PKT_iiiPKbib
; %bb.0:
	s_load_dword s0, s[4:5], 0x3c
	s_load_dwordx8 s[16:23], s[4:5], 0x0
	v_bfe_u32 v1, v0, 10, 10
	v_and_b32_e32 v4, 0x3ff, v0
	v_mov_b32_e32 v9, 0xff800000
	s_waitcnt lgkmcnt(0)
	s_lshr_b32 s0, s0, 16
	s_mul_i32 s6, s6, s0
	v_add_u32_e32 v1, s6, v1
	v_sub_u32_e32 v5, s20, v1
	v_mad_u64_u32 v[0:1], s[0:1], v1, s21, v[4:5]
	v_ashrrev_i32_e32 v1, 31, v0
	v_lshlrev_b64 v[2:3], 1, v[0:1]
	v_mov_b32_e32 v6, s19
	v_add_co_u32_e32 v2, vcc, s18, v2
	v_addc_co_u32_e32 v3, vcc, v6, v3, vcc
	v_cmp_lt_i32_e64 s[14:15], 0, v5
	v_cmp_gt_i32_e32 vcc, s22, v4
	s_and_b64 s[2:3], s[14:15], vcc
	v_mov_b32_e32 v13, 0xff800000
	s_and_saveexec_b64 s[0:1], s[2:3]
	s_cbranch_execz .LBB502_2
; %bb.1:
	global_load_ushort v6, v[2:3], off
	s_waitcnt vmcnt(0)
	v_lshlrev_b32_e32 v13, 16, v6
.LBB502_2:
	s_or_b64 exec, exec, s[0:1]
	v_add_u32_e32 v6, 64, v4
	v_cmp_gt_i32_e64 s[12:13], s22, v6
	s_and_b64 s[2:3], s[14:15], s[12:13]
	s_and_saveexec_b64 s[0:1], s[2:3]
	s_cbranch_execz .LBB502_4
; %bb.3:
	global_load_ushort v6, v[2:3], off offset:128
	s_waitcnt vmcnt(0)
	v_lshlrev_b32_e32 v9, 16, v6
.LBB502_4:
	s_or_b64 exec, exec, s[0:1]
	v_add_u32_e32 v6, 0x80, v4
	v_cmp_gt_i32_e64 s[10:11], s22, v6
	s_and_b64 s[2:3], s[14:15], s[10:11]
	v_mov_b32_e32 v8, 0xff800000
	v_mov_b32_e32 v12, 0xff800000
	s_and_saveexec_b64 s[0:1], s[2:3]
	s_cbranch_execz .LBB502_6
; %bb.5:
	global_load_ushort v6, v[2:3], off offset:256
	s_waitcnt vmcnt(0)
	v_lshlrev_b32_e32 v12, 16, v6
.LBB502_6:
	s_or_b64 exec, exec, s[0:1]
	v_add_u32_e32 v6, 0xc0, v4
	v_cmp_gt_i32_e64 s[8:9], s22, v6
	s_and_b64 s[2:3], s[14:15], s[8:9]
	s_and_saveexec_b64 s[0:1], s[2:3]
	s_cbranch_execz .LBB502_8
; %bb.7:
	global_load_ushort v6, v[2:3], off offset:384
	s_waitcnt vmcnt(0)
	v_lshlrev_b32_e32 v8, 16, v6
.LBB502_8:
	s_or_b64 exec, exec, s[0:1]
	v_add_u32_e32 v6, 0x100, v4
	v_cmp_gt_i32_e64 s[6:7], s22, v6
	s_and_b64 s[2:3], s[14:15], s[6:7]
	v_mov_b32_e32 v7, 0xff800000
	v_mov_b32_e32 v11, 0xff800000
	s_and_saveexec_b64 s[0:1], s[2:3]
	s_cbranch_execz .LBB502_10
; %bb.9:
	global_load_ushort v6, v[2:3], off offset:512
	s_waitcnt vmcnt(0)
	v_lshlrev_b32_e32 v11, 16, v6
.LBB502_10:
	;; [unrolled: 24-line block ×3, first 2 shown]
	s_or_b64 exec, exec, s[0:1]
	v_add_u32_e32 v4, 0x1c0, v4
	v_cmp_gt_i32_e64 s[0:1], s22, v4
	s_and_b64 s[18:19], s[14:15], s[0:1]
	s_and_saveexec_b64 s[14:15], s[18:19]
	s_cbranch_execz .LBB502_16
; %bb.15:
	global_load_ushort v2, v[2:3], off offset:896
	s_waitcnt vmcnt(0)
	v_lshlrev_b32_e32 v6, 16, v2
.LBB502_16:
	s_or_b64 exec, exec, s[14:15]
	v_cmp_gt_f32_e64 s[14:15], v13, v9
	v_cndmask_b32_e64 v2, v9, v13, s[14:15]
	v_cmp_gt_f32_e64 s[14:15], v2, v12
	v_cndmask_b32_e64 v2, v12, v2, s[14:15]
	;; [unrolled: 2-line block ×5, first 2 shown]
	v_mbcnt_lo_u32_b32 v3, -1, 0
	v_cmp_gt_f32_e64 s[14:15], v2, v10
	v_mbcnt_hi_u32_b32 v3, -1, v3
	v_cndmask_b32_e64 v2, v10, v2, s[14:15]
	v_and_b32_e32 v4, 64, v3
	v_cmp_gt_f32_e64 s[14:15], v2, v6
	v_add_u32_e32 v4, 64, v4
	v_xor_b32_e32 v14, 32, v3
	v_cndmask_b32_e64 v2, v6, v2, s[14:15]
	v_cmp_lt_i32_e64 s[14:15], v14, v4
	v_cndmask_b32_e64 v14, v3, v14, s[14:15]
	v_lshlrev_b32_e32 v14, 2, v14
	ds_bpermute_b32 v15, v14, v2
	s_mov_b32 s18, 0x3fb8aa3b
	s_mov_b32 s19, 0xc2ce8ed0
	s_mov_b32 s20, 0x42b17218
	v_mov_b32_e32 v22, 0x7f800000
	s_waitcnt lgkmcnt(0)
	v_cmp_lt_f32_e64 s[14:15], v2, v15
	v_cndmask_b32_e64 v2, v2, v15, s[14:15]
	v_xor_b32_e32 v15, 16, v3
	v_cmp_lt_i32_e64 s[14:15], v15, v4
	v_cndmask_b32_e64 v15, v3, v15, s[14:15]
	v_lshlrev_b32_e32 v15, 2, v15
	ds_bpermute_b32 v16, v15, v2
	s_waitcnt lgkmcnt(0)
	v_cmp_lt_f32_e64 s[14:15], v2, v16
	v_cndmask_b32_e64 v2, v2, v16, s[14:15]
	v_xor_b32_e32 v16, 8, v3
	v_cmp_lt_i32_e64 s[14:15], v16, v4
	v_cndmask_b32_e64 v16, v3, v16, s[14:15]
	v_lshlrev_b32_e32 v16, 2, v16
	ds_bpermute_b32 v17, v16, v2
	;; [unrolled: 8-line block ×5, first 2 shown]
	s_waitcnt lgkmcnt(0)
	v_cmp_lt_f32_e64 s[14:15], v2, v3
	v_cndmask_b32_e64 v2, v2, v3, s[14:15]
	v_sub_f32_e32 v3, v13, v2
	v_mul_f32_e32 v4, 0x3fb8aa3b, v3
	v_fma_f32 v13, v3, s18, -v4
	v_rndne_f32_e32 v20, v4
	v_fmac_f32_e32 v13, 0x32a5705f, v3
	v_sub_f32_e32 v4, v4, v20
	v_add_f32_e32 v4, v4, v13
	v_exp_f32_e32 v4, v4
	v_cvt_i32_f32_e32 v13, v20
	v_sub_f32_e32 v9, v9, v2
	v_cmp_ngt_f32_e64 s[14:15], s19, v3
	v_sub_f32_e32 v8, v8, v2
	v_ldexp_f32 v4, v4, v13
	v_mul_f32_e32 v13, 0x3fb8aa3b, v9
	v_fma_f32 v20, v9, s18, -v13
	v_rndne_f32_e32 v21, v13
	v_fmac_f32_e32 v20, 0x32a5705f, v9
	v_sub_f32_e32 v13, v13, v21
	v_add_f32_e32 v13, v13, v20
	v_exp_f32_e32 v20, v13
	v_cvt_i32_f32_e32 v21, v21
	v_cndmask_b32_e64 v4, 0, v4, s[14:15]
	v_cmp_nlt_f32_e64 s[14:15], s20, v3
	v_cndmask_b32_e64 v13, v22, v4, s[14:15]
	v_sub_f32_e32 v4, v12, v2
	v_mul_f32_e32 v12, 0x3fb8aa3b, v4
	v_ldexp_f32 v3, v20, v21
	v_fma_f32 v20, v4, s18, -v12
	v_rndne_f32_e32 v21, v12
	v_fmac_f32_e32 v20, 0x32a5705f, v4
	v_sub_f32_e32 v12, v12, v21
	v_add_f32_e32 v12, v12, v20
	v_exp_f32_e32 v20, v12
	v_cvt_i32_f32_e32 v21, v21
	v_cmp_ngt_f32_e64 s[14:15], s19, v9
	v_cndmask_b32_e64 v3, 0, v3, s[14:15]
	v_cmp_nlt_f32_e64 s[14:15], s20, v9
	v_ldexp_f32 v9, v20, v21
	v_mul_f32_e32 v20, 0x3fb8aa3b, v8
	v_fma_f32 v21, v8, s18, -v20
	v_rndne_f32_e32 v23, v20
	v_fmac_f32_e32 v21, 0x32a5705f, v8
	v_sub_f32_e32 v20, v20, v23
	v_add_f32_e32 v20, v20, v21
	v_exp_f32_e32 v20, v20
	v_cvt_i32_f32_e32 v21, v23
	v_cndmask_b32_e64 v12, v22, v3, s[14:15]
	v_cmp_ngt_f32_e64 s[14:15], s19, v4
	v_sub_f32_e32 v11, v11, v2
	v_cndmask_b32_e64 v9, 0, v9, s[14:15]
	v_cmp_nlt_f32_e64 s[14:15], s20, v4
	v_ldexp_f32 v4, v20, v21
	v_mul_f32_e32 v20, 0x3fb8aa3b, v11
	v_fma_f32 v21, v11, s18, -v20
	v_rndne_f32_e32 v23, v20
	v_fmac_f32_e32 v21, 0x32a5705f, v11
	v_sub_f32_e32 v20, v20, v23
	v_add_f32_e32 v20, v20, v21
	v_exp_f32_e32 v20, v20
	v_cvt_i32_f32_e32 v21, v23
	v_cndmask_b32_e64 v9, v22, v9, s[14:15]
	v_cmp_ngt_f32_e64 s[14:15], s19, v8
	v_cndmask_b32_e64 v4, 0, v4, s[14:15]
	v_cmp_nlt_f32_e64 s[14:15], s20, v8
	v_cndmask_b32_e64 v8, v22, v4, s[14:15]
	v_ldexp_f32 v4, v20, v21
	v_sub_f32_e32 v20, v7, v2
	v_mul_f32_e32 v7, 0x3fb8aa3b, v20
	v_fma_f32 v21, v20, s18, -v7
	v_rndne_f32_e32 v23, v7
	v_fmac_f32_e32 v21, 0x32a5705f, v20
	v_sub_f32_e32 v7, v7, v23
	v_add_f32_e32 v7, v7, v21
	v_exp_f32_e32 v21, v7
	v_cvt_i32_f32_e32 v23, v23
	v_cmp_ngt_f32_e64 s[14:15], s19, v11
	v_sub_f32_e32 v10, v10, v2
	v_cndmask_b32_e64 v4, 0, v4, s[14:15]
	v_cmp_nlt_f32_e64 s[14:15], s20, v11
	v_mul_f32_e32 v11, 0x3fb8aa3b, v10
	v_cndmask_b32_e64 v7, v22, v4, s[14:15]
	v_ldexp_f32 v4, v21, v23
	v_fma_f32 v21, v10, s18, -v11
	v_rndne_f32_e32 v23, v11
	v_fmac_f32_e32 v21, 0x32a5705f, v10
	v_sub_f32_e32 v11, v11, v23
	v_add_f32_e32 v11, v11, v21
	v_add_f32_e32 v3, v13, v12
	v_exp_f32_e32 v11, v11
	v_cvt_i32_f32_e32 v21, v23
	v_add_f32_e32 v3, v3, v9
	v_cmp_ngt_f32_e64 s[14:15], s19, v20
	v_add_f32_e32 v3, v3, v8
	v_cndmask_b32_e64 v4, 0, v4, s[14:15]
	v_cmp_nlt_f32_e64 s[14:15], s20, v20
	v_sub_f32_e32 v2, v6, v2
	v_add_f32_e32 v3, v3, v7
	v_cndmask_b32_e64 v4, v22, v4, s[14:15]
	v_mul_f32_e32 v6, 0x3fb8aa3b, v2
	v_add_f32_e32 v20, v3, v4
	v_ldexp_f32 v3, v11, v21
	v_fma_f32 v11, v2, s18, -v6
	v_rndne_f32_e32 v21, v6
	v_fmac_f32_e32 v11, 0x32a5705f, v2
	v_sub_f32_e32 v6, v6, v21
	v_add_f32_e32 v6, v6, v11
	v_exp_f32_e32 v6, v6
	v_cvt_i32_f32_e32 v11, v21
	v_cmp_ngt_f32_e64 s[14:15], s19, v10
	v_cndmask_b32_e64 v3, 0, v3, s[14:15]
	v_cmp_nlt_f32_e64 s[14:15], s20, v10
	v_cndmask_b32_e64 v3, v22, v3, s[14:15]
	v_ldexp_f32 v6, v6, v11
	v_cmp_ngt_f32_e64 s[14:15], s19, v2
	v_cndmask_b32_e64 v6, 0, v6, s[14:15]
	v_cmp_nlt_f32_e64 s[14:15], s20, v2
	v_add_f32_e32 v10, v20, v3
	v_cndmask_b32_e64 v2, v22, v6, s[14:15]
	v_add_f32_e32 v6, v10, v2
	ds_bpermute_b32 v10, v14, v6
	v_cmp_lt_i32_e64 s[14:15], 0, v5
	s_waitcnt lgkmcnt(0)
	v_add_f32_e32 v6, v6, v10
	ds_bpermute_b32 v10, v15, v6
	s_waitcnt lgkmcnt(0)
	v_add_f32_e32 v6, v6, v10
	ds_bpermute_b32 v10, v16, v6
	;; [unrolled: 3-line block ×5, first 2 shown]
	s_and_saveexec_b64 s[18:19], s[14:15]
	s_cbranch_execz .LBB502_26
; %bb.17:
	s_and_b64 exec, exec, vcc
	s_cbranch_execz .LBB502_26
; %bb.18:
	s_waitcnt lgkmcnt(0)
	v_add_f32_e32 v5, v6, v10
	v_div_scale_f32 v10, s[14:15], v5, v5, v13
	v_rcp_f32_e32 v11, v10
	v_lshlrev_b64 v[0:1], 2, v[0:1]
	v_mov_b32_e32 v6, s17
	v_add_co_u32_e32 v0, vcc, s16, v0
	v_addc_co_u32_e32 v1, vcc, v6, v1, vcc
	v_fma_f32 v6, -v10, v11, 1.0
	v_fmac_f32_e32 v11, v6, v11
	v_div_scale_f32 v6, vcc, v13, v5, v13
	v_mul_f32_e32 v14, v6, v11
	v_fma_f32 v15, -v10, v14, v6
	v_fmac_f32_e32 v14, v15, v11
	v_fma_f32 v6, -v10, v14, v6
	v_div_fmas_f32 v6, v6, v11, v14
	v_div_fixup_f32 v10, v6, v5, v13
	v_mov_b32_e32 v6, 0x7fc00000
	v_cmp_eq_f32_e64 s[14:15], 0, v5
	v_cndmask_b32_e64 v10, v10, v6, s[14:15]
	global_store_dword v[0:1], v10, off
	s_and_b64 exec, exec, s[12:13]
	s_cbranch_execz .LBB502_26
; %bb.19:
	v_div_scale_f32 v10, s[12:13], v5, v5, v12
	v_rcp_f32_e32 v11, v10
	v_div_scale_f32 v13, vcc, v12, v5, v12
	v_fma_f32 v14, -v10, v11, 1.0
	v_fmac_f32_e32 v11, v14, v11
	v_mul_f32_e32 v14, v13, v11
	v_fma_f32 v15, -v10, v14, v13
	v_fmac_f32_e32 v14, v15, v11
	v_fma_f32 v10, -v10, v14, v13
	v_div_fmas_f32 v10, v10, v11, v14
	v_div_fixup_f32 v10, v10, v5, v12
	v_cndmask_b32_e64 v6, v10, v6, s[14:15]
	global_store_dword v[0:1], v6, off offset:256
	s_and_b64 exec, exec, s[10:11]
	s_cbranch_execz .LBB502_26
; %bb.20:
	v_div_scale_f32 v6, s[10:11], v5, v5, v9
	v_rcp_f32_e32 v10, v6
	v_div_scale_f32 v11, vcc, v9, v5, v9
	v_fma_f32 v12, -v6, v10, 1.0
	v_fmac_f32_e32 v10, v12, v10
	v_mul_f32_e32 v12, v11, v10
	v_fma_f32 v13, -v6, v12, v11
	v_fmac_f32_e32 v12, v13, v10
	v_fma_f32 v6, -v6, v12, v11
	v_div_fmas_f32 v6, v6, v10, v12
	v_div_fixup_f32 v9, v6, v5, v9
	v_mov_b32_e32 v6, 0x7fc00000
	v_cndmask_b32_e64 v9, v9, v6, s[14:15]
	global_store_dword v[0:1], v9, off offset:512
	s_and_b64 exec, exec, s[8:9]
	s_cbranch_execz .LBB502_26
; %bb.21:
	v_div_scale_f32 v9, s[8:9], v5, v5, v8
	v_rcp_f32_e32 v10, v9
	v_div_scale_f32 v11, vcc, v8, v5, v8
	v_fma_f32 v12, -v9, v10, 1.0
	v_fmac_f32_e32 v10, v12, v10
	v_mul_f32_e32 v12, v11, v10
	v_fma_f32 v13, -v9, v12, v11
	v_fmac_f32_e32 v12, v13, v10
	v_fma_f32 v9, -v9, v12, v11
	v_div_fmas_f32 v9, v9, v10, v12
	v_div_fixup_f32 v8, v9, v5, v8
	v_cndmask_b32_e64 v6, v8, v6, s[14:15]
	global_store_dword v[0:1], v6, off offset:768
	s_and_b64 exec, exec, s[6:7]
	s_cbranch_execz .LBB502_26
; %bb.22:
	v_div_scale_f32 v6, s[6:7], v5, v5, v7
	v_rcp_f32_e32 v8, v6
	v_div_scale_f32 v9, vcc, v7, v5, v7
	v_fma_f32 v10, -v6, v8, 1.0
	v_fmac_f32_e32 v8, v10, v8
	v_mul_f32_e32 v10, v9, v8
	v_fma_f32 v11, -v6, v10, v9
	v_fmac_f32_e32 v10, v11, v8
	v_fma_f32 v6, -v6, v10, v9
	v_div_fmas_f32 v6, v6, v8, v10
	v_div_fixup_f32 v7, v6, v5, v7
	v_mov_b32_e32 v6, 0x7fc00000
	v_cndmask_b32_e64 v7, v7, v6, s[14:15]
	global_store_dword v[0:1], v7, off offset:1024
	;; [unrolled: 33-line block ×3, first 2 shown]
	s_and_b64 exec, exec, s[0:1]
	s_cbranch_execz .LBB502_26
; %bb.25:
	v_div_scale_f32 v4, s[0:1], v5, v5, v2
	v_rcp_f32_e32 v6, v4
	v_div_scale_f32 v7, vcc, v2, v5, v2
	v_fma_f32 v8, -v4, v6, 1.0
	v_fmac_f32_e32 v6, v8, v6
	v_mul_f32_e32 v8, v7, v6
	v_fma_f32 v9, -v4, v8, v7
	v_fmac_f32_e32 v8, v9, v6
	v_fma_f32 v4, -v4, v8, v7
	v_div_fmas_f32 v4, v4, v6, v8
	v_div_fixup_f32 v2, v4, v5, v2
	v_cndmask_b32_e64 v2, v2, v3, s[14:15]
	global_store_dword v[0:1], v2, off offset:1792
.LBB502_26:
	s_endpgm
	.section	.rodata,"a",@progbits
	.p2align	6, 0x0
	.amdhsa_kernel _ZN12_GLOBAL__N_120softmax_warp_forwardIN3c108BFloat16EffLi9ELb0ELb0ELi64EEEvPT0_PKT_iiiPKbib
		.amdhsa_group_segment_fixed_size 0
		.amdhsa_private_segment_fixed_size 0
		.amdhsa_kernarg_size 304
		.amdhsa_user_sgpr_count 6
		.amdhsa_user_sgpr_private_segment_buffer 1
		.amdhsa_user_sgpr_dispatch_ptr 0
		.amdhsa_user_sgpr_queue_ptr 0
		.amdhsa_user_sgpr_kernarg_segment_ptr 1
		.amdhsa_user_sgpr_dispatch_id 0
		.amdhsa_user_sgpr_flat_scratch_init 0
		.amdhsa_user_sgpr_kernarg_preload_length 0
		.amdhsa_user_sgpr_kernarg_preload_offset 0
		.amdhsa_user_sgpr_private_segment_size 0
		.amdhsa_uses_dynamic_stack 0
		.amdhsa_system_sgpr_private_segment_wavefront_offset 0
		.amdhsa_system_sgpr_workgroup_id_x 1
		.amdhsa_system_sgpr_workgroup_id_y 0
		.amdhsa_system_sgpr_workgroup_id_z 0
		.amdhsa_system_sgpr_workgroup_info 0
		.amdhsa_system_vgpr_workitem_id 1
		.amdhsa_next_free_vgpr 24
		.amdhsa_next_free_sgpr 24
		.amdhsa_accum_offset 24
		.amdhsa_reserve_vcc 1
		.amdhsa_reserve_flat_scratch 0
		.amdhsa_float_round_mode_32 0
		.amdhsa_float_round_mode_16_64 0
		.amdhsa_float_denorm_mode_32 3
		.amdhsa_float_denorm_mode_16_64 3
		.amdhsa_dx10_clamp 1
		.amdhsa_ieee_mode 1
		.amdhsa_fp16_overflow 0
		.amdhsa_tg_split 0
		.amdhsa_exception_fp_ieee_invalid_op 0
		.amdhsa_exception_fp_denorm_src 0
		.amdhsa_exception_fp_ieee_div_zero 0
		.amdhsa_exception_fp_ieee_overflow 0
		.amdhsa_exception_fp_ieee_underflow 0
		.amdhsa_exception_fp_ieee_inexact 0
		.amdhsa_exception_int_div_zero 0
	.end_amdhsa_kernel
	.section	.text._ZN12_GLOBAL__N_120softmax_warp_forwardIN3c108BFloat16EffLi9ELb0ELb0ELi64EEEvPT0_PKT_iiiPKbib,"axG",@progbits,_ZN12_GLOBAL__N_120softmax_warp_forwardIN3c108BFloat16EffLi9ELb0ELb0ELi64EEEvPT0_PKT_iiiPKbib,comdat
.Lfunc_end502:
	.size	_ZN12_GLOBAL__N_120softmax_warp_forwardIN3c108BFloat16EffLi9ELb0ELb0ELi64EEEvPT0_PKT_iiiPKbib, .Lfunc_end502-_ZN12_GLOBAL__N_120softmax_warp_forwardIN3c108BFloat16EffLi9ELb0ELb0ELi64EEEvPT0_PKT_iiiPKbib
                                        ; -- End function
	.section	.AMDGPU.csdata,"",@progbits
; Kernel info:
; codeLenInByte = 2680
; NumSgprs: 28
; NumVgprs: 24
; NumAgprs: 0
; TotalNumVgprs: 24
; ScratchSize: 0
; MemoryBound: 0
; FloatMode: 240
; IeeeMode: 1
; LDSByteSize: 0 bytes/workgroup (compile time only)
; SGPRBlocks: 3
; VGPRBlocks: 2
; NumSGPRsForWavesPerEU: 28
; NumVGPRsForWavesPerEU: 24
; AccumOffset: 24
; Occupancy: 8
; WaveLimiterHint : 0
; COMPUTE_PGM_RSRC2:SCRATCH_EN: 0
; COMPUTE_PGM_RSRC2:USER_SGPR: 6
; COMPUTE_PGM_RSRC2:TRAP_HANDLER: 0
; COMPUTE_PGM_RSRC2:TGID_X_EN: 1
; COMPUTE_PGM_RSRC2:TGID_Y_EN: 0
; COMPUTE_PGM_RSRC2:TGID_Z_EN: 0
; COMPUTE_PGM_RSRC2:TIDIG_COMP_CNT: 1
; COMPUTE_PGM_RSRC3_GFX90A:ACCUM_OFFSET: 5
; COMPUTE_PGM_RSRC3_GFX90A:TG_SPLIT: 0
	.section	.text._ZN12_GLOBAL__N_120softmax_warp_forwardIN3c108BFloat16EffLi9ELb0ELb0ELi32EEEvPT0_PKT_iiiPKbib,"axG",@progbits,_ZN12_GLOBAL__N_120softmax_warp_forwardIN3c108BFloat16EffLi9ELb0ELb0ELi32EEEvPT0_PKT_iiiPKbib,comdat
	.globl	_ZN12_GLOBAL__N_120softmax_warp_forwardIN3c108BFloat16EffLi9ELb0ELb0ELi32EEEvPT0_PKT_iiiPKbib ; -- Begin function _ZN12_GLOBAL__N_120softmax_warp_forwardIN3c108BFloat16EffLi9ELb0ELb0ELi32EEEvPT0_PKT_iiiPKbib
	.p2align	8
	.type	_ZN12_GLOBAL__N_120softmax_warp_forwardIN3c108BFloat16EffLi9ELb0ELb0ELi32EEEvPT0_PKT_iiiPKbib,@function
_ZN12_GLOBAL__N_120softmax_warp_forwardIN3c108BFloat16EffLi9ELb0ELb0ELi32EEEvPT0_PKT_iiiPKbib: ; @_ZN12_GLOBAL__N_120softmax_warp_forwardIN3c108BFloat16EffLi9ELb0ELb0ELi32EEEvPT0_PKT_iiiPKbib
; %bb.0:
	s_load_dword s0, s[4:5], 0x3c
	s_load_dwordx8 s[36:43], s[4:5], 0x0
	v_bfe_u32 v1, v0, 10, 10
	v_and_b32_e32 v4, 0x3ff, v0
	v_mov_b32_e32 v15, 0xff800000
	s_waitcnt lgkmcnt(0)
	s_lshr_b32 s0, s0, 16
	s_mul_i32 s6, s6, s0
	v_add_u32_e32 v1, s6, v1
	v_sub_u32_e32 v5, s40, v1
	v_mad_u64_u32 v[0:1], s[0:1], v1, s41, v[4:5]
	v_ashrrev_i32_e32 v1, 31, v0
	v_lshlrev_b64 v[2:3], 1, v[0:1]
	v_mov_b32_e32 v6, s39
	v_add_co_u32_e32 v2, vcc, s38, v2
	v_addc_co_u32_e32 v3, vcc, v6, v3, vcc
	v_cmp_lt_i32_e64 s[30:31], 0, v5
	v_cmp_gt_i32_e32 vcc, s42, v4
	s_and_b64 s[2:3], s[30:31], vcc
	v_mov_b32_e32 v22, 0xff800000
	s_and_saveexec_b64 s[0:1], s[2:3]
	s_cbranch_execz .LBB503_2
; %bb.1:
	global_load_ushort v6, v[2:3], off
	s_waitcnt vmcnt(0)
	v_lshlrev_b32_e32 v22, 16, v6
.LBB503_2:
	s_or_b64 exec, exec, s[0:1]
	v_add_u32_e32 v6, 32, v4
	v_cmp_gt_i32_e64 s[28:29], s42, v6
	s_and_b64 s[2:3], s[30:31], s[28:29]
	s_and_saveexec_b64 s[0:1], s[2:3]
	s_cbranch_execz .LBB503_4
; %bb.3:
	global_load_ushort v6, v[2:3], off offset:64
	s_waitcnt vmcnt(0)
	v_lshlrev_b32_e32 v15, 16, v6
.LBB503_4:
	s_or_b64 exec, exec, s[0:1]
	v_add_u32_e32 v6, 64, v4
	v_cmp_gt_i32_e64 s[26:27], s42, v6
	s_and_b64 s[2:3], s[30:31], s[26:27]
	v_mov_b32_e32 v13, 0xff800000
	v_mov_b32_e32 v20, 0xff800000
	s_and_saveexec_b64 s[0:1], s[2:3]
	s_cbranch_execz .LBB503_6
; %bb.5:
	global_load_ushort v6, v[2:3], off offset:128
	s_waitcnt vmcnt(0)
	v_lshlrev_b32_e32 v20, 16, v6
.LBB503_6:
	s_or_b64 exec, exec, s[0:1]
	v_add_u32_e32 v6, 0x60, v4
	v_cmp_gt_i32_e64 s[24:25], s42, v6
	s_and_b64 s[2:3], s[30:31], s[24:25]
	s_and_saveexec_b64 s[0:1], s[2:3]
	s_cbranch_execz .LBB503_8
; %bb.7:
	global_load_ushort v6, v[2:3], off offset:192
	s_waitcnt vmcnt(0)
	v_lshlrev_b32_e32 v13, 16, v6
.LBB503_8:
	s_or_b64 exec, exec, s[0:1]
	v_add_u32_e32 v6, 0x80, v4
	v_cmp_gt_i32_e64 s[22:23], s42, v6
	s_and_b64 s[2:3], s[30:31], s[22:23]
	v_mov_b32_e32 v11, 0xff800000
	v_mov_b32_e32 v19, 0xff800000
	s_and_saveexec_b64 s[0:1], s[2:3]
	s_cbranch_execz .LBB503_10
; %bb.9:
	global_load_ushort v6, v[2:3], off offset:256
	s_waitcnt vmcnt(0)
	v_lshlrev_b32_e32 v19, 16, v6
.LBB503_10:
	;; [unrolled: 24-line block ×7, first 2 shown]
	s_or_b64 exec, exec, s[0:1]
	v_add_u32_e32 v4, 0x1e0, v4
	v_cmp_gt_i32_e64 s[0:1], s42, v4
	s_and_b64 s[34:35], s[30:31], s[0:1]
	s_and_saveexec_b64 s[30:31], s[34:35]
	s_cbranch_execz .LBB503_32
; %bb.31:
	global_load_ushort v2, v[2:3], off offset:960
	s_waitcnt vmcnt(0)
	v_lshlrev_b32_e32 v7, 16, v2
.LBB503_32:
	s_or_b64 exec, exec, s[30:31]
	v_cmp_gt_f32_e64 s[30:31], v22, v15
	v_cndmask_b32_e64 v2, v15, v22, s[30:31]
	v_cmp_gt_f32_e64 s[30:31], v2, v20
	v_cndmask_b32_e64 v2, v20, v2, s[30:31]
	;; [unrolled: 2-line block ×13, first 2 shown]
	v_mbcnt_lo_u32_b32 v3, -1, 0
	v_cmp_gt_f32_e64 s[30:31], v2, v12
	v_mbcnt_hi_u32_b32 v3, -1, v3
	v_cndmask_b32_e64 v2, v12, v2, s[30:31]
	v_and_b32_e32 v4, 0x60, v3
	v_cmp_gt_f32_e64 s[30:31], v2, v7
	v_add_u32_e32 v4, 32, v4
	v_xor_b32_e32 v21, 16, v3
	v_cndmask_b32_e64 v2, v7, v2, s[30:31]
	v_cmp_lt_i32_e64 s[30:31], v21, v4
	v_cndmask_b32_e64 v21, v3, v21, s[30:31]
	v_lshlrev_b32_e32 v21, 2, v21
	ds_bpermute_b32 v23, v21, v2
	s_mov_b32 s34, 0x3fb8aa3b
	s_mov_b32 s33, 0xc2ce8ed0
	;; [unrolled: 1-line block ×3, first 2 shown]
	v_mov_b32_e32 v29, 0x7f800000
	s_waitcnt lgkmcnt(0)
	v_cmp_lt_f32_e64 s[30:31], v2, v23
	v_cndmask_b32_e64 v2, v2, v23, s[30:31]
	v_xor_b32_e32 v23, 8, v3
	v_cmp_lt_i32_e64 s[30:31], v23, v4
	v_cndmask_b32_e64 v23, v3, v23, s[30:31]
	v_lshlrev_b32_e32 v23, 2, v23
	ds_bpermute_b32 v24, v23, v2
	s_waitcnt lgkmcnt(0)
	v_cmp_lt_f32_e64 s[30:31], v2, v24
	v_cndmask_b32_e64 v2, v2, v24, s[30:31]
	v_xor_b32_e32 v24, 4, v3
	v_cmp_lt_i32_e64 s[30:31], v24, v4
	v_cndmask_b32_e64 v24, v3, v24, s[30:31]
	v_lshlrev_b32_e32 v25, 2, v24
	ds_bpermute_b32 v24, v25, v2
	;; [unrolled: 8-line block ×4, first 2 shown]
	s_waitcnt lgkmcnt(0)
	v_cmp_lt_f32_e64 s[30:31], v2, v3
	v_cndmask_b32_e64 v2, v2, v3, s[30:31]
	v_sub_f32_e32 v3, v22, v2
	v_mul_f32_e32 v4, 0x3fb8aa3b, v3
	v_fma_f32 v22, v3, s34, -v4
	v_rndne_f32_e32 v24, v4
	v_fmac_f32_e32 v22, 0x32a5705f, v3
	v_sub_f32_e32 v4, v4, v24
	v_add_f32_e32 v4, v4, v22
	v_exp_f32_e32 v4, v4
	v_cvt_i32_f32_e32 v22, v24
	v_sub_f32_e32 v15, v15, v2
	v_cmp_ngt_f32_e64 s[30:31], s33, v3
	v_sub_f32_e32 v13, v13, v2
	v_ldexp_f32 v4, v4, v22
	v_mul_f32_e32 v22, 0x3fb8aa3b, v15
	v_fma_f32 v24, v15, s34, -v22
	v_rndne_f32_e32 v27, v22
	v_fmac_f32_e32 v24, 0x32a5705f, v15
	v_sub_f32_e32 v22, v22, v27
	v_add_f32_e32 v22, v22, v24
	v_exp_f32_e32 v22, v22
	v_cvt_i32_f32_e32 v24, v27
	v_cndmask_b32_e64 v4, 0, v4, s[30:31]
	v_cmp_nlt_f32_e64 s[30:31], s35, v3
	v_cndmask_b32_e64 v27, v29, v4, s[30:31]
	v_sub_f32_e32 v4, v20, v2
	v_mul_f32_e32 v20, 0x3fb8aa3b, v4
	v_ldexp_f32 v3, v22, v24
	v_fma_f32 v22, v4, s34, -v20
	v_rndne_f32_e32 v24, v20
	v_fmac_f32_e32 v22, 0x32a5705f, v4
	v_sub_f32_e32 v20, v20, v24
	v_add_f32_e32 v20, v20, v22
	v_exp_f32_e32 v20, v20
	v_cvt_i32_f32_e32 v22, v24
	v_cmp_ngt_f32_e64 s[30:31], s33, v15
	v_cndmask_b32_e64 v3, 0, v3, s[30:31]
	v_cmp_nlt_f32_e64 s[30:31], s35, v15
	v_ldexp_f32 v15, v20, v22
	v_mul_f32_e32 v20, 0x3fb8aa3b, v13
	v_fma_f32 v22, v13, s34, -v20
	v_rndne_f32_e32 v30, v20
	v_fmac_f32_e32 v22, 0x32a5705f, v13
	v_sub_f32_e32 v20, v20, v30
	v_add_f32_e32 v20, v20, v22
	v_cndmask_b32_e64 v24, v29, v3, s[30:31]
	v_cmp_ngt_f32_e64 s[30:31], s33, v4
	v_exp_f32_e32 v20, v20
	v_cvt_i32_f32_e32 v30, v30
	v_cndmask_b32_e64 v15, 0, v15, s[30:31]
	v_cmp_nlt_f32_e64 s[30:31], s35, v4
	v_cndmask_b32_e64 v22, v29, v15, s[30:31]
	v_sub_f32_e32 v15, v19, v2
	v_mul_f32_e32 v19, 0x3fb8aa3b, v15
	v_ldexp_f32 v4, v20, v30
	v_fma_f32 v20, v15, s34, -v19
	v_rndne_f32_e32 v30, v19
	v_fmac_f32_e32 v20, 0x32a5705f, v15
	v_sub_f32_e32 v19, v19, v30
	v_add_f32_e32 v19, v19, v20
	v_exp_f32_e32 v19, v19
	v_cvt_i32_f32_e32 v30, v30
	v_cmp_ngt_f32_e64 s[30:31], s33, v13
	v_sub_f32_e32 v11, v11, v2
	v_cndmask_b32_e64 v4, 0, v4, s[30:31]
	v_cmp_nlt_f32_e64 s[30:31], s35, v13
	v_mul_f32_e32 v13, 0x3fb8aa3b, v11
	v_cndmask_b32_e64 v20, v29, v4, s[30:31]
	v_ldexp_f32 v4, v19, v30
	v_fma_f32 v19, v11, s34, -v13
	v_rndne_f32_e32 v30, v13
	v_fmac_f32_e32 v19, 0x32a5705f, v11
	v_sub_f32_e32 v13, v13, v30
	v_add_f32_e32 v13, v13, v19
	v_exp_f32_e32 v13, v13
	v_cvt_i32_f32_e32 v30, v30
	v_cmp_ngt_f32_e64 s[30:31], s33, v15
	v_cndmask_b32_e64 v4, 0, v4, s[30:31]
	v_cmp_nlt_f32_e64 s[30:31], s35, v15
	v_cndmask_b32_e64 v19, v29, v4, s[30:31]
	v_ldexp_f32 v4, v13, v30
	v_sub_f32_e32 v13, v17, v2
	v_mul_f32_e32 v15, 0x3fb8aa3b, v13
	v_fma_f32 v17, v13, s34, -v15
	v_rndne_f32_e32 v30, v15
	v_fmac_f32_e32 v17, 0x32a5705f, v13
	v_sub_f32_e32 v15, v15, v30
	v_add_f32_e32 v15, v15, v17
	v_exp_f32_e32 v15, v15
	v_cvt_i32_f32_e32 v30, v30
	v_cmp_ngt_f32_e64 s[30:31], s33, v11
	v_sub_f32_e32 v10, v10, v2
	v_cndmask_b32_e64 v4, 0, v4, s[30:31]
	v_cmp_nlt_f32_e64 s[30:31], s35, v11
	v_mul_f32_e32 v11, 0x3fb8aa3b, v10
	v_cndmask_b32_e64 v17, v29, v4, s[30:31]
	v_ldexp_f32 v4, v15, v30
	v_fma_f32 v15, v10, s34, -v11
	v_rndne_f32_e32 v30, v11
	v_fmac_f32_e32 v15, 0x32a5705f, v10
	v_sub_f32_e32 v11, v11, v30
	v_add_f32_e32 v11, v11, v15
	v_exp_f32_e32 v11, v11
	v_cvt_i32_f32_e32 v30, v30
	v_cmp_ngt_f32_e64 s[30:31], s33, v13
	v_cndmask_b32_e64 v4, 0, v4, s[30:31]
	v_cmp_nlt_f32_e64 s[30:31], s35, v13
	v_cndmask_b32_e64 v15, v29, v4, s[30:31]
	v_ldexp_f32 v4, v11, v30
	v_sub_f32_e32 v11, v18, v2
	v_mul_f32_e32 v13, 0x3fb8aa3b, v11
	v_fma_f32 v18, v11, s34, -v13
	v_rndne_f32_e32 v30, v13
	v_fmac_f32_e32 v18, 0x32a5705f, v11
	v_sub_f32_e32 v13, v13, v30
	v_add_f32_e32 v13, v13, v18
	v_exp_f32_e32 v18, v13
	v_cvt_i32_f32_e32 v30, v30
	v_cmp_ngt_f32_e64 s[30:31], s33, v10
	v_sub_f32_e32 v9, v9, v2
	v_cndmask_b32_e64 v4, 0, v4, s[30:31]
	v_cmp_nlt_f32_e64 s[30:31], s35, v10
	v_mul_f32_e32 v10, 0x3fb8aa3b, v9
	v_cndmask_b32_e64 v13, v29, v4, s[30:31]
	v_ldexp_f32 v4, v18, v30
	v_fma_f32 v18, v9, s34, -v10
	v_rndne_f32_e32 v30, v10
	v_fmac_f32_e32 v18, 0x32a5705f, v9
	v_sub_f32_e32 v10, v10, v30
	v_add_f32_e32 v10, v10, v18
	v_exp_f32_e32 v10, v10
	v_cvt_i32_f32_e32 v18, v30
	v_cmp_ngt_f32_e64 s[30:31], s33, v11
	v_cndmask_b32_e64 v4, 0, v4, s[30:31]
	v_cmp_nlt_f32_e64 s[30:31], s35, v11
	v_sub_f32_e32 v16, v16, v2
	v_cndmask_b32_e64 v11, v29, v4, s[30:31]
	v_ldexp_f32 v4, v10, v18
	v_mul_f32_e32 v10, 0x3fb8aa3b, v16
	v_fma_f32 v18, v16, s34, -v10
	v_rndne_f32_e32 v30, v10
	v_fmac_f32_e32 v18, 0x32a5705f, v16
	v_sub_f32_e32 v10, v10, v30
	v_add_f32_e32 v10, v10, v18
	v_exp_f32_e32 v18, v10
	v_cvt_i32_f32_e32 v30, v30
	v_cmp_ngt_f32_e64 s[30:31], s33, v9
	v_sub_f32_e32 v8, v8, v2
	v_cndmask_b32_e64 v4, 0, v4, s[30:31]
	v_cmp_nlt_f32_e64 s[30:31], s35, v9
	v_mul_f32_e32 v9, 0x3fb8aa3b, v8
	v_cndmask_b32_e64 v10, v29, v4, s[30:31]
	v_ldexp_f32 v4, v18, v30
	v_fma_f32 v18, v8, s34, -v9
	v_rndne_f32_e32 v30, v9
	v_fmac_f32_e32 v18, 0x32a5705f, v8
	v_sub_f32_e32 v9, v9, v30
	v_add_f32_e32 v9, v9, v18
	v_exp_f32_e32 v18, v9
	v_cvt_i32_f32_e32 v30, v30
	v_cmp_ngt_f32_e64 s[30:31], s33, v16
	v_sub_f32_e32 v14, v14, v2
	v_cndmask_b32_e64 v4, 0, v4, s[30:31]
	v_cmp_nlt_f32_e64 s[30:31], s35, v16
	v_mul_f32_e32 v16, 0x3fb8aa3b, v14
	v_cndmask_b32_e64 v9, v29, v4, s[30:31]
	v_ldexp_f32 v4, v18, v30
	v_fma_f32 v18, v14, s34, -v16
	v_rndne_f32_e32 v30, v16
	v_fmac_f32_e32 v18, 0x32a5705f, v14
	v_sub_f32_e32 v16, v16, v30
	v_add_f32_e32 v16, v16, v18
	v_exp_f32_e32 v16, v16
	v_cvt_i32_f32_e32 v18, v30
	v_cmp_ngt_f32_e64 s[30:31], s33, v8
	v_cndmask_b32_e64 v4, 0, v4, s[30:31]
	v_cmp_nlt_f32_e64 s[30:31], s35, v8
	v_cndmask_b32_e64 v8, v29, v4, s[30:31]
	v_ldexp_f32 v4, v16, v18
	v_sub_f32_e32 v16, v6, v2
	v_mul_f32_e32 v6, 0x3fb8aa3b, v16
	v_fma_f32 v18, v16, s34, -v6
	v_rndne_f32_e32 v30, v6
	v_fmac_f32_e32 v18, 0x32a5705f, v16
	v_sub_f32_e32 v6, v6, v30
	v_add_f32_e32 v3, v27, v24
	v_add_f32_e32 v6, v6, v18
	v_add_f32_e32 v3, v3, v22
	v_exp_f32_e32 v18, v6
	v_cvt_i32_f32_e32 v30, v30
	v_add_f32_e32 v3, v3, v20
	v_add_f32_e32 v3, v3, v19
	v_cmp_ngt_f32_e64 s[30:31], s33, v14
	v_sub_f32_e32 v12, v12, v2
	v_add_f32_e32 v3, v3, v17
	v_cndmask_b32_e64 v4, 0, v4, s[30:31]
	v_cmp_nlt_f32_e64 s[30:31], s35, v14
	v_mul_f32_e32 v14, 0x3fb8aa3b, v12
	v_add_f32_e32 v3, v3, v15
	v_cndmask_b32_e64 v6, v29, v4, s[30:31]
	v_ldexp_f32 v4, v18, v30
	v_fma_f32 v18, v12, s34, -v14
	v_rndne_f32_e32 v30, v14
	v_add_f32_e32 v3, v3, v13
	v_fmac_f32_e32 v18, 0x32a5705f, v12
	v_sub_f32_e32 v14, v14, v30
	v_add_f32_e32 v3, v3, v11
	v_add_f32_e32 v14, v14, v18
	;; [unrolled: 1-line block ×3, first 2 shown]
	v_exp_f32_e32 v14, v14
	v_cvt_i32_f32_e32 v18, v30
	v_add_f32_e32 v3, v3, v9
	v_cmp_ngt_f32_e64 s[30:31], s33, v16
	v_add_f32_e32 v3, v3, v8
	v_cndmask_b32_e64 v4, 0, v4, s[30:31]
	v_cmp_nlt_f32_e64 s[30:31], s35, v16
	v_sub_f32_e32 v2, v7, v2
	v_add_f32_e32 v3, v3, v6
	v_cndmask_b32_e64 v4, v29, v4, s[30:31]
	v_mul_f32_e32 v7, 0x3fb8aa3b, v2
	v_add_f32_e32 v16, v3, v4
	v_ldexp_f32 v3, v14, v18
	v_fma_f32 v14, v2, s34, -v7
	v_rndne_f32_e32 v18, v7
	v_fmac_f32_e32 v14, 0x32a5705f, v2
	v_sub_f32_e32 v7, v7, v18
	v_add_f32_e32 v7, v7, v14
	v_exp_f32_e32 v7, v7
	v_cvt_i32_f32_e32 v14, v18
	v_cmp_ngt_f32_e64 s[30:31], s33, v12
	v_cndmask_b32_e64 v3, 0, v3, s[30:31]
	v_cmp_nlt_f32_e64 s[30:31], s35, v12
	v_cndmask_b32_e64 v3, v29, v3, s[30:31]
	v_ldexp_f32 v7, v7, v14
	v_cmp_ngt_f32_e64 s[30:31], s33, v2
	v_cndmask_b32_e64 v7, 0, v7, s[30:31]
	v_cmp_nlt_f32_e64 s[30:31], s35, v2
	v_add_f32_e32 v12, v16, v3
	v_cndmask_b32_e64 v2, v29, v7, s[30:31]
	v_add_f32_e32 v7, v12, v2
	ds_bpermute_b32 v12, v21, v7
	v_cmp_lt_i32_e64 s[30:31], 0, v5
	s_waitcnt lgkmcnt(0)
	v_add_f32_e32 v7, v7, v12
	ds_bpermute_b32 v12, v23, v7
	s_waitcnt lgkmcnt(0)
	v_add_f32_e32 v7, v7, v12
	ds_bpermute_b32 v12, v25, v7
	;; [unrolled: 3-line block ×4, first 2 shown]
	s_and_saveexec_b64 s[34:35], s[30:31]
	s_cbranch_execz .LBB503_50
; %bb.33:
	s_and_b64 exec, exec, vcc
	s_cbranch_execz .LBB503_50
; %bb.34:
	s_waitcnt lgkmcnt(0)
	v_add_f32_e32 v5, v7, v12
	v_div_scale_f32 v12, s[30:31], v5, v5, v27
	v_rcp_f32_e32 v14, v12
	v_lshlrev_b64 v[0:1], 2, v[0:1]
	v_mov_b32_e32 v7, s37
	v_add_co_u32_e32 v0, vcc, s36, v0
	v_addc_co_u32_e32 v1, vcc, v7, v1, vcc
	v_fma_f32 v7, -v12, v14, 1.0
	v_fmac_f32_e32 v14, v7, v14
	v_div_scale_f32 v7, vcc, v27, v5, v27
	v_mul_f32_e32 v16, v7, v14
	v_fma_f32 v18, -v12, v16, v7
	v_fmac_f32_e32 v16, v18, v14
	v_fma_f32 v7, -v12, v16, v7
	v_div_fmas_f32 v7, v7, v14, v16
	v_div_fixup_f32 v12, v7, v5, v27
	v_mov_b32_e32 v7, 0x7fc00000
	v_cmp_eq_f32_e64 s[30:31], 0, v5
	v_cndmask_b32_e64 v12, v12, v7, s[30:31]
	global_store_dword v[0:1], v12, off
	s_and_b64 exec, exec, s[28:29]
	s_cbranch_execz .LBB503_50
; %bb.35:
	v_div_scale_f32 v12, s[28:29], v5, v5, v24
	v_rcp_f32_e32 v14, v12
	v_div_scale_f32 v16, vcc, v24, v5, v24
	v_fma_f32 v18, -v12, v14, 1.0
	v_fmac_f32_e32 v14, v18, v14
	v_mul_f32_e32 v18, v16, v14
	v_fma_f32 v21, -v12, v18, v16
	v_fmac_f32_e32 v18, v21, v14
	v_fma_f32 v12, -v12, v18, v16
	v_div_fmas_f32 v12, v12, v14, v18
	v_div_fixup_f32 v12, v12, v5, v24
	v_cndmask_b32_e64 v7, v12, v7, s[30:31]
	global_store_dword v[0:1], v7, off offset:128
	s_and_b64 exec, exec, s[26:27]
	s_cbranch_execz .LBB503_50
; %bb.36:
	v_div_scale_f32 v7, s[26:27], v5, v5, v22
	v_rcp_f32_e32 v12, v7
	v_div_scale_f32 v14, vcc, v22, v5, v22
	v_fma_f32 v16, -v7, v12, 1.0
	v_fmac_f32_e32 v12, v16, v12
	v_mul_f32_e32 v16, v14, v12
	v_fma_f32 v18, -v7, v16, v14
	v_fmac_f32_e32 v16, v18, v12
	v_fma_f32 v7, -v7, v16, v14
	v_div_fmas_f32 v7, v7, v12, v16
	v_div_fixup_f32 v12, v7, v5, v22
	v_mov_b32_e32 v7, 0x7fc00000
	v_cndmask_b32_e64 v12, v12, v7, s[30:31]
	global_store_dword v[0:1], v12, off offset:256
	s_and_b64 exec, exec, s[24:25]
	s_cbranch_execz .LBB503_50
; %bb.37:
	v_div_scale_f32 v12, s[24:25], v5, v5, v20
	v_rcp_f32_e32 v14, v12
	v_div_scale_f32 v16, vcc, v20, v5, v20
	v_fma_f32 v18, -v12, v14, 1.0
	v_fmac_f32_e32 v14, v18, v14
	v_mul_f32_e32 v18, v16, v14
	v_fma_f32 v21, -v12, v18, v16
	v_fmac_f32_e32 v18, v21, v14
	v_fma_f32 v12, -v12, v18, v16
	v_div_fmas_f32 v12, v12, v14, v18
	v_div_fixup_f32 v12, v12, v5, v20
	v_cndmask_b32_e64 v7, v12, v7, s[30:31]
	global_store_dword v[0:1], v7, off offset:384
	s_and_b64 exec, exec, s[22:23]
	s_cbranch_execz .LBB503_50
; %bb.38:
	v_div_scale_f32 v7, s[22:23], v5, v5, v19
	v_rcp_f32_e32 v12, v7
	v_div_scale_f32 v14, vcc, v19, v5, v19
	v_fma_f32 v16, -v7, v12, 1.0
	v_fmac_f32_e32 v12, v16, v12
	v_mul_f32_e32 v16, v14, v12
	v_fma_f32 v18, -v7, v16, v14
	v_fmac_f32_e32 v16, v18, v12
	v_fma_f32 v7, -v7, v16, v14
	v_div_fmas_f32 v7, v7, v12, v16
	v_div_fixup_f32 v12, v7, v5, v19
	v_mov_b32_e32 v7, 0x7fc00000
	v_cndmask_b32_e64 v12, v12, v7, s[30:31]
	global_store_dword v[0:1], v12, off offset:512
	;; [unrolled: 33-line block ×7, first 2 shown]
	s_and_b64 exec, exec, s[0:1]
	s_cbranch_execz .LBB503_50
; %bb.49:
	v_div_scale_f32 v4, s[0:1], v5, v5, v2
	v_rcp_f32_e32 v6, v4
	v_div_scale_f32 v7, vcc, v2, v5, v2
	v_fma_f32 v8, -v4, v6, 1.0
	v_fmac_f32_e32 v6, v8, v6
	v_mul_f32_e32 v8, v7, v6
	v_fma_f32 v9, -v4, v8, v7
	v_fmac_f32_e32 v8, v9, v6
	v_fma_f32 v4, -v4, v8, v7
	v_div_fmas_f32 v4, v4, v6, v8
	v_div_fixup_f32 v2, v4, v5, v2
	v_cndmask_b32_e64 v2, v2, v3, s[30:31]
	global_store_dword v[0:1], v2, off offset:1920
.LBB503_50:
	s_endpgm
	.section	.rodata,"a",@progbits
	.p2align	6, 0x0
	.amdhsa_kernel _ZN12_GLOBAL__N_120softmax_warp_forwardIN3c108BFloat16EffLi9ELb0ELb0ELi32EEEvPT0_PKT_iiiPKbib
		.amdhsa_group_segment_fixed_size 0
		.amdhsa_private_segment_fixed_size 0
		.amdhsa_kernarg_size 304
		.amdhsa_user_sgpr_count 6
		.amdhsa_user_sgpr_private_segment_buffer 1
		.amdhsa_user_sgpr_dispatch_ptr 0
		.amdhsa_user_sgpr_queue_ptr 0
		.amdhsa_user_sgpr_kernarg_segment_ptr 1
		.amdhsa_user_sgpr_dispatch_id 0
		.amdhsa_user_sgpr_flat_scratch_init 0
		.amdhsa_user_sgpr_kernarg_preload_length 0
		.amdhsa_user_sgpr_kernarg_preload_offset 0
		.amdhsa_user_sgpr_private_segment_size 0
		.amdhsa_uses_dynamic_stack 0
		.amdhsa_system_sgpr_private_segment_wavefront_offset 0
		.amdhsa_system_sgpr_workgroup_id_x 1
		.amdhsa_system_sgpr_workgroup_id_y 0
		.amdhsa_system_sgpr_workgroup_id_z 0
		.amdhsa_system_sgpr_workgroup_info 0
		.amdhsa_system_vgpr_workitem_id 1
		.amdhsa_next_free_vgpr 31
		.amdhsa_next_free_sgpr 44
		.amdhsa_accum_offset 32
		.amdhsa_reserve_vcc 1
		.amdhsa_reserve_flat_scratch 0
		.amdhsa_float_round_mode_32 0
		.amdhsa_float_round_mode_16_64 0
		.amdhsa_float_denorm_mode_32 3
		.amdhsa_float_denorm_mode_16_64 3
		.amdhsa_dx10_clamp 1
		.amdhsa_ieee_mode 1
		.amdhsa_fp16_overflow 0
		.amdhsa_tg_split 0
		.amdhsa_exception_fp_ieee_invalid_op 0
		.amdhsa_exception_fp_denorm_src 0
		.amdhsa_exception_fp_ieee_div_zero 0
		.amdhsa_exception_fp_ieee_overflow 0
		.amdhsa_exception_fp_ieee_underflow 0
		.amdhsa_exception_fp_ieee_inexact 0
		.amdhsa_exception_int_div_zero 0
	.end_amdhsa_kernel
	.section	.text._ZN12_GLOBAL__N_120softmax_warp_forwardIN3c108BFloat16EffLi9ELb0ELb0ELi32EEEvPT0_PKT_iiiPKbib,"axG",@progbits,_ZN12_GLOBAL__N_120softmax_warp_forwardIN3c108BFloat16EffLi9ELb0ELb0ELi32EEEvPT0_PKT_iiiPKbib,comdat
.Lfunc_end503:
	.size	_ZN12_GLOBAL__N_120softmax_warp_forwardIN3c108BFloat16EffLi9ELb0ELb0ELi32EEEvPT0_PKT_iiiPKbib, .Lfunc_end503-_ZN12_GLOBAL__N_120softmax_warp_forwardIN3c108BFloat16EffLi9ELb0ELb0ELi32EEEvPT0_PKT_iiiPKbib
                                        ; -- End function
	.section	.AMDGPU.csdata,"",@progbits
; Kernel info:
; codeLenInByte = 4724
; NumSgprs: 48
; NumVgprs: 31
; NumAgprs: 0
; TotalNumVgprs: 31
; ScratchSize: 0
; MemoryBound: 0
; FloatMode: 240
; IeeeMode: 1
; LDSByteSize: 0 bytes/workgroup (compile time only)
; SGPRBlocks: 5
; VGPRBlocks: 3
; NumSGPRsForWavesPerEU: 48
; NumVGPRsForWavesPerEU: 31
; AccumOffset: 32
; Occupancy: 8
; WaveLimiterHint : 0
; COMPUTE_PGM_RSRC2:SCRATCH_EN: 0
; COMPUTE_PGM_RSRC2:USER_SGPR: 6
; COMPUTE_PGM_RSRC2:TRAP_HANDLER: 0
; COMPUTE_PGM_RSRC2:TGID_X_EN: 1
; COMPUTE_PGM_RSRC2:TGID_Y_EN: 0
; COMPUTE_PGM_RSRC2:TGID_Z_EN: 0
; COMPUTE_PGM_RSRC2:TIDIG_COMP_CNT: 1
; COMPUTE_PGM_RSRC3_GFX90A:ACCUM_OFFSET: 7
; COMPUTE_PGM_RSRC3_GFX90A:TG_SPLIT: 0
	.section	.text._ZN12_GLOBAL__N_120softmax_warp_forwardIN3c108BFloat16EffLi10ELb0ELb0ELi64EEEvPT0_PKT_iiiPKbib,"axG",@progbits,_ZN12_GLOBAL__N_120softmax_warp_forwardIN3c108BFloat16EffLi10ELb0ELb0ELi64EEEvPT0_PKT_iiiPKbib,comdat
	.globl	_ZN12_GLOBAL__N_120softmax_warp_forwardIN3c108BFloat16EffLi10ELb0ELb0ELi64EEEvPT0_PKT_iiiPKbib ; -- Begin function _ZN12_GLOBAL__N_120softmax_warp_forwardIN3c108BFloat16EffLi10ELb0ELb0ELi64EEEvPT0_PKT_iiiPKbib
	.p2align	8
	.type	_ZN12_GLOBAL__N_120softmax_warp_forwardIN3c108BFloat16EffLi10ELb0ELb0ELi64EEEvPT0_PKT_iiiPKbib,@function
_ZN12_GLOBAL__N_120softmax_warp_forwardIN3c108BFloat16EffLi10ELb0ELb0ELi64EEEvPT0_PKT_iiiPKbib: ; @_ZN12_GLOBAL__N_120softmax_warp_forwardIN3c108BFloat16EffLi10ELb0ELb0ELi64EEEvPT0_PKT_iiiPKbib
; %bb.0:
	s_load_dword s0, s[4:5], 0x3c
	s_load_dwordx8 s[36:43], s[4:5], 0x0
	v_bfe_u32 v1, v0, 10, 10
	v_and_b32_e32 v4, 0x3ff, v0
	v_mov_b32_e32 v16, 0xff800000
	s_waitcnt lgkmcnt(0)
	s_lshr_b32 s0, s0, 16
	s_mul_i32 s6, s6, s0
	v_add_u32_e32 v1, s6, v1
	v_sub_u32_e32 v5, s40, v1
	v_mad_u64_u32 v[0:1], s[0:1], v1, s41, v[4:5]
	v_ashrrev_i32_e32 v1, 31, v0
	v_lshlrev_b64 v[2:3], 1, v[0:1]
	v_mov_b32_e32 v6, s39
	v_add_co_u32_e32 v2, vcc, s38, v2
	v_addc_co_u32_e32 v3, vcc, v6, v3, vcc
	v_cmp_lt_i32_e64 s[30:31], 0, v5
	v_cmp_gt_i32_e32 vcc, s42, v4
	s_and_b64 s[2:3], s[30:31], vcc
	v_mov_b32_e32 v23, 0xff800000
	s_and_saveexec_b64 s[0:1], s[2:3]
	s_cbranch_execz .LBB504_2
; %bb.1:
	global_load_ushort v6, v[2:3], off
	s_waitcnt vmcnt(0)
	v_lshlrev_b32_e32 v23, 16, v6
.LBB504_2:
	s_or_b64 exec, exec, s[0:1]
	v_add_u32_e32 v6, 64, v4
	v_cmp_gt_i32_e64 s[28:29], s42, v6
	s_and_b64 s[2:3], s[30:31], s[28:29]
	s_and_saveexec_b64 s[0:1], s[2:3]
	s_cbranch_execz .LBB504_4
; %bb.3:
	global_load_ushort v6, v[2:3], off offset:128
	s_waitcnt vmcnt(0)
	v_lshlrev_b32_e32 v16, 16, v6
.LBB504_4:
	s_or_b64 exec, exec, s[0:1]
	v_add_u32_e32 v6, 0x80, v4
	v_cmp_gt_i32_e64 s[26:27], s42, v6
	s_and_b64 s[2:3], s[30:31], s[26:27]
	v_mov_b32_e32 v14, 0xff800000
	v_mov_b32_e32 v21, 0xff800000
	s_and_saveexec_b64 s[0:1], s[2:3]
	s_cbranch_execz .LBB504_6
; %bb.5:
	global_load_ushort v6, v[2:3], off offset:256
	s_waitcnt vmcnt(0)
	v_lshlrev_b32_e32 v21, 16, v6
.LBB504_6:
	s_or_b64 exec, exec, s[0:1]
	v_add_u32_e32 v6, 0xc0, v4
	v_cmp_gt_i32_e64 s[24:25], s42, v6
	s_and_b64 s[2:3], s[30:31], s[24:25]
	s_and_saveexec_b64 s[0:1], s[2:3]
	s_cbranch_execz .LBB504_8
; %bb.7:
	global_load_ushort v6, v[2:3], off offset:384
	s_waitcnt vmcnt(0)
	v_lshlrev_b32_e32 v14, 16, v6
.LBB504_8:
	s_or_b64 exec, exec, s[0:1]
	v_add_u32_e32 v6, 0x100, v4
	v_cmp_gt_i32_e64 s[22:23], s42, v6
	s_and_b64 s[2:3], s[30:31], s[22:23]
	v_mov_b32_e32 v12, 0xff800000
	v_mov_b32_e32 v19, 0xff800000
	s_and_saveexec_b64 s[0:1], s[2:3]
	s_cbranch_execz .LBB504_10
; %bb.9:
	global_load_ushort v6, v[2:3], off offset:512
	s_waitcnt vmcnt(0)
	v_lshlrev_b32_e32 v19, 16, v6
.LBB504_10:
	;; [unrolled: 24-line block ×7, first 2 shown]
	s_or_b64 exec, exec, s[0:1]
	v_add_u32_e32 v4, 0x3c0, v4
	v_cmp_gt_i32_e64 s[0:1], s42, v4
	s_and_b64 s[34:35], s[30:31], s[0:1]
	s_and_saveexec_b64 s[30:31], s[34:35]
	s_cbranch_execz .LBB504_32
; %bb.31:
	global_load_ushort v2, v[2:3], off offset:1920
	s_waitcnt vmcnt(0)
	v_lshlrev_b32_e32 v6, 16, v2
.LBB504_32:
	s_or_b64 exec, exec, s[30:31]
	v_cmp_gt_f32_e64 s[30:31], v23, v16
	v_cndmask_b32_e64 v2, v16, v23, s[30:31]
	v_cmp_gt_f32_e64 s[30:31], v2, v21
	v_cndmask_b32_e64 v2, v21, v2, s[30:31]
	;; [unrolled: 2-line block ×13, first 2 shown]
	v_mbcnt_lo_u32_b32 v3, -1, 0
	v_cmp_gt_f32_e64 s[30:31], v2, v11
	v_mbcnt_hi_u32_b32 v3, -1, v3
	v_cndmask_b32_e64 v2, v11, v2, s[30:31]
	v_and_b32_e32 v4, 64, v3
	v_cmp_gt_f32_e64 s[30:31], v2, v6
	v_add_u32_e32 v4, 64, v4
	v_xor_b32_e32 v20, 32, v3
	v_cndmask_b32_e64 v2, v6, v2, s[30:31]
	v_cmp_lt_i32_e64 s[30:31], v20, v4
	v_cndmask_b32_e64 v20, v3, v20, s[30:31]
	v_lshlrev_b32_e32 v20, 2, v20
	ds_bpermute_b32 v22, v20, v2
	s_mov_b32 s34, 0x3fb8aa3b
	s_mov_b32 s33, 0xc2ce8ed0
	;; [unrolled: 1-line block ×3, first 2 shown]
	v_mov_b32_e32 v30, 0x7f800000
	s_waitcnt lgkmcnt(0)
	v_cmp_lt_f32_e64 s[30:31], v2, v22
	v_cndmask_b32_e64 v2, v2, v22, s[30:31]
	v_xor_b32_e32 v22, 16, v3
	v_cmp_lt_i32_e64 s[30:31], v22, v4
	v_cndmask_b32_e64 v22, v3, v22, s[30:31]
	v_lshlrev_b32_e32 v22, 2, v22
	ds_bpermute_b32 v24, v22, v2
	s_waitcnt lgkmcnt(0)
	v_cmp_lt_f32_e64 s[30:31], v2, v24
	v_cndmask_b32_e64 v2, v2, v24, s[30:31]
	v_xor_b32_e32 v24, 8, v3
	v_cmp_lt_i32_e64 s[30:31], v24, v4
	v_cndmask_b32_e64 v24, v3, v24, s[30:31]
	v_lshlrev_b32_e32 v24, 2, v24
	ds_bpermute_b32 v25, v24, v2
	;; [unrolled: 8-line block ×5, first 2 shown]
	s_waitcnt lgkmcnt(0)
	v_cmp_lt_f32_e64 s[30:31], v2, v3
	v_cndmask_b32_e64 v2, v2, v3, s[30:31]
	v_sub_f32_e32 v3, v23, v2
	v_mul_f32_e32 v4, 0x3fb8aa3b, v3
	v_fma_f32 v23, v3, s34, -v4
	v_rndne_f32_e32 v25, v4
	v_fmac_f32_e32 v23, 0x32a5705f, v3
	v_sub_f32_e32 v4, v4, v25
	v_add_f32_e32 v4, v4, v23
	v_exp_f32_e32 v4, v4
	v_cvt_i32_f32_e32 v23, v25
	v_sub_f32_e32 v16, v16, v2
	v_cmp_ngt_f32_e64 s[30:31], s33, v3
	v_sub_f32_e32 v14, v14, v2
	v_ldexp_f32 v4, v4, v23
	v_mul_f32_e32 v23, 0x3fb8aa3b, v16
	v_fma_f32 v25, v16, s34, -v23
	v_rndne_f32_e32 v28, v23
	v_fmac_f32_e32 v25, 0x32a5705f, v16
	v_sub_f32_e32 v23, v23, v28
	v_add_f32_e32 v23, v23, v25
	v_exp_f32_e32 v23, v23
	v_cvt_i32_f32_e32 v25, v28
	v_cndmask_b32_e64 v4, 0, v4, s[30:31]
	v_cmp_nlt_f32_e64 s[30:31], s35, v3
	v_cndmask_b32_e64 v28, v30, v4, s[30:31]
	v_sub_f32_e32 v4, v21, v2
	v_mul_f32_e32 v21, 0x3fb8aa3b, v4
	v_ldexp_f32 v3, v23, v25
	v_fma_f32 v23, v4, s34, -v21
	v_rndne_f32_e32 v25, v21
	v_fmac_f32_e32 v23, 0x32a5705f, v4
	v_sub_f32_e32 v21, v21, v25
	v_add_f32_e32 v21, v21, v23
	v_exp_f32_e32 v21, v21
	v_cvt_i32_f32_e32 v23, v25
	v_cmp_ngt_f32_e64 s[30:31], s33, v16
	v_cndmask_b32_e64 v3, 0, v3, s[30:31]
	v_cmp_nlt_f32_e64 s[30:31], s35, v16
	v_ldexp_f32 v16, v21, v23
	v_mul_f32_e32 v21, 0x3fb8aa3b, v14
	v_fma_f32 v23, v14, s34, -v21
	v_rndne_f32_e32 v31, v21
	v_fmac_f32_e32 v23, 0x32a5705f, v14
	v_sub_f32_e32 v21, v21, v31
	v_add_f32_e32 v21, v21, v23
	v_cndmask_b32_e64 v25, v30, v3, s[30:31]
	v_cmp_ngt_f32_e64 s[30:31], s33, v4
	v_exp_f32_e32 v21, v21
	v_cvt_i32_f32_e32 v31, v31
	v_cndmask_b32_e64 v16, 0, v16, s[30:31]
	v_cmp_nlt_f32_e64 s[30:31], s35, v4
	v_cndmask_b32_e64 v23, v30, v16, s[30:31]
	v_sub_f32_e32 v16, v19, v2
	v_mul_f32_e32 v19, 0x3fb8aa3b, v16
	v_ldexp_f32 v4, v21, v31
	v_fma_f32 v21, v16, s34, -v19
	v_rndne_f32_e32 v31, v19
	v_fmac_f32_e32 v21, 0x32a5705f, v16
	v_sub_f32_e32 v19, v19, v31
	v_add_f32_e32 v19, v19, v21
	v_exp_f32_e32 v19, v19
	v_cvt_i32_f32_e32 v31, v31
	v_cmp_ngt_f32_e64 s[30:31], s33, v14
	v_sub_f32_e32 v12, v12, v2
	v_cndmask_b32_e64 v4, 0, v4, s[30:31]
	v_cmp_nlt_f32_e64 s[30:31], s35, v14
	v_mul_f32_e32 v14, 0x3fb8aa3b, v12
	v_cndmask_b32_e64 v21, v30, v4, s[30:31]
	v_ldexp_f32 v4, v19, v31
	v_fma_f32 v19, v12, s34, -v14
	v_rndne_f32_e32 v31, v14
	v_fmac_f32_e32 v19, 0x32a5705f, v12
	v_sub_f32_e32 v14, v14, v31
	v_add_f32_e32 v14, v14, v19
	v_exp_f32_e32 v14, v14
	v_cvt_i32_f32_e32 v31, v31
	v_cmp_ngt_f32_e64 s[30:31], s33, v16
	v_cndmask_b32_e64 v4, 0, v4, s[30:31]
	v_cmp_nlt_f32_e64 s[30:31], s35, v16
	v_cndmask_b32_e64 v19, v30, v4, s[30:31]
	v_ldexp_f32 v4, v14, v31
	v_sub_f32_e32 v14, v18, v2
	v_mul_f32_e32 v16, 0x3fb8aa3b, v14
	v_fma_f32 v18, v14, s34, -v16
	v_rndne_f32_e32 v31, v16
	v_fmac_f32_e32 v18, 0x32a5705f, v14
	v_sub_f32_e32 v16, v16, v31
	v_add_f32_e32 v16, v16, v18
	v_exp_f32_e32 v16, v16
	v_cvt_i32_f32_e32 v31, v31
	v_cmp_ngt_f32_e64 s[30:31], s33, v12
	v_sub_f32_e32 v10, v10, v2
	v_cndmask_b32_e64 v4, 0, v4, s[30:31]
	v_cmp_nlt_f32_e64 s[30:31], s35, v12
	v_mul_f32_e32 v12, 0x3fb8aa3b, v10
	v_cndmask_b32_e64 v18, v30, v4, s[30:31]
	v_ldexp_f32 v4, v16, v31
	v_fma_f32 v16, v10, s34, -v12
	v_rndne_f32_e32 v31, v12
	v_fmac_f32_e32 v16, 0x32a5705f, v10
	v_sub_f32_e32 v12, v12, v31
	v_add_f32_e32 v12, v12, v16
	v_exp_f32_e32 v12, v12
	v_cvt_i32_f32_e32 v31, v31
	v_cmp_ngt_f32_e64 s[30:31], s33, v14
	v_cndmask_b32_e64 v4, 0, v4, s[30:31]
	v_cmp_nlt_f32_e64 s[30:31], s35, v14
	v_cndmask_b32_e64 v16, v30, v4, s[30:31]
	v_ldexp_f32 v4, v12, v31
	v_sub_f32_e32 v12, v17, v2
	v_mul_f32_e32 v14, 0x3fb8aa3b, v12
	v_fma_f32 v17, v12, s34, -v14
	v_rndne_f32_e32 v31, v14
	v_fmac_f32_e32 v17, 0x32a5705f, v12
	v_sub_f32_e32 v14, v14, v31
	v_add_f32_e32 v14, v14, v17
	v_exp_f32_e32 v17, v14
	v_cvt_i32_f32_e32 v31, v31
	v_cmp_ngt_f32_e64 s[30:31], s33, v10
	v_sub_f32_e32 v9, v9, v2
	v_cndmask_b32_e64 v4, 0, v4, s[30:31]
	v_cmp_nlt_f32_e64 s[30:31], s35, v10
	v_mul_f32_e32 v10, 0x3fb8aa3b, v9
	v_cndmask_b32_e64 v14, v30, v4, s[30:31]
	v_ldexp_f32 v4, v17, v31
	v_fma_f32 v17, v9, s34, -v10
	v_rndne_f32_e32 v31, v10
	v_fmac_f32_e32 v17, 0x32a5705f, v9
	v_sub_f32_e32 v10, v10, v31
	v_add_f32_e32 v10, v10, v17
	v_exp_f32_e32 v10, v10
	v_cvt_i32_f32_e32 v17, v31
	v_cmp_ngt_f32_e64 s[30:31], s33, v12
	v_cndmask_b32_e64 v4, 0, v4, s[30:31]
	v_cmp_nlt_f32_e64 s[30:31], s35, v12
	v_sub_f32_e32 v15, v15, v2
	v_cndmask_b32_e64 v12, v30, v4, s[30:31]
	v_ldexp_f32 v4, v10, v17
	v_mul_f32_e32 v10, 0x3fb8aa3b, v15
	v_fma_f32 v17, v15, s34, -v10
	v_rndne_f32_e32 v31, v10
	v_fmac_f32_e32 v17, 0x32a5705f, v15
	v_sub_f32_e32 v10, v10, v31
	v_add_f32_e32 v10, v10, v17
	v_exp_f32_e32 v17, v10
	v_cvt_i32_f32_e32 v31, v31
	v_cmp_ngt_f32_e64 s[30:31], s33, v9
	v_sub_f32_e32 v8, v8, v2
	v_cndmask_b32_e64 v4, 0, v4, s[30:31]
	v_cmp_nlt_f32_e64 s[30:31], s35, v9
	v_mul_f32_e32 v9, 0x3fb8aa3b, v8
	v_cndmask_b32_e64 v10, v30, v4, s[30:31]
	v_ldexp_f32 v4, v17, v31
	v_fma_f32 v17, v8, s34, -v9
	v_rndne_f32_e32 v31, v9
	v_fmac_f32_e32 v17, 0x32a5705f, v8
	v_sub_f32_e32 v9, v9, v31
	v_add_f32_e32 v9, v9, v17
	v_exp_f32_e32 v17, v9
	v_cvt_i32_f32_e32 v31, v31
	v_cmp_ngt_f32_e64 s[30:31], s33, v15
	v_sub_f32_e32 v13, v13, v2
	v_cndmask_b32_e64 v4, 0, v4, s[30:31]
	v_cmp_nlt_f32_e64 s[30:31], s35, v15
	v_mul_f32_e32 v15, 0x3fb8aa3b, v13
	v_cndmask_b32_e64 v9, v30, v4, s[30:31]
	v_ldexp_f32 v4, v17, v31
	v_fma_f32 v17, v13, s34, -v15
	v_rndne_f32_e32 v31, v15
	v_fmac_f32_e32 v17, 0x32a5705f, v13
	v_sub_f32_e32 v15, v15, v31
	v_add_f32_e32 v15, v15, v17
	v_exp_f32_e32 v15, v15
	v_cvt_i32_f32_e32 v17, v31
	v_cmp_ngt_f32_e64 s[30:31], s33, v8
	v_cndmask_b32_e64 v4, 0, v4, s[30:31]
	v_cmp_nlt_f32_e64 s[30:31], s35, v8
	v_cndmask_b32_e64 v8, v30, v4, s[30:31]
	v_ldexp_f32 v4, v15, v17
	v_sub_f32_e32 v15, v7, v2
	v_mul_f32_e32 v7, 0x3fb8aa3b, v15
	v_fma_f32 v17, v15, s34, -v7
	v_rndne_f32_e32 v31, v7
	v_fmac_f32_e32 v17, 0x32a5705f, v15
	v_sub_f32_e32 v7, v7, v31
	v_add_f32_e32 v3, v28, v25
	v_add_f32_e32 v7, v7, v17
	v_add_f32_e32 v3, v3, v23
	v_exp_f32_e32 v17, v7
	v_cvt_i32_f32_e32 v31, v31
	v_add_f32_e32 v3, v3, v21
	v_add_f32_e32 v3, v3, v19
	v_cmp_ngt_f32_e64 s[30:31], s33, v13
	v_sub_f32_e32 v11, v11, v2
	v_add_f32_e32 v3, v3, v18
	v_cndmask_b32_e64 v4, 0, v4, s[30:31]
	v_cmp_nlt_f32_e64 s[30:31], s35, v13
	v_mul_f32_e32 v13, 0x3fb8aa3b, v11
	v_add_f32_e32 v3, v3, v16
	v_cndmask_b32_e64 v7, v30, v4, s[30:31]
	v_ldexp_f32 v4, v17, v31
	v_fma_f32 v17, v11, s34, -v13
	v_rndne_f32_e32 v31, v13
	v_add_f32_e32 v3, v3, v14
	v_fmac_f32_e32 v17, 0x32a5705f, v11
	v_sub_f32_e32 v13, v13, v31
	v_add_f32_e32 v3, v3, v12
	v_add_f32_e32 v13, v13, v17
	;; [unrolled: 1-line block ×3, first 2 shown]
	v_exp_f32_e32 v13, v13
	v_cvt_i32_f32_e32 v17, v31
	v_add_f32_e32 v3, v3, v9
	v_cmp_ngt_f32_e64 s[30:31], s33, v15
	v_add_f32_e32 v3, v3, v8
	v_cndmask_b32_e64 v4, 0, v4, s[30:31]
	v_cmp_nlt_f32_e64 s[30:31], s35, v15
	v_sub_f32_e32 v2, v6, v2
	v_add_f32_e32 v3, v3, v7
	v_cndmask_b32_e64 v4, v30, v4, s[30:31]
	v_mul_f32_e32 v6, 0x3fb8aa3b, v2
	v_add_f32_e32 v15, v3, v4
	v_ldexp_f32 v3, v13, v17
	v_fma_f32 v13, v2, s34, -v6
	v_rndne_f32_e32 v17, v6
	v_fmac_f32_e32 v13, 0x32a5705f, v2
	v_sub_f32_e32 v6, v6, v17
	v_add_f32_e32 v6, v6, v13
	v_exp_f32_e32 v6, v6
	v_cvt_i32_f32_e32 v13, v17
	v_cmp_ngt_f32_e64 s[30:31], s33, v11
	v_cndmask_b32_e64 v3, 0, v3, s[30:31]
	v_cmp_nlt_f32_e64 s[30:31], s35, v11
	v_cndmask_b32_e64 v3, v30, v3, s[30:31]
	v_ldexp_f32 v6, v6, v13
	v_cmp_ngt_f32_e64 s[30:31], s33, v2
	v_cndmask_b32_e64 v6, 0, v6, s[30:31]
	v_cmp_nlt_f32_e64 s[30:31], s35, v2
	v_add_f32_e32 v11, v15, v3
	v_cndmask_b32_e64 v2, v30, v6, s[30:31]
	v_add_f32_e32 v6, v11, v2
	ds_bpermute_b32 v11, v20, v6
	v_cmp_lt_i32_e64 s[30:31], 0, v5
	s_waitcnt lgkmcnt(0)
	v_add_f32_e32 v6, v6, v11
	ds_bpermute_b32 v11, v22, v6
	s_waitcnt lgkmcnt(0)
	v_add_f32_e32 v6, v6, v11
	ds_bpermute_b32 v11, v24, v6
	;; [unrolled: 3-line block ×5, first 2 shown]
	s_and_saveexec_b64 s[34:35], s[30:31]
	s_cbranch_execz .LBB504_50
; %bb.33:
	s_and_b64 exec, exec, vcc
	s_cbranch_execz .LBB504_50
; %bb.34:
	s_waitcnt lgkmcnt(0)
	v_add_f32_e32 v5, v6, v11
	v_div_scale_f32 v11, s[30:31], v5, v5, v28
	v_rcp_f32_e32 v13, v11
	v_lshlrev_b64 v[0:1], 2, v[0:1]
	v_mov_b32_e32 v6, s37
	v_add_co_u32_e32 v0, vcc, s36, v0
	v_addc_co_u32_e32 v1, vcc, v6, v1, vcc
	v_fma_f32 v6, -v11, v13, 1.0
	v_fmac_f32_e32 v13, v6, v13
	v_div_scale_f32 v6, vcc, v28, v5, v28
	v_mul_f32_e32 v15, v6, v13
	v_fma_f32 v17, -v11, v15, v6
	v_fmac_f32_e32 v15, v17, v13
	v_fma_f32 v6, -v11, v15, v6
	v_div_fmas_f32 v6, v6, v13, v15
	v_div_fixup_f32 v11, v6, v5, v28
	v_mov_b32_e32 v6, 0x7fc00000
	v_cmp_eq_f32_e64 s[30:31], 0, v5
	v_cndmask_b32_e64 v11, v11, v6, s[30:31]
	global_store_dword v[0:1], v11, off
	s_and_b64 exec, exec, s[28:29]
	s_cbranch_execz .LBB504_50
; %bb.35:
	v_div_scale_f32 v11, s[28:29], v5, v5, v25
	v_rcp_f32_e32 v13, v11
	v_div_scale_f32 v15, vcc, v25, v5, v25
	v_fma_f32 v17, -v11, v13, 1.0
	v_fmac_f32_e32 v13, v17, v13
	v_mul_f32_e32 v17, v15, v13
	v_fma_f32 v20, -v11, v17, v15
	v_fmac_f32_e32 v17, v20, v13
	v_fma_f32 v11, -v11, v17, v15
	v_div_fmas_f32 v11, v11, v13, v17
	v_div_fixup_f32 v11, v11, v5, v25
	v_cndmask_b32_e64 v6, v11, v6, s[30:31]
	global_store_dword v[0:1], v6, off offset:256
	s_and_b64 exec, exec, s[26:27]
	s_cbranch_execz .LBB504_50
; %bb.36:
	v_div_scale_f32 v6, s[26:27], v5, v5, v23
	v_rcp_f32_e32 v11, v6
	v_div_scale_f32 v13, vcc, v23, v5, v23
	v_fma_f32 v15, -v6, v11, 1.0
	v_fmac_f32_e32 v11, v15, v11
	v_mul_f32_e32 v15, v13, v11
	v_fma_f32 v17, -v6, v15, v13
	v_fmac_f32_e32 v15, v17, v11
	v_fma_f32 v6, -v6, v15, v13
	v_div_fmas_f32 v6, v6, v11, v15
	v_div_fixup_f32 v11, v6, v5, v23
	v_mov_b32_e32 v6, 0x7fc00000
	v_cndmask_b32_e64 v11, v11, v6, s[30:31]
	global_store_dword v[0:1], v11, off offset:512
	s_and_b64 exec, exec, s[24:25]
	s_cbranch_execz .LBB504_50
; %bb.37:
	v_div_scale_f32 v11, s[24:25], v5, v5, v21
	v_rcp_f32_e32 v13, v11
	v_div_scale_f32 v15, vcc, v21, v5, v21
	v_fma_f32 v17, -v11, v13, 1.0
	v_fmac_f32_e32 v13, v17, v13
	v_mul_f32_e32 v17, v15, v13
	v_fma_f32 v20, -v11, v17, v15
	v_fmac_f32_e32 v17, v20, v13
	v_fma_f32 v11, -v11, v17, v15
	v_div_fmas_f32 v11, v11, v13, v17
	v_div_fixup_f32 v11, v11, v5, v21
	v_cndmask_b32_e64 v6, v11, v6, s[30:31]
	global_store_dword v[0:1], v6, off offset:768
	s_and_b64 exec, exec, s[22:23]
	s_cbranch_execz .LBB504_50
; %bb.38:
	v_div_scale_f32 v6, s[22:23], v5, v5, v19
	v_rcp_f32_e32 v11, v6
	v_div_scale_f32 v13, vcc, v19, v5, v19
	v_fma_f32 v15, -v6, v11, 1.0
	v_fmac_f32_e32 v11, v15, v11
	v_mul_f32_e32 v15, v13, v11
	v_fma_f32 v17, -v6, v15, v13
	v_fmac_f32_e32 v15, v17, v11
	v_fma_f32 v6, -v6, v15, v13
	v_div_fmas_f32 v6, v6, v11, v15
	v_div_fixup_f32 v11, v6, v5, v19
	v_mov_b32_e32 v6, 0x7fc00000
	v_cndmask_b32_e64 v11, v11, v6, s[30:31]
	global_store_dword v[0:1], v11, off offset:1024
	s_and_b64 exec, exec, s[20:21]
	s_cbranch_execz .LBB504_50
; %bb.39:
	v_div_scale_f32 v11, s[20:21], v5, v5, v18
	v_rcp_f32_e32 v13, v11
	v_div_scale_f32 v15, vcc, v18, v5, v18
	v_fma_f32 v17, -v11, v13, 1.0
	v_fmac_f32_e32 v13, v17, v13
	v_mul_f32_e32 v17, v15, v13
	v_fma_f32 v19, -v11, v17, v15
	v_fmac_f32_e32 v17, v19, v13
	v_fma_f32 v11, -v11, v17, v15
	v_div_fmas_f32 v11, v11, v13, v17
	v_div_fixup_f32 v11, v11, v5, v18
	v_cndmask_b32_e64 v6, v11, v6, s[30:31]
	global_store_dword v[0:1], v6, off offset:1280
	s_and_b64 exec, exec, s[18:19]
	s_cbranch_execz .LBB504_50
; %bb.40:
	v_div_scale_f32 v6, s[18:19], v5, v5, v16
	v_rcp_f32_e32 v11, v6
	v_div_scale_f32 v13, vcc, v16, v5, v16
	v_fma_f32 v15, -v6, v11, 1.0
	v_fmac_f32_e32 v11, v15, v11
	v_mul_f32_e32 v15, v13, v11
	v_fma_f32 v17, -v6, v15, v13
	v_fmac_f32_e32 v15, v17, v11
	v_fma_f32 v6, -v6, v15, v13
	v_div_fmas_f32 v6, v6, v11, v15
	v_div_fixup_f32 v11, v6, v5, v16
	v_mov_b32_e32 v6, 0x7fc00000
	v_cndmask_b32_e64 v11, v11, v6, s[30:31]
	global_store_dword v[0:1], v11, off offset:1536
	s_and_b64 exec, exec, s[16:17]
	s_cbranch_execz .LBB504_50
; %bb.41:
	v_div_scale_f32 v11, s[16:17], v5, v5, v14
	v_rcp_f32_e32 v13, v11
	v_div_scale_f32 v15, vcc, v14, v5, v14
	v_fma_f32 v16, -v11, v13, 1.0
	v_fmac_f32_e32 v13, v16, v13
	v_mul_f32_e32 v16, v15, v13
	v_fma_f32 v17, -v11, v16, v15
	v_fmac_f32_e32 v16, v17, v13
	v_fma_f32 v11, -v11, v16, v15
	v_div_fmas_f32 v11, v11, v13, v16
	v_div_fixup_f32 v11, v11, v5, v14
	v_cndmask_b32_e64 v6, v11, v6, s[30:31]
	global_store_dword v[0:1], v6, off offset:1792
	s_and_b64 exec, exec, s[14:15]
	s_cbranch_execz .LBB504_50
; %bb.42:
	v_div_scale_f32 v6, s[14:15], v5, v5, v12
	v_rcp_f32_e32 v11, v6
	v_div_scale_f32 v13, vcc, v12, v5, v12
	v_fma_f32 v14, -v6, v11, 1.0
	v_fmac_f32_e32 v11, v14, v11
	v_mul_f32_e32 v14, v13, v11
	v_fma_f32 v15, -v6, v14, v13
	v_fmac_f32_e32 v14, v15, v11
	v_fma_f32 v6, -v6, v14, v13
	v_div_fmas_f32 v6, v6, v11, v14
	v_div_fixup_f32 v11, v6, v5, v12
	v_mov_b32_e32 v6, 0x7fc00000
	v_cndmask_b32_e64 v11, v11, v6, s[30:31]
	global_store_dword v[0:1], v11, off offset:2048
	s_and_b64 exec, exec, s[12:13]
	s_cbranch_execz .LBB504_50
; %bb.43:
	v_div_scale_f32 v11, s[12:13], v5, v5, v10
	v_rcp_f32_e32 v12, v11
	v_div_scale_f32 v13, vcc, v10, v5, v10
	v_fma_f32 v14, -v11, v12, 1.0
	v_fmac_f32_e32 v12, v14, v12
	v_mul_f32_e32 v14, v13, v12
	v_fma_f32 v15, -v11, v14, v13
	v_fmac_f32_e32 v14, v15, v12
	v_fma_f32 v11, -v11, v14, v13
	v_div_fmas_f32 v11, v11, v12, v14
	v_div_fixup_f32 v10, v11, v5, v10
	v_cndmask_b32_e64 v6, v10, v6, s[30:31]
	global_store_dword v[0:1], v6, off offset:2304
	s_and_b64 exec, exec, s[10:11]
	s_cbranch_execz .LBB504_50
; %bb.44:
	v_div_scale_f32 v6, s[10:11], v5, v5, v9
	v_rcp_f32_e32 v10, v6
	v_div_scale_f32 v11, vcc, v9, v5, v9
	v_fma_f32 v12, -v6, v10, 1.0
	v_fmac_f32_e32 v10, v12, v10
	v_mul_f32_e32 v12, v11, v10
	v_fma_f32 v13, -v6, v12, v11
	v_fmac_f32_e32 v12, v13, v10
	v_fma_f32 v6, -v6, v12, v11
	v_div_fmas_f32 v6, v6, v10, v12
	v_div_fixup_f32 v9, v6, v5, v9
	v_mov_b32_e32 v6, 0x7fc00000
	v_cndmask_b32_e64 v9, v9, v6, s[30:31]
	global_store_dword v[0:1], v9, off offset:2560
	s_and_b64 exec, exec, s[8:9]
	s_cbranch_execz .LBB504_50
; %bb.45:
	v_div_scale_f32 v9, s[8:9], v5, v5, v8
	v_rcp_f32_e32 v10, v9
	v_div_scale_f32 v11, vcc, v8, v5, v8
	v_fma_f32 v12, -v9, v10, 1.0
	v_fmac_f32_e32 v10, v12, v10
	v_mul_f32_e32 v12, v11, v10
	v_fma_f32 v13, -v9, v12, v11
	v_fmac_f32_e32 v12, v13, v10
	v_fma_f32 v9, -v9, v12, v11
	v_div_fmas_f32 v9, v9, v10, v12
	v_div_fixup_f32 v8, v9, v5, v8
	v_cndmask_b32_e64 v6, v8, v6, s[30:31]
	global_store_dword v[0:1], v6, off offset:2816
	s_and_b64 exec, exec, s[6:7]
	s_cbranch_execz .LBB504_50
; %bb.46:
	v_div_scale_f32 v6, s[6:7], v5, v5, v7
	v_rcp_f32_e32 v8, v6
	v_div_scale_f32 v9, vcc, v7, v5, v7
	v_fma_f32 v10, -v6, v8, 1.0
	v_fmac_f32_e32 v8, v10, v8
	v_mul_f32_e32 v10, v9, v8
	v_fma_f32 v11, -v6, v10, v9
	v_fmac_f32_e32 v10, v11, v8
	v_fma_f32 v6, -v6, v10, v9
	v_div_fmas_f32 v6, v6, v8, v10
	v_div_fixup_f32 v7, v6, v5, v7
	v_mov_b32_e32 v6, 0x7fc00000
	v_cndmask_b32_e64 v7, v7, v6, s[30:31]
	global_store_dword v[0:1], v7, off offset:3072
	s_and_b64 exec, exec, s[4:5]
	s_cbranch_execz .LBB504_50
; %bb.47:
	v_div_scale_f32 v7, s[4:5], v5, v5, v4
	v_rcp_f32_e32 v8, v7
	v_div_scale_f32 v9, vcc, v4, v5, v4
	v_fma_f32 v10, -v7, v8, 1.0
	v_fmac_f32_e32 v8, v10, v8
	v_mul_f32_e32 v10, v9, v8
	v_fma_f32 v11, -v7, v10, v9
	v_fmac_f32_e32 v10, v11, v8
	v_fma_f32 v7, -v7, v10, v9
	v_div_fmas_f32 v7, v7, v8, v10
	v_div_fixup_f32 v4, v7, v5, v4
	v_cndmask_b32_e64 v4, v4, v6, s[30:31]
	global_store_dword v[0:1], v4, off offset:3328
	s_and_b64 exec, exec, s[2:3]
	s_cbranch_execz .LBB504_50
; %bb.48:
	v_div_scale_f32 v4, s[2:3], v5, v5, v3
	v_rcp_f32_e32 v6, v4
	v_div_scale_f32 v7, vcc, v3, v5, v3
	v_fma_f32 v8, -v4, v6, 1.0
	v_fmac_f32_e32 v6, v8, v6
	v_mul_f32_e32 v8, v7, v6
	v_fma_f32 v9, -v4, v8, v7
	v_fmac_f32_e32 v8, v9, v6
	v_fma_f32 v4, -v4, v8, v7
	v_div_fmas_f32 v4, v4, v6, v8
	v_div_fixup_f32 v4, v4, v5, v3
	v_mov_b32_e32 v3, 0x7fc00000
	v_cndmask_b32_e64 v4, v4, v3, s[30:31]
	global_store_dword v[0:1], v4, off offset:3584
	s_and_b64 exec, exec, s[0:1]
	s_cbranch_execz .LBB504_50
; %bb.49:
	v_div_scale_f32 v4, s[0:1], v5, v5, v2
	v_rcp_f32_e32 v6, v4
	v_div_scale_f32 v7, vcc, v2, v5, v2
	v_fma_f32 v8, -v4, v6, 1.0
	v_fmac_f32_e32 v6, v8, v6
	v_mul_f32_e32 v8, v7, v6
	v_fma_f32 v9, -v4, v8, v7
	v_fmac_f32_e32 v8, v9, v6
	v_fma_f32 v4, -v4, v8, v7
	v_div_fmas_f32 v4, v4, v6, v8
	v_div_fixup_f32 v2, v4, v5, v2
	v_cndmask_b32_e64 v2, v2, v3, s[30:31]
	global_store_dword v[0:1], v2, off offset:3840
.LBB504_50:
	s_endpgm
	.section	.rodata,"a",@progbits
	.p2align	6, 0x0
	.amdhsa_kernel _ZN12_GLOBAL__N_120softmax_warp_forwardIN3c108BFloat16EffLi10ELb0ELb0ELi64EEEvPT0_PKT_iiiPKbib
		.amdhsa_group_segment_fixed_size 0
		.amdhsa_private_segment_fixed_size 0
		.amdhsa_kernarg_size 304
		.amdhsa_user_sgpr_count 6
		.amdhsa_user_sgpr_private_segment_buffer 1
		.amdhsa_user_sgpr_dispatch_ptr 0
		.amdhsa_user_sgpr_queue_ptr 0
		.amdhsa_user_sgpr_kernarg_segment_ptr 1
		.amdhsa_user_sgpr_dispatch_id 0
		.amdhsa_user_sgpr_flat_scratch_init 0
		.amdhsa_user_sgpr_kernarg_preload_length 0
		.amdhsa_user_sgpr_kernarg_preload_offset 0
		.amdhsa_user_sgpr_private_segment_size 0
		.amdhsa_uses_dynamic_stack 0
		.amdhsa_system_sgpr_private_segment_wavefront_offset 0
		.amdhsa_system_sgpr_workgroup_id_x 1
		.amdhsa_system_sgpr_workgroup_id_y 0
		.amdhsa_system_sgpr_workgroup_id_z 0
		.amdhsa_system_sgpr_workgroup_info 0
		.amdhsa_system_vgpr_workitem_id 1
		.amdhsa_next_free_vgpr 32
		.amdhsa_next_free_sgpr 44
		.amdhsa_accum_offset 32
		.amdhsa_reserve_vcc 1
		.amdhsa_reserve_flat_scratch 0
		.amdhsa_float_round_mode_32 0
		.amdhsa_float_round_mode_16_64 0
		.amdhsa_float_denorm_mode_32 3
		.amdhsa_float_denorm_mode_16_64 3
		.amdhsa_dx10_clamp 1
		.amdhsa_ieee_mode 1
		.amdhsa_fp16_overflow 0
		.amdhsa_tg_split 0
		.amdhsa_exception_fp_ieee_invalid_op 0
		.amdhsa_exception_fp_denorm_src 0
		.amdhsa_exception_fp_ieee_div_zero 0
		.amdhsa_exception_fp_ieee_overflow 0
		.amdhsa_exception_fp_ieee_underflow 0
		.amdhsa_exception_fp_ieee_inexact 0
		.amdhsa_exception_int_div_zero 0
	.end_amdhsa_kernel
	.section	.text._ZN12_GLOBAL__N_120softmax_warp_forwardIN3c108BFloat16EffLi10ELb0ELb0ELi64EEEvPT0_PKT_iiiPKbib,"axG",@progbits,_ZN12_GLOBAL__N_120softmax_warp_forwardIN3c108BFloat16EffLi10ELb0ELb0ELi64EEEvPT0_PKT_iiiPKbib,comdat
.Lfunc_end504:
	.size	_ZN12_GLOBAL__N_120softmax_warp_forwardIN3c108BFloat16EffLi10ELb0ELb0ELi64EEEvPT0_PKT_iiiPKbib, .Lfunc_end504-_ZN12_GLOBAL__N_120softmax_warp_forwardIN3c108BFloat16EffLi10ELb0ELb0ELi64EEEvPT0_PKT_iiiPKbib
                                        ; -- End function
	.section	.AMDGPU.csdata,"",@progbits
; Kernel info:
; codeLenInByte = 4792
; NumSgprs: 48
; NumVgprs: 32
; NumAgprs: 0
; TotalNumVgprs: 32
; ScratchSize: 0
; MemoryBound: 0
; FloatMode: 240
; IeeeMode: 1
; LDSByteSize: 0 bytes/workgroup (compile time only)
; SGPRBlocks: 5
; VGPRBlocks: 3
; NumSGPRsForWavesPerEU: 48
; NumVGPRsForWavesPerEU: 32
; AccumOffset: 32
; Occupancy: 8
; WaveLimiterHint : 0
; COMPUTE_PGM_RSRC2:SCRATCH_EN: 0
; COMPUTE_PGM_RSRC2:USER_SGPR: 6
; COMPUTE_PGM_RSRC2:TRAP_HANDLER: 0
; COMPUTE_PGM_RSRC2:TGID_X_EN: 1
; COMPUTE_PGM_RSRC2:TGID_Y_EN: 0
; COMPUTE_PGM_RSRC2:TGID_Z_EN: 0
; COMPUTE_PGM_RSRC2:TIDIG_COMP_CNT: 1
; COMPUTE_PGM_RSRC3_GFX90A:ACCUM_OFFSET: 7
; COMPUTE_PGM_RSRC3_GFX90A:TG_SPLIT: 0
	.section	.text._ZN12_GLOBAL__N_120softmax_warp_forwardIN3c108BFloat16EffLi10ELb0ELb0ELi32EEEvPT0_PKT_iiiPKbib,"axG",@progbits,_ZN12_GLOBAL__N_120softmax_warp_forwardIN3c108BFloat16EffLi10ELb0ELb0ELi32EEEvPT0_PKT_iiiPKbib,comdat
	.globl	_ZN12_GLOBAL__N_120softmax_warp_forwardIN3c108BFloat16EffLi10ELb0ELb0ELi32EEEvPT0_PKT_iiiPKbib ; -- Begin function _ZN12_GLOBAL__N_120softmax_warp_forwardIN3c108BFloat16EffLi10ELb0ELb0ELi32EEEvPT0_PKT_iiiPKbib
	.p2align	8
	.type	_ZN12_GLOBAL__N_120softmax_warp_forwardIN3c108BFloat16EffLi10ELb0ELb0ELi32EEEvPT0_PKT_iiiPKbib,@function
_ZN12_GLOBAL__N_120softmax_warp_forwardIN3c108BFloat16EffLi10ELb0ELb0ELi32EEEvPT0_PKT_iiiPKbib: ; @_ZN12_GLOBAL__N_120softmax_warp_forwardIN3c108BFloat16EffLi10ELb0ELb0ELi32EEEvPT0_PKT_iiiPKbib
; %bb.0:
	s_load_dword s0, s[4:5], 0x3c
	s_load_dwordx8 s[68:75], s[4:5], 0x0
	v_bfe_u32 v1, v0, 10, 10
	v_and_b32_e32 v4, 0x3ff, v0
	v_mov_b32_e32 v32, 0xff800000
	s_waitcnt lgkmcnt(0)
	s_lshr_b32 s0, s0, 16
	s_mul_i32 s6, s6, s0
	v_add_u32_e32 v1, s6, v1
	v_sub_u32_e32 v5, s72, v1
	v_mad_u64_u32 v[0:1], s[0:1], v1, s73, v[4:5]
	v_ashrrev_i32_e32 v1, 31, v0
	v_lshlrev_b64 v[2:3], 1, v[0:1]
	v_mov_b32_e32 v6, s71
	v_add_co_u32_e32 v2, vcc, s70, v2
	v_addc_co_u32_e32 v3, vcc, v6, v3, vcc
	v_cmp_lt_i32_e64 s[64:65], 0, v5
	v_cmp_gt_i32_e32 vcc, s74, v4
	s_and_b64 s[2:3], s[64:65], vcc
	v_mov_b32_e32 v37, 0xff800000
	s_and_saveexec_b64 s[0:1], s[2:3]
	s_cbranch_execz .LBB505_2
; %bb.1:
	global_load_ushort v6, v[2:3], off
	s_waitcnt vmcnt(0)
	v_lshlrev_b32_e32 v37, 16, v6
.LBB505_2:
	s_or_b64 exec, exec, s[0:1]
	v_add_u32_e32 v6, 32, v4
	v_cmp_gt_i32_e64 s[62:63], s74, v6
	s_and_b64 s[2:3], s[64:65], s[62:63]
	s_and_saveexec_b64 s[0:1], s[2:3]
	s_cbranch_execz .LBB505_4
; %bb.3:
	global_load_ushort v6, v[2:3], off offset:64
	s_waitcnt vmcnt(0)
	v_lshlrev_b32_e32 v32, 16, v6
.LBB505_4:
	s_or_b64 exec, exec, s[0:1]
	v_add_u32_e32 v6, 64, v4
	v_cmp_gt_i32_e64 s[60:61], s74, v6
	s_and_b64 s[2:3], s[64:65], s[60:61]
	v_mov_b32_e32 v29, 0xff800000
	v_mov_b32_e32 v36, 0xff800000
	s_and_saveexec_b64 s[0:1], s[2:3]
	s_cbranch_execz .LBB505_6
; %bb.5:
	global_load_ushort v6, v[2:3], off offset:128
	s_waitcnt vmcnt(0)
	v_lshlrev_b32_e32 v36, 16, v6
.LBB505_6:
	s_or_b64 exec, exec, s[0:1]
	v_add_u32_e32 v6, 0x60, v4
	v_cmp_gt_i32_e64 s[58:59], s74, v6
	s_and_b64 s[2:3], s[64:65], s[58:59]
	s_and_saveexec_b64 s[0:1], s[2:3]
	s_cbranch_execz .LBB505_8
; %bb.7:
	global_load_ushort v6, v[2:3], off offset:192
	s_waitcnt vmcnt(0)
	v_lshlrev_b32_e32 v29, 16, v6
.LBB505_8:
	s_or_b64 exec, exec, s[0:1]
	v_add_u32_e32 v6, 0x80, v4
	v_cmp_gt_i32_e64 s[56:57], s74, v6
	s_and_b64 s[2:3], s[64:65], s[56:57]
	v_mov_b32_e32 v25, 0xff800000
	v_mov_b32_e32 v35, 0xff800000
	s_and_saveexec_b64 s[0:1], s[2:3]
	s_cbranch_execz .LBB505_10
; %bb.9:
	global_load_ushort v6, v[2:3], off offset:256
	s_waitcnt vmcnt(0)
	v_lshlrev_b32_e32 v35, 16, v6
.LBB505_10:
	s_or_b64 exec, exec, s[0:1]
	v_add_u32_e32 v6, 0xa0, v4
	v_cmp_gt_i32_e64 s[54:55], s74, v6
	s_and_b64 s[2:3], s[64:65], s[54:55]
	s_and_saveexec_b64 s[0:1], s[2:3]
	s_cbranch_execz .LBB505_12
; %bb.11:
	global_load_ushort v6, v[2:3], off offset:320
	s_waitcnt vmcnt(0)
	v_lshlrev_b32_e32 v25, 16, v6
.LBB505_12:
	s_or_b64 exec, exec, s[0:1]
	v_add_u32_e32 v6, 0xc0, v4
	v_cmp_gt_i32_e64 s[52:53], s74, v6
	s_and_b64 s[2:3], s[64:65], s[52:53]
	v_mov_b32_e32 v21, 0xff800000
	v_mov_b32_e32 v34, 0xff800000
	s_and_saveexec_b64 s[0:1], s[2:3]
	s_cbranch_execz .LBB505_14
; %bb.13:
	global_load_ushort v6, v[2:3], off offset:384
	s_waitcnt vmcnt(0)
	v_lshlrev_b32_e32 v34, 16, v6
.LBB505_14:
	s_or_b64 exec, exec, s[0:1]
	v_add_u32_e32 v6, 0xe0, v4
	v_cmp_gt_i32_e64 s[50:51], s74, v6
	s_and_b64 s[2:3], s[64:65], s[50:51]
	s_and_saveexec_b64 s[0:1], s[2:3]
	s_cbranch_execz .LBB505_16
; %bb.15:
	global_load_ushort v6, v[2:3], off offset:448
	s_waitcnt vmcnt(0)
	v_lshlrev_b32_e32 v21, 16, v6
.LBB505_16:
	s_or_b64 exec, exec, s[0:1]
	v_add_u32_e32 v6, 0x100, v4
	v_cmp_gt_i32_e64 s[48:49], s74, v6
	s_and_b64 s[2:3], s[64:65], s[48:49]
	v_mov_b32_e32 v19, 0xff800000
	v_mov_b32_e32 v33, 0xff800000
	s_and_saveexec_b64 s[0:1], s[2:3]
	s_cbranch_execz .LBB505_18
; %bb.17:
	global_load_ushort v6, v[2:3], off offset:512
	s_waitcnt vmcnt(0)
	v_lshlrev_b32_e32 v33, 16, v6
.LBB505_18:
	s_or_b64 exec, exec, s[0:1]
	v_add_u32_e32 v6, 0x120, v4
	v_cmp_gt_i32_e64 s[46:47], s74, v6
	s_and_b64 s[2:3], s[64:65], s[46:47]
	s_and_saveexec_b64 s[0:1], s[2:3]
	s_cbranch_execz .LBB505_20
; %bb.19:
	global_load_ushort v6, v[2:3], off offset:576
	s_waitcnt vmcnt(0)
	v_lshlrev_b32_e32 v19, 16, v6
.LBB505_20:
	s_or_b64 exec, exec, s[0:1]
	v_add_u32_e32 v6, 0x140, v4
	v_cmp_gt_i32_e64 s[44:45], s74, v6
	s_and_b64 s[2:3], s[64:65], s[44:45]
	v_mov_b32_e32 v16, 0xff800000
	v_mov_b32_e32 v31, 0xff800000
	s_and_saveexec_b64 s[0:1], s[2:3]
	s_cbranch_execz .LBB505_22
; %bb.21:
	global_load_ushort v6, v[2:3], off offset:640
	s_waitcnt vmcnt(0)
	v_lshlrev_b32_e32 v31, 16, v6
.LBB505_22:
	s_or_b64 exec, exec, s[0:1]
	v_add_u32_e32 v6, 0x160, v4
	v_cmp_gt_i32_e64 s[42:43], s74, v6
	s_and_b64 s[2:3], s[64:65], s[42:43]
	s_and_saveexec_b64 s[0:1], s[2:3]
	s_cbranch_execz .LBB505_24
; %bb.23:
	global_load_ushort v6, v[2:3], off offset:704
	s_waitcnt vmcnt(0)
	v_lshlrev_b32_e32 v16, 16, v6
.LBB505_24:
	s_or_b64 exec, exec, s[0:1]
	v_add_u32_e32 v6, 0x180, v4
	v_cmp_gt_i32_e64 s[40:41], s74, v6
	s_and_b64 s[2:3], s[64:65], s[40:41]
	v_mov_b32_e32 v14, 0xff800000
	v_mov_b32_e32 v27, 0xff800000
	s_and_saveexec_b64 s[0:1], s[2:3]
	s_cbranch_execz .LBB505_26
; %bb.25:
	global_load_ushort v6, v[2:3], off offset:768
	s_waitcnt vmcnt(0)
	v_lshlrev_b32_e32 v27, 16, v6
.LBB505_26:
	s_or_b64 exec, exec, s[0:1]
	v_add_u32_e32 v6, 0x1a0, v4
	v_cmp_gt_i32_e64 s[38:39], s74, v6
	s_and_b64 s[2:3], s[64:65], s[38:39]
	s_and_saveexec_b64 s[0:1], s[2:3]
	s_cbranch_execz .LBB505_28
; %bb.27:
	global_load_ushort v6, v[2:3], off offset:832
	s_waitcnt vmcnt(0)
	v_lshlrev_b32_e32 v14, 16, v6
.LBB505_28:
	s_or_b64 exec, exec, s[0:1]
	v_add_u32_e32 v6, 0x1c0, v4
	v_cmp_gt_i32_e64 s[36:37], s74, v6
	s_and_b64 s[2:3], s[64:65], s[36:37]
	v_mov_b32_e32 v13, 0xff800000
	v_mov_b32_e32 v23, 0xff800000
	s_and_saveexec_b64 s[0:1], s[2:3]
	s_cbranch_execz .LBB505_30
; %bb.29:
	global_load_ushort v6, v[2:3], off offset:896
	s_waitcnt vmcnt(0)
	v_lshlrev_b32_e32 v23, 16, v6
.LBB505_30:
	s_or_b64 exec, exec, s[0:1]
	v_add_u32_e32 v6, 0x1e0, v4
	v_cmp_gt_i32_e64 s[34:35], s74, v6
	s_and_b64 s[2:3], s[64:65], s[34:35]
	s_and_saveexec_b64 s[0:1], s[2:3]
	s_cbranch_execz .LBB505_32
; %bb.31:
	global_load_ushort v6, v[2:3], off offset:960
	s_waitcnt vmcnt(0)
	v_lshlrev_b32_e32 v13, 16, v6
.LBB505_32:
	s_or_b64 exec, exec, s[0:1]
	v_add_u32_e32 v6, 0x200, v4
	v_cmp_gt_i32_e64 s[30:31], s74, v6
	s_and_b64 s[2:3], s[64:65], s[30:31]
	v_mov_b32_e32 v12, 0xff800000
	v_mov_b32_e32 v20, 0xff800000
	s_and_saveexec_b64 s[0:1], s[2:3]
	s_cbranch_execz .LBB505_34
; %bb.33:
	global_load_ushort v6, v[2:3], off offset:1024
	s_waitcnt vmcnt(0)
	v_lshlrev_b32_e32 v20, 16, v6
.LBB505_34:
	s_or_b64 exec, exec, s[0:1]
	v_add_u32_e32 v6, 0x220, v4
	v_cmp_gt_i32_e64 s[28:29], s74, v6
	s_and_b64 s[2:3], s[64:65], s[28:29]
	s_and_saveexec_b64 s[0:1], s[2:3]
	s_cbranch_execz .LBB505_36
; %bb.35:
	global_load_ushort v6, v[2:3], off offset:1088
	s_waitcnt vmcnt(0)
	v_lshlrev_b32_e32 v12, 16, v6
.LBB505_36:
	s_or_b64 exec, exec, s[0:1]
	v_add_u32_e32 v6, 0x240, v4
	v_cmp_gt_i32_e64 s[26:27], s74, v6
	s_and_b64 s[2:3], s[64:65], s[26:27]
	v_mov_b32_e32 v11, 0xff800000
	v_mov_b32_e32 v17, 0xff800000
	s_and_saveexec_b64 s[0:1], s[2:3]
	s_cbranch_execz .LBB505_38
; %bb.37:
	global_load_ushort v6, v[2:3], off offset:1152
	s_waitcnt vmcnt(0)
	v_lshlrev_b32_e32 v17, 16, v6
.LBB505_38:
	s_or_b64 exec, exec, s[0:1]
	v_add_u32_e32 v6, 0x260, v4
	v_cmp_gt_i32_e64 s[24:25], s74, v6
	s_and_b64 s[2:3], s[64:65], s[24:25]
	s_and_saveexec_b64 s[0:1], s[2:3]
	s_cbranch_execz .LBB505_40
; %bb.39:
	global_load_ushort v6, v[2:3], off offset:1216
	s_waitcnt vmcnt(0)
	v_lshlrev_b32_e32 v11, 16, v6
.LBB505_40:
	s_or_b64 exec, exec, s[0:1]
	v_add_u32_e32 v6, 0x280, v4
	v_cmp_gt_i32_e64 s[22:23], s74, v6
	s_and_b64 s[2:3], s[64:65], s[22:23]
	v_mov_b32_e32 v10, 0xff800000
	v_mov_b32_e32 v15, 0xff800000
	s_and_saveexec_b64 s[0:1], s[2:3]
	s_cbranch_execz .LBB505_42
; %bb.41:
	global_load_ushort v6, v[2:3], off offset:1280
	s_waitcnt vmcnt(0)
	v_lshlrev_b32_e32 v15, 16, v6
.LBB505_42:
	s_or_b64 exec, exec, s[0:1]
	v_add_u32_e32 v6, 0x2a0, v4
	v_cmp_gt_i32_e64 s[20:21], s74, v6
	s_and_b64 s[2:3], s[64:65], s[20:21]
	s_and_saveexec_b64 s[0:1], s[2:3]
	s_cbranch_execz .LBB505_44
; %bb.43:
	global_load_ushort v6, v[2:3], off offset:1344
	s_waitcnt vmcnt(0)
	v_lshlrev_b32_e32 v10, 16, v6
.LBB505_44:
	s_or_b64 exec, exec, s[0:1]
	v_add_u32_e32 v6, 0x2c0, v4
	v_cmp_gt_i32_e64 s[18:19], s74, v6
	s_and_b64 s[2:3], s[64:65], s[18:19]
	v_mov_b32_e32 v9, 0xff800000
	v_mov_b32_e32 v30, 0xff800000
	s_and_saveexec_b64 s[0:1], s[2:3]
	s_cbranch_execz .LBB505_46
; %bb.45:
	global_load_ushort v6, v[2:3], off offset:1408
	s_waitcnt vmcnt(0)
	v_lshlrev_b32_e32 v30, 16, v6
.LBB505_46:
	s_or_b64 exec, exec, s[0:1]
	v_add_u32_e32 v6, 0x2e0, v4
	v_cmp_gt_i32_e64 s[16:17], s74, v6
	s_and_b64 s[2:3], s[64:65], s[16:17]
	s_and_saveexec_b64 s[0:1], s[2:3]
	s_cbranch_execz .LBB505_48
; %bb.47:
	global_load_ushort v6, v[2:3], off offset:1472
	s_waitcnt vmcnt(0)
	v_lshlrev_b32_e32 v9, 16, v6
.LBB505_48:
	s_or_b64 exec, exec, s[0:1]
	v_add_u32_e32 v6, 0x300, v4
	v_cmp_gt_i32_e64 s[14:15], s74, v6
	s_and_b64 s[2:3], s[64:65], s[14:15]
	v_mov_b32_e32 v8, 0xff800000
	v_mov_b32_e32 v28, 0xff800000
	s_and_saveexec_b64 s[0:1], s[2:3]
	s_cbranch_execz .LBB505_50
; %bb.49:
	global_load_ushort v6, v[2:3], off offset:1536
	s_waitcnt vmcnt(0)
	v_lshlrev_b32_e32 v28, 16, v6
.LBB505_50:
	s_or_b64 exec, exec, s[0:1]
	v_add_u32_e32 v6, 0x320, v4
	v_cmp_gt_i32_e64 s[12:13], s74, v6
	s_and_b64 s[2:3], s[64:65], s[12:13]
	s_and_saveexec_b64 s[0:1], s[2:3]
	s_cbranch_execz .LBB505_52
; %bb.51:
	global_load_ushort v6, v[2:3], off offset:1600
	s_waitcnt vmcnt(0)
	v_lshlrev_b32_e32 v8, 16, v6
.LBB505_52:
	s_or_b64 exec, exec, s[0:1]
	v_add_u32_e32 v6, 0x340, v4
	v_cmp_gt_i32_e64 s[10:11], s74, v6
	s_and_b64 s[2:3], s[64:65], s[10:11]
	v_mov_b32_e32 v7, 0xff800000
	v_mov_b32_e32 v26, 0xff800000
	s_and_saveexec_b64 s[0:1], s[2:3]
	s_cbranch_execz .LBB505_54
; %bb.53:
	global_load_ushort v6, v[2:3], off offset:1664
	s_waitcnt vmcnt(0)
	v_lshlrev_b32_e32 v26, 16, v6
.LBB505_54:
	s_or_b64 exec, exec, s[0:1]
	v_add_u32_e32 v6, 0x360, v4
	v_cmp_gt_i32_e64 s[8:9], s74, v6
	s_and_b64 s[2:3], s[64:65], s[8:9]
	s_and_saveexec_b64 s[0:1], s[2:3]
	s_cbranch_execz .LBB505_56
; %bb.55:
	global_load_ushort v6, v[2:3], off offset:1728
	s_waitcnt vmcnt(0)
	v_lshlrev_b32_e32 v7, 16, v6
.LBB505_56:
	s_or_b64 exec, exec, s[0:1]
	v_add_u32_e32 v6, 0x380, v4
	v_cmp_gt_i32_e64 s[6:7], s74, v6
	s_and_b64 s[2:3], s[64:65], s[6:7]
	v_mov_b32_e32 v6, 0xff800000
	v_mov_b32_e32 v24, 0xff800000
	s_and_saveexec_b64 s[0:1], s[2:3]
	s_cbranch_execz .LBB505_58
; %bb.57:
	global_load_ushort v18, v[2:3], off offset:1792
	s_waitcnt vmcnt(0)
	v_lshlrev_b32_e32 v24, 16, v18
.LBB505_58:
	s_or_b64 exec, exec, s[0:1]
	v_add_u32_e32 v18, 0x3a0, v4
	v_cmp_gt_i32_e64 s[4:5], s74, v18
	s_and_b64 s[2:3], s[64:65], s[4:5]
	s_and_saveexec_b64 s[0:1], s[2:3]
	s_cbranch_execz .LBB505_60
; %bb.59:
	global_load_ushort v6, v[2:3], off offset:1856
	s_waitcnt vmcnt(0)
	v_lshlrev_b32_e32 v6, 16, v6
.LBB505_60:
	s_or_b64 exec, exec, s[0:1]
	v_add_u32_e32 v18, 0x3c0, v4
	v_cmp_gt_i32_e64 s[2:3], s74, v18
	s_and_b64 s[66:67], s[64:65], s[2:3]
	v_mov_b32_e32 v18, 0xff800000
	v_mov_b32_e32 v22, 0xff800000
	s_and_saveexec_b64 s[0:1], s[66:67]
	s_cbranch_execz .LBB505_62
; %bb.61:
	global_load_ushort v22, v[2:3], off offset:1920
	s_waitcnt vmcnt(0)
	v_lshlrev_b32_e32 v22, 16, v22
.LBB505_62:
	s_or_b64 exec, exec, s[0:1]
	v_add_u32_e32 v4, 0x3e0, v4
	v_cmp_gt_i32_e64 s[0:1], s74, v4
	s_and_b64 s[66:67], s[64:65], s[0:1]
	s_and_saveexec_b64 s[64:65], s[66:67]
	s_cbranch_execz .LBB505_64
; %bb.63:
	global_load_ushort v2, v[2:3], off offset:1984
	s_waitcnt vmcnt(0)
	v_lshlrev_b32_e32 v18, 16, v2
.LBB505_64:
	s_or_b64 exec, exec, s[64:65]
	v_cmp_gt_f32_e64 s[64:65], v37, v32
	v_cndmask_b32_e64 v2, v32, v37, s[64:65]
	v_cmp_gt_f32_e64 s[64:65], v2, v36
	v_cndmask_b32_e64 v2, v36, v2, s[64:65]
	;; [unrolled: 2-line block ×29, first 2 shown]
	v_mbcnt_lo_u32_b32 v3, -1, 0
	v_cmp_gt_f32_e64 s[64:65], v2, v22
	v_mbcnt_hi_u32_b32 v3, -1, v3
	v_cndmask_b32_e64 v2, v22, v2, s[64:65]
	v_and_b32_e32 v4, 0x60, v3
	v_cmp_gt_f32_e64 s[64:65], v2, v18
	v_add_u32_e32 v4, 32, v4
	v_xor_b32_e32 v38, 16, v3
	v_cndmask_b32_e64 v2, v18, v2, s[64:65]
	v_cmp_lt_i32_e64 s[64:65], v38, v4
	v_cndmask_b32_e64 v38, v3, v38, s[64:65]
	v_lshlrev_b32_e32 v38, 2, v38
	ds_bpermute_b32 v39, v38, v2
	s_mov_b32 s66, 0x3fb8aa3b
	s_mov_b32 s33, 0xc2ce8ed0
	;; [unrolled: 1-line block ×3, first 2 shown]
	v_mov_b32_e32 v46, 0x7f800000
	s_waitcnt lgkmcnt(0)
	v_cmp_lt_f32_e64 s[64:65], v2, v39
	v_cndmask_b32_e64 v2, v2, v39, s[64:65]
	v_xor_b32_e32 v39, 8, v3
	v_cmp_lt_i32_e64 s[64:65], v39, v4
	v_cndmask_b32_e64 v39, v3, v39, s[64:65]
	v_lshlrev_b32_e32 v40, 2, v39
	ds_bpermute_b32 v39, v40, v2
	s_waitcnt lgkmcnt(0)
	v_cmp_lt_f32_e64 s[64:65], v2, v39
	v_cndmask_b32_e64 v2, v2, v39, s[64:65]
	v_xor_b32_e32 v39, 4, v3
	v_cmp_lt_i32_e64 s[64:65], v39, v4
	v_cndmask_b32_e64 v39, v3, v39, s[64:65]
	v_lshlrev_b32_e32 v42, 2, v39
	ds_bpermute_b32 v39, v42, v2
	;; [unrolled: 8-line block ×4, first 2 shown]
	s_waitcnt lgkmcnt(0)
	v_cmp_lt_f32_e64 s[64:65], v2, v3
	v_cndmask_b32_e64 v2, v2, v3, s[64:65]
	v_sub_f32_e32 v3, v37, v2
	v_mul_f32_e32 v4, 0x3fb8aa3b, v3
	v_fma_f32 v37, v3, s66, -v4
	v_rndne_f32_e32 v39, v4
	v_fmac_f32_e32 v37, 0x32a5705f, v3
	v_sub_f32_e32 v4, v4, v39
	v_add_f32_e32 v4, v4, v37
	v_exp_f32_e32 v4, v4
	v_cvt_i32_f32_e32 v37, v39
	v_sub_f32_e32 v32, v32, v2
	v_cmp_ngt_f32_e64 s[64:65], s33, v3
	v_sub_f32_e32 v29, v29, v2
	v_ldexp_f32 v4, v4, v37
	v_mul_f32_e32 v37, 0x3fb8aa3b, v32
	v_fma_f32 v39, v32, s66, -v37
	v_rndne_f32_e32 v41, v37
	v_fmac_f32_e32 v39, 0x32a5705f, v32
	v_sub_f32_e32 v37, v37, v41
	v_add_f32_e32 v37, v37, v39
	v_exp_f32_e32 v37, v37
	v_cvt_i32_f32_e32 v39, v41
	v_cndmask_b32_e64 v4, 0, v4, s[64:65]
	v_cmp_nlt_f32_e64 s[64:65], s67, v3
	v_cndmask_b32_e64 v44, v46, v4, s[64:65]
	v_sub_f32_e32 v4, v36, v2
	v_mul_f32_e32 v36, 0x3fb8aa3b, v4
	v_ldexp_f32 v3, v37, v39
	v_fma_f32 v37, v4, s66, -v36
	v_rndne_f32_e32 v39, v36
	v_fmac_f32_e32 v37, 0x32a5705f, v4
	v_sub_f32_e32 v36, v36, v39
	v_add_f32_e32 v36, v36, v37
	v_exp_f32_e32 v36, v36
	v_cvt_i32_f32_e32 v37, v39
	v_cmp_ngt_f32_e64 s[64:65], s33, v32
	v_cndmask_b32_e64 v3, 0, v3, s[64:65]
	v_cmp_nlt_f32_e64 s[64:65], s67, v32
	v_ldexp_f32 v32, v36, v37
	v_mul_f32_e32 v36, 0x3fb8aa3b, v29
	v_fma_f32 v37, v29, s66, -v36
	v_rndne_f32_e32 v39, v36
	v_fmac_f32_e32 v37, 0x32a5705f, v29
	v_sub_f32_e32 v36, v36, v39
	v_add_f32_e32 v36, v36, v37
	v_cndmask_b32_e64 v41, v46, v3, s[64:65]
	v_cmp_ngt_f32_e64 s[64:65], s33, v4
	v_exp_f32_e32 v36, v36
	v_cvt_i32_f32_e32 v37, v39
	v_cndmask_b32_e64 v32, 0, v32, s[64:65]
	v_cmp_nlt_f32_e64 s[64:65], s67, v4
	v_cndmask_b32_e64 v39, v46, v32, s[64:65]
	v_sub_f32_e32 v32, v35, v2
	v_mul_f32_e32 v35, 0x3fb8aa3b, v32
	v_ldexp_f32 v4, v36, v37
	v_fma_f32 v36, v32, s66, -v35
	v_rndne_f32_e32 v37, v35
	v_fmac_f32_e32 v36, 0x32a5705f, v32
	v_sub_f32_e32 v35, v35, v37
	v_add_f32_e32 v35, v35, v36
	v_exp_f32_e32 v35, v35
	v_cvt_i32_f32_e32 v36, v37
	v_cmp_ngt_f32_e64 s[64:65], s33, v29
	v_sub_f32_e32 v25, v25, v2
	v_cndmask_b32_e64 v4, 0, v4, s[64:65]
	v_cmp_nlt_f32_e64 s[64:65], s67, v29
	v_mul_f32_e32 v29, 0x3fb8aa3b, v25
	v_cndmask_b32_e64 v37, v46, v4, s[64:65]
	v_ldexp_f32 v4, v35, v36
	v_fma_f32 v35, v25, s66, -v29
	v_rndne_f32_e32 v36, v29
	v_fmac_f32_e32 v35, 0x32a5705f, v25
	v_sub_f32_e32 v29, v29, v36
	v_add_f32_e32 v29, v29, v35
	v_exp_f32_e32 v29, v29
	v_cvt_i32_f32_e32 v35, v36
	v_cmp_ngt_f32_e64 s[64:65], s33, v32
	v_cndmask_b32_e64 v4, 0, v4, s[64:65]
	v_cmp_nlt_f32_e64 s[64:65], s67, v32
	v_cndmask_b32_e64 v36, v46, v4, s[64:65]
	v_ldexp_f32 v4, v29, v35
	v_sub_f32_e32 v29, v34, v2
	v_mul_f32_e32 v32, 0x3fb8aa3b, v29
	v_fma_f32 v34, v29, s66, -v32
	v_rndne_f32_e32 v35, v32
	v_fmac_f32_e32 v34, 0x32a5705f, v29
	v_sub_f32_e32 v32, v32, v35
	v_add_f32_e32 v32, v32, v34
	v_exp_f32_e32 v32, v32
	v_cvt_i32_f32_e32 v34, v35
	v_cmp_ngt_f32_e64 s[64:65], s33, v25
	v_sub_f32_e32 v21, v21, v2
	v_cndmask_b32_e64 v4, 0, v4, s[64:65]
	v_cmp_nlt_f32_e64 s[64:65], s67, v25
	v_mul_f32_e32 v25, 0x3fb8aa3b, v21
	v_cndmask_b32_e64 v35, v46, v4, s[64:65]
	v_ldexp_f32 v4, v32, v34
	v_fma_f32 v32, v21, s66, -v25
	v_rndne_f32_e32 v34, v25
	v_fmac_f32_e32 v32, 0x32a5705f, v21
	v_sub_f32_e32 v25, v25, v34
	v_add_f32_e32 v25, v25, v32
	v_exp_f32_e32 v25, v25
	v_cvt_i32_f32_e32 v32, v34
	v_cmp_ngt_f32_e64 s[64:65], s33, v29
	v_cndmask_b32_e64 v4, 0, v4, s[64:65]
	v_cmp_nlt_f32_e64 s[64:65], s67, v29
	v_cndmask_b32_e64 v34, v46, v4, s[64:65]
	v_ldexp_f32 v4, v25, v32
	v_sub_f32_e32 v25, v33, v2
	v_mul_f32_e32 v29, 0x3fb8aa3b, v25
	;; [unrolled: 28-line block ×10, first 2 shown]
	v_fma_f32 v28, v10, s66, -v11
	v_rndne_f32_e32 v30, v11
	v_fmac_f32_e32 v28, 0x32a5705f, v10
	v_sub_f32_e32 v11, v11, v30
	v_add_f32_e32 v11, v11, v28
	v_exp_f32_e32 v28, v11
	v_cvt_i32_f32_e32 v30, v30
	v_cmp_ngt_f32_e64 s[64:65], s33, v9
	v_sub_f32_e32 v8, v8, v2
	v_cndmask_b32_e64 v4, 0, v4, s[64:65]
	v_cmp_nlt_f32_e64 s[64:65], s67, v9
	v_mul_f32_e32 v9, 0x3fb8aa3b, v8
	v_cndmask_b32_e64 v11, v46, v4, s[64:65]
	v_ldexp_f32 v4, v28, v30
	v_fma_f32 v28, v8, s66, -v9
	v_rndne_f32_e32 v30, v9
	v_fmac_f32_e32 v28, 0x32a5705f, v8
	v_sub_f32_e32 v9, v9, v30
	v_add_f32_e32 v9, v9, v28
	v_exp_f32_e32 v9, v9
	v_cvt_i32_f32_e32 v28, v30
	v_cmp_ngt_f32_e64 s[64:65], s33, v10
	v_cndmask_b32_e64 v4, 0, v4, s[64:65]
	v_cmp_nlt_f32_e64 s[64:65], s67, v10
	v_sub_f32_e32 v26, v26, v2
	v_cndmask_b32_e64 v10, v46, v4, s[64:65]
	v_ldexp_f32 v4, v9, v28
	v_mul_f32_e32 v9, 0x3fb8aa3b, v26
	v_fma_f32 v28, v26, s66, -v9
	v_rndne_f32_e32 v30, v9
	v_fmac_f32_e32 v28, 0x32a5705f, v26
	v_sub_f32_e32 v9, v9, v30
	v_add_f32_e32 v9, v9, v28
	v_exp_f32_e32 v28, v9
	v_cvt_i32_f32_e32 v30, v30
	v_cmp_ngt_f32_e64 s[64:65], s33, v8
	v_sub_f32_e32 v7, v7, v2
	v_cndmask_b32_e64 v4, 0, v4, s[64:65]
	v_cmp_nlt_f32_e64 s[64:65], s67, v8
	v_mul_f32_e32 v8, 0x3fb8aa3b, v7
	v_cndmask_b32_e64 v9, v46, v4, s[64:65]
	v_ldexp_f32 v4, v28, v30
	v_fma_f32 v28, v7, s66, -v8
	v_rndne_f32_e32 v30, v8
	v_fmac_f32_e32 v28, 0x32a5705f, v7
	v_sub_f32_e32 v8, v8, v30
	v_add_f32_e32 v3, v44, v41
	v_add_f32_e32 v8, v8, v28
	;; [unrolled: 1-line block ×3, first 2 shown]
	v_exp_f32_e32 v28, v8
	v_cvt_i32_f32_e32 v30, v30
	v_add_f32_e32 v3, v3, v37
	v_add_f32_e32 v3, v3, v36
	v_cmp_ngt_f32_e64 s[64:65], s33, v26
	v_sub_f32_e32 v24, v24, v2
	v_add_f32_e32 v3, v3, v35
	v_cndmask_b32_e64 v4, 0, v4, s[64:65]
	v_cmp_nlt_f32_e64 s[64:65], s67, v26
	v_mul_f32_e32 v26, 0x3fb8aa3b, v24
	v_add_f32_e32 v3, v3, v34
	v_cndmask_b32_e64 v8, v46, v4, s[64:65]
	v_ldexp_f32 v4, v28, v30
	v_fma_f32 v28, v24, s66, -v26
	v_rndne_f32_e32 v30, v26
	v_add_f32_e32 v3, v3, v33
	v_fmac_f32_e32 v28, 0x32a5705f, v24
	v_sub_f32_e32 v26, v26, v30
	v_add_f32_e32 v3, v3, v32
	v_add_f32_e32 v26, v26, v28
	;; [unrolled: 1-line block ×3, first 2 shown]
	v_exp_f32_e32 v26, v26
	v_cvt_i32_f32_e32 v28, v30
	v_add_f32_e32 v3, v3, v29
	v_add_f32_e32 v3, v3, v27
	v_cmp_ngt_f32_e64 s[64:65], s33, v7
	v_add_f32_e32 v3, v3, v25
	v_cndmask_b32_e64 v4, 0, v4, s[64:65]
	v_cmp_nlt_f32_e64 s[64:65], s67, v7
	v_add_f32_e32 v3, v3, v23
	v_cndmask_b32_e64 v7, v46, v4, s[64:65]
	v_ldexp_f32 v4, v26, v28
	v_sub_f32_e32 v26, v6, v2
	v_add_f32_e32 v3, v3, v21
	v_mul_f32_e32 v6, 0x3fb8aa3b, v26
	v_add_f32_e32 v3, v3, v20
	v_fma_f32 v28, v26, s66, -v6
	v_rndne_f32_e32 v30, v6
	v_add_f32_e32 v3, v3, v19
	v_fmac_f32_e32 v28, 0x32a5705f, v26
	v_sub_f32_e32 v6, v6, v30
	v_add_f32_e32 v3, v3, v17
	v_add_f32_e32 v6, v6, v28
	v_add_f32_e32 v3, v3, v16
	v_exp_f32_e32 v28, v6
	v_cvt_i32_f32_e32 v30, v30
	v_add_f32_e32 v3, v3, v15
	v_add_f32_e32 v3, v3, v14
	v_cmp_ngt_f32_e64 s[64:65], s33, v24
	v_sub_f32_e32 v22, v22, v2
	v_add_f32_e32 v3, v3, v13
	v_cndmask_b32_e64 v4, 0, v4, s[64:65]
	v_cmp_nlt_f32_e64 s[64:65], s67, v24
	v_mul_f32_e32 v24, 0x3fb8aa3b, v22
	v_add_f32_e32 v3, v3, v12
	v_cndmask_b32_e64 v6, v46, v4, s[64:65]
	v_ldexp_f32 v4, v28, v30
	v_fma_f32 v28, v22, s66, -v24
	v_rndne_f32_e32 v30, v24
	v_add_f32_e32 v3, v3, v11
	v_fmac_f32_e32 v28, 0x32a5705f, v22
	v_sub_f32_e32 v24, v24, v30
	v_add_f32_e32 v3, v3, v10
	v_add_f32_e32 v24, v24, v28
	;; [unrolled: 1-line block ×3, first 2 shown]
	v_exp_f32_e32 v24, v24
	v_cvt_i32_f32_e32 v28, v30
	v_add_f32_e32 v3, v3, v8
	v_cmp_ngt_f32_e64 s[64:65], s33, v26
	v_add_f32_e32 v3, v3, v7
	v_cndmask_b32_e64 v4, 0, v4, s[64:65]
	v_cmp_nlt_f32_e64 s[64:65], s67, v26
	v_sub_f32_e32 v2, v18, v2
	v_add_f32_e32 v3, v3, v6
	v_cndmask_b32_e64 v4, v46, v4, s[64:65]
	v_mul_f32_e32 v18, 0x3fb8aa3b, v2
	v_add_f32_e32 v26, v3, v4
	v_ldexp_f32 v3, v24, v28
	v_fma_f32 v24, v2, s66, -v18
	v_rndne_f32_e32 v28, v18
	v_fmac_f32_e32 v24, 0x32a5705f, v2
	v_sub_f32_e32 v18, v18, v28
	v_add_f32_e32 v18, v18, v24
	v_exp_f32_e32 v18, v18
	v_cvt_i32_f32_e32 v24, v28
	v_cmp_ngt_f32_e64 s[64:65], s33, v22
	v_cndmask_b32_e64 v3, 0, v3, s[64:65]
	v_cmp_nlt_f32_e64 s[64:65], s67, v22
	v_cndmask_b32_e64 v3, v46, v3, s[64:65]
	v_ldexp_f32 v18, v18, v24
	v_cmp_ngt_f32_e64 s[64:65], s33, v2
	v_cndmask_b32_e64 v18, 0, v18, s[64:65]
	v_cmp_nlt_f32_e64 s[64:65], s67, v2
	v_add_f32_e32 v22, v26, v3
	v_cndmask_b32_e64 v2, v46, v18, s[64:65]
	v_add_f32_e32 v18, v22, v2
	ds_bpermute_b32 v22, v38, v18
	v_cmp_lt_i32_e64 s[64:65], 0, v5
	s_waitcnt lgkmcnt(0)
	v_add_f32_e32 v18, v18, v22
	ds_bpermute_b32 v22, v40, v18
	s_waitcnt lgkmcnt(0)
	v_add_f32_e32 v18, v18, v22
	ds_bpermute_b32 v22, v42, v18
	;; [unrolled: 3-line block ×4, first 2 shown]
	s_and_saveexec_b64 s[66:67], s[64:65]
	s_cbranch_execz .LBB505_98
; %bb.65:
	s_and_b64 exec, exec, vcc
	s_cbranch_execz .LBB505_98
; %bb.66:
	s_waitcnt lgkmcnt(0)
	v_add_f32_e32 v5, v18, v22
	v_div_scale_f32 v22, s[64:65], v5, v5, v44
	v_rcp_f32_e32 v24, v22
	v_lshlrev_b64 v[0:1], 2, v[0:1]
	v_mov_b32_e32 v18, s69
	v_add_co_u32_e32 v0, vcc, s68, v0
	v_addc_co_u32_e32 v1, vcc, v18, v1, vcc
	v_fma_f32 v18, -v22, v24, 1.0
	v_fmac_f32_e32 v24, v18, v24
	v_div_scale_f32 v18, vcc, v44, v5, v44
	v_mul_f32_e32 v26, v18, v24
	v_fma_f32 v28, -v22, v26, v18
	v_fmac_f32_e32 v26, v28, v24
	v_fma_f32 v18, -v22, v26, v18
	v_div_fmas_f32 v18, v18, v24, v26
	v_div_fixup_f32 v22, v18, v5, v44
	v_mov_b32_e32 v18, 0x7fc00000
	v_cmp_eq_f32_e64 s[64:65], 0, v5
	v_cndmask_b32_e64 v22, v22, v18, s[64:65]
	global_store_dword v[0:1], v22, off
	s_and_b64 exec, exec, s[62:63]
	s_cbranch_execz .LBB505_98
; %bb.67:
	v_div_scale_f32 v22, s[62:63], v5, v5, v41
	v_rcp_f32_e32 v24, v22
	v_div_scale_f32 v26, vcc, v41, v5, v41
	v_fma_f32 v28, -v22, v24, 1.0
	v_fmac_f32_e32 v24, v28, v24
	v_mul_f32_e32 v28, v26, v24
	v_fma_f32 v30, -v22, v28, v26
	v_fmac_f32_e32 v28, v30, v24
	v_fma_f32 v22, -v22, v28, v26
	v_div_fmas_f32 v22, v22, v24, v28
	v_div_fixup_f32 v22, v22, v5, v41
	v_cndmask_b32_e64 v18, v22, v18, s[64:65]
	global_store_dword v[0:1], v18, off offset:128
	s_and_b64 exec, exec, s[60:61]
	s_cbranch_execz .LBB505_98
; %bb.68:
	v_div_scale_f32 v18, s[60:61], v5, v5, v39
	v_rcp_f32_e32 v22, v18
	v_div_scale_f32 v24, vcc, v39, v5, v39
	v_fma_f32 v26, -v18, v22, 1.0
	v_fmac_f32_e32 v22, v26, v22
	v_mul_f32_e32 v26, v24, v22
	v_fma_f32 v28, -v18, v26, v24
	v_fmac_f32_e32 v26, v28, v22
	v_fma_f32 v18, -v18, v26, v24
	v_div_fmas_f32 v18, v18, v22, v26
	v_div_fixup_f32 v22, v18, v5, v39
	v_mov_b32_e32 v18, 0x7fc00000
	v_cndmask_b32_e64 v22, v22, v18, s[64:65]
	global_store_dword v[0:1], v22, off offset:256
	s_and_b64 exec, exec, s[58:59]
	s_cbranch_execz .LBB505_98
; %bb.69:
	v_div_scale_f32 v22, s[58:59], v5, v5, v37
	v_rcp_f32_e32 v24, v22
	v_div_scale_f32 v26, vcc, v37, v5, v37
	v_fma_f32 v28, -v22, v24, 1.0
	v_fmac_f32_e32 v24, v28, v24
	v_mul_f32_e32 v28, v26, v24
	v_fma_f32 v30, -v22, v28, v26
	v_fmac_f32_e32 v28, v30, v24
	v_fma_f32 v22, -v22, v28, v26
	v_div_fmas_f32 v22, v22, v24, v28
	v_div_fixup_f32 v22, v22, v5, v37
	v_cndmask_b32_e64 v18, v22, v18, s[64:65]
	global_store_dword v[0:1], v18, off offset:384
	s_and_b64 exec, exec, s[56:57]
	s_cbranch_execz .LBB505_98
; %bb.70:
	v_div_scale_f32 v18, s[56:57], v5, v5, v36
	v_rcp_f32_e32 v22, v18
	v_div_scale_f32 v24, vcc, v36, v5, v36
	v_fma_f32 v26, -v18, v22, 1.0
	v_fmac_f32_e32 v22, v26, v22
	v_mul_f32_e32 v26, v24, v22
	v_fma_f32 v28, -v18, v26, v24
	v_fmac_f32_e32 v26, v28, v22
	v_fma_f32 v18, -v18, v26, v24
	v_div_fmas_f32 v18, v18, v22, v26
	v_div_fixup_f32 v22, v18, v5, v36
	v_mov_b32_e32 v18, 0x7fc00000
	v_cndmask_b32_e64 v22, v22, v18, s[64:65]
	global_store_dword v[0:1], v22, off offset:512
	;; [unrolled: 33-line block ×15, first 2 shown]
	s_and_b64 exec, exec, s[0:1]
	s_cbranch_execz .LBB505_98
; %bb.97:
	v_div_scale_f32 v4, s[0:1], v5, v5, v2
	v_rcp_f32_e32 v6, v4
	v_div_scale_f32 v7, vcc, v2, v5, v2
	v_fma_f32 v8, -v4, v6, 1.0
	v_fmac_f32_e32 v6, v8, v6
	v_mul_f32_e32 v8, v7, v6
	v_fma_f32 v9, -v4, v8, v7
	v_fmac_f32_e32 v8, v9, v6
	v_fma_f32 v4, -v4, v8, v7
	v_div_fmas_f32 v4, v4, v6, v8
	v_div_fixup_f32 v2, v4, v5, v2
	v_cndmask_b32_e64 v2, v2, v3, s[64:65]
	global_store_dword v[0:1], v2, off offset:3968
.LBB505_98:
	s_endpgm
	.section	.rodata,"a",@progbits
	.p2align	6, 0x0
	.amdhsa_kernel _ZN12_GLOBAL__N_120softmax_warp_forwardIN3c108BFloat16EffLi10ELb0ELb0ELi32EEEvPT0_PKT_iiiPKbib
		.amdhsa_group_segment_fixed_size 0
		.amdhsa_private_segment_fixed_size 0
		.amdhsa_kernarg_size 304
		.amdhsa_user_sgpr_count 6
		.amdhsa_user_sgpr_private_segment_buffer 1
		.amdhsa_user_sgpr_dispatch_ptr 0
		.amdhsa_user_sgpr_queue_ptr 0
		.amdhsa_user_sgpr_kernarg_segment_ptr 1
		.amdhsa_user_sgpr_dispatch_id 0
		.amdhsa_user_sgpr_flat_scratch_init 0
		.amdhsa_user_sgpr_kernarg_preload_length 0
		.amdhsa_user_sgpr_kernarg_preload_offset 0
		.amdhsa_user_sgpr_private_segment_size 0
		.amdhsa_uses_dynamic_stack 0
		.amdhsa_system_sgpr_private_segment_wavefront_offset 0
		.amdhsa_system_sgpr_workgroup_id_x 1
		.amdhsa_system_sgpr_workgroup_id_y 0
		.amdhsa_system_sgpr_workgroup_id_z 0
		.amdhsa_system_sgpr_workgroup_info 0
		.amdhsa_system_vgpr_workitem_id 1
		.amdhsa_next_free_vgpr 47
		.amdhsa_next_free_sgpr 76
		.amdhsa_accum_offset 48
		.amdhsa_reserve_vcc 1
		.amdhsa_reserve_flat_scratch 0
		.amdhsa_float_round_mode_32 0
		.amdhsa_float_round_mode_16_64 0
		.amdhsa_float_denorm_mode_32 3
		.amdhsa_float_denorm_mode_16_64 3
		.amdhsa_dx10_clamp 1
		.amdhsa_ieee_mode 1
		.amdhsa_fp16_overflow 0
		.amdhsa_tg_split 0
		.amdhsa_exception_fp_ieee_invalid_op 0
		.amdhsa_exception_fp_denorm_src 0
		.amdhsa_exception_fp_ieee_div_zero 0
		.amdhsa_exception_fp_ieee_overflow 0
		.amdhsa_exception_fp_ieee_underflow 0
		.amdhsa_exception_fp_ieee_inexact 0
		.amdhsa_exception_int_div_zero 0
	.end_amdhsa_kernel
	.section	.text._ZN12_GLOBAL__N_120softmax_warp_forwardIN3c108BFloat16EffLi10ELb0ELb0ELi32EEEvPT0_PKT_iiiPKbib,"axG",@progbits,_ZN12_GLOBAL__N_120softmax_warp_forwardIN3c108BFloat16EffLi10ELb0ELb0ELi32EEEvPT0_PKT_iiiPKbib,comdat
.Lfunc_end505:
	.size	_ZN12_GLOBAL__N_120softmax_warp_forwardIN3c108BFloat16EffLi10ELb0ELb0ELi32EEEvPT0_PKT_iiiPKbib, .Lfunc_end505-_ZN12_GLOBAL__N_120softmax_warp_forwardIN3c108BFloat16EffLi10ELb0ELb0ELi32EEEvPT0_PKT_iiiPKbib
                                        ; -- End function
	.section	.AMDGPU.csdata,"",@progbits
; Kernel info:
; codeLenInByte = 8948
; NumSgprs: 80
; NumVgprs: 47
; NumAgprs: 0
; TotalNumVgprs: 47
; ScratchSize: 0
; MemoryBound: 0
; FloatMode: 240
; IeeeMode: 1
; LDSByteSize: 0 bytes/workgroup (compile time only)
; SGPRBlocks: 9
; VGPRBlocks: 5
; NumSGPRsForWavesPerEU: 80
; NumVGPRsForWavesPerEU: 47
; AccumOffset: 48
; Occupancy: 8
; WaveLimiterHint : 0
; COMPUTE_PGM_RSRC2:SCRATCH_EN: 0
; COMPUTE_PGM_RSRC2:USER_SGPR: 6
; COMPUTE_PGM_RSRC2:TRAP_HANDLER: 0
; COMPUTE_PGM_RSRC2:TGID_X_EN: 1
; COMPUTE_PGM_RSRC2:TGID_Y_EN: 0
; COMPUTE_PGM_RSRC2:TGID_Z_EN: 0
; COMPUTE_PGM_RSRC2:TIDIG_COMP_CNT: 1
; COMPUTE_PGM_RSRC3_GFX90A:ACCUM_OFFSET: 11
; COMPUTE_PGM_RSRC3_GFX90A:TG_SPLIT: 0
	.section	.text._ZN12_GLOBAL__N_120softmax_warp_forwardIN3c108BFloat16EffLi11ELb0ELb0ELi64EEEvPT0_PKT_iiiPKbib,"axG",@progbits,_ZN12_GLOBAL__N_120softmax_warp_forwardIN3c108BFloat16EffLi11ELb0ELb0ELi64EEEvPT0_PKT_iiiPKbib,comdat
	.globl	_ZN12_GLOBAL__N_120softmax_warp_forwardIN3c108BFloat16EffLi11ELb0ELb0ELi64EEEvPT0_PKT_iiiPKbib ; -- Begin function _ZN12_GLOBAL__N_120softmax_warp_forwardIN3c108BFloat16EffLi11ELb0ELb0ELi64EEEvPT0_PKT_iiiPKbib
	.p2align	8
	.type	_ZN12_GLOBAL__N_120softmax_warp_forwardIN3c108BFloat16EffLi11ELb0ELb0ELi64EEEvPT0_PKT_iiiPKbib,@function
_ZN12_GLOBAL__N_120softmax_warp_forwardIN3c108BFloat16EffLi11ELb0ELb0ELi64EEEvPT0_PKT_iiiPKbib: ; @_ZN12_GLOBAL__N_120softmax_warp_forwardIN3c108BFloat16EffLi11ELb0ELb0ELi64EEEvPT0_PKT_iiiPKbib
; %bb.0:
	s_load_dword s0, s[4:5], 0x3c
	s_load_dwordx8 s[68:75], s[4:5], 0x0
	v_bfe_u32 v1, v0, 10, 10
	v_and_b32_e32 v4, 0x3ff, v0
	v_mov_b32_e32 v32, 0xff800000
	s_waitcnt lgkmcnt(0)
	s_lshr_b32 s0, s0, 16
	s_mul_i32 s6, s6, s0
	v_add_u32_e32 v1, s6, v1
	v_sub_u32_e32 v5, s72, v1
	v_mad_u64_u32 v[0:1], s[0:1], v1, s73, v[4:5]
	v_ashrrev_i32_e32 v1, 31, v0
	v_lshlrev_b64 v[2:3], 1, v[0:1]
	v_mov_b32_e32 v6, s71
	v_add_co_u32_e32 v2, vcc, s70, v2
	v_addc_co_u32_e32 v3, vcc, v6, v3, vcc
	v_cmp_lt_i32_e64 s[64:65], 0, v5
	v_cmp_gt_i32_e32 vcc, s74, v4
	s_and_b64 s[2:3], s[64:65], vcc
	v_mov_b32_e32 v37, 0xff800000
	s_and_saveexec_b64 s[0:1], s[2:3]
	s_cbranch_execz .LBB506_2
; %bb.1:
	global_load_ushort v6, v[2:3], off
	s_waitcnt vmcnt(0)
	v_lshlrev_b32_e32 v37, 16, v6
.LBB506_2:
	s_or_b64 exec, exec, s[0:1]
	v_add_u32_e32 v6, 64, v4
	v_cmp_gt_i32_e64 s[62:63], s74, v6
	s_and_b64 s[2:3], s[64:65], s[62:63]
	s_and_saveexec_b64 s[0:1], s[2:3]
	s_cbranch_execz .LBB506_4
; %bb.3:
	global_load_ushort v6, v[2:3], off offset:128
	s_waitcnt vmcnt(0)
	v_lshlrev_b32_e32 v32, 16, v6
.LBB506_4:
	s_or_b64 exec, exec, s[0:1]
	v_add_u32_e32 v6, 0x80, v4
	v_cmp_gt_i32_e64 s[60:61], s74, v6
	s_and_b64 s[2:3], s[64:65], s[60:61]
	v_mov_b32_e32 v30, 0xff800000
	v_mov_b32_e32 v36, 0xff800000
	s_and_saveexec_b64 s[0:1], s[2:3]
	s_cbranch_execz .LBB506_6
; %bb.5:
	global_load_ushort v6, v[2:3], off offset:256
	s_waitcnt vmcnt(0)
	v_lshlrev_b32_e32 v36, 16, v6
.LBB506_6:
	s_or_b64 exec, exec, s[0:1]
	v_add_u32_e32 v6, 0xc0, v4
	v_cmp_gt_i32_e64 s[58:59], s74, v6
	s_and_b64 s[2:3], s[64:65], s[58:59]
	s_and_saveexec_b64 s[0:1], s[2:3]
	s_cbranch_execz .LBB506_8
; %bb.7:
	global_load_ushort v6, v[2:3], off offset:384
	s_waitcnt vmcnt(0)
	v_lshlrev_b32_e32 v30, 16, v6
.LBB506_8:
	s_or_b64 exec, exec, s[0:1]
	v_add_u32_e32 v6, 0x100, v4
	v_cmp_gt_i32_e64 s[56:57], s74, v6
	s_and_b64 s[2:3], s[64:65], s[56:57]
	v_mov_b32_e32 v27, 0xff800000
	v_mov_b32_e32 v35, 0xff800000
	s_and_saveexec_b64 s[0:1], s[2:3]
	s_cbranch_execz .LBB506_10
; %bb.9:
	global_load_ushort v6, v[2:3], off offset:512
	s_waitcnt vmcnt(0)
	v_lshlrev_b32_e32 v35, 16, v6
.LBB506_10:
	;; [unrolled: 24-line block ×7, first 2 shown]
	s_or_b64 exec, exec, s[0:1]
	v_add_u32_e32 v6, 0x3c0, v4
	v_cmp_gt_i32_e64 s[34:35], s74, v6
	s_and_b64 s[2:3], s[64:65], s[34:35]
	s_and_saveexec_b64 s[0:1], s[2:3]
	s_cbranch_execz .LBB506_32
; %bb.31:
	global_load_ushort v6, v[2:3], off offset:1920
	s_waitcnt vmcnt(0)
	v_lshlrev_b32_e32 v13, 16, v6
.LBB506_32:
	s_or_b64 exec, exec, s[0:1]
	v_or_b32_e32 v6, 0x400, v4
	v_cmp_gt_i32_e64 s[30:31], s74, v6
	s_and_b64 s[2:3], s[64:65], s[30:31]
	v_mov_b32_e32 v12, 0xff800000
	v_mov_b32_e32 v21, 0xff800000
	s_and_saveexec_b64 s[0:1], s[2:3]
	s_cbranch_execz .LBB506_34
; %bb.33:
	global_load_ushort v6, v[2:3], off offset:2048
	s_waitcnt vmcnt(0)
	v_lshlrev_b32_e32 v21, 16, v6
.LBB506_34:
	s_or_b64 exec, exec, s[0:1]
	v_add_u32_e32 v6, 0x440, v4
	v_cmp_gt_i32_e64 s[28:29], s74, v6
	s_and_b64 s[2:3], s[64:65], s[28:29]
	s_and_saveexec_b64 s[0:1], s[2:3]
	s_cbranch_execz .LBB506_36
; %bb.35:
	global_load_ushort v6, v[2:3], off offset:2176
	s_waitcnt vmcnt(0)
	v_lshlrev_b32_e32 v12, 16, v6
.LBB506_36:
	s_or_b64 exec, exec, s[0:1]
	v_add_u32_e32 v6, 0x480, v4
	v_cmp_gt_i32_e64 s[26:27], s74, v6
	s_and_b64 s[2:3], s[64:65], s[26:27]
	v_mov_b32_e32 v11, 0xff800000
	v_mov_b32_e32 v18, 0xff800000
	s_and_saveexec_b64 s[0:1], s[2:3]
	s_cbranch_execz .LBB506_38
; %bb.37:
	global_load_ushort v6, v[2:3], off offset:2304
	s_waitcnt vmcnt(0)
	v_lshlrev_b32_e32 v18, 16, v6
.LBB506_38:
	s_or_b64 exec, exec, s[0:1]
	v_add_u32_e32 v6, 0x4c0, v4
	v_cmp_gt_i32_e64 s[24:25], s74, v6
	s_and_b64 s[2:3], s[64:65], s[24:25]
	s_and_saveexec_b64 s[0:1], s[2:3]
	s_cbranch_execz .LBB506_40
; %bb.39:
	global_load_ushort v6, v[2:3], off offset:2432
	s_waitcnt vmcnt(0)
	v_lshlrev_b32_e32 v11, 16, v6
.LBB506_40:
	s_or_b64 exec, exec, s[0:1]
	v_add_u32_e32 v6, 0x500, v4
	;; [unrolled: 24-line block ×7, first 2 shown]
	v_cmp_gt_i32_e64 s[2:3], s74, v19
	s_and_b64 s[66:67], s[64:65], s[2:3]
	v_mov_b32_e32 v19, 0xff800000
	v_mov_b32_e32 v22, 0xff800000
	s_and_saveexec_b64 s[0:1], s[66:67]
	s_cbranch_execz .LBB506_62
; %bb.61:
	global_load_ushort v22, v[2:3], off offset:3840
	s_waitcnt vmcnt(0)
	v_lshlrev_b32_e32 v22, 16, v22
.LBB506_62:
	s_or_b64 exec, exec, s[0:1]
	v_add_u32_e32 v4, 0x7c0, v4
	v_cmp_gt_i32_e64 s[0:1], s74, v4
	s_and_b64 s[66:67], s[64:65], s[0:1]
	s_and_saveexec_b64 s[64:65], s[66:67]
	s_cbranch_execz .LBB506_64
; %bb.63:
	global_load_ushort v2, v[2:3], off offset:3968
	s_waitcnt vmcnt(0)
	v_lshlrev_b32_e32 v19, 16, v2
.LBB506_64:
	s_or_b64 exec, exec, s[64:65]
	v_cmp_gt_f32_e64 s[64:65], v37, v32
	v_cndmask_b32_e64 v2, v32, v37, s[64:65]
	v_cmp_gt_f32_e64 s[64:65], v2, v36
	v_cndmask_b32_e64 v2, v36, v2, s[64:65]
	;; [unrolled: 2-line block ×29, first 2 shown]
	v_mbcnt_lo_u32_b32 v3, -1, 0
	v_cmp_gt_f32_e64 s[64:65], v2, v22
	v_mbcnt_hi_u32_b32 v3, -1, v3
	v_cndmask_b32_e64 v2, v22, v2, s[64:65]
	v_and_b32_e32 v4, 64, v3
	v_cmp_gt_f32_e64 s[64:65], v2, v19
	v_add_u32_e32 v39, 64, v4
	v_xor_b32_e32 v4, 32, v3
	v_cndmask_b32_e64 v2, v19, v2, s[64:65]
	v_cmp_lt_i32_e64 s[64:65], v4, v39
	v_cndmask_b32_e64 v4, v3, v4, s[64:65]
	v_lshlrev_b32_e32 v4, 2, v4
	ds_bpermute_b32 v38, v4, v2
	s_mov_b32 s66, 0x3fb8aa3b
	s_mov_b32 s33, 0xc2ce8ed0
	;; [unrolled: 1-line block ×3, first 2 shown]
	v_mov_b32_e32 v46, 0x7f800000
	s_waitcnt lgkmcnt(0)
	v_cmp_lt_f32_e64 s[64:65], v2, v38
	v_cndmask_b32_e64 v2, v2, v38, s[64:65]
	v_xor_b32_e32 v38, 16, v3
	v_cmp_lt_i32_e64 s[64:65], v38, v39
	v_cndmask_b32_e64 v38, v3, v38, s[64:65]
	v_lshlrev_b32_e32 v38, 2, v38
	ds_bpermute_b32 v40, v38, v2
	s_waitcnt lgkmcnt(0)
	v_cmp_lt_f32_e64 s[64:65], v2, v40
	v_cndmask_b32_e64 v2, v2, v40, s[64:65]
	v_xor_b32_e32 v40, 8, v3
	v_cmp_lt_i32_e64 s[64:65], v40, v39
	v_cndmask_b32_e64 v40, v3, v40, s[64:65]
	v_lshlrev_b32_e32 v40, 2, v40
	ds_bpermute_b32 v41, v40, v2
	s_waitcnt lgkmcnt(0)
	v_cmp_lt_f32_e64 s[64:65], v2, v41
	v_cndmask_b32_e64 v2, v2, v41, s[64:65]
	v_xor_b32_e32 v41, 4, v3
	v_cmp_lt_i32_e64 s[64:65], v41, v39
	v_cndmask_b32_e64 v41, v3, v41, s[64:65]
	v_lshlrev_b32_e32 v42, 2, v41
	ds_bpermute_b32 v41, v42, v2
	s_waitcnt lgkmcnt(0)
	v_cmp_lt_f32_e64 s[64:65], v2, v41
	v_cndmask_b32_e64 v2, v2, v41, s[64:65]
	v_xor_b32_e32 v41, 2, v3
	v_cmp_lt_i32_e64 s[64:65], v41, v39
	v_cndmask_b32_e64 v41, v3, v41, s[64:65]
	v_lshlrev_b32_e32 v43, 2, v41
	ds_bpermute_b32 v41, v43, v2
	s_waitcnt lgkmcnt(0)
	v_cmp_lt_f32_e64 s[64:65], v2, v41
	v_cndmask_b32_e64 v2, v2, v41, s[64:65]
	v_xor_b32_e32 v41, 1, v3
	v_cmp_lt_i32_e64 s[64:65], v41, v39
	v_cndmask_b32_e64 v3, v3, v41, s[64:65]
	v_lshlrev_b32_e32 v45, 2, v3
	ds_bpermute_b32 v3, v45, v2
	s_waitcnt lgkmcnt(0)
	v_cmp_lt_f32_e64 s[64:65], v2, v3
	v_cndmask_b32_e64 v2, v2, v3, s[64:65]
	v_sub_f32_e32 v3, v37, v2
	v_mul_f32_e32 v37, 0x3fb8aa3b, v3
	v_fma_f32 v39, v3, s66, -v37
	v_rndne_f32_e32 v41, v37
	v_fmac_f32_e32 v39, 0x32a5705f, v3
	v_sub_f32_e32 v37, v37, v41
	v_add_f32_e32 v37, v37, v39
	v_exp_f32_e32 v37, v37
	v_cvt_i32_f32_e32 v39, v41
	v_sub_f32_e32 v32, v32, v2
	v_cmp_ngt_f32_e64 s[64:65], s33, v3
	v_sub_f32_e32 v36, v36, v2
	v_ldexp_f32 v37, v37, v39
	v_mul_f32_e32 v39, 0x3fb8aa3b, v32
	v_fma_f32 v41, v32, s66, -v39
	v_rndne_f32_e32 v44, v39
	v_fmac_f32_e32 v41, 0x32a5705f, v32
	v_sub_f32_e32 v39, v39, v44
	v_add_f32_e32 v39, v39, v41
	v_exp_f32_e32 v39, v39
	v_cvt_i32_f32_e32 v41, v44
	v_cndmask_b32_e64 v37, 0, v37, s[64:65]
	v_cmp_nlt_f32_e64 s[64:65], s67, v3
	v_cndmask_b32_e64 v44, v46, v37, s[64:65]
	v_mul_f32_e32 v37, 0x3fb8aa3b, v36
	v_ldexp_f32 v3, v39, v41
	v_fma_f32 v39, v36, s66, -v37
	v_rndne_f32_e32 v41, v37
	v_fmac_f32_e32 v39, 0x32a5705f, v36
	v_sub_f32_e32 v37, v37, v41
	v_add_f32_e32 v37, v37, v39
	v_exp_f32_e32 v37, v37
	v_cvt_i32_f32_e32 v39, v41
	v_cmp_ngt_f32_e64 s[64:65], s33, v32
	v_sub_f32_e32 v30, v30, v2
	v_cndmask_b32_e64 v3, 0, v3, s[64:65]
	v_cmp_nlt_f32_e64 s[64:65], s67, v32
	v_ldexp_f32 v32, v37, v39
	v_mul_f32_e32 v37, 0x3fb8aa3b, v30
	v_fma_f32 v39, v30, s66, -v37
	v_rndne_f32_e32 v47, v37
	v_fmac_f32_e32 v39, 0x32a5705f, v30
	v_sub_f32_e32 v37, v37, v47
	v_add_f32_e32 v37, v37, v39
	v_exp_f32_e32 v37, v37
	v_cvt_i32_f32_e32 v47, v47
	v_cndmask_b32_e64 v41, v46, v3, s[64:65]
	v_cmp_ngt_f32_e64 s[64:65], s33, v36
	v_sub_f32_e32 v35, v35, v2
	v_cndmask_b32_e64 v32, 0, v32, s[64:65]
	v_cmp_nlt_f32_e64 s[64:65], s67, v36
	v_mul_f32_e32 v36, 0x3fb8aa3b, v35
	v_cndmask_b32_e64 v39, v46, v32, s[64:65]
	v_ldexp_f32 v32, v37, v47
	v_fma_f32 v37, v35, s66, -v36
	v_rndne_f32_e32 v47, v36
	v_fmac_f32_e32 v37, 0x32a5705f, v35
	v_sub_f32_e32 v36, v36, v47
	v_add_f32_e32 v36, v36, v37
	v_exp_f32_e32 v36, v36
	v_cvt_i32_f32_e32 v47, v47
	v_cmp_ngt_f32_e64 s[64:65], s33, v30
	v_cndmask_b32_e64 v32, 0, v32, s[64:65]
	v_cmp_nlt_f32_e64 s[64:65], s67, v30
	v_sub_f32_e32 v27, v27, v2
	v_cndmask_b32_e64 v37, v46, v32, s[64:65]
	v_mul_f32_e32 v32, 0x3fb8aa3b, v27
	v_ldexp_f32 v30, v36, v47
	v_fma_f32 v36, v27, s66, -v32
	v_rndne_f32_e32 v47, v32
	v_fmac_f32_e32 v36, 0x32a5705f, v27
	v_sub_f32_e32 v32, v32, v47
	v_add_f32_e32 v32, v32, v36
	v_exp_f32_e32 v32, v32
	v_cvt_i32_f32_e32 v47, v47
	v_cmp_ngt_f32_e64 s[64:65], s33, v35
	v_cndmask_b32_e64 v30, 0, v30, s[64:65]
	v_cmp_nlt_f32_e64 s[64:65], s67, v35
	v_cndmask_b32_e64 v36, v46, v30, s[64:65]
	v_ldexp_f32 v30, v32, v47
	v_sub_f32_e32 v32, v34, v2
	v_mul_f32_e32 v34, 0x3fb8aa3b, v32
	v_fma_f32 v35, v32, s66, -v34
	v_rndne_f32_e32 v47, v34
	v_fmac_f32_e32 v35, 0x32a5705f, v32
	v_sub_f32_e32 v34, v34, v47
	v_add_f32_e32 v34, v34, v35
	v_exp_f32_e32 v34, v34
	v_cvt_i32_f32_e32 v47, v47
	v_cmp_ngt_f32_e64 s[64:65], s33, v27
	v_cndmask_b32_e64 v30, 0, v30, s[64:65]
	v_cmp_nlt_f32_e64 s[64:65], s67, v27
	v_sub_f32_e32 v23, v23, v2
	v_cndmask_b32_e64 v35, v46, v30, s[64:65]
	v_mul_f32_e32 v30, 0x3fb8aa3b, v23
	v_ldexp_f32 v27, v34, v47
	v_fma_f32 v34, v23, s66, -v30
	v_rndne_f32_e32 v47, v30
	v_fmac_f32_e32 v34, 0x32a5705f, v23
	v_sub_f32_e32 v30, v30, v47
	v_add_f32_e32 v30, v30, v34
	v_exp_f32_e32 v30, v30
	v_cvt_i32_f32_e32 v47, v47
	v_cmp_ngt_f32_e64 s[64:65], s33, v32
	v_cndmask_b32_e64 v27, 0, v27, s[64:65]
	v_cmp_nlt_f32_e64 s[64:65], s67, v32
	v_cndmask_b32_e64 v34, v46, v27, s[64:65]
	v_ldexp_f32 v27, v30, v47
	v_sub_f32_e32 v30, v33, v2
	v_mul_f32_e32 v32, 0x3fb8aa3b, v30
	;; [unrolled: 28-line block ×10, first 2 shown]
	v_fma_f32 v28, v11, s66, -v12
	v_rndne_f32_e32 v47, v12
	v_fmac_f32_e32 v28, 0x32a5705f, v11
	v_sub_f32_e32 v12, v12, v47
	v_add_f32_e32 v12, v12, v28
	v_exp_f32_e32 v28, v12
	v_cvt_i32_f32_e32 v47, v47
	v_cmp_ngt_f32_e64 s[64:65], s33, v9
	v_cndmask_b32_e64 v10, 0, v10, s[64:65]
	v_cmp_nlt_f32_e64 s[64:65], s67, v9
	v_sub_f32_e32 v8, v8, v2
	v_cndmask_b32_e64 v12, v46, v10, s[64:65]
	v_mul_f32_e32 v10, 0x3fb8aa3b, v8
	v_ldexp_f32 v9, v28, v47
	v_fma_f32 v28, v8, s66, -v10
	v_rndne_f32_e32 v47, v10
	v_fmac_f32_e32 v28, 0x32a5705f, v8
	v_sub_f32_e32 v10, v10, v47
	v_add_f32_e32 v10, v10, v28
	v_exp_f32_e32 v10, v10
	v_cvt_i32_f32_e32 v28, v47
	v_cmp_ngt_f32_e64 s[64:65], s33, v11
	v_cndmask_b32_e64 v9, 0, v9, s[64:65]
	v_cmp_nlt_f32_e64 s[64:65], s67, v11
	v_sub_f32_e32 v26, v26, v2
	v_cndmask_b32_e64 v11, v46, v9, s[64:65]
	v_ldexp_f32 v9, v10, v28
	v_mul_f32_e32 v10, 0x3fb8aa3b, v26
	v_fma_f32 v28, v26, s66, -v10
	v_rndne_f32_e32 v47, v10
	v_fmac_f32_e32 v28, 0x32a5705f, v26
	v_sub_f32_e32 v10, v10, v47
	v_add_f32_e32 v10, v10, v28
	v_exp_f32_e32 v28, v10
	v_cvt_i32_f32_e32 v47, v47
	v_cmp_ngt_f32_e64 s[64:65], s33, v8
	v_cndmask_b32_e64 v9, 0, v9, s[64:65]
	v_cmp_nlt_f32_e64 s[64:65], s67, v8
	v_sub_f32_e32 v7, v7, v2
	v_cndmask_b32_e64 v10, v46, v9, s[64:65]
	v_mul_f32_e32 v9, 0x3fb8aa3b, v7
	v_ldexp_f32 v8, v28, v47
	v_fma_f32 v28, v7, s66, -v9
	v_rndne_f32_e32 v47, v9
	v_fmac_f32_e32 v28, 0x32a5705f, v7
	v_sub_f32_e32 v9, v9, v47
	v_add_f32_e32 v3, v44, v41
	v_add_f32_e32 v9, v9, v28
	;; [unrolled: 1-line block ×3, first 2 shown]
	v_exp_f32_e32 v28, v9
	v_cvt_i32_f32_e32 v47, v47
	v_add_f32_e32 v3, v3, v37
	v_add_f32_e32 v3, v3, v36
	v_cmp_ngt_f32_e64 s[64:65], s33, v26
	v_sub_f32_e32 v24, v24, v2
	v_add_f32_e32 v3, v3, v35
	v_cndmask_b32_e64 v8, 0, v8, s[64:65]
	v_cmp_nlt_f32_e64 s[64:65], s67, v26
	v_mul_f32_e32 v26, 0x3fb8aa3b, v24
	v_add_f32_e32 v3, v3, v34
	v_cndmask_b32_e64 v9, v46, v8, s[64:65]
	v_ldexp_f32 v8, v28, v47
	v_fma_f32 v28, v24, s66, -v26
	v_rndne_f32_e32 v47, v26
	v_add_f32_e32 v3, v3, v33
	v_fmac_f32_e32 v28, 0x32a5705f, v24
	v_sub_f32_e32 v26, v26, v47
	v_add_f32_e32 v3, v3, v32
	v_add_f32_e32 v26, v26, v28
	;; [unrolled: 1-line block ×3, first 2 shown]
	v_exp_f32_e32 v26, v26
	v_cvt_i32_f32_e32 v28, v47
	v_add_f32_e32 v3, v3, v30
	v_add_f32_e32 v3, v3, v29
	;; [unrolled: 1-line block ×3, first 2 shown]
	v_cmp_ngt_f32_e64 s[64:65], s33, v7
	v_sub_f32_e32 v6, v6, v2
	v_add_f32_e32 v3, v3, v25
	v_cndmask_b32_e64 v8, 0, v8, s[64:65]
	v_cmp_nlt_f32_e64 s[64:65], s67, v7
	v_ldexp_f32 v7, v26, v28
	v_mul_f32_e32 v26, 0x3fb8aa3b, v6
	v_add_f32_e32 v3, v3, v23
	v_fma_f32 v28, v6, s66, -v26
	v_rndne_f32_e32 v47, v26
	v_add_f32_e32 v3, v3, v21
	v_fmac_f32_e32 v28, 0x32a5705f, v6
	v_sub_f32_e32 v26, v26, v47
	v_add_f32_e32 v3, v3, v20
	v_add_f32_e32 v26, v26, v28
	;; [unrolled: 1-line block ×3, first 2 shown]
	v_exp_f32_e32 v26, v26
	v_cvt_i32_f32_e32 v28, v47
	v_add_f32_e32 v3, v3, v17
	v_add_f32_e32 v3, v3, v16
	;; [unrolled: 1-line block ×3, first 2 shown]
	v_cndmask_b32_e64 v8, v46, v8, s[64:65]
	v_cmp_ngt_f32_e64 s[64:65], s33, v24
	v_sub_f32_e32 v22, v22, v2
	v_add_f32_e32 v3, v3, v14
	v_cndmask_b32_e64 v7, 0, v7, s[64:65]
	v_cmp_nlt_f32_e64 s[64:65], s67, v24
	v_ldexp_f32 v24, v26, v28
	v_mul_f32_e32 v26, 0x3fb8aa3b, v22
	v_add_f32_e32 v3, v3, v13
	v_fma_f32 v28, v22, s66, -v26
	v_rndne_f32_e32 v47, v26
	v_add_f32_e32 v3, v3, v12
	v_fmac_f32_e32 v28, 0x32a5705f, v22
	v_sub_f32_e32 v26, v26, v47
	v_add_f32_e32 v3, v3, v11
	v_add_f32_e32 v26, v26, v28
	;; [unrolled: 1-line block ×3, first 2 shown]
	v_exp_f32_e32 v26, v26
	v_cvt_i32_f32_e32 v28, v47
	v_add_f32_e32 v3, v3, v9
	v_cndmask_b32_e64 v7, v46, v7, s[64:65]
	v_cmp_ngt_f32_e64 s[64:65], s33, v6
	v_add_f32_e32 v3, v3, v8
	v_cndmask_b32_e64 v24, 0, v24, s[64:65]
	v_cmp_nlt_f32_e64 s[64:65], s67, v6
	v_sub_f32_e32 v2, v19, v2
	v_add_f32_e32 v3, v3, v7
	v_cndmask_b32_e64 v6, v46, v24, s[64:65]
	v_mul_f32_e32 v19, 0x3fb8aa3b, v2
	v_add_f32_e32 v24, v3, v6
	v_ldexp_f32 v3, v26, v28
	v_fma_f32 v26, v2, s66, -v19
	v_rndne_f32_e32 v28, v19
	v_fmac_f32_e32 v26, 0x32a5705f, v2
	v_sub_f32_e32 v19, v19, v28
	v_add_f32_e32 v19, v19, v26
	v_exp_f32_e32 v19, v19
	v_cvt_i32_f32_e32 v26, v28
	v_cmp_ngt_f32_e64 s[64:65], s33, v22
	v_cndmask_b32_e64 v3, 0, v3, s[64:65]
	v_cmp_nlt_f32_e64 s[64:65], s67, v22
	v_cndmask_b32_e64 v3, v46, v3, s[64:65]
	v_ldexp_f32 v19, v19, v26
	v_cmp_ngt_f32_e64 s[64:65], s33, v2
	v_cndmask_b32_e64 v19, 0, v19, s[64:65]
	v_cmp_nlt_f32_e64 s[64:65], s67, v2
	v_add_f32_e32 v22, v24, v3
	v_cndmask_b32_e64 v2, v46, v19, s[64:65]
	v_add_f32_e32 v19, v22, v2
	ds_bpermute_b32 v4, v4, v19
	v_cmp_lt_i32_e64 s[64:65], 0, v5
	s_waitcnt lgkmcnt(0)
	v_add_f32_e32 v4, v19, v4
	ds_bpermute_b32 v19, v38, v4
	s_waitcnt lgkmcnt(0)
	v_add_f32_e32 v4, v4, v19
	ds_bpermute_b32 v19, v40, v4
	s_waitcnt lgkmcnt(0)
	v_add_f32_e32 v4, v4, v19
	ds_bpermute_b32 v19, v42, v4
	s_waitcnt lgkmcnt(0)
	v_add_f32_e32 v4, v4, v19
	ds_bpermute_b32 v19, v43, v4
	s_waitcnt lgkmcnt(0)
	v_add_f32_e32 v4, v4, v19
	ds_bpermute_b32 v19, v45, v4
	s_and_saveexec_b64 s[66:67], s[64:65]
	s_cbranch_execz .LBB506_98
; %bb.65:
	s_and_b64 exec, exec, vcc
	s_cbranch_execz .LBB506_98
; %bb.66:
	s_waitcnt lgkmcnt(0)
	v_add_f32_e32 v4, v4, v19
	v_div_scale_f32 v19, s[64:65], v4, v4, v44
	v_rcp_f32_e32 v22, v19
	v_lshlrev_b64 v[0:1], 2, v[0:1]
	v_mov_b32_e32 v5, s69
	v_add_co_u32_e32 v0, vcc, s68, v0
	v_addc_co_u32_e32 v1, vcc, v5, v1, vcc
	v_fma_f32 v5, -v19, v22, 1.0
	v_fmac_f32_e32 v22, v5, v22
	v_div_scale_f32 v5, vcc, v44, v4, v44
	v_mul_f32_e32 v24, v5, v22
	v_fma_f32 v26, -v19, v24, v5
	v_fmac_f32_e32 v24, v26, v22
	v_fma_f32 v5, -v19, v24, v5
	v_div_fmas_f32 v5, v5, v22, v24
	v_div_fixup_f32 v19, v5, v4, v44
	v_mov_b32_e32 v5, 0x7fc00000
	v_cmp_eq_f32_e64 s[64:65], 0, v4
	v_cndmask_b32_e64 v19, v19, v5, s[64:65]
	global_store_dword v[0:1], v19, off
	s_and_b64 exec, exec, s[62:63]
	s_cbranch_execz .LBB506_98
; %bb.67:
	v_div_scale_f32 v19, s[62:63], v4, v4, v41
	v_rcp_f32_e32 v22, v19
	v_div_scale_f32 v24, vcc, v41, v4, v41
	v_fma_f32 v26, -v19, v22, 1.0
	v_fmac_f32_e32 v22, v26, v22
	v_mul_f32_e32 v26, v24, v22
	v_fma_f32 v28, -v19, v26, v24
	v_fmac_f32_e32 v26, v28, v22
	v_fma_f32 v19, -v19, v26, v24
	v_div_fmas_f32 v19, v19, v22, v26
	v_div_fixup_f32 v19, v19, v4, v41
	v_cndmask_b32_e64 v5, v19, v5, s[64:65]
	global_store_dword v[0:1], v5, off offset:256
	s_and_b64 exec, exec, s[60:61]
	s_cbranch_execz .LBB506_98
; %bb.68:
	v_div_scale_f32 v5, s[60:61], v4, v4, v39
	v_rcp_f32_e32 v19, v5
	v_div_scale_f32 v22, vcc, v39, v4, v39
	v_fma_f32 v24, -v5, v19, 1.0
	v_fmac_f32_e32 v19, v24, v19
	v_mul_f32_e32 v24, v22, v19
	v_fma_f32 v26, -v5, v24, v22
	v_fmac_f32_e32 v24, v26, v19
	v_fma_f32 v5, -v5, v24, v22
	v_div_fmas_f32 v5, v5, v19, v24
	v_div_fixup_f32 v19, v5, v4, v39
	v_mov_b32_e32 v5, 0x7fc00000
	v_cndmask_b32_e64 v19, v19, v5, s[64:65]
	global_store_dword v[0:1], v19, off offset:512
	s_and_b64 exec, exec, s[58:59]
	s_cbranch_execz .LBB506_98
; %bb.69:
	v_div_scale_f32 v19, s[58:59], v4, v4, v37
	v_rcp_f32_e32 v22, v19
	v_div_scale_f32 v24, vcc, v37, v4, v37
	v_fma_f32 v26, -v19, v22, 1.0
	v_fmac_f32_e32 v22, v26, v22
	v_mul_f32_e32 v26, v24, v22
	v_fma_f32 v28, -v19, v26, v24
	v_fmac_f32_e32 v26, v28, v22
	v_fma_f32 v19, -v19, v26, v24
	v_div_fmas_f32 v19, v19, v22, v26
	v_div_fixup_f32 v19, v19, v4, v37
	v_cndmask_b32_e64 v5, v19, v5, s[64:65]
	global_store_dword v[0:1], v5, off offset:768
	s_and_b64 exec, exec, s[56:57]
	s_cbranch_execz .LBB506_98
; %bb.70:
	v_div_scale_f32 v5, s[56:57], v4, v4, v36
	v_rcp_f32_e32 v19, v5
	v_div_scale_f32 v22, vcc, v36, v4, v36
	v_fma_f32 v24, -v5, v19, 1.0
	v_fmac_f32_e32 v19, v24, v19
	v_mul_f32_e32 v24, v22, v19
	v_fma_f32 v26, -v5, v24, v22
	v_fmac_f32_e32 v24, v26, v19
	v_fma_f32 v5, -v5, v24, v22
	v_div_fmas_f32 v5, v5, v19, v24
	v_div_fixup_f32 v19, v5, v4, v36
	v_mov_b32_e32 v5, 0x7fc00000
	v_cndmask_b32_e64 v19, v19, v5, s[64:65]
	global_store_dword v[0:1], v19, off offset:1024
	;; [unrolled: 33-line block ×7, first 2 shown]
	s_and_b64 exec, exec, s[34:35]
	s_cbranch_execz .LBB506_98
; %bb.81:
	v_div_scale_f32 v19, s[34:35], v4, v4, v21
	v_rcp_f32_e32 v22, v19
	v_div_scale_f32 v23, vcc, v21, v4, v21
	v_fma_f32 v24, -v19, v22, 1.0
	v_fmac_f32_e32 v22, v24, v22
	v_mul_f32_e32 v24, v23, v22
	v_fma_f32 v25, -v19, v24, v23
	v_fmac_f32_e32 v24, v25, v22
	v_fma_f32 v19, -v19, v24, v23
	v_div_fmas_f32 v19, v19, v22, v24
	v_div_fixup_f32 v19, v19, v4, v21
	v_cndmask_b32_e64 v5, v19, v5, s[64:65]
	global_store_dword v[0:1], v5, off offset:3840
	s_and_b64 exec, exec, s[30:31]
	s_cbranch_execz .LBB506_98
; %bb.82:
	v_div_scale_f32 v5, s[30:31], v4, v4, v20
	v_rcp_f32_e32 v19, v5
	v_div_scale_f32 v21, vcc, v20, v4, v20
	v_fma_f32 v22, -v5, v19, 1.0
	v_fmac_f32_e32 v19, v22, v19
	v_mul_f32_e32 v22, v21, v19
	v_fma_f32 v23, -v5, v22, v21
	v_fmac_f32_e32 v22, v23, v19
	v_fma_f32 v5, -v5, v22, v21
	v_div_fmas_f32 v5, v5, v19, v22
	v_div_fixup_f32 v19, v5, v4, v20
	v_mov_b32_e32 v5, 0x7fc00000
	v_add_co_u32_e32 v20, vcc, 0x1000, v0
	v_cndmask_b32_e64 v19, v19, v5, s[64:65]
	v_addc_co_u32_e32 v21, vcc, 0, v1, vcc
	global_store_dword v[20:21], v19, off
	s_and_b64 exec, exec, s[28:29]
	s_cbranch_execz .LBB506_98
; %bb.83:
	v_div_scale_f32 v19, s[28:29], v4, v4, v18
	v_rcp_f32_e32 v20, v19
	v_div_scale_f32 v21, vcc, v18, v4, v18
	v_fma_f32 v22, -v19, v20, 1.0
	v_fmac_f32_e32 v20, v22, v20
	v_mul_f32_e32 v22, v21, v20
	v_fma_f32 v23, -v19, v22, v21
	v_fmac_f32_e32 v22, v23, v20
	v_fma_f32 v19, -v19, v22, v21
	v_div_fmas_f32 v19, v19, v20, v22
	v_div_fixup_f32 v18, v19, v4, v18
	v_cndmask_b32_e64 v5, v18, v5, s[64:65]
	v_add_co_u32_e32 v18, vcc, 0x1000, v0
	v_addc_co_u32_e32 v19, vcc, 0, v1, vcc
	global_store_dword v[18:19], v5, off offset:256
	s_and_b64 exec, exec, s[26:27]
	s_cbranch_execz .LBB506_98
; %bb.84:
	v_div_scale_f32 v5, s[26:27], v4, v4, v17
	v_rcp_f32_e32 v18, v5
	v_div_scale_f32 v19, vcc, v17, v4, v17
	v_fma_f32 v20, -v5, v18, 1.0
	v_fmac_f32_e32 v18, v20, v18
	v_mul_f32_e32 v20, v19, v18
	v_fma_f32 v21, -v5, v20, v19
	v_fmac_f32_e32 v20, v21, v18
	v_fma_f32 v5, -v5, v20, v19
	v_div_fmas_f32 v5, v5, v18, v20
	v_div_fixup_f32 v17, v5, v4, v17
	v_mov_b32_e32 v5, 0x7fc00000
	v_add_co_u32_e32 v18, vcc, 0x1000, v0
	v_cndmask_b32_e64 v17, v17, v5, s[64:65]
	v_addc_co_u32_e32 v19, vcc, 0, v1, vcc
	global_store_dword v[18:19], v17, off offset:512
	s_and_b64 exec, exec, s[24:25]
	s_cbranch_execz .LBB506_98
; %bb.85:
	v_div_scale_f32 v17, s[24:25], v4, v4, v16
	v_rcp_f32_e32 v18, v17
	v_div_scale_f32 v19, vcc, v16, v4, v16
	v_fma_f32 v20, -v17, v18, 1.0
	v_fmac_f32_e32 v18, v20, v18
	v_mul_f32_e32 v20, v19, v18
	v_fma_f32 v21, -v17, v20, v19
	v_fmac_f32_e32 v20, v21, v18
	v_fma_f32 v17, -v17, v20, v19
	v_div_fmas_f32 v17, v17, v18, v20
	v_div_fixup_f32 v16, v17, v4, v16
	v_cndmask_b32_e64 v5, v16, v5, s[64:65]
	v_add_co_u32_e32 v16, vcc, 0x1000, v0
	v_addc_co_u32_e32 v17, vcc, 0, v1, vcc
	global_store_dword v[16:17], v5, off offset:768
	s_and_b64 exec, exec, s[22:23]
	s_cbranch_execz .LBB506_98
; %bb.86:
	v_div_scale_f32 v5, s[22:23], v4, v4, v15
	v_rcp_f32_e32 v16, v5
	v_div_scale_f32 v17, vcc, v15, v4, v15
	v_fma_f32 v18, -v5, v16, 1.0
	v_fmac_f32_e32 v16, v18, v16
	v_mul_f32_e32 v18, v17, v16
	v_fma_f32 v19, -v5, v18, v17
	v_fmac_f32_e32 v18, v19, v16
	v_fma_f32 v5, -v5, v18, v17
	v_div_fmas_f32 v5, v5, v16, v18
	v_div_fixup_f32 v15, v5, v4, v15
	v_mov_b32_e32 v5, 0x7fc00000
	v_add_co_u32_e32 v16, vcc, 0x1000, v0
	v_cndmask_b32_e64 v15, v15, v5, s[64:65]
	v_addc_co_u32_e32 v17, vcc, 0, v1, vcc
	global_store_dword v[16:17], v15, off offset:1024
	;; [unrolled: 37-line block ×7, first 2 shown]
	s_and_b64 exec, exec, s[0:1]
	s_cbranch_execz .LBB506_98
; %bb.97:
	v_div_scale_f32 v5, s[0:1], v4, v4, v2
	v_rcp_f32_e32 v6, v5
	v_div_scale_f32 v7, vcc, v2, v4, v2
	v_fma_f32 v8, -v5, v6, 1.0
	v_fmac_f32_e32 v6, v8, v6
	v_mul_f32_e32 v8, v7, v6
	v_fma_f32 v9, -v5, v8, v7
	v_fmac_f32_e32 v8, v9, v6
	v_fma_f32 v5, -v5, v8, v7
	v_div_fmas_f32 v5, v5, v6, v8
	v_div_fixup_f32 v2, v5, v4, v2
	v_add_co_u32_e32 v0, vcc, 0x1000, v0
	v_cndmask_b32_e64 v2, v2, v3, s[64:65]
	v_addc_co_u32_e32 v1, vcc, 0, v1, vcc
	global_store_dword v[0:1], v2, off offset:3840
.LBB506_98:
	s_endpgm
	.section	.rodata,"a",@progbits
	.p2align	6, 0x0
	.amdhsa_kernel _ZN12_GLOBAL__N_120softmax_warp_forwardIN3c108BFloat16EffLi11ELb0ELb0ELi64EEEvPT0_PKT_iiiPKbib
		.amdhsa_group_segment_fixed_size 0
		.amdhsa_private_segment_fixed_size 0
		.amdhsa_kernarg_size 304
		.amdhsa_user_sgpr_count 6
		.amdhsa_user_sgpr_private_segment_buffer 1
		.amdhsa_user_sgpr_dispatch_ptr 0
		.amdhsa_user_sgpr_queue_ptr 0
		.amdhsa_user_sgpr_kernarg_segment_ptr 1
		.amdhsa_user_sgpr_dispatch_id 0
		.amdhsa_user_sgpr_flat_scratch_init 0
		.amdhsa_user_sgpr_kernarg_preload_length 0
		.amdhsa_user_sgpr_kernarg_preload_offset 0
		.amdhsa_user_sgpr_private_segment_size 0
		.amdhsa_uses_dynamic_stack 0
		.amdhsa_system_sgpr_private_segment_wavefront_offset 0
		.amdhsa_system_sgpr_workgroup_id_x 1
		.amdhsa_system_sgpr_workgroup_id_y 0
		.amdhsa_system_sgpr_workgroup_id_z 0
		.amdhsa_system_sgpr_workgroup_info 0
		.amdhsa_system_vgpr_workitem_id 1
		.amdhsa_next_free_vgpr 48
		.amdhsa_next_free_sgpr 76
		.amdhsa_accum_offset 48
		.amdhsa_reserve_vcc 1
		.amdhsa_reserve_flat_scratch 0
		.amdhsa_float_round_mode_32 0
		.amdhsa_float_round_mode_16_64 0
		.amdhsa_float_denorm_mode_32 3
		.amdhsa_float_denorm_mode_16_64 3
		.amdhsa_dx10_clamp 1
		.amdhsa_ieee_mode 1
		.amdhsa_fp16_overflow 0
		.amdhsa_tg_split 0
		.amdhsa_exception_fp_ieee_invalid_op 0
		.amdhsa_exception_fp_denorm_src 0
		.amdhsa_exception_fp_ieee_div_zero 0
		.amdhsa_exception_fp_ieee_overflow 0
		.amdhsa_exception_fp_ieee_underflow 0
		.amdhsa_exception_fp_ieee_inexact 0
		.amdhsa_exception_int_div_zero 0
	.end_amdhsa_kernel
	.section	.text._ZN12_GLOBAL__N_120softmax_warp_forwardIN3c108BFloat16EffLi11ELb0ELb0ELi64EEEvPT0_PKT_iiiPKbib,"axG",@progbits,_ZN12_GLOBAL__N_120softmax_warp_forwardIN3c108BFloat16EffLi11ELb0ELb0ELi64EEEvPT0_PKT_iiiPKbib,comdat
.Lfunc_end506:
	.size	_ZN12_GLOBAL__N_120softmax_warp_forwardIN3c108BFloat16EffLi11ELb0ELb0ELi64EEEvPT0_PKT_iiiPKbib, .Lfunc_end506-_ZN12_GLOBAL__N_120softmax_warp_forwardIN3c108BFloat16EffLi11ELb0ELb0ELi64EEEvPT0_PKT_iiiPKbib
                                        ; -- End function
	.section	.AMDGPU.csdata,"",@progbits
; Kernel info:
; codeLenInByte = 9208
; NumSgprs: 80
; NumVgprs: 48
; NumAgprs: 0
; TotalNumVgprs: 48
; ScratchSize: 0
; MemoryBound: 0
; FloatMode: 240
; IeeeMode: 1
; LDSByteSize: 0 bytes/workgroup (compile time only)
; SGPRBlocks: 9
; VGPRBlocks: 5
; NumSGPRsForWavesPerEU: 80
; NumVGPRsForWavesPerEU: 48
; AccumOffset: 48
; Occupancy: 8
; WaveLimiterHint : 0
; COMPUTE_PGM_RSRC2:SCRATCH_EN: 0
; COMPUTE_PGM_RSRC2:USER_SGPR: 6
; COMPUTE_PGM_RSRC2:TRAP_HANDLER: 0
; COMPUTE_PGM_RSRC2:TGID_X_EN: 1
; COMPUTE_PGM_RSRC2:TGID_Y_EN: 0
; COMPUTE_PGM_RSRC2:TGID_Z_EN: 0
; COMPUTE_PGM_RSRC2:TIDIG_COMP_CNT: 1
; COMPUTE_PGM_RSRC3_GFX90A:ACCUM_OFFSET: 11
; COMPUTE_PGM_RSRC3_GFX90A:TG_SPLIT: 0
	.section	.text._ZN12_GLOBAL__N_120softmax_warp_forwardIN3c108BFloat16EffLi11ELb0ELb0ELi32EEEvPT0_PKT_iiiPKbib,"axG",@progbits,_ZN12_GLOBAL__N_120softmax_warp_forwardIN3c108BFloat16EffLi11ELb0ELb0ELi32EEEvPT0_PKT_iiiPKbib,comdat
	.globl	_ZN12_GLOBAL__N_120softmax_warp_forwardIN3c108BFloat16EffLi11ELb0ELb0ELi32EEEvPT0_PKT_iiiPKbib ; -- Begin function _ZN12_GLOBAL__N_120softmax_warp_forwardIN3c108BFloat16EffLi11ELb0ELb0ELi32EEEvPT0_PKT_iiiPKbib
	.p2align	8
	.type	_ZN12_GLOBAL__N_120softmax_warp_forwardIN3c108BFloat16EffLi11ELb0ELb0ELi32EEEvPT0_PKT_iiiPKbib,@function
_ZN12_GLOBAL__N_120softmax_warp_forwardIN3c108BFloat16EffLi11ELb0ELb0ELi32EEEvPT0_PKT_iiiPKbib: ; @_ZN12_GLOBAL__N_120softmax_warp_forwardIN3c108BFloat16EffLi11ELb0ELb0ELi32EEEvPT0_PKT_iiiPKbib
; %bb.0:
	s_load_dword s0, s[4:5], 0x3c
	s_load_dwordx8 s[36:43], s[4:5], 0x0
	v_bfe_u32 v1, v0, 10, 10
	v_and_b32_e32 v4, 0x3ff, v0
	v_mov_b32_e32 v31, 0xff800000
	s_waitcnt lgkmcnt(0)
	s_lshr_b32 s0, s0, 16
	s_mul_i32 s6, s6, s0
	v_add_u32_e32 v1, s6, v1
	v_sub_u32_e32 v5, s40, v1
	v_mad_u64_u32 v[0:1], s[0:1], v1, s41, v[4:5]
	v_ashrrev_i32_e32 v1, 31, v0
	v_lshlrev_b64 v[2:3], 1, v[0:1]
	v_mov_b32_e32 v6, s39
	v_add_co_u32_e32 v2, vcc, s38, v2
	v_addc_co_u32_e32 v3, vcc, v6, v3, vcc
	v_cmp_lt_i32_e32 vcc, 0, v5
	v_cmp_gt_i32_e64 s[34:35], s42, v4
	s_and_b64 s[2:3], vcc, s[34:35]
	v_mov_b32_e32 v6, 0xff800000
	s_and_saveexec_b64 s[0:1], s[2:3]
	s_cbranch_execz .LBB507_2
; %bb.1:
	global_load_ushort v7, v[2:3], off
	s_waitcnt vmcnt(0)
	v_lshlrev_b32_e32 v31, 16, v7
.LBB507_2:
	s_or_b64 exec, exec, s[0:1]
	v_add_u32_e32 v7, 32, v4
	v_cmp_gt_i32_e64 s[30:31], s42, v7
	s_and_b64 s[2:3], vcc, s[30:31]
	s_and_saveexec_b64 s[0:1], s[2:3]
	s_cbranch_execz .LBB507_4
; %bb.3:
	global_load_ushort v6, v[2:3], off offset:64
	s_waitcnt vmcnt(0)
	v_lshlrev_b32_e32 v6, 16, v6
.LBB507_4:
	s_or_b64 exec, exec, s[0:1]
	v_add_u32_e32 v7, 64, v4
	v_cmp_gt_i32_e64 s[28:29], s42, v7
	s_and_b64 s[2:3], vcc, s[28:29]
	v_mov_b32_e32 v11, 0xff800000
	v_mov_b32_e32 v9, 0xff800000
	s_and_saveexec_b64 s[0:1], s[2:3]
	s_cbranch_execz .LBB507_6
; %bb.5:
	global_load_ushort v7, v[2:3], off offset:128
	s_waitcnt vmcnt(0)
	v_lshlrev_b32_e32 v9, 16, v7
.LBB507_6:
	s_or_b64 exec, exec, s[0:1]
	v_add_u32_e32 v7, 0x60, v4
	v_cmp_gt_i32_e64 s[26:27], s42, v7
	s_and_b64 s[2:3], vcc, s[26:27]
	s_and_saveexec_b64 s[0:1], s[2:3]
	s_cbranch_execz .LBB507_8
; %bb.7:
	global_load_ushort v7, v[2:3], off offset:192
	s_waitcnt vmcnt(0)
	v_lshlrev_b32_e32 v11, 16, v7
.LBB507_8:
	s_or_b64 exec, exec, s[0:1]
	v_add_u32_e32 v7, 0x80, v4
	v_cmp_gt_i32_e64 s[24:25], s42, v7
	s_and_b64 s[2:3], vcc, s[24:25]
	v_mov_b32_e32 v13, 0xff800000
	v_mov_b32_e32 v12, 0xff800000
	s_and_saveexec_b64 s[0:1], s[2:3]
	s_cbranch_execz .LBB507_10
; %bb.9:
	global_load_ushort v7, v[2:3], off offset:256
	s_waitcnt vmcnt(0)
	v_lshlrev_b32_e32 v12, 16, v7
.LBB507_10:
	;; [unrolled: 24-line block ×15, first 2 shown]
	s_or_b64 exec, exec, s[38:39]
	v_add_u32_e32 v7, 0x3e0, v4
	v_cmp_gt_i32_e64 s[66:67], s42, v7
	s_and_b64 s[40:41], vcc, s[66:67]
	s_and_saveexec_b64 s[38:39], s[40:41]
	s_cbranch_execz .LBB507_64
; %bb.63:
	global_load_ushort v7, v[2:3], off offset:1984
	s_waitcnt vmcnt(0)
	v_lshlrev_b32_e32 v39, 16, v7
.LBB507_64:
	s_or_b64 exec, exec, s[38:39]
	v_or_b32_e32 v7, 0x400, v4
	v_cmp_gt_i32_e64 s[64:65], s42, v7
	s_and_b64 s[40:41], vcc, s[64:65]
	v_mov_b32_e32 v41, 0xff800000
	v_mov_b32_e32 v40, 0xff800000
	s_and_saveexec_b64 s[38:39], s[40:41]
	s_cbranch_execz .LBB507_66
; %bb.65:
	global_load_ushort v7, v[2:3], off offset:2048
	s_waitcnt vmcnt(0)
	v_lshlrev_b32_e32 v40, 16, v7
.LBB507_66:
	s_or_b64 exec, exec, s[38:39]
	v_add_u32_e32 v7, 0x420, v4
	v_cmp_gt_i32_e64 s[62:63], s42, v7
	s_and_b64 s[40:41], vcc, s[62:63]
	s_and_saveexec_b64 s[38:39], s[40:41]
	s_cbranch_execz .LBB507_68
; %bb.67:
	global_load_ushort v7, v[2:3], off offset:2112
	s_waitcnt vmcnt(0)
	v_lshlrev_b32_e32 v41, 16, v7
.LBB507_68:
	s_or_b64 exec, exec, s[38:39]
	v_add_u32_e32 v7, 0x440, v4
	v_cmp_gt_i32_e64 s[60:61], s42, v7
	s_and_b64 s[40:41], vcc, s[60:61]
	v_mov_b32_e32 v43, 0xff800000
	v_mov_b32_e32 v42, 0xff800000
	s_and_saveexec_b64 s[38:39], s[40:41]
	s_cbranch_execz .LBB507_70
; %bb.69:
	global_load_ushort v7, v[2:3], off offset:2176
	s_waitcnt vmcnt(0)
	v_lshlrev_b32_e32 v42, 16, v7
.LBB507_70:
	s_or_b64 exec, exec, s[38:39]
	v_add_u32_e32 v7, 0x460, v4
	v_cmp_gt_i32_e64 s[58:59], s42, v7
	s_and_b64 s[40:41], vcc, s[58:59]
	s_and_saveexec_b64 s[38:39], s[40:41]
	s_cbranch_execz .LBB507_72
; %bb.71:
	global_load_ushort v7, v[2:3], off offset:2240
	s_waitcnt vmcnt(0)
	v_lshlrev_b32_e32 v43, 16, v7
.LBB507_72:
	s_or_b64 exec, exec, s[38:39]
	v_add_u32_e32 v7, 0x480, v4
	;; [unrolled: 24-line block ×5, first 2 shown]
	v_cmp_gt_i32_e64 s[44:45], s42, v7
	s_and_b64 s[40:41], vcc, s[44:45]
	v_mov_b32_e32 v52, 0xff800000
	v_mov_b32_e32 v51, 0xff800000
	s_and_saveexec_b64 s[38:39], s[40:41]
	s_cbranch_execz .LBB507_86
; %bb.85:
	global_load_ushort v7, v[2:3], off offset:2688
	s_waitcnt vmcnt(0)
	v_lshlrev_b32_e32 v51, 16, v7
.LBB507_86:
	s_or_b64 exec, exec, s[38:39]
	v_add_u32_e32 v7, 0x560, v4
	v_cmp_gt_i32_e64 s[38:39], s42, v7
                                        ; implicit-def: $vgpr78 : SGPR spill to VGPR lane
	v_writelane_b32 v78, s38, 0
	s_and_b64 s[40:41], vcc, s[38:39]
	v_writelane_b32 v78, s39, 1
	s_and_saveexec_b64 s[38:39], s[40:41]
	s_cbranch_execz .LBB507_88
; %bb.87:
	global_load_ushort v7, v[2:3], off offset:2752
	s_waitcnt vmcnt(0)
	v_lshlrev_b32_e32 v52, 16, v7
.LBB507_88:
	s_or_b64 exec, exec, s[38:39]
	v_add_u32_e32 v7, 0x580, v4
	v_cmp_gt_i32_e64 s[38:39], s42, v7
	v_writelane_b32 v78, s38, 2
	s_and_b64 s[40:41], vcc, s[38:39]
	v_mov_b32_e32 v54, 0xff800000
	v_mov_b32_e32 v53, 0xff800000
	v_writelane_b32 v78, s39, 3
	s_and_saveexec_b64 s[38:39], s[40:41]
	s_cbranch_execz .LBB507_90
; %bb.89:
	global_load_ushort v7, v[2:3], off offset:2816
	s_waitcnt vmcnt(0)
	v_lshlrev_b32_e32 v53, 16, v7
.LBB507_90:
	s_or_b64 exec, exec, s[38:39]
	v_add_u32_e32 v7, 0x5a0, v4
	v_cmp_gt_i32_e64 s[38:39], s42, v7
	v_writelane_b32 v78, s38, 4
	s_and_b64 s[40:41], vcc, s[38:39]
	v_writelane_b32 v78, s39, 5
	s_and_saveexec_b64 s[38:39], s[40:41]
	s_cbranch_execz .LBB507_92
; %bb.91:
	global_load_ushort v7, v[2:3], off offset:2880
	s_waitcnt vmcnt(0)
	v_lshlrev_b32_e32 v54, 16, v7
.LBB507_92:
	s_or_b64 exec, exec, s[38:39]
	v_add_u32_e32 v7, 0x5c0, v4
	v_cmp_gt_i32_e64 s[38:39], s42, v7
	v_writelane_b32 v78, s38, 6
	s_and_b64 s[40:41], vcc, s[38:39]
	v_mov_b32_e32 v56, 0xff800000
	v_mov_b32_e32 v55, 0xff800000
	v_writelane_b32 v78, s39, 7
	s_and_saveexec_b64 s[38:39], s[40:41]
	s_cbranch_execz .LBB507_94
; %bb.93:
	global_load_ushort v7, v[2:3], off offset:2944
	s_waitcnt vmcnt(0)
	v_lshlrev_b32_e32 v55, 16, v7
.LBB507_94:
	s_or_b64 exec, exec, s[38:39]
	v_add_u32_e32 v7, 0x5e0, v4
	v_cmp_gt_i32_e64 s[38:39], s42, v7
	;; [unrolled: 28-line block ×10, first 2 shown]
	s_and_b64 s[40:41], vcc, s[42:43]
	s_and_saveexec_b64 s[38:39], s[40:41]
	s_cbranch_execz .LBB507_128
; %bb.127:
	global_load_ushort v2, v[2:3], off offset:4032
	s_waitcnt vmcnt(0)
	v_lshlrev_b32_e32 v67, 16, v2
.LBB507_128:
	s_or_b64 exec, exec, s[38:39]
	v_cmp_gt_f32_e32 vcc, v31, v6
	v_cndmask_b32_e32 v2, v6, v31, vcc
	v_cmp_gt_f32_e32 vcc, v2, v9
	v_cndmask_b32_e32 v2, v9, v2, vcc
	;; [unrolled: 2-line block ×63, first 2 shown]
	v_mbcnt_lo_u32_b32 v2, -1, 0
	v_mbcnt_hi_u32_b32 v10, -1, v2
	v_and_b32_e32 v2, 0x60, v10
	v_add_u32_e32 v50, 32, v2
	v_xor_b32_e32 v2, 16, v10
	v_cmp_lt_i32_e32 vcc, v2, v50
	v_cndmask_b32_e32 v2, v10, v2, vcc
	v_lshlrev_b32_e32 v2, 2, v2
	ds_bpermute_b32 v4, v2, v3
	s_mov_b32 s39, 0x3fb8aa3b
	s_mov_b32 s38, 0xc2ce8ed0
	;; [unrolled: 1-line block ×3, first 2 shown]
	s_waitcnt lgkmcnt(0)
	v_cmp_lt_f32_e32 vcc, v3, v4
	v_cndmask_b32_e32 v3, v3, v4, vcc
	v_xor_b32_e32 v4, 8, v10
	v_cmp_lt_i32_e32 vcc, v4, v50
	v_cndmask_b32_e32 v4, v10, v4, vcc
	v_lshlrev_b32_e32 v4, 2, v4
	ds_bpermute_b32 v7, v4, v3
	s_waitcnt lgkmcnt(0)
	v_cmp_lt_f32_e32 vcc, v3, v7
	v_cndmask_b32_e32 v3, v3, v7, vcc
	v_xor_b32_e32 v7, 4, v10
	v_cmp_lt_i32_e32 vcc, v7, v50
	v_cndmask_b32_e32 v7, v10, v7, vcc
	v_lshlrev_b32_e32 v7, 2, v7
	ds_bpermute_b32 v8, v7, v3
	;; [unrolled: 8-line block ×4, first 2 shown]
	s_waitcnt lgkmcnt(0)
	v_cmp_lt_f32_e32 vcc, v3, v50
	v_cndmask_b32_e32 v72, v3, v50, vcc
	v_sub_f32_e32 v3, v31, v72
	v_mul_f32_e32 v31, 0x3fb8aa3b, v3
	v_fma_f32 v50, v3, s39, -v31
	v_rndne_f32_e32 v75, v31
	v_fmac_f32_e32 v50, 0x32a5705f, v3
	v_sub_f32_e32 v31, v31, v75
	v_add_f32_e32 v31, v31, v50
	v_exp_f32_e32 v31, v31
	v_cvt_i32_f32_e32 v50, v75
	v_cmp_ngt_f32_e32 vcc, s38, v3
	v_sub_f32_e32 v6, v6, v72
	v_sub_f32_e32 v9, v9, v72
	v_ldexp_f32 v31, v31, v50
	v_cndmask_b32_e32 v31, 0, v31, vcc
	v_cmp_nlt_f32_e32 vcc, s33, v3
	v_mov_b32_e32 v50, 0x7f800000
	v_cndmask_b32_e32 v3, v50, v31, vcc
	v_mul_f32_e32 v31, 0x3fb8aa3b, v6
	v_fma_f32 v75, v6, s39, -v31
	v_rndne_f32_e32 v76, v31
	v_fmac_f32_e32 v75, 0x32a5705f, v6
	v_sub_f32_e32 v31, v31, v76
	v_add_f32_e32 v31, v31, v75
	v_exp_f32_e32 v31, v31
	v_cvt_i32_f32_e32 v75, v76
	v_cmp_ngt_f32_e32 vcc, s38, v6
	v_sub_f32_e32 v11, v11, v72
	v_sub_f32_e32 v12, v12, v72
	v_ldexp_f32 v31, v31, v75
	v_mul_f32_e32 v75, 0x3fb8aa3b, v9
	v_fma_f32 v76, v9, s39, -v75
	v_rndne_f32_e32 v77, v75
	v_fmac_f32_e32 v76, 0x32a5705f, v9
	v_sub_f32_e32 v75, v75, v77
	v_add_f32_e32 v75, v75, v76
	v_exp_f32_e32 v75, v75
	v_cvt_i32_f32_e32 v76, v77
	v_cndmask_b32_e32 v31, 0, v31, vcc
	v_cmp_nlt_f32_e32 vcc, s33, v6
	v_cndmask_b32_e32 v6, v50, v31, vcc
	v_ldexp_f32 v75, v75, v76
	v_cmp_ngt_f32_e32 vcc, s38, v9
	v_cndmask_b32_e32 v75, 0, v75, vcc
	v_cmp_nlt_f32_e32 vcc, s33, v9
	v_cndmask_b32_e32 v9, v50, v75, vcc
	v_mul_f32_e32 v75, 0x3fb8aa3b, v11
	v_fma_f32 v76, v11, s39, -v75
	v_rndne_f32_e32 v77, v75
	v_fmac_f32_e32 v76, 0x32a5705f, v11
	v_sub_f32_e32 v75, v75, v77
	v_add_f32_e32 v75, v75, v76
	v_exp_f32_e32 v75, v75
	v_cvt_i32_f32_e32 v76, v77
	v_cmp_ngt_f32_e32 vcc, s38, v11
	v_sub_f32_e32 v13, v13, v72
	v_sub_f32_e32 v14, v14, v72
	v_ldexp_f32 v75, v75, v76
	v_cndmask_b32_e32 v75, 0, v75, vcc
	v_cmp_nlt_f32_e32 vcc, s33, v11
	v_cndmask_b32_e32 v11, v50, v75, vcc
	v_mul_f32_e32 v75, 0x3fb8aa3b, v12
	v_fma_f32 v76, v12, s39, -v75
	v_rndne_f32_e32 v77, v75
	v_fmac_f32_e32 v76, 0x32a5705f, v12
	v_sub_f32_e32 v75, v75, v77
	v_add_f32_e32 v75, v75, v76
	v_exp_f32_e32 v75, v75
	v_cvt_i32_f32_e32 v76, v77
	v_cmp_ngt_f32_e32 vcc, s38, v12
	v_sub_f32_e32 v15, v15, v72
	v_sub_f32_e32 v16, v16, v72
	v_ldexp_f32 v75, v75, v76
	;; [unrolled: 15-line block ×6, first 2 shown]
	v_cndmask_b32_e32 v75, 0, v75, vcc
	v_cmp_nlt_f32_e32 vcc, s33, v16
	v_cndmask_b32_e32 v16, v50, v75, vcc
	v_mul_f32_e32 v75, 0x3fb8aa3b, v17
	v_fma_f32 v76, v17, s39, -v75
	v_rndne_f32_e32 v77, v75
	v_fmac_f32_e32 v76, 0x32a5705f, v17
	v_sub_f32_e32 v75, v75, v77
	v_add_f32_e32 v75, v75, v76
	v_exp_f32_e32 v75, v75
	v_cvt_i32_f32_e32 v76, v77
	v_cmp_ngt_f32_e32 vcc, s38, v17
	v_sub_f32_e32 v25, v25, v72
	v_add_f32_e32 v31, v3, v6
	v_ldexp_f32 v75, v75, v76
	v_cndmask_b32_e32 v75, 0, v75, vcc
	v_cmp_nlt_f32_e32 vcc, s33, v17
	v_cndmask_b32_e32 v17, v50, v75, vcc
	v_mul_f32_e32 v75, 0x3fb8aa3b, v18
	v_fma_f32 v76, v18, s39, -v75
	v_rndne_f32_e32 v77, v75
	v_fmac_f32_e32 v76, 0x32a5705f, v18
	v_sub_f32_e32 v75, v75, v77
	v_add_f32_e32 v75, v75, v76
	v_exp_f32_e32 v75, v75
	v_cvt_i32_f32_e32 v76, v77
	v_cmp_ngt_f32_e32 vcc, s38, v18
	v_add_f32_e32 v31, v31, v9
	v_add_f32_e32 v31, v31, v11
	v_ldexp_f32 v75, v75, v76
	v_cndmask_b32_e32 v75, 0, v75, vcc
	v_cmp_nlt_f32_e32 vcc, s33, v18
	v_cndmask_b32_e32 v18, v50, v75, vcc
	v_mul_f32_e32 v75, 0x3fb8aa3b, v19
	v_fma_f32 v76, v19, s39, -v75
	v_rndne_f32_e32 v77, v75
	v_fmac_f32_e32 v76, 0x32a5705f, v19
	v_sub_f32_e32 v75, v75, v77
	v_add_f32_e32 v75, v75, v76
	v_exp_f32_e32 v75, v75
	v_cvt_i32_f32_e32 v76, v77
	v_cmp_ngt_f32_e32 vcc, s38, v19
	v_add_f32_e32 v31, v31, v12
	;; [unrolled: 15-line block ×3, first 2 shown]
	v_sub_f32_e32 v26, v26, v72
	v_ldexp_f32 v75, v75, v76
	v_cndmask_b32_e32 v75, 0, v75, vcc
	v_cmp_nlt_f32_e32 vcc, s33, v20
	v_cndmask_b32_e32 v20, v50, v75, vcc
	v_mul_f32_e32 v75, 0x3fb8aa3b, v21
	v_fma_f32 v76, v21, s39, -v75
	v_rndne_f32_e32 v77, v75
	v_fmac_f32_e32 v76, 0x32a5705f, v21
	v_sub_f32_e32 v75, v75, v77
	v_add_f32_e32 v75, v75, v76
	v_exp_f32_e32 v75, v75
	v_cvt_i32_f32_e32 v76, v77
	v_cmp_ngt_f32_e32 vcc, s38, v21
	v_add_f32_e32 v31, v31, v15
	v_add_f32_e32 v31, v31, v16
	v_ldexp_f32 v75, v75, v76
	v_cndmask_b32_e32 v75, 0, v75, vcc
	v_cmp_nlt_f32_e32 vcc, s33, v21
	v_cndmask_b32_e32 v21, v50, v75, vcc
	v_mul_f32_e32 v75, 0x3fb8aa3b, v22
	v_fma_f32 v76, v22, s39, -v75
	v_rndne_f32_e32 v77, v75
	v_fmac_f32_e32 v76, 0x32a5705f, v22
	v_sub_f32_e32 v75, v75, v77
	v_add_f32_e32 v75, v75, v76
	v_exp_f32_e32 v75, v75
	v_cvt_i32_f32_e32 v76, v77
	v_cmp_ngt_f32_e32 vcc, s38, v22
	v_add_f32_e32 v31, v31, v17
	v_add_f32_e32 v31, v31, v18
	;; [unrolled: 15-line block ×5, first 2 shown]
	v_ldexp_f32 v75, v75, v76
	v_cndmask_b32_e32 v75, 0, v75, vcc
	v_cmp_nlt_f32_e32 vcc, s33, v25
	v_cndmask_b32_e32 v25, v50, v75, vcc
	v_mul_f32_e32 v75, 0x3fb8aa3b, v26
	v_fma_f32 v76, v26, s39, -v75
	v_rndne_f32_e32 v77, v75
	v_fmac_f32_e32 v76, 0x32a5705f, v26
	v_sub_f32_e32 v75, v75, v77
	v_add_f32_e32 v75, v75, v76
	v_exp_f32_e32 v75, v75
	v_cvt_i32_f32_e32 v76, v77
	v_cmp_ngt_f32_e32 vcc, s38, v26
	v_add_f32_e32 v31, v31, v25
	v_sub_f32_e32 v27, v27, v72
	v_ldexp_f32 v75, v75, v76
	v_cndmask_b32_e32 v75, 0, v75, vcc
	v_cmp_nlt_f32_e32 vcc, s33, v26
	v_cndmask_b32_e32 v26, v50, v75, vcc
	v_add_f32_e32 v75, v31, v26
	v_mul_f32_e32 v31, 0x3fb8aa3b, v27
	v_fma_f32 v76, v27, s39, -v31
	v_rndne_f32_e32 v77, v31
	v_fmac_f32_e32 v76, 0x32a5705f, v27
	v_sub_f32_e32 v31, v31, v77
	v_add_f32_e32 v31, v31, v76
	v_exp_f32_e32 v31, v31
	v_cvt_i32_f32_e32 v76, v77
	v_cmp_ngt_f32_e32 vcc, s38, v27
	v_sub_f32_e32 v28, v28, v72
	v_sub_f32_e32 v29, v29, v72
	v_ldexp_f32 v31, v31, v76
	v_cndmask_b32_e32 v31, 0, v31, vcc
	v_cmp_nlt_f32_e32 vcc, s33, v27
	v_sub_f32_e32 v27, v74, v72
	v_mul_f32_e32 v74, 0x3fb8aa3b, v27
	v_fma_f32 v76, v27, s39, -v74
	v_rndne_f32_e32 v77, v74
	v_fmac_f32_e32 v76, 0x32a5705f, v27
	v_sub_f32_e32 v74, v74, v77
	v_add_f32_e32 v74, v74, v76
	v_exp_f32_e32 v74, v74
	v_cvt_i32_f32_e32 v76, v77
	v_cndmask_b32_e32 v31, v50, v31, vcc
	v_cmp_ngt_f32_e32 vcc, s38, v27
	v_add_f32_e32 v75, v75, v31
	v_ldexp_f32 v74, v74, v76
	v_cndmask_b32_e32 v74, 0, v74, vcc
	v_cmp_nlt_f32_e32 vcc, s33, v27
	v_cndmask_b32_e32 v27, v50, v74, vcc
	v_add_f32_e32 v74, v75, v27
	v_mul_f32_e32 v75, 0x3fb8aa3b, v28
	v_fma_f32 v76, v28, s39, -v75
	v_rndne_f32_e32 v77, v75
	v_fmac_f32_e32 v76, 0x32a5705f, v28
	v_sub_f32_e32 v75, v75, v77
	v_add_f32_e32 v75, v75, v76
	v_exp_f32_e32 v75, v75
	v_cvt_i32_f32_e32 v76, v77
	v_cmp_ngt_f32_e32 vcc, s38, v28
	v_sub_f32_e32 v30, v30, v72
	v_sub_f32_e32 v32, v32, v72
	v_ldexp_f32 v75, v75, v76
	v_cndmask_b32_e32 v75, 0, v75, vcc
	v_cmp_nlt_f32_e32 vcc, s33, v28
	v_cndmask_b32_e32 v28, v50, v75, vcc
	v_mul_f32_e32 v75, 0x3fb8aa3b, v29
	v_fma_f32 v76, v29, s39, -v75
	v_rndne_f32_e32 v77, v75
	v_fmac_f32_e32 v76, 0x32a5705f, v29
	v_sub_f32_e32 v75, v75, v77
	v_add_f32_e32 v75, v75, v76
	v_exp_f32_e32 v75, v75
	v_cvt_i32_f32_e32 v76, v77
	v_cmp_ngt_f32_e32 vcc, s38, v29
	v_sub_f32_e32 v33, v33, v72
	v_sub_f32_e32 v34, v34, v72
	v_ldexp_f32 v75, v75, v76
	v_cndmask_b32_e32 v75, 0, v75, vcc
	v_cmp_nlt_f32_e32 vcc, s33, v29
	v_cndmask_b32_e32 v29, v50, v75, vcc
	;; [unrolled: 15-line block ×18, first 2 shown]
	v_mul_f32_e32 v75, 0x3fb8aa3b, v47
	v_fma_f32 v76, v47, s39, -v75
	v_rndne_f32_e32 v77, v75
	v_fmac_f32_e32 v76, 0x32a5705f, v47
	v_sub_f32_e32 v75, v75, v77
	v_add_f32_e32 v75, v75, v76
	v_exp_f32_e32 v75, v75
	v_cvt_i32_f32_e32 v76, v77
	v_cmp_ngt_f32_e32 vcc, s38, v47
	v_sub_f32_e32 v69, v69, v72
	v_add_f32_e32 v74, v74, v28
	v_ldexp_f32 v75, v75, v76
	v_cndmask_b32_e32 v75, 0, v75, vcc
	v_cmp_nlt_f32_e32 vcc, s33, v47
	v_cndmask_b32_e32 v47, v50, v75, vcc
	v_mul_f32_e32 v75, 0x3fb8aa3b, v48
	v_fma_f32 v76, v48, s39, -v75
	v_rndne_f32_e32 v77, v75
	v_fmac_f32_e32 v76, 0x32a5705f, v48
	v_sub_f32_e32 v75, v75, v77
	v_add_f32_e32 v75, v75, v76
	v_exp_f32_e32 v75, v75
	v_cvt_i32_f32_e32 v76, v77
	v_cmp_ngt_f32_e32 vcc, s38, v48
	v_add_f32_e32 v74, v74, v29
	v_sub_f32_e32 v70, v70, v72
	v_ldexp_f32 v75, v75, v76
	v_cndmask_b32_e32 v75, 0, v75, vcc
	v_cmp_nlt_f32_e32 vcc, s33, v48
	v_cndmask_b32_e32 v48, v50, v75, vcc
	v_mul_f32_e32 v75, 0x3fb8aa3b, v49
	v_fma_f32 v76, v49, s39, -v75
	v_rndne_f32_e32 v77, v75
	v_fmac_f32_e32 v76, 0x32a5705f, v49
	v_sub_f32_e32 v75, v75, v77
	v_add_f32_e32 v75, v75, v76
	v_exp_f32_e32 v75, v75
	v_cvt_i32_f32_e32 v76, v77
	v_cmp_ngt_f32_e32 vcc, s38, v49
	v_add_f32_e32 v74, v74, v30
	v_add_f32_e32 v74, v74, v32
	v_ldexp_f32 v75, v75, v76
	v_cndmask_b32_e32 v75, 0, v75, vcc
	v_cmp_nlt_f32_e32 vcc, s33, v49
	v_cndmask_b32_e32 v49, v50, v75, vcc
	v_mul_f32_e32 v75, 0x3fb8aa3b, v51
	v_fma_f32 v76, v51, s39, -v75
	v_rndne_f32_e32 v77, v75
	v_fmac_f32_e32 v76, 0x32a5705f, v51
	v_sub_f32_e32 v75, v75, v77
	v_add_f32_e32 v75, v75, v76
	v_exp_f32_e32 v75, v75
	v_cvt_i32_f32_e32 v76, v77
	v_cmp_ngt_f32_e32 vcc, s38, v51
	v_add_f32_e32 v74, v74, v33
	v_add_f32_e32 v74, v74, v34
	;; [unrolled: 15-line block ×5, first 2 shown]
	v_ldexp_f32 v75, v75, v76
	v_cndmask_b32_e32 v75, 0, v75, vcc
	v_cmp_nlt_f32_e32 vcc, s33, v54
	v_cndmask_b32_e32 v54, v50, v75, vcc
	v_mul_f32_e32 v75, 0x3fb8aa3b, v55
	v_fma_f32 v76, v55, s39, -v75
	v_rndne_f32_e32 v77, v75
	v_fmac_f32_e32 v76, 0x32a5705f, v55
	v_sub_f32_e32 v75, v75, v77
	v_add_f32_e32 v75, v75, v76
	v_exp_f32_e32 v75, v75
	v_cvt_i32_f32_e32 v76, v77
	v_cmp_ngt_f32_e32 vcc, s38, v55
	v_sub_f32_e32 v71, v71, v72
	v_add_f32_e32 v74, v74, v41
	v_ldexp_f32 v75, v75, v76
	v_cndmask_b32_e32 v75, 0, v75, vcc
	v_cmp_nlt_f32_e32 vcc, s33, v55
	v_cndmask_b32_e32 v55, v50, v75, vcc
	v_mul_f32_e32 v75, 0x3fb8aa3b, v56
	v_fma_f32 v76, v56, s39, -v75
	v_rndne_f32_e32 v77, v75
	v_fmac_f32_e32 v76, 0x32a5705f, v56
	v_sub_f32_e32 v75, v75, v77
	v_add_f32_e32 v75, v75, v76
	v_exp_f32_e32 v75, v75
	v_cvt_i32_f32_e32 v76, v77
	v_cmp_ngt_f32_e32 vcc, s38, v56
	v_add_f32_e32 v74, v74, v42
	v_add_f32_e32 v74, v74, v43
	v_ldexp_f32 v75, v75, v76
	v_cndmask_b32_e32 v75, 0, v75, vcc
	v_cmp_nlt_f32_e32 vcc, s33, v56
	v_cndmask_b32_e32 v56, v50, v75, vcc
	v_mul_f32_e32 v75, 0x3fb8aa3b, v57
	v_fma_f32 v76, v57, s39, -v75
	v_rndne_f32_e32 v77, v75
	v_fmac_f32_e32 v76, 0x32a5705f, v57
	v_sub_f32_e32 v75, v75, v77
	v_add_f32_e32 v75, v75, v76
	v_exp_f32_e32 v75, v75
	v_cvt_i32_f32_e32 v76, v77
	v_cmp_ngt_f32_e32 vcc, s38, v57
	v_add_f32_e32 v74, v74, v44
	;; [unrolled: 15-line block ×5, first 2 shown]
	v_sub_f32_e32 v73, v73, v72
	v_ldexp_f32 v75, v75, v76
	v_cndmask_b32_e32 v75, 0, v75, vcc
	v_cmp_nlt_f32_e32 vcc, s33, v60
	v_cndmask_b32_e32 v60, v50, v75, vcc
	v_mul_f32_e32 v75, 0x3fb8aa3b, v61
	v_fma_f32 v76, v61, s39, -v75
	v_rndne_f32_e32 v77, v75
	v_fmac_f32_e32 v76, 0x32a5705f, v61
	v_sub_f32_e32 v75, v75, v77
	v_add_f32_e32 v75, v75, v76
	v_exp_f32_e32 v75, v75
	v_cvt_i32_f32_e32 v76, v77
	v_cmp_ngt_f32_e32 vcc, s38, v61
	v_add_f32_e32 v74, v74, v52
	v_add_f32_e32 v74, v74, v53
	v_ldexp_f32 v75, v75, v76
	v_cndmask_b32_e32 v75, 0, v75, vcc
	v_cmp_nlt_f32_e32 vcc, s33, v61
	v_cndmask_b32_e32 v61, v50, v75, vcc
	v_mul_f32_e32 v75, 0x3fb8aa3b, v62
	v_fma_f32 v76, v62, s39, -v75
	v_rndne_f32_e32 v77, v75
	v_fmac_f32_e32 v76, 0x32a5705f, v62
	v_sub_f32_e32 v75, v75, v77
	v_add_f32_e32 v75, v75, v76
	v_exp_f32_e32 v75, v75
	v_cvt_i32_f32_e32 v76, v77
	v_cmp_ngt_f32_e32 vcc, s38, v62
	v_add_f32_e32 v74, v74, v54
	v_add_f32_e32 v74, v74, v55
	;; [unrolled: 15-line block ×4, first 2 shown]
	v_ldexp_f32 v75, v75, v76
	v_cndmask_b32_e32 v75, 0, v75, vcc
	v_cmp_nlt_f32_e32 vcc, s33, v64
	v_cndmask_b32_e32 v64, v50, v75, vcc
	v_mul_f32_e32 v75, 0x3fb8aa3b, v65
	v_fma_f32 v76, v65, s39, -v75
	v_rndne_f32_e32 v77, v75
	v_fmac_f32_e32 v76, 0x32a5705f, v65
	v_sub_f32_e32 v75, v75, v77
	v_add_f32_e32 v75, v75, v76
	v_exp_f32_e32 v75, v75
	v_cvt_i32_f32_e32 v76, v77
	v_cmp_ngt_f32_e32 vcc, s38, v65
	v_add_f32_e32 v74, v74, v60
	v_sub_f32_e32 v67, v67, v72
	v_ldexp_f32 v75, v75, v76
	v_cndmask_b32_e32 v75, 0, v75, vcc
	v_cmp_nlt_f32_e32 vcc, s33, v65
	v_cndmask_b32_e32 v65, v50, v75, vcc
	v_mul_f32_e32 v75, 0x3fb8aa3b, v66
	v_fma_f32 v76, v66, s39, -v75
	v_rndne_f32_e32 v77, v75
	v_fmac_f32_e32 v76, 0x32a5705f, v66
	v_sub_f32_e32 v75, v75, v77
	v_add_f32_e32 v75, v75, v76
	v_exp_f32_e32 v75, v75
	v_cvt_i32_f32_e32 v76, v77
	v_cmp_ngt_f32_e32 vcc, s38, v66
	v_add_f32_e32 v74, v74, v61
	v_mul_f32_e32 v72, 0x3fb8aa3b, v67
	v_ldexp_f32 v75, v75, v76
	v_cndmask_b32_e32 v75, 0, v75, vcc
	v_cmp_nlt_f32_e32 vcc, s33, v66
	v_cndmask_b32_e32 v66, v50, v75, vcc
	v_mul_f32_e32 v75, 0x3fb8aa3b, v68
	v_fma_f32 v76, v68, s39, -v75
	v_rndne_f32_e32 v77, v75
	v_fmac_f32_e32 v76, 0x32a5705f, v68
	v_sub_f32_e32 v75, v75, v77
	v_add_f32_e32 v75, v75, v76
	v_exp_f32_e32 v75, v75
	v_cvt_i32_f32_e32 v76, v77
	v_cmp_ngt_f32_e32 vcc, s38, v68
	v_add_f32_e32 v74, v74, v62
	v_add_f32_e32 v74, v74, v63
	v_ldexp_f32 v75, v75, v76
	v_cndmask_b32_e32 v75, 0, v75, vcc
	v_cmp_nlt_f32_e32 vcc, s33, v68
	v_cndmask_b32_e32 v68, v50, v75, vcc
	v_mul_f32_e32 v75, 0x3fb8aa3b, v69
	v_fma_f32 v76, v69, s39, -v75
	v_rndne_f32_e32 v77, v75
	v_fmac_f32_e32 v76, 0x32a5705f, v69
	v_sub_f32_e32 v75, v75, v77
	v_add_f32_e32 v75, v75, v76
	v_exp_f32_e32 v75, v75
	v_cvt_i32_f32_e32 v76, v77
	v_cmp_ngt_f32_e32 vcc, s38, v69
	v_add_f32_e32 v74, v74, v64
	v_add_f32_e32 v74, v74, v65
	;; [unrolled: 15-line block ×4, first 2 shown]
	v_ldexp_f32 v75, v75, v76
	v_cndmask_b32_e32 v75, 0, v75, vcc
	v_cmp_nlt_f32_e32 vcc, s33, v71
	v_cndmask_b32_e32 v71, v50, v75, vcc
	v_mul_f32_e32 v75, 0x3fb8aa3b, v73
	v_fma_f32 v76, v73, s39, -v75
	v_rndne_f32_e32 v77, v75
	v_fmac_f32_e32 v76, 0x32a5705f, v73
	v_sub_f32_e32 v75, v75, v77
	v_add_f32_e32 v75, v75, v76
	v_exp_f32_e32 v75, v75
	v_cvt_i32_f32_e32 v76, v77
	v_cmp_ngt_f32_e32 vcc, s38, v73
	v_add_f32_e32 v74, v74, v71
	v_ldexp_f32 v75, v75, v76
	v_cndmask_b32_e32 v75, 0, v75, vcc
	v_cmp_nlt_f32_e32 vcc, s33, v73
	v_cndmask_b32_e32 v73, v50, v75, vcc
	v_fma_f32 v75, v67, s39, -v72
	v_rndne_f32_e32 v76, v72
	v_fmac_f32_e32 v75, 0x32a5705f, v67
	v_sub_f32_e32 v72, v72, v76
	v_add_f32_e32 v72, v72, v75
	v_exp_f32_e32 v72, v72
	v_cvt_i32_f32_e32 v75, v76
	v_cmp_ngt_f32_e32 vcc, s38, v67
	v_add_f32_e32 v74, v74, v73
	v_ldexp_f32 v72, v72, v75
	v_cndmask_b32_e32 v72, 0, v72, vcc
	v_cmp_nlt_f32_e32 vcc, s33, v67
	v_cndmask_b32_e32 v50, v50, v72, vcc
	v_add_f32_e32 v67, v74, v50
	ds_bpermute_b32 v2, v2, v67
	v_cmp_lt_i32_e32 vcc, 0, v5
	s_waitcnt lgkmcnt(0)
	v_add_f32_e32 v2, v67, v2
	ds_bpermute_b32 v4, v4, v2
	s_waitcnt lgkmcnt(0)
	v_add_f32_e32 v2, v2, v4
	ds_bpermute_b32 v4, v7, v2
	;; [unrolled: 3-line block ×4, first 2 shown]
	s_and_saveexec_b64 s[38:39], vcc
	s_cbranch_execz .LBB507_194
; %bb.129:
	s_and_b64 exec, exec, s[34:35]
	s_cbranch_execz .LBB507_194
; %bb.130:
	s_waitcnt lgkmcnt(0)
	v_add_f32_e32 v2, v2, v4
	v_div_scale_f32 v5, s[34:35], v2, v2, v3
	v_rcp_f32_e32 v7, v5
	v_lshlrev_b64 v[0:1], 2, v[0:1]
	v_mov_b32_e32 v4, s37
	v_add_co_u32_e32 v0, vcc, s36, v0
	v_addc_co_u32_e32 v1, vcc, v4, v1, vcc
	v_fma_f32 v4, -v5, v7, 1.0
	v_fmac_f32_e32 v7, v4, v7
	v_div_scale_f32 v4, vcc, v3, v2, v3
	v_mul_f32_e32 v8, v4, v7
	v_fma_f32 v10, -v5, v8, v4
	v_fmac_f32_e32 v8, v10, v7
	v_fma_f32 v4, -v5, v8, v4
	v_div_fmas_f32 v4, v4, v7, v8
	v_div_fixup_f32 v4, v4, v2, v3
	v_mov_b32_e32 v3, 0x7fc00000
	v_cmp_eq_f32_e64 s[34:35], 0, v2
	v_cndmask_b32_e64 v4, v4, v3, s[34:35]
	global_store_dword v[0:1], v4, off
	s_and_b64 exec, exec, s[30:31]
	s_cbranch_execz .LBB507_194
; %bb.131:
	v_div_scale_f32 v4, s[30:31], v2, v2, v6
	v_rcp_f32_e32 v5, v4
	v_div_scale_f32 v7, vcc, v6, v2, v6
	v_fma_f32 v8, -v4, v5, 1.0
	v_fmac_f32_e32 v5, v8, v5
	v_mul_f32_e32 v8, v7, v5
	v_fma_f32 v10, -v4, v8, v7
	v_fmac_f32_e32 v8, v10, v5
	v_fma_f32 v4, -v4, v8, v7
	v_div_fmas_f32 v4, v4, v5, v8
	v_div_fixup_f32 v4, v4, v2, v6
	v_cndmask_b32_e64 v3, v4, v3, s[34:35]
	global_store_dword v[0:1], v3, off offset:128
	s_and_b64 exec, exec, s[28:29]
	s_cbranch_execz .LBB507_194
; %bb.132:
	v_div_scale_f32 v3, s[28:29], v2, v2, v9
	v_rcp_f32_e32 v4, v3
	v_div_scale_f32 v5, vcc, v9, v2, v9
	v_fma_f32 v6, -v3, v4, 1.0
	v_fmac_f32_e32 v4, v6, v4
	v_mul_f32_e32 v6, v5, v4
	v_fma_f32 v7, -v3, v6, v5
	v_fmac_f32_e32 v6, v7, v4
	v_fma_f32 v3, -v3, v6, v5
	v_div_fmas_f32 v3, v3, v4, v6
	v_div_fixup_f32 v4, v3, v2, v9
	v_mov_b32_e32 v3, 0x7fc00000
	v_cndmask_b32_e64 v4, v4, v3, s[34:35]
	global_store_dword v[0:1], v4, off offset:256
	s_and_b64 exec, exec, s[26:27]
	s_cbranch_execz .LBB507_194
; %bb.133:
	v_div_scale_f32 v4, s[26:27], v2, v2, v11
	v_rcp_f32_e32 v5, v4
	v_div_scale_f32 v6, vcc, v11, v2, v11
	v_fma_f32 v7, -v4, v5, 1.0
	v_fmac_f32_e32 v5, v7, v5
	v_mul_f32_e32 v7, v6, v5
	v_fma_f32 v8, -v4, v7, v6
	v_fmac_f32_e32 v7, v8, v5
	v_fma_f32 v4, -v4, v7, v6
	v_div_fmas_f32 v4, v4, v5, v7
	v_div_fixup_f32 v4, v4, v2, v11
	v_cndmask_b32_e64 v3, v4, v3, s[34:35]
	global_store_dword v[0:1], v3, off offset:384
	s_and_b64 exec, exec, s[24:25]
	s_cbranch_execz .LBB507_194
; %bb.134:
	v_div_scale_f32 v3, s[24:25], v2, v2, v12
	v_rcp_f32_e32 v4, v3
	v_div_scale_f32 v5, vcc, v12, v2, v12
	v_fma_f32 v6, -v3, v4, 1.0
	v_fmac_f32_e32 v4, v6, v4
	v_mul_f32_e32 v6, v5, v4
	v_fma_f32 v7, -v3, v6, v5
	v_fmac_f32_e32 v6, v7, v4
	v_fma_f32 v3, -v3, v6, v5
	v_div_fmas_f32 v3, v3, v4, v6
	v_div_fixup_f32 v4, v3, v2, v12
	v_mov_b32_e32 v3, 0x7fc00000
	v_cndmask_b32_e64 v4, v4, v3, s[34:35]
	global_store_dword v[0:1], v4, off offset:512
	;; [unrolled: 33-line block ×15, first 2 shown]
	s_and_b64 exec, exec, s[66:67]
	s_cbranch_execz .LBB507_194
; %bb.161:
	v_div_scale_f32 v4, s[0:1], v2, v2, v39
	v_rcp_f32_e32 v5, v4
	v_div_scale_f32 v6, vcc, v39, v2, v39
	v_fma_f32 v7, -v4, v5, 1.0
	v_fmac_f32_e32 v5, v7, v5
	v_mul_f32_e32 v7, v6, v5
	v_fma_f32 v8, -v4, v7, v6
	v_fmac_f32_e32 v7, v8, v5
	v_fma_f32 v4, -v4, v7, v6
	v_div_fmas_f32 v4, v4, v5, v7
	v_div_fixup_f32 v4, v4, v2, v39
	v_cndmask_b32_e64 v3, v4, v3, s[34:35]
	global_store_dword v[0:1], v3, off offset:3968
	s_and_b64 exec, exec, s[64:65]
	s_cbranch_execz .LBB507_194
; %bb.162:
	v_div_scale_f32 v3, s[0:1], v2, v2, v40
	v_rcp_f32_e32 v4, v3
	v_div_scale_f32 v5, vcc, v40, v2, v40
	v_fma_f32 v6, -v3, v4, 1.0
	v_fmac_f32_e32 v4, v6, v4
	v_mul_f32_e32 v6, v5, v4
	v_fma_f32 v7, -v3, v6, v5
	v_fmac_f32_e32 v6, v7, v4
	v_fma_f32 v3, -v3, v6, v5
	v_div_fmas_f32 v3, v3, v4, v6
	v_div_fixup_f32 v4, v3, v2, v40
	v_mov_b32_e32 v3, 0x7fc00000
	v_cndmask_b32_e64 v6, v4, v3, s[34:35]
	v_add_co_u32_e32 v4, vcc, 0x1000, v0
	v_addc_co_u32_e32 v5, vcc, 0, v1, vcc
	global_store_dword v[4:5], v6, off
	s_and_b64 exec, exec, s[62:63]
	s_cbranch_execz .LBB507_194
; %bb.163:
	v_div_scale_f32 v4, s[0:1], v2, v2, v41
	v_rcp_f32_e32 v5, v4
	v_div_scale_f32 v6, vcc, v41, v2, v41
	v_fma_f32 v7, -v4, v5, 1.0
	v_fmac_f32_e32 v5, v7, v5
	v_mul_f32_e32 v7, v6, v5
	v_fma_f32 v8, -v4, v7, v6
	v_fmac_f32_e32 v7, v8, v5
	v_fma_f32 v4, -v4, v7, v6
	v_div_fmas_f32 v4, v4, v5, v7
	v_div_fixup_f32 v4, v4, v2, v41
	v_cndmask_b32_e64 v3, v4, v3, s[34:35]
	v_add_co_u32_e32 v4, vcc, 0x1000, v0
	v_addc_co_u32_e32 v5, vcc, 0, v1, vcc
	global_store_dword v[4:5], v3, off offset:128
	s_and_b64 exec, exec, s[60:61]
	s_cbranch_execz .LBB507_194
; %bb.164:
	v_div_scale_f32 v3, s[0:1], v2, v2, v42
	v_rcp_f32_e32 v4, v3
	v_div_scale_f32 v5, vcc, v42, v2, v42
	v_fma_f32 v6, -v3, v4, 1.0
	v_fmac_f32_e32 v4, v6, v4
	v_mul_f32_e32 v6, v5, v4
	v_fma_f32 v7, -v3, v6, v5
	v_fmac_f32_e32 v6, v7, v4
	v_fma_f32 v3, -v3, v6, v5
	v_div_fmas_f32 v3, v3, v4, v6
	v_div_fixup_f32 v4, v3, v2, v42
	v_mov_b32_e32 v3, 0x7fc00000
	v_cndmask_b32_e64 v6, v4, v3, s[34:35]
	v_add_co_u32_e32 v4, vcc, 0x1000, v0
	v_addc_co_u32_e32 v5, vcc, 0, v1, vcc
	global_store_dword v[4:5], v6, off offset:256
	s_and_b64 exec, exec, s[58:59]
	s_cbranch_execz .LBB507_194
; %bb.165:
	v_div_scale_f32 v4, s[0:1], v2, v2, v43
	v_rcp_f32_e32 v5, v4
	v_div_scale_f32 v6, vcc, v43, v2, v43
	v_fma_f32 v7, -v4, v5, 1.0
	v_fmac_f32_e32 v5, v7, v5
	v_mul_f32_e32 v7, v6, v5
	v_fma_f32 v8, -v4, v7, v6
	v_fmac_f32_e32 v7, v8, v5
	v_fma_f32 v4, -v4, v7, v6
	v_div_fmas_f32 v4, v4, v5, v7
	v_div_fixup_f32 v4, v4, v2, v43
	v_cndmask_b32_e64 v3, v4, v3, s[34:35]
	v_add_co_u32_e32 v4, vcc, 0x1000, v0
	v_addc_co_u32_e32 v5, vcc, 0, v1, vcc
	global_store_dword v[4:5], v3, off offset:384
	s_and_b64 exec, exec, s[56:57]
	s_cbranch_execz .LBB507_194
; %bb.166:
	v_div_scale_f32 v3, s[0:1], v2, v2, v44
	v_rcp_f32_e32 v4, v3
	v_div_scale_f32 v5, vcc, v44, v2, v44
	v_fma_f32 v6, -v3, v4, 1.0
	v_fmac_f32_e32 v4, v6, v4
	v_mul_f32_e32 v6, v5, v4
	v_fma_f32 v7, -v3, v6, v5
	v_fmac_f32_e32 v6, v7, v4
	v_fma_f32 v3, -v3, v6, v5
	v_div_fmas_f32 v3, v3, v4, v6
	v_div_fixup_f32 v4, v3, v2, v44
	v_mov_b32_e32 v3, 0x7fc00000
	v_cndmask_b32_e64 v6, v4, v3, s[34:35]
	v_add_co_u32_e32 v4, vcc, 0x1000, v0
	v_addc_co_u32_e32 v5, vcc, 0, v1, vcc
	global_store_dword v[4:5], v6, off offset:512
	;; [unrolled: 37-line block ×4, first 2 shown]
	s_and_b64 exec, exec, s[46:47]
	s_cbranch_execz .LBB507_194
; %bb.171:
	v_div_scale_f32 v4, s[0:1], v2, v2, v49
	v_rcp_f32_e32 v5, v4
	v_div_scale_f32 v6, vcc, v49, v2, v49
	v_fma_f32 v7, -v4, v5, 1.0
	v_fmac_f32_e32 v5, v7, v5
	v_mul_f32_e32 v7, v6, v5
	v_fma_f32 v8, -v4, v7, v6
	v_fmac_f32_e32 v7, v8, v5
	v_fma_f32 v4, -v4, v7, v6
	v_div_fmas_f32 v4, v4, v5, v7
	v_div_fixup_f32 v4, v4, v2, v49
	v_cndmask_b32_e64 v3, v4, v3, s[34:35]
	v_add_co_u32_e32 v4, vcc, 0x1000, v0
	v_addc_co_u32_e32 v5, vcc, 0, v1, vcc
	global_store_dword v[4:5], v3, off offset:1152
	s_and_b64 exec, exec, s[44:45]
	s_cbranch_execz .LBB507_194
; %bb.172:
	v_div_scale_f32 v3, s[0:1], v2, v2, v51
	v_rcp_f32_e32 v4, v3
	v_div_scale_f32 v5, vcc, v51, v2, v51
	v_readlane_b32 s0, v78, 0
	v_fma_f32 v6, -v3, v4, 1.0
	v_fmac_f32_e32 v4, v6, v4
	v_mul_f32_e32 v6, v5, v4
	v_fma_f32 v7, -v3, v6, v5
	v_fmac_f32_e32 v6, v7, v4
	v_fma_f32 v3, -v3, v6, v5
	v_div_fmas_f32 v3, v3, v4, v6
	v_div_fixup_f32 v4, v3, v2, v51
	v_mov_b32_e32 v3, 0x7fc00000
	v_cndmask_b32_e64 v6, v4, v3, s[34:35]
	v_add_co_u32_e32 v4, vcc, 0x1000, v0
	v_addc_co_u32_e32 v5, vcc, 0, v1, vcc
	v_readlane_b32 s1, v78, 1
	global_store_dword v[4:5], v6, off offset:1280
	s_and_b64 exec, exec, s[0:1]
	s_cbranch_execz .LBB507_194
; %bb.173:
	v_div_scale_f32 v4, s[0:1], v2, v2, v52
	v_rcp_f32_e32 v5, v4
	v_div_scale_f32 v6, vcc, v52, v2, v52
	v_readlane_b32 s0, v78, 2
	v_fma_f32 v7, -v4, v5, 1.0
	v_fmac_f32_e32 v5, v7, v5
	v_mul_f32_e32 v7, v6, v5
	v_fma_f32 v8, -v4, v7, v6
	v_fmac_f32_e32 v7, v8, v5
	v_fma_f32 v4, -v4, v7, v6
	v_div_fmas_f32 v4, v4, v5, v7
	v_div_fixup_f32 v4, v4, v2, v52
	v_cndmask_b32_e64 v3, v4, v3, s[34:35]
	v_add_co_u32_e32 v4, vcc, 0x1000, v0
	v_addc_co_u32_e32 v5, vcc, 0, v1, vcc
	v_readlane_b32 s1, v78, 3
	global_store_dword v[4:5], v3, off offset:1408
	s_and_b64 exec, exec, s[0:1]
	s_cbranch_execz .LBB507_194
; %bb.174:
	v_div_scale_f32 v3, s[0:1], v2, v2, v53
	v_rcp_f32_e32 v4, v3
	v_div_scale_f32 v5, vcc, v53, v2, v53
	v_readlane_b32 s0, v78, 4
	v_fma_f32 v6, -v3, v4, 1.0
	v_fmac_f32_e32 v4, v6, v4
	v_mul_f32_e32 v6, v5, v4
	v_fma_f32 v7, -v3, v6, v5
	v_fmac_f32_e32 v6, v7, v4
	v_fma_f32 v3, -v3, v6, v5
	v_div_fmas_f32 v3, v3, v4, v6
	v_div_fixup_f32 v4, v3, v2, v53
	v_mov_b32_e32 v3, 0x7fc00000
	v_cndmask_b32_e64 v6, v4, v3, s[34:35]
	v_add_co_u32_e32 v4, vcc, 0x1000, v0
	v_addc_co_u32_e32 v5, vcc, 0, v1, vcc
	v_readlane_b32 s1, v78, 5
	global_store_dword v[4:5], v6, off offset:1536
	s_and_b64 exec, exec, s[0:1]
	s_cbranch_execz .LBB507_194
; %bb.175:
	v_div_scale_f32 v4, s[0:1], v2, v2, v54
	v_rcp_f32_e32 v5, v4
	v_div_scale_f32 v6, vcc, v54, v2, v54
	v_readlane_b32 s0, v78, 6
	v_fma_f32 v7, -v4, v5, 1.0
	v_fmac_f32_e32 v5, v7, v5
	v_mul_f32_e32 v7, v6, v5
	v_fma_f32 v8, -v4, v7, v6
	v_fmac_f32_e32 v7, v8, v5
	v_fma_f32 v4, -v4, v7, v6
	v_div_fmas_f32 v4, v4, v5, v7
	v_div_fixup_f32 v4, v4, v2, v54
	v_cndmask_b32_e64 v3, v4, v3, s[34:35]
	v_add_co_u32_e32 v4, vcc, 0x1000, v0
	v_addc_co_u32_e32 v5, vcc, 0, v1, vcc
	v_readlane_b32 s1, v78, 7
	;; [unrolled: 41-line block ×10, first 2 shown]
	global_store_dword v[4:5], v3, off offset:3712
	s_and_b64 exec, exec, s[0:1]
	s_cbranch_execz .LBB507_194
; %bb.192:
	v_div_scale_f32 v3, s[0:1], v2, v2, v73
	v_rcp_f32_e32 v4, v3
	v_div_scale_f32 v5, vcc, v73, v2, v73
	v_fma_f32 v6, -v3, v4, 1.0
	v_fmac_f32_e32 v4, v6, v4
	v_mul_f32_e32 v6, v5, v4
	v_fma_f32 v7, -v3, v6, v5
	v_fmac_f32_e32 v6, v7, v4
	v_fma_f32 v3, -v3, v6, v5
	v_div_fmas_f32 v3, v3, v4, v6
	v_div_fixup_f32 v4, v3, v2, v73
	v_mov_b32_e32 v3, 0x7fc00000
	v_cndmask_b32_e64 v6, v4, v3, s[34:35]
	v_add_co_u32_e32 v4, vcc, 0x1000, v0
	v_addc_co_u32_e32 v5, vcc, 0, v1, vcc
	global_store_dword v[4:5], v6, off offset:3840
	s_and_b64 exec, exec, s[42:43]
	s_cbranch_execz .LBB507_194
; %bb.193:
	v_div_scale_f32 v4, s[0:1], v2, v2, v50
	v_rcp_f32_e32 v5, v4
	v_div_scale_f32 v6, vcc, v50, v2, v50
	v_fma_f32 v7, -v4, v5, 1.0
	v_fmac_f32_e32 v5, v7, v5
	v_mul_f32_e32 v7, v6, v5
	v_fma_f32 v8, -v4, v7, v6
	v_fmac_f32_e32 v7, v8, v5
	v_fma_f32 v4, -v4, v7, v6
	v_div_fmas_f32 v4, v4, v5, v7
	v_div_fixup_f32 v2, v4, v2, v50
	v_add_co_u32_e32 v0, vcc, 0x1000, v0
	v_cndmask_b32_e64 v2, v2, v3, s[34:35]
	v_addc_co_u32_e32 v1, vcc, 0, v1, vcc
	global_store_dword v[0:1], v2, off offset:3968
.LBB507_194:
	s_endpgm
	.section	.rodata,"a",@progbits
	.p2align	6, 0x0
	.amdhsa_kernel _ZN12_GLOBAL__N_120softmax_warp_forwardIN3c108BFloat16EffLi11ELb0ELb0ELi32EEEvPT0_PKT_iiiPKbib
		.amdhsa_group_segment_fixed_size 0
		.amdhsa_private_segment_fixed_size 0
		.amdhsa_kernarg_size 304
		.amdhsa_user_sgpr_count 6
		.amdhsa_user_sgpr_private_segment_buffer 1
		.amdhsa_user_sgpr_dispatch_ptr 0
		.amdhsa_user_sgpr_queue_ptr 0
		.amdhsa_user_sgpr_kernarg_segment_ptr 1
		.amdhsa_user_sgpr_dispatch_id 0
		.amdhsa_user_sgpr_flat_scratch_init 0
		.amdhsa_user_sgpr_kernarg_preload_length 0
		.amdhsa_user_sgpr_kernarg_preload_offset 0
		.amdhsa_user_sgpr_private_segment_size 0
		.amdhsa_uses_dynamic_stack 0
		.amdhsa_system_sgpr_private_segment_wavefront_offset 0
		.amdhsa_system_sgpr_workgroup_id_x 1
		.amdhsa_system_sgpr_workgroup_id_y 0
		.amdhsa_system_sgpr_workgroup_id_z 0
		.amdhsa_system_sgpr_workgroup_info 0
		.amdhsa_system_vgpr_workitem_id 1
		.amdhsa_next_free_vgpr 79
		.amdhsa_next_free_sgpr 96
		.amdhsa_accum_offset 80
		.amdhsa_reserve_vcc 1
		.amdhsa_reserve_flat_scratch 0
		.amdhsa_float_round_mode_32 0
		.amdhsa_float_round_mode_16_64 0
		.amdhsa_float_denorm_mode_32 3
		.amdhsa_float_denorm_mode_16_64 3
		.amdhsa_dx10_clamp 1
		.amdhsa_ieee_mode 1
		.amdhsa_fp16_overflow 0
		.amdhsa_tg_split 0
		.amdhsa_exception_fp_ieee_invalid_op 0
		.amdhsa_exception_fp_denorm_src 0
		.amdhsa_exception_fp_ieee_div_zero 0
		.amdhsa_exception_fp_ieee_overflow 0
		.amdhsa_exception_fp_ieee_underflow 0
		.amdhsa_exception_fp_ieee_inexact 0
		.amdhsa_exception_int_div_zero 0
	.end_amdhsa_kernel
	.section	.text._ZN12_GLOBAL__N_120softmax_warp_forwardIN3c108BFloat16EffLi11ELb0ELb0ELi32EEEvPT0_PKT_iiiPKbib,"axG",@progbits,_ZN12_GLOBAL__N_120softmax_warp_forwardIN3c108BFloat16EffLi11ELb0ELb0ELi32EEEvPT0_PKT_iiiPKbib,comdat
.Lfunc_end507:
	.size	_ZN12_GLOBAL__N_120softmax_warp_forwardIN3c108BFloat16EffLi11ELb0ELb0ELi32EEEvPT0_PKT_iiiPKbib, .Lfunc_end507-_ZN12_GLOBAL__N_120softmax_warp_forwardIN3c108BFloat16EffLi11ELb0ELb0ELi32EEEvPT0_PKT_iiiPKbib
                                        ; -- End function
	.section	.AMDGPU.csdata,"",@progbits
; Kernel info:
; codeLenInByte = 16808
; NumSgprs: 100
; NumVgprs: 79
; NumAgprs: 0
; TotalNumVgprs: 79
; ScratchSize: 0
; MemoryBound: 0
; FloatMode: 240
; IeeeMode: 1
; LDSByteSize: 0 bytes/workgroup (compile time only)
; SGPRBlocks: 12
; VGPRBlocks: 9
; NumSGPRsForWavesPerEU: 100
; NumVGPRsForWavesPerEU: 79
; AccumOffset: 80
; Occupancy: 6
; WaveLimiterHint : 0
; COMPUTE_PGM_RSRC2:SCRATCH_EN: 0
; COMPUTE_PGM_RSRC2:USER_SGPR: 6
; COMPUTE_PGM_RSRC2:TRAP_HANDLER: 0
; COMPUTE_PGM_RSRC2:TGID_X_EN: 1
; COMPUTE_PGM_RSRC2:TGID_Y_EN: 0
; COMPUTE_PGM_RSRC2:TGID_Z_EN: 0
; COMPUTE_PGM_RSRC2:TIDIG_COMP_CNT: 1
; COMPUTE_PGM_RSRC3_GFX90A:ACCUM_OFFSET: 19
; COMPUTE_PGM_RSRC3_GFX90A:TG_SPLIT: 0
	.section	.text._ZN2at6native12_GLOBAL__N_123cunn_SoftMaxForwardGmemILi8EN3c108BFloat16EffNS1_29SoftMaxForwardWithMulEpilogueElEEvPT2_PKT0_T4_,"axG",@progbits,_ZN2at6native12_GLOBAL__N_123cunn_SoftMaxForwardGmemILi8EN3c108BFloat16EffNS1_29SoftMaxForwardWithMulEpilogueElEEvPT2_PKT0_T4_,comdat
	.globl	_ZN2at6native12_GLOBAL__N_123cunn_SoftMaxForwardGmemILi8EN3c108BFloat16EffNS1_29SoftMaxForwardWithMulEpilogueElEEvPT2_PKT0_T4_ ; -- Begin function _ZN2at6native12_GLOBAL__N_123cunn_SoftMaxForwardGmemILi8EN3c108BFloat16EffNS1_29SoftMaxForwardWithMulEpilogueElEEvPT2_PKT0_T4_
	.p2align	8
	.type	_ZN2at6native12_GLOBAL__N_123cunn_SoftMaxForwardGmemILi8EN3c108BFloat16EffNS1_29SoftMaxForwardWithMulEpilogueElEEvPT2_PKT0_T4_,@function
_ZN2at6native12_GLOBAL__N_123cunn_SoftMaxForwardGmemILi8EN3c108BFloat16EffNS1_29SoftMaxForwardWithMulEpilogueElEEvPT2_PKT0_T4_: ; @_ZN2at6native12_GLOBAL__N_123cunn_SoftMaxForwardGmemILi8EN3c108BFloat16EffNS1_29SoftMaxForwardWithMulEpilogueElEEvPT2_PKT0_T4_
; %bb.0:
	s_load_dwordx4 s[12:15], s[4:5], 0x0
	s_load_dwordx2 s[10:11], s[4:5], 0x10
	v_mov_b32_e32 v1, 0
	v_lshlrev_b32_e32 v2, 3, v0
	v_mov_b32_e32 v3, v1
	s_mov_b32 s18, 0
	s_waitcnt lgkmcnt(0)
	v_cmp_gt_i64_e64 s[0:1], s[10:11], v[2:3]
	v_mov_b32_e32 v8, 0xff7fffff
	s_mul_i32 s22, s11, s6
	s_mul_hi_u32 s23, s10, s6
	s_mul_i32 s16, s10, s6
	v_lshlrev_b32_e32 v6, 4, v0
	s_and_saveexec_b64 s[2:3], s[0:1]
	s_cbranch_execz .LBB508_4
; %bb.1:
	s_load_dword s8, s[4:5], 0x24
	s_add_i32 s17, s23, s22
	s_lshl_b64 s[6:7], s[16:17], 1
	v_mov_b32_e32 v8, 0xff7fffff
	v_mov_b32_e32 v7, s18
	s_waitcnt lgkmcnt(0)
	s_and_b32 s8, s8, 0xffff
	s_add_u32 s6, s14, s6
	s_addc_u32 s7, s15, s7
	v_mov_b32_e32 v2, s7
	v_add_co_u32_e32 v3, vcc, s6, v6
	v_addc_co_u32_e32 v4, vcc, 0, v2, vcc
	v_add_co_u32_e32 v2, vcc, 14, v3
	v_addc_co_u32_e32 v3, vcc, 0, v4, vcc
	s_lshl_b32 s9, s8, 4
	s_mov_b64 s[6:7], 0
	v_mov_b32_e32 v9, s18
	v_pk_mov_b32 v[4:5], v[0:1], v[0:1] op_sel:[0,1]
	s_mov_b32 s17, s18
.LBB508_2:                              ; =>This Inner Loop Header: Depth=1
	global_load_dwordx4 v[10:13], v[2:3], off offset:-14
	v_add_co_u32_e32 v4, vcc, s8, v4
	v_addc_co_u32_e32 v5, vcc, v5, v7, vcc
	v_add_co_u32_e32 v2, vcc, s9, v2
	v_addc_co_u32_e32 v3, vcc, v3, v9, vcc
	v_lshlrev_b64 v[14:15], 3, v[4:5]
	v_cmp_le_i64_e32 vcc, s[10:11], v[14:15]
	s_or_b64 s[6:7], vcc, s[6:7]
	s_waitcnt vmcnt(0)
	v_lshlrev_b32_e32 v14, 16, v10
	v_and_b32_e32 v10, 0xffff0000, v10
	v_lshlrev_b32_e32 v15, 16, v11
	v_and_b32_e32 v11, 0xffff0000, v11
	v_max3_f32 v8, v8, v14, v10
	v_lshlrev_b32_e32 v16, 16, v12
	v_and_b32_e32 v12, 0xffff0000, v12
	v_max3_f32 v8, v8, v15, v11
	;; [unrolled: 3-line block ×3, first 2 shown]
	v_max3_f32 v8, v8, v17, v13
	s_andn2_b64 exec, exec, s[6:7]
	s_cbranch_execnz .LBB508_2
; %bb.3:
	s_or_b64 exec, exec, s[6:7]
.LBB508_4:
	s_or_b64 exec, exec, s[2:3]
	v_mbcnt_lo_u32_b32 v2, -1, 0
	v_mbcnt_hi_u32_b32 v4, -1, v2
	v_and_b32_e32 v5, 63, v4
	v_cmp_gt_u32_e32 vcc, 32, v5
	v_cndmask_b32_e64 v2, 0, 1, vcc
	v_lshlrev_b32_e32 v2, 5, v2
	v_add_lshl_u32 v7, v2, v4, 2
	ds_bpermute_b32 v2, v7, v8
	v_cmp_gt_u32_e32 vcc, 48, v5
	v_cndmask_b32_e64 v3, 0, 1, vcc
	v_lshlrev_b32_e32 v3, 4, v3
	v_add_lshl_u32 v9, v3, v4, 2
	s_waitcnt lgkmcnt(0)
	v_cmp_lt_f32_e32 vcc, v8, v2
	v_cndmask_b32_e32 v2, v8, v2, vcc
	ds_bpermute_b32 v3, v9, v2
	v_lshrrev_b32_e32 v14, 4, v0
	s_waitcnt lgkmcnt(0)
	s_barrier
	v_cmp_lt_f32_e32 vcc, v2, v3
	v_cndmask_b32_e32 v2, v2, v3, vcc
	v_cmp_gt_u32_e32 vcc, 56, v5
	v_cndmask_b32_e64 v3, 0, 1, vcc
	v_lshlrev_b32_e32 v3, 3, v3
	v_add_lshl_u32 v10, v3, v4, 2
	ds_bpermute_b32 v3, v10, v2
	s_waitcnt lgkmcnt(0)
	v_cmp_lt_f32_e32 vcc, v2, v3
	v_cndmask_b32_e32 v2, v2, v3, vcc
	v_cmp_gt_u32_e32 vcc, 60, v5
	v_cndmask_b32_e64 v3, 0, 1, vcc
	v_lshlrev_b32_e32 v3, 2, v3
	v_add_lshl_u32 v11, v3, v4, 2
	ds_bpermute_b32 v3, v11, v2
	s_waitcnt lgkmcnt(0)
	v_cmp_lt_f32_e32 vcc, v2, v3
	v_cndmask_b32_e32 v2, v2, v3, vcc
	v_cmp_gt_u32_e32 vcc, 62, v5
	v_cndmask_b32_e64 v3, 0, 1, vcc
	v_lshlrev_b32_e32 v3, 1, v3
	v_add_lshl_u32 v12, v3, v4, 2
	ds_bpermute_b32 v8, v12, v2
	v_and_b32_e32 v3, 63, v0
	s_waitcnt lgkmcnt(0)
	v_cmp_lt_f32_e32 vcc, v2, v8
	v_cndmask_b32_e32 v2, v2, v8, vcc
	v_cmp_ne_u32_e32 vcc, 63, v5
	v_addc_co_u32_e32 v4, vcc, 0, v4, vcc
	v_lshlrev_b32_e32 v13, 2, v4
	ds_bpermute_b32 v4, v13, v2
	v_cmp_eq_u32_e32 vcc, 0, v3
	s_and_saveexec_b64 s[6:7], vcc
	s_cbranch_execz .LBB508_6
; %bb.5:
	s_waitcnt lgkmcnt(0)
	v_cmp_lt_f32_e64 s[2:3], v2, v4
	v_add_u32_e32 v5, 0, v14
	v_cndmask_b32_e64 v2, v2, v4, s[2:3]
	ds_write_b32 v5, v2
.LBB508_6:
	s_or_b64 exec, exec, s[6:7]
	s_waitcnt lgkmcnt(0)
	s_barrier
	s_load_dword s24, s[4:5], 0x24
	v_mov_b32_e32 v2, 0xff7fffff
	v_lshl_add_u32 v15, v3, 2, 0
	s_waitcnt lgkmcnt(0)
	s_bfe_u32 s2, s24, 0xa0006
	v_cmp_gt_u32_e64 s[2:3], s2, v0
	s_and_saveexec_b64 s[4:5], s[2:3]
	s_cbranch_execnz .LBB508_24
; %bb.7:
	s_or_b64 exec, exec, s[4:5]
	v_cmp_gt_u32_e64 s[4:5], 64, v0
	s_and_saveexec_b64 s[8:9], s[4:5]
	s_cbranch_execnz .LBB508_25
.LBB508_8:
	s_or_b64 exec, exec, s[8:9]
	v_cmp_eq_u32_e64 s[6:7], 0, v0
	s_and_saveexec_b64 s[8:9], s[6:7]
	s_cbranch_execz .LBB508_10
.LBB508_9:
	v_mov_b32_e32 v3, 0
	s_waitcnt lgkmcnt(0)
	ds_write_b32 v3, v2
.LBB508_10:
	s_or_b64 exec, exec, s[8:9]
	v_mov_b32_e32 v16, 0
	s_waitcnt lgkmcnt(0)
	s_barrier
	ds_read_b32 v8, v16
	s_mov_b32 s26, 0
	s_and_saveexec_b64 s[18:19], s[0:1]
	s_cbranch_execz .LBB508_14
; %bb.11:
	s_add_i32 s17, s23, s22
	s_and_b32 s25, s24, 0xffff
	s_lshl_b64 s[8:9], s[16:17], 1
	s_add_u32 s8, s14, s8
	s_addc_u32 s9, s15, s9
	v_mov_b32_e32 v2, s9
	v_add_co_u32_e64 v3, s[8:9], s8, v6
	v_addc_co_u32_e64 v4, s[8:9], 0, v2, s[8:9]
	v_add_co_u32_e64 v2, s[8:9], 14, v3
	v_addc_co_u32_e64 v3, s[8:9], 0, v4, s[8:9]
	s_lshl_b32 s17, s25, 4
	s_mov_b64 s[20:21], 0
	v_mov_b32_e32 v16, 0
	v_mov_b32_e32 v17, s26
	;; [unrolled: 1-line block ×3, first 2 shown]
	v_pk_mov_b32 v[4:5], v[0:1], v[0:1] op_sel:[0,1]
.LBB508_12:                             ; =>This Inner Loop Header: Depth=1
	global_load_dwordx4 v[20:23], v[2:3], off offset:-14
	v_add_co_u32_e64 v4, s[8:9], s25, v4
	v_addc_co_u32_e64 v5, s[8:9], v5, v17, s[8:9]
	v_add_co_u32_e64 v2, s[8:9], s17, v2
	v_addc_co_u32_e64 v3, s[8:9], v3, v18, s[8:9]
	v_lshlrev_b64 v[24:25], 3, v[4:5]
	v_cmp_le_i64_e64 s[8:9], s[10:11], v[24:25]
	s_or_b64 s[20:21], s[8:9], s[20:21]
	s_waitcnt vmcnt(0)
	v_lshlrev_b32_e32 v19, 16, v20
	v_and_b32_e32 v20, 0xffff0000, v20
	s_waitcnt lgkmcnt(0)
	v_sub_f32_e32 v19, v19, v8
	v_lshlrev_b32_e32 v24, 16, v21
	v_sub_f32_e32 v20, v20, v8
	v_mul_f32_e32 v19, 0x3fb8aa3b, v19
	v_and_b32_e32 v21, 0xffff0000, v21
	v_sub_f32_e32 v24, v24, v8
	v_mul_f32_e32 v20, 0x3fb8aa3b, v20
	v_exp_f32_e32 v19, v19
	v_lshlrev_b32_e32 v25, 16, v22
	v_sub_f32_e32 v21, v21, v8
	v_mul_f32_e32 v24, 0x3fb8aa3b, v24
	v_exp_f32_e32 v20, v20
	v_and_b32_e32 v22, 0xffff0000, v22
	v_sub_f32_e32 v25, v25, v8
	v_mul_f32_e32 v21, 0x3fb8aa3b, v21
	v_exp_f32_e32 v24, v24
	v_lshlrev_b32_e32 v26, 16, v23
	v_sub_f32_e32 v22, v22, v8
	v_mul_f32_e32 v25, 0x3fb8aa3b, v25
	v_exp_f32_e32 v21, v21
	v_and_b32_e32 v23, 0xffff0000, v23
	v_sub_f32_e32 v26, v26, v8
	v_mul_f32_e32 v22, 0x3fb8aa3b, v22
	v_exp_f32_e32 v25, v25
	v_add_f32_e32 v16, v16, v19
	v_sub_f32_e32 v23, v23, v8
	v_mul_f32_e32 v26, 0x3fb8aa3b, v26
	v_exp_f32_e32 v22, v22
	v_add_f32_e32 v16, v16, v20
	v_mul_f32_e32 v23, 0x3fb8aa3b, v23
	v_exp_f32_e32 v26, v26
	v_add_f32_e32 v16, v16, v24
	v_exp_f32_e32 v23, v23
	v_add_f32_e32 v16, v16, v21
	v_add_f32_e32 v16, v16, v25
	;; [unrolled: 1-line block ×5, first 2 shown]
	s_andn2_b64 exec, exec, s[20:21]
	s_cbranch_execnz .LBB508_12
; %bb.13:
	s_or_b64 exec, exec, s[20:21]
.LBB508_14:
	s_or_b64 exec, exec, s[18:19]
	ds_bpermute_b32 v2, v7, v16
	s_waitcnt lgkmcnt(0)
	s_barrier
	v_add_f32_e32 v2, v16, v2
	ds_bpermute_b32 v3, v9, v2
	s_waitcnt lgkmcnt(0)
	v_add_f32_e32 v2, v2, v3
	ds_bpermute_b32 v3, v10, v2
	s_waitcnt lgkmcnt(0)
	v_add_f32_e32 v2, v2, v3
	ds_bpermute_b32 v3, v11, v2
	s_waitcnt lgkmcnt(0)
	v_add_f32_e32 v2, v2, v3
	ds_bpermute_b32 v3, v12, v2
	s_waitcnt lgkmcnt(0)
	v_add_f32_e32 v2, v2, v3
	ds_bpermute_b32 v3, v13, v2
	s_and_saveexec_b64 s[8:9], vcc
	s_cbranch_execz .LBB508_16
; %bb.15:
	v_add_u32_e32 v4, 0, v14
	s_waitcnt lgkmcnt(0)
	v_add_f32_e32 v2, v2, v3
	ds_write_b32 v4, v2
.LBB508_16:
	s_or_b64 exec, exec, s[8:9]
	v_mov_b32_e32 v2, 0
	s_waitcnt lgkmcnt(0)
	s_barrier
	s_and_saveexec_b64 s[8:9], s[2:3]
	s_cbranch_execnz .LBB508_26
; %bb.17:
	s_or_b64 exec, exec, s[8:9]
	s_and_saveexec_b64 s[2:3], s[4:5]
	s_cbranch_execnz .LBB508_27
.LBB508_18:
	s_or_b64 exec, exec, s[2:3]
	s_and_saveexec_b64 s[2:3], s[6:7]
	s_cbranch_execz .LBB508_20
.LBB508_19:
	s_waitcnt lgkmcnt(0)
	v_div_scale_f32 v3, s[4:5], v2, v2, 1.0
	v_rcp_f32_e32 v4, v3
	v_div_scale_f32 v5, vcc, 1.0, v2, 1.0
	v_fma_f32 v7, -v3, v4, 1.0
	v_fmac_f32_e32 v4, v7, v4
	v_mul_f32_e32 v7, v5, v4
	v_fma_f32 v9, -v3, v7, v5
	v_fmac_f32_e32 v7, v9, v4
	v_fma_f32 v3, -v3, v7, v5
	v_div_fmas_f32 v3, v3, v4, v7
	v_div_fixup_f32 v2, v3, v2, 1.0
	v_mov_b32_e32 v3, 0
	ds_write_b32 v3, v2
.LBB508_20:
	s_or_b64 exec, exec, s[2:3]
	s_waitcnt lgkmcnt(0)
	s_barrier
	s_and_saveexec_b64 s[2:3], s[0:1]
	s_cbranch_execz .LBB508_23
; %bb.21:
	s_add_i32 s17, s23, s22
	s_and_b32 s2, s24, 0xffff
	s_lshl_b64 s[0:1], s[16:17], 1
	s_add_u32 s0, s14, s0
	s_addc_u32 s1, s15, s1
	v_mov_b32_e32 v4, s1
	v_add_co_u32_e32 v5, vcc, s0, v6
	v_mov_b32_e32 v2, 0
	v_addc_co_u32_e32 v6, vcc, 0, v4, vcc
	s_lshl_b32 s3, s2, 4
	s_lshl_b64 s[0:1], s[16:17], 2
	ds_read_b32 v2, v2
	v_add_co_u32_e32 v4, vcc, 14, v5
	s_add_u32 s0, s12, s0
	v_addc_co_u32_e32 v5, vcc, 0, v6, vcc
	v_lshlrev_b32_e32 v6, 5, v0
	s_addc_u32 s1, s13, s1
	v_mov_b32_e32 v7, s1
	v_add_co_u32_e32 v6, vcc, s0, v6
	v_addc_co_u32_e32 v7, vcc, 0, v7, vcc
	s_mov_b32 s5, 0
	v_add_co_u32_e32 v6, vcc, 16, v6
	s_waitcnt lgkmcnt(0)
	v_mov_b32_e32 v3, v2
	v_addc_co_u32_e32 v7, vcc, 0, v7, vcc
	s_lshl_b32 s4, s2, 5
	s_mov_b64 s[0:1], 0
	v_mov_b32_e32 v9, s5
	v_mov_b32_e32 v10, s5
	;; [unrolled: 1-line block ×3, first 2 shown]
.LBB508_22:                             ; =>This Inner Loop Header: Depth=1
	global_load_dwordx4 v[12:15], v[4:5], off offset:-14
	v_add_co_u32_e32 v0, vcc, s2, v0
	v_addc_co_u32_e32 v1, vcc, v1, v9, vcc
	v_add_co_u32_e32 v4, vcc, s3, v4
	v_addc_co_u32_e32 v5, vcc, v5, v10, vcc
	v_lshlrev_b64 v[16:17], 3, v[0:1]
	v_cmp_le_i64_e32 vcc, s[10:11], v[16:17]
	s_or_b64 s[0:1], vcc, s[0:1]
	s_waitcnt vmcnt(0)
	v_lshlrev_b32_e32 v16, 16, v12
	v_and_b32_e32 v12, 0xffff0000, v12
	v_lshlrev_b32_e32 v17, 16, v13
	v_and_b32_e32 v13, 0xffff0000, v13
	;; [unrolled: 2-line block ×4, first 2 shown]
	v_sub_f32_e32 v16, v16, v8
	v_sub_f32_e32 v12, v12, v8
	;; [unrolled: 1-line block ×8, first 2 shown]
	v_mul_f32_e32 v16, 0x3fb8aa3b, v16
	v_mul_f32_e32 v20, 0x3fb8aa3b, v12
	v_mul_f32_e32 v17, 0x3fb8aa3b, v17
	v_mul_f32_e32 v21, 0x3fb8aa3b, v13
	v_mul_f32_e32 v18, 0x3fb8aa3b, v18
	v_mul_f32_e32 v22, 0x3fb8aa3b, v14
	v_mul_f32_e32 v19, 0x3fb8aa3b, v19
	v_mul_f32_e32 v23, 0x3fb8aa3b, v15
	v_exp_f32_e32 v12, v16
	v_exp_f32_e32 v13, v20
	v_exp_f32_e32 v14, v17
	v_exp_f32_e32 v15, v21
	v_exp_f32_e32 v16, v18
	v_exp_f32_e32 v17, v22
	v_exp_f32_e32 v18, v19
	v_exp_f32_e32 v19, v23
	v_pk_mul_f32 v[12:13], v[2:3], v[12:13]
	v_pk_mul_f32 v[14:15], v[2:3], v[14:15]
	;; [unrolled: 1-line block ×4, first 2 shown]
	global_store_dwordx4 v[6:7], v[12:15], off offset:-16
	global_store_dwordx4 v[6:7], v[16:19], off
	v_add_co_u32_e32 v6, vcc, s4, v6
	v_addc_co_u32_e32 v7, vcc, v7, v11, vcc
	s_andn2_b64 exec, exec, s[0:1]
	s_cbranch_execnz .LBB508_22
.LBB508_23:
	s_endpgm
.LBB508_24:
	ds_read_b32 v2, v15
	s_or_b64 exec, exec, s[4:5]
	v_cmp_gt_u32_e64 s[4:5], 64, v0
	s_and_saveexec_b64 s[8:9], s[4:5]
	s_cbranch_execz .LBB508_8
.LBB508_25:
	s_waitcnt lgkmcnt(0)
	ds_bpermute_b32 v3, v7, v2
	s_waitcnt lgkmcnt(0)
	v_cmp_lt_f32_e64 s[6:7], v2, v3
	v_cndmask_b32_e64 v2, v2, v3, s[6:7]
	ds_bpermute_b32 v3, v9, v2
	s_waitcnt lgkmcnt(0)
	v_cmp_lt_f32_e64 s[6:7], v2, v3
	v_cndmask_b32_e64 v2, v2, v3, s[6:7]
	;; [unrolled: 4-line block ×6, first 2 shown]
	s_or_b64 exec, exec, s[8:9]
	v_cmp_eq_u32_e64 s[6:7], 0, v0
	s_and_saveexec_b64 s[8:9], s[6:7]
	s_cbranch_execnz .LBB508_9
	s_branch .LBB508_10
.LBB508_26:
	ds_read_b32 v2, v15
	s_or_b64 exec, exec, s[8:9]
	s_and_saveexec_b64 s[2:3], s[4:5]
	s_cbranch_execz .LBB508_18
.LBB508_27:
	s_waitcnt lgkmcnt(0)
	ds_bpermute_b32 v3, v7, v2
	s_waitcnt lgkmcnt(0)
	v_add_f32_e32 v2, v2, v3
	ds_bpermute_b32 v3, v9, v2
	s_waitcnt lgkmcnt(0)
	v_add_f32_e32 v2, v2, v3
	;; [unrolled: 3-line block ×6, first 2 shown]
	s_or_b64 exec, exec, s[2:3]
	s_and_saveexec_b64 s[2:3], s[6:7]
	s_cbranch_execnz .LBB508_19
	s_branch .LBB508_20
	.section	.rodata,"a",@progbits
	.p2align	6, 0x0
	.amdhsa_kernel _ZN2at6native12_GLOBAL__N_123cunn_SoftMaxForwardGmemILi8EN3c108BFloat16EffNS1_29SoftMaxForwardWithMulEpilogueElEEvPT2_PKT0_T4_
		.amdhsa_group_segment_fixed_size 0
		.amdhsa_private_segment_fixed_size 0
		.amdhsa_kernarg_size 280
		.amdhsa_user_sgpr_count 6
		.amdhsa_user_sgpr_private_segment_buffer 1
		.amdhsa_user_sgpr_dispatch_ptr 0
		.amdhsa_user_sgpr_queue_ptr 0
		.amdhsa_user_sgpr_kernarg_segment_ptr 1
		.amdhsa_user_sgpr_dispatch_id 0
		.amdhsa_user_sgpr_flat_scratch_init 0
		.amdhsa_user_sgpr_kernarg_preload_length 0
		.amdhsa_user_sgpr_kernarg_preload_offset 0
		.amdhsa_user_sgpr_private_segment_size 0
		.amdhsa_uses_dynamic_stack 0
		.amdhsa_system_sgpr_private_segment_wavefront_offset 0
		.amdhsa_system_sgpr_workgroup_id_x 1
		.amdhsa_system_sgpr_workgroup_id_y 0
		.amdhsa_system_sgpr_workgroup_id_z 0
		.amdhsa_system_sgpr_workgroup_info 0
		.amdhsa_system_vgpr_workitem_id 0
		.amdhsa_next_free_vgpr 27
		.amdhsa_next_free_sgpr 27
		.amdhsa_accum_offset 28
		.amdhsa_reserve_vcc 1
		.amdhsa_reserve_flat_scratch 0
		.amdhsa_float_round_mode_32 0
		.amdhsa_float_round_mode_16_64 0
		.amdhsa_float_denorm_mode_32 3
		.amdhsa_float_denorm_mode_16_64 3
		.amdhsa_dx10_clamp 1
		.amdhsa_ieee_mode 1
		.amdhsa_fp16_overflow 0
		.amdhsa_tg_split 0
		.amdhsa_exception_fp_ieee_invalid_op 0
		.amdhsa_exception_fp_denorm_src 0
		.amdhsa_exception_fp_ieee_div_zero 0
		.amdhsa_exception_fp_ieee_overflow 0
		.amdhsa_exception_fp_ieee_underflow 0
		.amdhsa_exception_fp_ieee_inexact 0
		.amdhsa_exception_int_div_zero 0
	.end_amdhsa_kernel
	.section	.text._ZN2at6native12_GLOBAL__N_123cunn_SoftMaxForwardGmemILi8EN3c108BFloat16EffNS1_29SoftMaxForwardWithMulEpilogueElEEvPT2_PKT0_T4_,"axG",@progbits,_ZN2at6native12_GLOBAL__N_123cunn_SoftMaxForwardGmemILi8EN3c108BFloat16EffNS1_29SoftMaxForwardWithMulEpilogueElEEvPT2_PKT0_T4_,comdat
.Lfunc_end508:
	.size	_ZN2at6native12_GLOBAL__N_123cunn_SoftMaxForwardGmemILi8EN3c108BFloat16EffNS1_29SoftMaxForwardWithMulEpilogueElEEvPT2_PKT0_T4_, .Lfunc_end508-_ZN2at6native12_GLOBAL__N_123cunn_SoftMaxForwardGmemILi8EN3c108BFloat16EffNS1_29SoftMaxForwardWithMulEpilogueElEEvPT2_PKT0_T4_
                                        ; -- End function
	.section	.AMDGPU.csdata,"",@progbits
; Kernel info:
; codeLenInByte = 2212
; NumSgprs: 31
; NumVgprs: 27
; NumAgprs: 0
; TotalNumVgprs: 27
; ScratchSize: 0
; MemoryBound: 0
; FloatMode: 240
; IeeeMode: 1
; LDSByteSize: 0 bytes/workgroup (compile time only)
; SGPRBlocks: 3
; VGPRBlocks: 3
; NumSGPRsForWavesPerEU: 31
; NumVGPRsForWavesPerEU: 27
; AccumOffset: 28
; Occupancy: 8
; WaveLimiterHint : 0
; COMPUTE_PGM_RSRC2:SCRATCH_EN: 0
; COMPUTE_PGM_RSRC2:USER_SGPR: 6
; COMPUTE_PGM_RSRC2:TRAP_HANDLER: 0
; COMPUTE_PGM_RSRC2:TGID_X_EN: 1
; COMPUTE_PGM_RSRC2:TGID_Y_EN: 0
; COMPUTE_PGM_RSRC2:TGID_Z_EN: 0
; COMPUTE_PGM_RSRC2:TIDIG_COMP_CNT: 0
; COMPUTE_PGM_RSRC3_GFX90A:ACCUM_OFFSET: 6
; COMPUTE_PGM_RSRC3_GFX90A:TG_SPLIT: 0
	.section	.text._ZN2at6native12_GLOBAL__N_123cunn_SoftMaxForwardFastILi8EN3c108BFloat16EffNS1_29SoftMaxForwardWithMulEpilogueEEEvPT2_PKT0_i,"axG",@progbits,_ZN2at6native12_GLOBAL__N_123cunn_SoftMaxForwardFastILi8EN3c108BFloat16EffNS1_29SoftMaxForwardWithMulEpilogueEEEvPT2_PKT0_i,comdat
	.globl	_ZN2at6native12_GLOBAL__N_123cunn_SoftMaxForwardFastILi8EN3c108BFloat16EffNS1_29SoftMaxForwardWithMulEpilogueEEEvPT2_PKT0_i ; -- Begin function _ZN2at6native12_GLOBAL__N_123cunn_SoftMaxForwardFastILi8EN3c108BFloat16EffNS1_29SoftMaxForwardWithMulEpilogueEEEvPT2_PKT0_i
	.p2align	8
	.type	_ZN2at6native12_GLOBAL__N_123cunn_SoftMaxForwardFastILi8EN3c108BFloat16EffNS1_29SoftMaxForwardWithMulEpilogueEEEvPT2_PKT0_i,@function
_ZN2at6native12_GLOBAL__N_123cunn_SoftMaxForwardFastILi8EN3c108BFloat16EffNS1_29SoftMaxForwardWithMulEpilogueEEEvPT2_PKT0_i: ; @_ZN2at6native12_GLOBAL__N_123cunn_SoftMaxForwardFastILi8EN3c108BFloat16EffNS1_29SoftMaxForwardWithMulEpilogueEEEvPT2_PKT0_i
; %bb.0:
	s_load_dword s24, s[4:5], 0x10
	s_load_dwordx4 s[12:15], s[4:5], 0x0
	s_mov_b32 s11, 0
	s_waitcnt lgkmcnt(0)
	s_ashr_i32 s0, s24, 31
	s_mul_hi_u32 s1, s24, s6
	s_mul_i32 s0, s0, s6
	s_add_i32 s17, s1, s0
	s_mul_i32 s16, s24, s6
	s_lshl_b64 s[0:1], s[16:17], 1
	s_add_u32 s14, s14, s0
	s_addc_u32 s15, s15, s1
	s_bfe_u32 s10, s14, 0x30001
	s_cmp_lg_u32 s10, 0
	s_cselect_b64 s[18:19], -1, 0
	s_and_b64 vcc, exec, s[18:19]
	v_cmp_le_u32_e64 s[0:1], s10, v0
	s_cbranch_vccz .LBB509_25
; %bb.1:
	s_lshl_b64 s[2:3], s[10:11], 1
	s_sub_u32 s8, s14, s2
	s_subb_u32 s9, s15, s3
	s_add_i32 s7, s10, s24
	v_cmp_gt_i32_e32 vcc, s7, v0
	s_and_b64 s[2:3], s[0:1], vcc
	v_mov_b32_e32 v4, 0xff7fffff
	s_and_saveexec_b64 s[0:1], s[2:3]
	s_cbranch_execz .LBB509_3
; %bb.2:
	v_lshlrev_b32_e32 v1, 1, v0
	global_load_ushort v1, v1, s[8:9]
	s_waitcnt vmcnt(0)
	v_lshlrev_b32_e32 v1, 16, v1
	v_max_f32_e32 v1, v1, v1
	v_max_f32_e32 v4, 0xff7fffff, v1
.LBB509_3:
	s_or_b64 exec, exec, s[0:1]
	s_load_dword s0, s[4:5], 0x24
	s_add_u32 s2, s4, 24
	s_addc_u32 s3, s5, 0
	s_waitcnt lgkmcnt(0)
	s_and_b32 s0, s0, 0xffff
	v_mov_b32_e32 v1, s0
	s_lshl_b32 s0, s0, 1
	v_sub_u32_e64 v1, s7, v1 clamp
	s_add_u32 s0, s8, s0
	v_readfirstlane_b32 s7, v1
	s_addc_u32 s1, s9, 0
	s_branch .LBB509_5
.LBB509_4:
	s_add_u32 s2, s4, 24
	s_addc_u32 s3, s5, 0
	v_mov_b32_e32 v4, 0xff7fffff
	s_mov_b32 s7, s24
	s_mov_b64 s[0:1], s[14:15]
.LBB509_5:
	s_load_dword s8, s[2:3], 0x0
	v_mov_b32_e32 v1, 0
	v_lshlrev_b32_e32 v12, 3, v0
	s_waitcnt lgkmcnt(0)
	s_cmp_lt_u32 s6, s8
	s_cselect_b32 s8, 12, 18
	s_add_u32 s2, s2, s8
	s_addc_u32 s3, s3, 0
	global_load_ushort v1, v1, s[2:3]
	s_waitcnt vmcnt(0)
	v_readfirstlane_b32 s2, v1
	s_lshl_b32 s2, s2, 3
	v_cvt_f32_u32_e32 v2, s2
	s_sub_i32 s3, 0, s2
	v_rcp_iflag_f32_e32 v2, v2
	v_mul_f32_e32 v2, 0x4f7ffffe, v2
	v_cvt_u32_f32_e32 v2, v2
	v_readfirstlane_b32 s8, v2
	s_mul_i32 s3, s3, s8
	s_mul_hi_u32 s3, s8, s3
	s_add_i32 s8, s8, s3
	s_mul_hi_u32 s3, s7, s8
	s_mul_i32 s3, s3, s2
	s_sub_i32 s3, s7, s3
	s_sub_i32 s8, s3, s2
	s_cmp_ge_u32 s3, s2
	s_cselect_b32 s3, s8, s3
	s_sub_i32 s8, s3, s2
	s_cmp_ge_u32 s3, s2
	s_cselect_b32 s2, s8, s3
	s_sub_i32 s11, s7, s2
	v_cmp_gt_i32_e32 vcc, s11, v12
	s_and_saveexec_b64 s[2:3], vcc
	s_cbranch_execz .LBB509_9
; %bb.6:
	s_mov_b64 s[8:9], 0
	v_mov_b32_e32 v5, s1
	v_mov_b32_e32 v2, v0
.LBB509_7:                              ; =>This Inner Loop Header: Depth=1
	v_ashrrev_i32_e32 v3, 31, v2
	v_lshlrev_b64 v[6:7], 4, v[2:3]
	v_add_co_u32_e32 v6, vcc, s0, v6
	v_addc_co_u32_e32 v7, vcc, v5, v7, vcc
	global_load_dwordx4 v[6:9], v[6:7], off
	v_add_u32_e32 v2, v2, v1
	v_lshlrev_b32_e32 v3, 3, v2
	v_cmp_le_i32_e32 vcc, s11, v3
	s_or_b64 s[8:9], vcc, s[8:9]
	s_waitcnt vmcnt(0)
	v_lshlrev_b32_e32 v3, 16, v6
	v_and_b32_e32 v6, 0xffff0000, v6
	v_lshlrev_b32_e32 v10, 16, v7
	v_and_b32_e32 v7, 0xffff0000, v7
	v_max3_f32 v3, v4, v3, v6
	v_lshlrev_b32_e32 v11, 16, v8
	v_and_b32_e32 v8, 0xffff0000, v8
	v_max3_f32 v3, v3, v10, v7
	;; [unrolled: 3-line block ×3, first 2 shown]
	v_max3_f32 v4, v3, v13, v9
	s_andn2_b64 exec, exec, s[8:9]
	s_cbranch_execnz .LBB509_7
; %bb.8:
	s_or_b64 exec, exec, s[8:9]
.LBB509_9:
	s_or_b64 exec, exec, s[2:3]
	v_add_u32_e32 v2, s11, v0
	v_cmp_gt_i32_e32 vcc, s7, v2
	s_and_saveexec_b64 s[2:3], vcc
	s_cbranch_execz .LBB509_13
; %bb.10:
	s_mov_b64 s[8:9], 0
	v_mov_b32_e32 v5, s1
.LBB509_11:                             ; =>This Inner Loop Header: Depth=1
	v_ashrrev_i32_e32 v3, 31, v2
	v_lshlrev_b64 v[6:7], 1, v[2:3]
	v_add_co_u32_e32 v6, vcc, s0, v6
	v_addc_co_u32_e32 v7, vcc, v5, v7, vcc
	global_load_ushort v3, v[6:7], off
	v_add_u32_e32 v2, v2, v1
	v_max_f32_e32 v4, v4, v4
	v_cmp_le_i32_e32 vcc, s7, v2
	s_or_b64 s[8:9], vcc, s[8:9]
	s_waitcnt vmcnt(0)
	v_lshlrev_b32_e32 v3, 16, v3
	v_max_f32_e32 v3, v3, v3
	v_max_f32_e32 v4, v4, v3
	s_andn2_b64 exec, exec, s[8:9]
	s_cbranch_execnz .LBB509_11
; %bb.12:
	s_or_b64 exec, exec, s[8:9]
.LBB509_13:
	s_or_b64 exec, exec, s[2:3]
	v_mbcnt_lo_u32_b32 v1, -1, 0
	v_mbcnt_hi_u32_b32 v8, -1, v1
	v_and_b32_e32 v9, 63, v8
	v_cmp_gt_u32_e32 vcc, 32, v9
	v_cndmask_b32_e64 v1, 0, 1, vcc
	v_lshlrev_b32_e32 v1, 5, v1
	v_add_lshl_u32 v1, v1, v8, 2
	ds_bpermute_b32 v2, v1, v4
	v_cmp_gt_u32_e32 vcc, 48, v9
	v_cndmask_b32_e64 v3, 0, 1, vcc
	v_lshlrev_b32_e32 v3, 4, v3
	s_waitcnt lgkmcnt(0)
	v_cmp_lt_f32_e32 vcc, v4, v2
	v_cndmask_b32_e32 v2, v4, v2, vcc
	v_add_lshl_u32 v4, v3, v8, 2
	ds_bpermute_b32 v3, v4, v2
	s_barrier
	s_waitcnt lgkmcnt(0)
	v_cmp_lt_f32_e32 vcc, v2, v3
	v_cndmask_b32_e32 v2, v2, v3, vcc
	v_cmp_gt_u32_e32 vcc, 56, v9
	v_cndmask_b32_e64 v3, 0, 1, vcc
	v_lshlrev_b32_e32 v3, 3, v3
	v_add_lshl_u32 v5, v3, v8, 2
	ds_bpermute_b32 v3, v5, v2
	s_waitcnt lgkmcnt(0)
	v_cmp_lt_f32_e32 vcc, v2, v3
	v_cndmask_b32_e32 v2, v2, v3, vcc
	v_cmp_gt_u32_e32 vcc, 60, v9
	v_cndmask_b32_e64 v3, 0, 1, vcc
	v_lshlrev_b32_e32 v3, 2, v3
	v_add_lshl_u32 v6, v3, v8, 2
	ds_bpermute_b32 v3, v6, v2
	;; [unrolled: 8-line block ×3, first 2 shown]
	v_and_b32_e32 v3, 63, v0
	v_cmp_eq_u32_e64 s[0:1], 0, v3
	s_waitcnt lgkmcnt(0)
	v_cmp_lt_f32_e32 vcc, v2, v10
	v_cndmask_b32_e32 v2, v2, v10, vcc
	v_cmp_ne_u32_e32 vcc, 63, v9
	v_addc_co_u32_e32 v8, vcc, 0, v8, vcc
	v_lshlrev_b32_e32 v9, 2, v8
	ds_bpermute_b32 v8, v9, v2
	v_lshrrev_b32_e32 v10, 4, v0
	s_and_saveexec_b64 s[2:3], s[0:1]
	s_cbranch_execz .LBB509_15
; %bb.14:
	s_waitcnt lgkmcnt(0)
	v_cmp_lt_f32_e32 vcc, v2, v8
	v_add_u32_e32 v11, 0, v10
	v_cndmask_b32_e32 v2, v2, v8, vcc
	ds_write_b32 v11, v2
.LBB509_15:
	s_or_b64 exec, exec, s[2:3]
	s_waitcnt lgkmcnt(0)
	s_barrier
	s_load_dword s7, s[4:5], 0x24
	s_add_u32 s20, s4, 24
	s_addc_u32 s21, s5, 0
	v_mov_b32_e32 v2, 0xff7fffff
	v_lshl_add_u32 v11, v3, 2, 0
	s_waitcnt lgkmcnt(0)
	s_bfe_u32 s2, s7, 0xa0006
	v_cmp_gt_u32_e64 s[2:3], s2, v0
	s_and_saveexec_b64 s[4:5], s[2:3]
	s_cbranch_execnz .LBB509_23
; %bb.16:
	s_or_b64 exec, exec, s[4:5]
	v_cmp_gt_u32_e64 s[4:5], 64, v0
	s_and_saveexec_b64 s[8:9], s[4:5]
	s_cbranch_execnz .LBB509_24
.LBB509_17:
	s_or_b64 exec, exec, s[8:9]
	v_cmp_eq_u32_e64 s[8:9], 0, v0
	s_and_saveexec_b64 s[22:23], s[8:9]
	s_cbranch_execz .LBB509_19
.LBB509_18:
	v_mov_b32_e32 v3, 0
	s_waitcnt lgkmcnt(0)
	ds_write_b32 v3, v2
.LBB509_19:
	s_or_b64 exec, exec, s[22:23]
	v_mov_b32_e32 v13, 0
	s_waitcnt lgkmcnt(0)
	s_barrier
	ds_read_b32 v8, v13
	s_and_b32 s22, s7, 0xffff
	s_andn2_b64 vcc, exec, s[18:19]
	s_mov_b32 s11, 0
	s_cbranch_vccnz .LBB509_26
; %bb.20:
	s_lshl_b64 s[18:19], s[10:11], 1
	s_sub_u32 s18, s14, s18
	s_subb_u32 s19, s15, s19
	s_add_i32 s7, s10, s24
	v_cmp_le_u32_e32 vcc, s10, v0
	v_cmp_gt_i32_e64 s[10:11], s7, v0
	s_and_b64 s[26:27], vcc, s[10:11]
	v_mov_b32_e32 v13, 0
	s_and_saveexec_b64 s[10:11], s[26:27]
	s_cbranch_execz .LBB509_22
; %bb.21:
	v_lshlrev_b32_e32 v2, 1, v0
	global_load_ushort v2, v2, s[18:19]
	s_waitcnt vmcnt(0)
	v_lshlrev_b32_e32 v2, 16, v2
	s_waitcnt lgkmcnt(0)
	v_sub_f32_e32 v2, v2, v8
	v_mul_f32_e32 v2, 0x3fb8aa3b, v2
	v_exp_f32_e32 v2, v2
	v_add_f32_e32 v13, 0, v2
.LBB509_22:
	s_or_b64 exec, exec, s[10:11]
	v_mov_b32_e32 v2, s22
	v_sub_u32_e64 v2, s7, v2 clamp
	s_lshl_b32 s7, s22, 1
	s_add_u32 s10, s18, s7
	v_readfirstlane_b32 s23, v2
	s_addc_u32 s11, s19, 0
	s_branch .LBB509_27
.LBB509_23:
	ds_read_b32 v2, v11
	s_or_b64 exec, exec, s[4:5]
	v_cmp_gt_u32_e64 s[4:5], 64, v0
	s_and_saveexec_b64 s[8:9], s[4:5]
	s_cbranch_execz .LBB509_17
.LBB509_24:
	s_waitcnt lgkmcnt(0)
	ds_bpermute_b32 v3, v1, v2
	s_waitcnt lgkmcnt(0)
	v_cmp_lt_f32_e32 vcc, v2, v3
	v_cndmask_b32_e32 v2, v2, v3, vcc
	ds_bpermute_b32 v3, v4, v2
	s_waitcnt lgkmcnt(0)
	v_cmp_lt_f32_e32 vcc, v2, v3
	v_cndmask_b32_e32 v2, v2, v3, vcc
	;; [unrolled: 4-line block ×6, first 2 shown]
	s_or_b64 exec, exec, s[8:9]
	v_cmp_eq_u32_e64 s[8:9], 0, v0
	s_and_saveexec_b64 s[22:23], s[8:9]
	s_cbranch_execnz .LBB509_18
	s_branch .LBB509_19
.LBB509_25:
                                        ; implicit-def: $sgpr0_sgpr1
                                        ; implicit-def: $sgpr7
                                        ; implicit-def: $vgpr4
                                        ; implicit-def: $sgpr2_sgpr3
	s_cbranch_execnz .LBB509_4
	s_branch .LBB509_5
.LBB509_26:
	s_mov_b64 s[10:11], s[14:15]
	s_mov_b32 s23, s24
.LBB509_27:
	s_load_dword s7, s[20:21], 0x0
	v_mov_b32_e32 v2, 0
	s_waitcnt lgkmcnt(0)
	s_cmp_lt_u32 s6, s7
	s_cselect_b32 s6, 12, 18
	s_add_u32 s6, s20, s6
	s_addc_u32 s7, s21, 0
	global_load_ushort v14, v2, s[6:7]
	s_waitcnt vmcnt(0)
	v_readfirstlane_b32 s6, v14
	s_lshl_b32 s6, s6, 3
	v_cvt_f32_u32_e32 v2, s6
	s_sub_i32 s7, 0, s6
	v_rcp_iflag_f32_e32 v2, v2
	v_mul_f32_e32 v2, 0x4f7ffffe, v2
	v_cvt_u32_f32_e32 v2, v2
	v_readfirstlane_b32 s18, v2
	s_mul_i32 s7, s7, s18
	s_mul_hi_u32 s7, s18, s7
	s_add_i32 s18, s18, s7
	s_mul_hi_u32 s7, s23, s18
	s_mul_i32 s7, s7, s6
	s_sub_i32 s7, s23, s7
	s_sub_i32 s18, s7, s6
	s_cmp_ge_u32 s7, s6
	s_cselect_b32 s7, s18, s7
	s_sub_i32 s18, s7, s6
	s_cmp_ge_u32 s7, s6
	s_cselect_b32 s6, s18, s7
	s_sub_i32 s20, s23, s6
	v_cmp_gt_i32_e32 vcc, s20, v12
	s_and_saveexec_b64 s[6:7], vcc
	s_cbranch_execz .LBB509_31
; %bb.28:
	s_mov_b64 s[18:19], 0
	v_mov_b32_e32 v12, s11
	v_mov_b32_e32 v2, v0
.LBB509_29:                             ; =>This Inner Loop Header: Depth=1
	v_ashrrev_i32_e32 v3, 31, v2
	v_lshlrev_b64 v[16:17], 4, v[2:3]
	v_add_co_u32_e32 v16, vcc, s10, v16
	v_addc_co_u32_e32 v17, vcc, v12, v17, vcc
	global_load_dwordx4 v[16:19], v[16:17], off
	v_add_u32_e32 v2, v2, v14
	v_lshlrev_b32_e32 v3, 3, v2
	v_cmp_le_i32_e32 vcc, s20, v3
	s_or_b64 s[18:19], vcc, s[18:19]
	s_waitcnt vmcnt(0)
	v_lshlrev_b32_e32 v3, 16, v16
	v_and_b32_e32 v15, 0xffff0000, v16
	v_sub_f32_e32 v3, v3, v8
	v_lshlrev_b32_e32 v16, 16, v17
	v_sub_f32_e32 v15, v15, v8
	v_mul_f32_e32 v3, 0x3fb8aa3b, v3
	v_and_b32_e32 v17, 0xffff0000, v17
	v_sub_f32_e32 v16, v16, v8
	v_mul_f32_e32 v15, 0x3fb8aa3b, v15
	v_exp_f32_e32 v3, v3
	v_lshlrev_b32_e32 v20, 16, v18
	v_sub_f32_e32 v17, v17, v8
	v_mul_f32_e32 v16, 0x3fb8aa3b, v16
	v_exp_f32_e32 v15, v15
	v_and_b32_e32 v18, 0xffff0000, v18
	v_sub_f32_e32 v20, v20, v8
	v_mul_f32_e32 v17, 0x3fb8aa3b, v17
	v_exp_f32_e32 v16, v16
	v_lshlrev_b32_e32 v21, 16, v19
	v_sub_f32_e32 v18, v18, v8
	v_mul_f32_e32 v20, 0x3fb8aa3b, v20
	v_exp_f32_e32 v17, v17
	v_and_b32_e32 v19, 0xffff0000, v19
	v_sub_f32_e32 v21, v21, v8
	v_mul_f32_e32 v18, 0x3fb8aa3b, v18
	v_exp_f32_e32 v20, v20
	v_add_f32_e32 v3, v13, v3
	v_sub_f32_e32 v19, v19, v8
	v_mul_f32_e32 v21, 0x3fb8aa3b, v21
	v_exp_f32_e32 v18, v18
	v_add_f32_e32 v3, v3, v15
	v_mul_f32_e32 v19, 0x3fb8aa3b, v19
	v_exp_f32_e32 v21, v21
	v_add_f32_e32 v3, v3, v16
	v_exp_f32_e32 v19, v19
	v_add_f32_e32 v3, v3, v17
	v_add_f32_e32 v3, v3, v20
	;; [unrolled: 1-line block ×5, first 2 shown]
	s_andn2_b64 exec, exec, s[18:19]
	s_cbranch_execnz .LBB509_29
; %bb.30:
	s_or_b64 exec, exec, s[18:19]
.LBB509_31:
	s_or_b64 exec, exec, s[6:7]
	v_add_u32_e32 v2, s20, v0
	v_cmp_gt_i32_e32 vcc, s23, v2
	s_and_saveexec_b64 s[6:7], vcc
	s_cbranch_execz .LBB509_35
; %bb.32:
	s_mov_b64 s[18:19], 0
	v_mov_b32_e32 v12, s11
.LBB509_33:                             ; =>This Inner Loop Header: Depth=1
	v_ashrrev_i32_e32 v3, 31, v2
	v_lshlrev_b64 v[16:17], 1, v[2:3]
	v_add_co_u32_e32 v16, vcc, s10, v16
	v_addc_co_u32_e32 v17, vcc, v12, v17, vcc
	global_load_ushort v3, v[16:17], off
	v_add_u32_e32 v2, v2, v14
	v_cmp_le_i32_e32 vcc, s23, v2
	s_or_b64 s[18:19], vcc, s[18:19]
	s_waitcnt vmcnt(0)
	v_lshlrev_b32_e32 v3, 16, v3
	v_sub_f32_e32 v3, v3, v8
	v_mul_f32_e32 v3, 0x3fb8aa3b, v3
	v_exp_f32_e32 v3, v3
	v_add_f32_e32 v13, v13, v3
	s_andn2_b64 exec, exec, s[18:19]
	s_cbranch_execnz .LBB509_33
; %bb.34:
	s_or_b64 exec, exec, s[18:19]
.LBB509_35:
	s_or_b64 exec, exec, s[6:7]
	ds_bpermute_b32 v2, v1, v13
	s_waitcnt lgkmcnt(0)
	s_barrier
	v_add_f32_e32 v2, v13, v2
	ds_bpermute_b32 v3, v4, v2
	s_waitcnt lgkmcnt(0)
	v_add_f32_e32 v2, v2, v3
	ds_bpermute_b32 v3, v5, v2
	s_waitcnt lgkmcnt(0)
	;; [unrolled: 3-line block ×4, first 2 shown]
	v_add_f32_e32 v2, v2, v3
	ds_bpermute_b32 v3, v9, v2
	s_and_saveexec_b64 s[6:7], s[0:1]
	s_cbranch_execz .LBB509_37
; %bb.36:
	v_add_u32_e32 v10, 0, v10
	s_waitcnt lgkmcnt(0)
	v_add_f32_e32 v2, v2, v3
	ds_write_b32 v10, v2
.LBB509_37:
	s_or_b64 exec, exec, s[6:7]
	v_mov_b32_e32 v2, 0
	s_waitcnt lgkmcnt(0)
	s_barrier
	s_and_saveexec_b64 s[0:1], s[2:3]
	s_cbranch_execnz .LBB509_45
; %bb.38:
	s_or_b64 exec, exec, s[0:1]
	s_and_saveexec_b64 s[0:1], s[4:5]
	s_cbranch_execnz .LBB509_46
.LBB509_39:
	s_or_b64 exec, exec, s[0:1]
	s_and_saveexec_b64 s[0:1], s[8:9]
	s_cbranch_execz .LBB509_41
.LBB509_40:
	s_waitcnt lgkmcnt(0)
	v_div_scale_f32 v1, s[2:3], v2, v2, 1.0
	v_rcp_f32_e32 v3, v1
	v_div_scale_f32 v4, vcc, 1.0, v2, 1.0
	v_fma_f32 v5, -v1, v3, 1.0
	v_fmac_f32_e32 v3, v5, v3
	v_mul_f32_e32 v5, v4, v3
	v_fma_f32 v6, -v1, v5, v4
	v_fmac_f32_e32 v5, v6, v3
	v_fma_f32 v1, -v1, v5, v4
	v_div_fmas_f32 v1, v1, v3, v5
	v_div_fixup_f32 v1, v1, v2, 1.0
	v_mov_b32_e32 v2, 0
	ds_write_b32 v2, v1
.LBB509_41:
	s_or_b64 exec, exec, s[0:1]
	v_cmp_gt_i32_e32 vcc, s24, v0
	s_waitcnt lgkmcnt(0)
	s_barrier
	s_and_saveexec_b64 s[0:1], vcc
	s_cbranch_execz .LBB509_44
; %bb.42:
	v_mov_b32_e32 v1, 0
	ds_read_b32 v2, v1
	s_lshl_b64 s[0:1], s[16:17], 2
	s_add_u32 s2, s12, s0
	s_addc_u32 s3, s13, s1
	s_mov_b64 s[0:1], 0
	v_mov_b32_e32 v3, s15
	v_mov_b32_e32 v4, s3
.LBB509_43:                             ; =>This Inner Loop Header: Depth=1
	v_ashrrev_i32_e32 v1, 31, v0
	v_lshlrev_b64 v[6:7], 1, v[0:1]
	v_add_co_u32_e32 v6, vcc, s14, v6
	v_addc_co_u32_e32 v7, vcc, v3, v7, vcc
	global_load_ushort v5, v[6:7], off
	v_lshlrev_b64 v[6:7], 2, v[0:1]
	v_add_co_u32_e32 v6, vcc, s2, v6
	v_add_u32_e32 v0, s22, v0
	v_addc_co_u32_e32 v7, vcc, v4, v7, vcc
	v_cmp_le_i32_e32 vcc, s24, v0
	s_or_b64 s[0:1], vcc, s[0:1]
	s_waitcnt vmcnt(0)
	v_lshlrev_b32_e32 v1, 16, v5
	v_sub_f32_e32 v1, v1, v8
	v_mul_f32_e32 v1, 0x3fb8aa3b, v1
	v_exp_f32_e32 v1, v1
	s_waitcnt lgkmcnt(0)
	v_mul_f32_e32 v1, v2, v1
	global_store_dword v[6:7], v1, off
	s_andn2_b64 exec, exec, s[0:1]
	s_cbranch_execnz .LBB509_43
.LBB509_44:
	s_endpgm
.LBB509_45:
	ds_read_b32 v2, v11
	s_or_b64 exec, exec, s[0:1]
	s_and_saveexec_b64 s[0:1], s[4:5]
	s_cbranch_execz .LBB509_39
.LBB509_46:
	s_waitcnt lgkmcnt(0)
	ds_bpermute_b32 v1, v1, v2
	s_waitcnt lgkmcnt(0)
	v_add_f32_e32 v1, v2, v1
	ds_bpermute_b32 v2, v4, v1
	s_waitcnt lgkmcnt(0)
	v_add_f32_e32 v1, v1, v2
	ds_bpermute_b32 v2, v5, v1
	s_waitcnt lgkmcnt(0)
	v_add_f32_e32 v1, v1, v2
	ds_bpermute_b32 v2, v6, v1
	s_waitcnt lgkmcnt(0)
	v_add_f32_e32 v1, v1, v2
	ds_bpermute_b32 v2, v7, v1
	s_waitcnt lgkmcnt(0)
	v_add_f32_e32 v1, v1, v2
	ds_bpermute_b32 v2, v9, v1
	s_waitcnt lgkmcnt(0)
	v_add_f32_e32 v2, v1, v2
	s_or_b64 exec, exec, s[0:1]
	s_and_saveexec_b64 s[0:1], s[8:9]
	s_cbranch_execnz .LBB509_40
	s_branch .LBB509_41
	.section	.rodata,"a",@progbits
	.p2align	6, 0x0
	.amdhsa_kernel _ZN2at6native12_GLOBAL__N_123cunn_SoftMaxForwardFastILi8EN3c108BFloat16EffNS1_29SoftMaxForwardWithMulEpilogueEEEvPT2_PKT0_i
		.amdhsa_group_segment_fixed_size 0
		.amdhsa_private_segment_fixed_size 0
		.amdhsa_kernarg_size 280
		.amdhsa_user_sgpr_count 6
		.amdhsa_user_sgpr_private_segment_buffer 1
		.amdhsa_user_sgpr_dispatch_ptr 0
		.amdhsa_user_sgpr_queue_ptr 0
		.amdhsa_user_sgpr_kernarg_segment_ptr 1
		.amdhsa_user_sgpr_dispatch_id 0
		.amdhsa_user_sgpr_flat_scratch_init 0
		.amdhsa_user_sgpr_kernarg_preload_length 0
		.amdhsa_user_sgpr_kernarg_preload_offset 0
		.amdhsa_user_sgpr_private_segment_size 0
		.amdhsa_uses_dynamic_stack 0
		.amdhsa_system_sgpr_private_segment_wavefront_offset 0
		.amdhsa_system_sgpr_workgroup_id_x 1
		.amdhsa_system_sgpr_workgroup_id_y 0
		.amdhsa_system_sgpr_workgroup_id_z 0
		.amdhsa_system_sgpr_workgroup_info 0
		.amdhsa_system_vgpr_workitem_id 0
		.amdhsa_next_free_vgpr 22
		.amdhsa_next_free_sgpr 28
		.amdhsa_accum_offset 24
		.amdhsa_reserve_vcc 1
		.amdhsa_reserve_flat_scratch 0
		.amdhsa_float_round_mode_32 0
		.amdhsa_float_round_mode_16_64 0
		.amdhsa_float_denorm_mode_32 3
		.amdhsa_float_denorm_mode_16_64 3
		.amdhsa_dx10_clamp 1
		.amdhsa_ieee_mode 1
		.amdhsa_fp16_overflow 0
		.amdhsa_tg_split 0
		.amdhsa_exception_fp_ieee_invalid_op 0
		.amdhsa_exception_fp_denorm_src 0
		.amdhsa_exception_fp_ieee_div_zero 0
		.amdhsa_exception_fp_ieee_overflow 0
		.amdhsa_exception_fp_ieee_underflow 0
		.amdhsa_exception_fp_ieee_inexact 0
		.amdhsa_exception_int_div_zero 0
	.end_amdhsa_kernel
	.section	.text._ZN2at6native12_GLOBAL__N_123cunn_SoftMaxForwardFastILi8EN3c108BFloat16EffNS1_29SoftMaxForwardWithMulEpilogueEEEvPT2_PKT0_i,"axG",@progbits,_ZN2at6native12_GLOBAL__N_123cunn_SoftMaxForwardFastILi8EN3c108BFloat16EffNS1_29SoftMaxForwardWithMulEpilogueEEEvPT2_PKT0_i,comdat
.Lfunc_end509:
	.size	_ZN2at6native12_GLOBAL__N_123cunn_SoftMaxForwardFastILi8EN3c108BFloat16EffNS1_29SoftMaxForwardWithMulEpilogueEEEvPT2_PKT0_i, .Lfunc_end509-_ZN2at6native12_GLOBAL__N_123cunn_SoftMaxForwardFastILi8EN3c108BFloat16EffNS1_29SoftMaxForwardWithMulEpilogueEEEvPT2_PKT0_i
                                        ; -- End function
	.section	.AMDGPU.csdata,"",@progbits
; Kernel info:
; codeLenInByte = 2548
; NumSgprs: 32
; NumVgprs: 22
; NumAgprs: 0
; TotalNumVgprs: 22
; ScratchSize: 0
; MemoryBound: 0
; FloatMode: 240
; IeeeMode: 1
; LDSByteSize: 0 bytes/workgroup (compile time only)
; SGPRBlocks: 3
; VGPRBlocks: 2
; NumSGPRsForWavesPerEU: 32
; NumVGPRsForWavesPerEU: 22
; AccumOffset: 24
; Occupancy: 8
; WaveLimiterHint : 0
; COMPUTE_PGM_RSRC2:SCRATCH_EN: 0
; COMPUTE_PGM_RSRC2:USER_SGPR: 6
; COMPUTE_PGM_RSRC2:TRAP_HANDLER: 0
; COMPUTE_PGM_RSRC2:TGID_X_EN: 1
; COMPUTE_PGM_RSRC2:TGID_Y_EN: 0
; COMPUTE_PGM_RSRC2:TGID_Z_EN: 0
; COMPUTE_PGM_RSRC2:TIDIG_COMP_CNT: 0
; COMPUTE_PGM_RSRC3_GFX90A:ACCUM_OFFSET: 5
; COMPUTE_PGM_RSRC3_GFX90A:TG_SPLIT: 0
	.section	.text._ZN2at6native12_GLOBAL__N_126cunn_SpatialSoftMaxForwardIdddiNS1_22SoftMaxForwardEpilogueEEEvPT1_PKT_T2_S9_S9_,"axG",@progbits,_ZN2at6native12_GLOBAL__N_126cunn_SpatialSoftMaxForwardIdddiNS1_22SoftMaxForwardEpilogueEEEvPT1_PKT_T2_S9_S9_,comdat
	.globl	_ZN2at6native12_GLOBAL__N_126cunn_SpatialSoftMaxForwardIdddiNS1_22SoftMaxForwardEpilogueEEEvPT1_PKT_T2_S9_S9_ ; -- Begin function _ZN2at6native12_GLOBAL__N_126cunn_SpatialSoftMaxForwardIdddiNS1_22SoftMaxForwardEpilogueEEEvPT1_PKT_T2_S9_S9_
	.p2align	8
	.type	_ZN2at6native12_GLOBAL__N_126cunn_SpatialSoftMaxForwardIdddiNS1_22SoftMaxForwardEpilogueEEEvPT1_PKT_T2_S9_S9_,@function
_ZN2at6native12_GLOBAL__N_126cunn_SpatialSoftMaxForwardIdddiNS1_22SoftMaxForwardEpilogueEEEvPT1_PKT_T2_S9_S9_: ; @_ZN2at6native12_GLOBAL__N_126cunn_SpatialSoftMaxForwardIdddiNS1_22SoftMaxForwardEpilogueEEEvPT1_PKT_T2_S9_S9_
; %bb.0:
	s_load_dwordx4 s[12:15], s[4:5], 0x10
	s_waitcnt lgkmcnt(0)
	s_cmp_ge_i32 s6, s12
	s_cbranch_scc1 .LBB510_40
; %bb.1:
	s_load_dword s0, s[4:5], 0x2c
	s_load_dwordx4 s[16:19], s[4:5], 0x0
	s_load_dwordx2 s[20:21], s[4:5], 0x20
	s_add_u32 s10, s4, 32
	s_addc_u32 s11, s5, 0
	v_and_b32_e32 v26, 0x3ff, v0
	s_waitcnt lgkmcnt(0)
	s_lshr_b32 s4, s0, 16
	s_mul_i32 s5, s7, s4
	s_mul_i32 s7, s21, s4
	;; [unrolled: 1-line block ×3, first 2 shown]
	v_bfe_u32 v24, v0, 10, 10
	v_add_u32_e32 v0, s4, v26
	v_add_u32_e32 v25, s5, v24
	v_mul_lo_u32 v0, s14, v0
	s_mul_i32 s15, s20, s14
	s_mov_b32 s22, -1
	s_mov_b32 s24, 0x652b82fe
	s_mov_b32 s26, 0xfefa39ef
	;; [unrolled: 1-line block ×6, first 2 shown]
	v_cmp_gt_i32_e64 s[0:1], s14, v25
	v_cmp_gt_i32_e64 s[2:3], s13, v26
	v_add3_u32 v27, v24, v0, s5
	s_mul_i32 s15, s15, s13
	s_mov_b32 s23, 0xffefffff
	s_mov_b32 s25, 0x3ff71547
	;; [unrolled: 1-line block ×7, first 2 shown]
	v_mov_b32_e32 v0, 0xfca7ab0c
	v_mov_b32_e32 v1, 0x3e928af3
	;; [unrolled: 1-line block ×19, first 2 shown]
	s_branch .LBB510_3
.LBB510_2:                              ;   in Loop: Header=BB510_3 Depth=1
	s_or_b64 exec, exec, s[38:39]
	s_add_i32 s6, s20, s6
	s_cmp_ge_i32 s6, s12
	v_add_u32_e32 v27, s15, v27
	s_cbranch_scc1 .LBB510_40
.LBB510_3:                              ; =>This Loop Header: Depth=1
                                        ;     Child Loop BB510_7 Depth 2
                                        ;       Child Loop BB510_12 Depth 3
                                        ;       Child Loop BB510_15 Depth 3
	;; [unrolled: 1-line block ×8, first 2 shown]
	s_and_saveexec_b64 s[38:39], s[0:1]
	s_cbranch_execz .LBB510_2
; %bb.4:                                ;   in Loop: Header=BB510_3 Depth=1
	s_load_dword s4, s[10:11], 0xc
	s_mov_b64 s[40:41], 0
	v_mov_b32_e32 v31, v27
	v_mov_b32_e32 v32, v25
	s_waitcnt lgkmcnt(0)
	s_and_b32 s21, s4, 0xffff
	v_mul_u32_u24_e32 v18, s21, v24
	s_cmp_lt_u32 s21, 2
	v_lshl_add_u32 v29, v18, 3, 0
	s_mul_i32 s33, s14, s21
	s_cselect_b64 s[42:43], -1, 0
	v_lshl_add_u32 v30, v26, 3, v29
	s_branch .LBB510_7
.LBB510_5:                              ;   in Loop: Header=BB510_7 Depth=2
	s_or_b64 exec, exec, s[44:45]
.LBB510_6:                              ;   in Loop: Header=BB510_7 Depth=2
	v_add_u32_e32 v32, s7, v32
	v_cmp_le_i32_e32 vcc, s14, v32
	s_or_b64 s[40:41], vcc, s[40:41]
	v_add_u32_e32 v31, s7, v31
	s_andn2_b64 exec, exec, s[40:41]
	s_cbranch_execz .LBB510_2
.LBB510_7:                              ;   Parent Loop BB510_3 Depth=1
                                        ; =>  This Loop Header: Depth=2
                                        ;       Child Loop BB510_12 Depth 3
                                        ;       Child Loop BB510_15 Depth 3
	;; [unrolled: 1-line block ×8, first 2 shown]
	s_mov_b64 s[4:5], -1
	s_and_b64 vcc, exec, s[42:43]
	s_cbranch_vccz .LBB510_20
; %bb.8:                                ;   in Loop: Header=BB510_7 Depth=2
	v_pk_mov_b32 v[18:19], s[22:23], s[22:23] op_sel:[0,1]
	s_and_saveexec_b64 s[4:5], s[2:3]
	s_cbranch_execnz .LBB510_11
; %bb.9:                                ;   in Loop: Header=BB510_7 Depth=2
	s_or_b64 exec, exec, s[4:5]
	v_pk_mov_b32 v[20:21], 0, 0
	s_and_saveexec_b64 s[44:45], s[2:3]
	s_cbranch_execnz .LBB510_14
.LBB510_10:                             ;   in Loop: Header=BB510_7 Depth=2
	s_or_b64 exec, exec, s[44:45]
	s_and_saveexec_b64 s[44:45], s[2:3]
	s_cbranch_execnz .LBB510_17
	s_branch .LBB510_19
.LBB510_11:                             ;   in Loop: Header=BB510_7 Depth=2
	s_mov_b64 s[8:9], 0
	v_pk_mov_b32 v[18:19], s[22:23], s[22:23] op_sel:[0,1]
	v_mov_b32_e32 v20, v31
	v_mov_b32_e32 v22, v26
.LBB510_12:                             ;   Parent Loop BB510_3 Depth=1
                                        ;     Parent Loop BB510_7 Depth=2
                                        ; =>    This Inner Loop Header: Depth=3
	v_ashrrev_i32_e32 v21, 31, v20
	v_lshlrev_b64 v[34:35], 3, v[20:21]
	v_mov_b32_e32 v23, s19
	v_add_co_u32_e32 v34, vcc, s18, v34
	v_addc_co_u32_e32 v35, vcc, v23, v35, vcc
	global_load_dwordx2 v[34:35], v[34:35], off
	v_add_u32_e32 v22, s21, v22
	v_cmp_le_i32_e32 vcc, s13, v22
	s_or_b64 s[8:9], vcc, s[8:9]
	v_add_u32_e32 v20, s33, v20
	s_waitcnt vmcnt(0)
	v_cmp_lt_f64_e32 vcc, v[18:19], v[34:35]
	v_cndmask_b32_e32 v19, v19, v35, vcc
	v_cndmask_b32_e32 v18, v18, v34, vcc
	s_andn2_b64 exec, exec, s[8:9]
	s_cbranch_execnz .LBB510_12
; %bb.13:                               ;   in Loop: Header=BB510_7 Depth=2
	s_or_b64 exec, exec, s[8:9]
	s_or_b64 exec, exec, s[4:5]
	v_pk_mov_b32 v[20:21], 0, 0
	s_and_saveexec_b64 s[44:45], s[2:3]
	s_cbranch_execz .LBB510_10
.LBB510_14:                             ;   in Loop: Header=BB510_7 Depth=2
	s_mov_b64 s[46:47], 0
	v_pk_mov_b32 v[20:21], 0, 0
	v_mov_b32_e32 v22, v31
	v_mov_b32_e32 v33, v26
.LBB510_15:                             ;   Parent Loop BB510_3 Depth=1
                                        ;     Parent Loop BB510_7 Depth=2
                                        ; =>    This Inner Loop Header: Depth=3
	v_ashrrev_i32_e32 v23, 31, v22
	v_lshlrev_b64 v[34:35], 3, v[22:23]
	v_mov_b32_e32 v23, s19
	v_add_co_u32_e32 v34, vcc, s18, v34
	v_addc_co_u32_e32 v35, vcc, v23, v35, vcc
	global_load_dwordx2 v[34:35], v[34:35], off
	v_pk_mov_b32 v[36:37], v[0:1], v[0:1] op_sel:[0,1]
	v_pk_mov_b32 v[38:39], v[2:3], v[2:3] op_sel:[0,1]
	;; [unrolled: 1-line block ×9, first 2 shown]
	v_add_u32_e32 v33, s21, v33
	v_cmp_le_i32_e32 vcc, s13, v33
	v_add_u32_e32 v22, s33, v22
	s_waitcnt vmcnt(0)
	v_add_f64 v[34:35], v[34:35], -v[18:19]
	v_mul_f64 v[54:55], v[34:35], s[24:25]
	v_rndne_f64_e32 v[54:55], v[54:55]
	v_fma_f64 v[56:57], s[26:27], v[54:55], v[34:35]
	v_fmac_f64_e32 v[56:57], s[28:29], v[54:55]
	v_fmac_f64_e32 v[36:37], s[30:31], v[56:57]
	;; [unrolled: 1-line block ×10, first 2 shown]
	v_fma_f64 v[36:37], v[56:57], v[52:53], 1.0
	v_cvt_i32_f64_e32 v23, v[54:55]
	v_fma_f64 v[36:37], v[56:57], v[36:37], 1.0
	v_ldexp_f64 v[36:37], v[36:37], v23
	v_cmp_nlt_f64_e64 s[4:5], s[34:35], v[34:35]
	v_cmp_ngt_f64_e64 s[8:9], s[36:37], v[34:35]
	v_cndmask_b32_e64 v23, v28, v37, s[4:5]
	s_and_b64 s[4:5], s[8:9], s[4:5]
	v_cndmask_b32_e64 v35, 0, v23, s[8:9]
	v_cndmask_b32_e64 v34, 0, v36, s[4:5]
	v_add_f64 v[20:21], v[20:21], v[34:35]
	s_or_b64 s[46:47], vcc, s[46:47]
	s_andn2_b64 exec, exec, s[46:47]
	s_cbranch_execnz .LBB510_15
; %bb.16:                               ;   in Loop: Header=BB510_7 Depth=2
	s_or_b64 exec, exec, s[46:47]
	s_or_b64 exec, exec, s[44:45]
	s_and_saveexec_b64 s[44:45], s[2:3]
	s_cbranch_execz .LBB510_19
.LBB510_17:                             ;   in Loop: Header=BB510_7 Depth=2
	s_mov_b64 s[46:47], 0
	v_mov_b32_e32 v22, v31
	v_mov_b32_e32 v33, v26
.LBB510_18:                             ;   Parent Loop BB510_3 Depth=1
                                        ;     Parent Loop BB510_7 Depth=2
                                        ; =>    This Inner Loop Header: Depth=3
	v_ashrrev_i32_e32 v23, 31, v22
	v_lshlrev_b64 v[34:35], 3, v[22:23]
	v_mov_b32_e32 v23, s19
	v_add_co_u32_e32 v36, vcc, s18, v34
	v_addc_co_u32_e32 v37, vcc, v23, v35, vcc
	global_load_dwordx2 v[36:37], v[36:37], off
	v_pk_mov_b32 v[38:39], v[0:1], v[0:1] op_sel:[0,1]
	v_pk_mov_b32 v[40:41], v[2:3], v[2:3] op_sel:[0,1]
	;; [unrolled: 1-line block ×9, first 2 shown]
	v_mov_b32_e32 v23, s17
	v_add_co_u32_e64 v34, s[4:5], s16, v34
	v_addc_co_u32_e64 v35, s[4:5], v23, v35, s[4:5]
	v_add_u32_e32 v33, s21, v33
	v_cmp_le_i32_e32 vcc, s13, v33
	v_add_u32_e32 v22, s33, v22
	s_waitcnt vmcnt(0)
	v_add_f64 v[36:37], v[36:37], -v[18:19]
	v_mul_f64 v[56:57], v[36:37], s[24:25]
	v_rndne_f64_e32 v[56:57], v[56:57]
	v_fma_f64 v[58:59], s[26:27], v[56:57], v[36:37]
	v_fmac_f64_e32 v[58:59], s[28:29], v[56:57]
	v_fmac_f64_e32 v[38:39], s[30:31], v[58:59]
	;; [unrolled: 1-line block ×10, first 2 shown]
	v_fma_f64 v[38:39], v[58:59], v[54:55], 1.0
	v_cvt_i32_f64_e32 v23, v[56:57]
	v_fma_f64 v[38:39], v[58:59], v[38:39], 1.0
	v_ldexp_f64 v[38:39], v[38:39], v23
	v_cmp_nlt_f64_e64 s[4:5], s[34:35], v[36:37]
	v_cmp_ngt_f64_e64 s[8:9], s[36:37], v[36:37]
	v_cndmask_b32_e64 v23, v28, v39, s[4:5]
	s_and_b64 s[4:5], s[8:9], s[4:5]
	v_cndmask_b32_e64 v37, 0, v23, s[8:9]
	v_cndmask_b32_e64 v36, 0, v38, s[4:5]
	v_div_scale_f64 v[38:39], s[4:5], v[20:21], v[20:21], v[36:37]
	v_rcp_f64_e32 v[40:41], v[38:39]
	v_div_scale_f64 v[42:43], s[4:5], v[36:37], v[20:21], v[36:37]
	s_or_b64 s[46:47], vcc, s[46:47]
	v_fma_f64 v[44:45], -v[38:39], v[40:41], 1.0
	v_fmac_f64_e32 v[40:41], v[40:41], v[44:45]
	v_fma_f64 v[44:45], -v[38:39], v[40:41], 1.0
	v_fmac_f64_e32 v[40:41], v[40:41], v[44:45]
	v_mul_f64 v[44:45], v[42:43], v[40:41]
	v_fma_f64 v[38:39], -v[38:39], v[44:45], v[42:43]
	s_mov_b64 vcc, s[4:5]
	v_div_fmas_f64 v[38:39], v[38:39], v[40:41], v[44:45]
	v_div_fixup_f64 v[36:37], v[38:39], v[20:21], v[36:37]
	global_store_dwordx2 v[34:35], v[36:37], off
	s_andn2_b64 exec, exec, s[46:47]
	s_cbranch_execnz .LBB510_18
.LBB510_19:                             ;   in Loop: Header=BB510_7 Depth=2
	s_or_b64 exec, exec, s[44:45]
	s_mov_b64 s[4:5], 0
.LBB510_20:                             ;   in Loop: Header=BB510_7 Depth=2
	s_and_b64 vcc, exec, s[4:5]
	s_cbranch_vccz .LBB510_6
; %bb.21:                               ;   in Loop: Header=BB510_7 Depth=2
	v_pk_mov_b32 v[18:19], s[22:23], s[22:23] op_sel:[0,1]
	s_and_saveexec_b64 s[4:5], s[2:3]
	s_cbranch_execz .LBB510_25
; %bb.22:                               ;   in Loop: Header=BB510_7 Depth=2
	s_mov_b64 s[8:9], 0
	v_pk_mov_b32 v[18:19], s[22:23], s[22:23] op_sel:[0,1]
	v_mov_b32_e32 v20, v31
	v_mov_b32_e32 v22, v26
.LBB510_23:                             ;   Parent Loop BB510_3 Depth=1
                                        ;     Parent Loop BB510_7 Depth=2
                                        ; =>    This Inner Loop Header: Depth=3
	v_ashrrev_i32_e32 v21, 31, v20
	v_lshlrev_b64 v[34:35], 3, v[20:21]
	v_mov_b32_e32 v23, s19
	v_add_co_u32_e32 v34, vcc, s18, v34
	v_addc_co_u32_e32 v35, vcc, v23, v35, vcc
	global_load_dwordx2 v[34:35], v[34:35], off
	v_add_u32_e32 v22, s21, v22
	v_cmp_le_i32_e32 vcc, s13, v22
	s_or_b64 s[8:9], vcc, s[8:9]
	v_add_u32_e32 v20, s33, v20
	s_waitcnt vmcnt(0)
	v_cmp_lt_f64_e32 vcc, v[18:19], v[34:35]
	v_cndmask_b32_e32 v19, v19, v35, vcc
	v_cndmask_b32_e32 v18, v18, v34, vcc
	s_andn2_b64 exec, exec, s[8:9]
	s_cbranch_execnz .LBB510_23
; %bb.24:                               ;   in Loop: Header=BB510_7 Depth=2
	s_or_b64 exec, exec, s[8:9]
.LBB510_25:                             ;   in Loop: Header=BB510_7 Depth=2
	s_or_b64 exec, exec, s[4:5]
	s_mov_b32 s8, s21
	s_barrier
	ds_write_b64 v30, v[18:19]
	s_branch .LBB510_27
.LBB510_26:                             ;   in Loop: Header=BB510_27 Depth=3
	s_or_b64 exec, exec, s[4:5]
	s_cmp_gt_u32 s8, 3
	s_mov_b32 s8, s9
	s_cbranch_scc0 .LBB510_29
.LBB510_27:                             ;   Parent Loop BB510_3 Depth=1
                                        ;     Parent Loop BB510_7 Depth=2
                                        ; =>    This Inner Loop Header: Depth=3
	s_lshr_b32 s9, s8, 1
	v_cmp_gt_u32_e32 vcc, s9, v26
	s_waitcnt lgkmcnt(0)
	s_barrier
	s_and_saveexec_b64 s[4:5], vcc
	s_cbranch_execz .LBB510_26
; %bb.28:                               ;   in Loop: Header=BB510_27 Depth=3
	v_lshl_add_u32 v20, s9, 3, v30
	ds_read_b64 v[18:19], v30
	ds_read_b64 v[20:21], v20
	s_waitcnt lgkmcnt(0)
	v_cmp_lt_f64_e32 vcc, v[18:19], v[20:21]
	v_cndmask_b32_e32 v19, v19, v21, vcc
	v_cndmask_b32_e32 v18, v18, v20, vcc
	ds_write_b64 v30, v[18:19]
	s_branch .LBB510_26
.LBB510_29:                             ;   in Loop: Header=BB510_7 Depth=2
	s_waitcnt lgkmcnt(0)
	s_barrier
	ds_read_b64 v[18:19], v29
	v_pk_mov_b32 v[20:21], 0, 0
	s_and_saveexec_b64 s[44:45], s[2:3]
	s_cbranch_execz .LBB510_33
; %bb.30:                               ;   in Loop: Header=BB510_7 Depth=2
	s_mov_b64 s[46:47], 0
	v_pk_mov_b32 v[20:21], 0, 0
	v_mov_b32_e32 v22, v31
	v_mov_b32_e32 v33, v26
.LBB510_31:                             ;   Parent Loop BB510_3 Depth=1
                                        ;     Parent Loop BB510_7 Depth=2
                                        ; =>    This Inner Loop Header: Depth=3
	v_ashrrev_i32_e32 v23, 31, v22
	v_lshlrev_b64 v[34:35], 3, v[22:23]
	v_mov_b32_e32 v23, s19
	v_add_co_u32_e32 v34, vcc, s18, v34
	v_addc_co_u32_e32 v35, vcc, v23, v35, vcc
	global_load_dwordx2 v[34:35], v[34:35], off
	v_pk_mov_b32 v[36:37], v[0:1], v[0:1] op_sel:[0,1]
	v_pk_mov_b32 v[38:39], v[2:3], v[2:3] op_sel:[0,1]
	;; [unrolled: 1-line block ×9, first 2 shown]
	v_add_u32_e32 v33, s21, v33
	v_cmp_le_i32_e32 vcc, s13, v33
	v_add_u32_e32 v22, s33, v22
	s_waitcnt vmcnt(0) lgkmcnt(0)
	v_add_f64 v[34:35], v[34:35], -v[18:19]
	v_mul_f64 v[54:55], v[34:35], s[24:25]
	v_rndne_f64_e32 v[54:55], v[54:55]
	v_fma_f64 v[56:57], s[26:27], v[54:55], v[34:35]
	v_fmac_f64_e32 v[56:57], s[28:29], v[54:55]
	v_fmac_f64_e32 v[36:37], s[30:31], v[56:57]
	;; [unrolled: 1-line block ×10, first 2 shown]
	v_fma_f64 v[36:37], v[56:57], v[52:53], 1.0
	v_cvt_i32_f64_e32 v23, v[54:55]
	v_fma_f64 v[36:37], v[56:57], v[36:37], 1.0
	v_ldexp_f64 v[36:37], v[36:37], v23
	v_cmp_nlt_f64_e64 s[4:5], s[34:35], v[34:35]
	v_cmp_ngt_f64_e64 s[8:9], s[36:37], v[34:35]
	v_cndmask_b32_e64 v23, v28, v37, s[4:5]
	s_and_b64 s[4:5], s[8:9], s[4:5]
	v_cndmask_b32_e64 v35, 0, v23, s[8:9]
	v_cndmask_b32_e64 v34, 0, v36, s[4:5]
	v_add_f64 v[20:21], v[20:21], v[34:35]
	s_or_b64 s[46:47], vcc, s[46:47]
	s_andn2_b64 exec, exec, s[46:47]
	s_cbranch_execnz .LBB510_31
; %bb.32:                               ;   in Loop: Header=BB510_7 Depth=2
	s_or_b64 exec, exec, s[46:47]
.LBB510_33:                             ;   in Loop: Header=BB510_7 Depth=2
	s_or_b64 exec, exec, s[44:45]
	s_mov_b32 s8, s21
	s_waitcnt lgkmcnt(0)
	s_barrier
	ds_write_b64 v30, v[20:21]
	s_branch .LBB510_35
.LBB510_34:                             ;   in Loop: Header=BB510_35 Depth=3
	s_or_b64 exec, exec, s[4:5]
	s_cmp_gt_u32 s8, 3
	s_mov_b32 s8, s9
	s_cbranch_scc0 .LBB510_37
.LBB510_35:                             ;   Parent Loop BB510_3 Depth=1
                                        ;     Parent Loop BB510_7 Depth=2
                                        ; =>    This Inner Loop Header: Depth=3
	s_lshr_b32 s9, s8, 1
	v_cmp_gt_u32_e32 vcc, s9, v26
	s_waitcnt lgkmcnt(0)
	s_barrier
	s_and_saveexec_b64 s[4:5], vcc
	s_cbranch_execz .LBB510_34
; %bb.36:                               ;   in Loop: Header=BB510_35 Depth=3
	v_lshl_add_u32 v22, s9, 3, v30
	ds_read_b64 v[20:21], v30
	ds_read_b64 v[22:23], v22
	s_waitcnt lgkmcnt(0)
	v_add_f64 v[20:21], v[20:21], v[22:23]
	ds_write_b64 v30, v[20:21]
	s_branch .LBB510_34
.LBB510_37:                             ;   in Loop: Header=BB510_7 Depth=2
	s_waitcnt lgkmcnt(0)
	s_barrier
	s_and_saveexec_b64 s[44:45], s[2:3]
	s_cbranch_execz .LBB510_5
; %bb.38:                               ;   in Loop: Header=BB510_7 Depth=2
	ds_read_b64 v[20:21], v29
	s_mov_b64 s[46:47], 0
	v_mov_b32_e32 v22, v31
	v_mov_b32_e32 v33, v26
.LBB510_39:                             ;   Parent Loop BB510_3 Depth=1
                                        ;     Parent Loop BB510_7 Depth=2
                                        ; =>    This Inner Loop Header: Depth=3
	v_ashrrev_i32_e32 v23, 31, v22
	v_lshlrev_b64 v[34:35], 3, v[22:23]
	v_mov_b32_e32 v23, s19
	v_add_co_u32_e32 v36, vcc, s18, v34
	v_addc_co_u32_e32 v37, vcc, v23, v35, vcc
	global_load_dwordx2 v[36:37], v[36:37], off
	v_pk_mov_b32 v[38:39], v[0:1], v[0:1] op_sel:[0,1]
	v_pk_mov_b32 v[40:41], v[2:3], v[2:3] op_sel:[0,1]
	;; [unrolled: 1-line block ×9, first 2 shown]
	v_mov_b32_e32 v23, s17
	v_add_co_u32_e64 v34, s[4:5], s16, v34
	v_addc_co_u32_e64 v35, s[4:5], v23, v35, s[4:5]
	v_add_u32_e32 v33, s21, v33
	v_cmp_le_i32_e32 vcc, s13, v33
	v_add_u32_e32 v22, s33, v22
	s_waitcnt vmcnt(0)
	v_add_f64 v[36:37], v[36:37], -v[18:19]
	v_mul_f64 v[56:57], v[36:37], s[24:25]
	v_rndne_f64_e32 v[56:57], v[56:57]
	v_fma_f64 v[58:59], s[26:27], v[56:57], v[36:37]
	v_fmac_f64_e32 v[58:59], s[28:29], v[56:57]
	v_fmac_f64_e32 v[38:39], s[30:31], v[58:59]
	v_fmac_f64_e32 v[40:41], v[58:59], v[38:39]
	v_fmac_f64_e32 v[42:43], v[58:59], v[40:41]
	v_fmac_f64_e32 v[44:45], v[58:59], v[42:43]
	v_fmac_f64_e32 v[46:47], v[58:59], v[44:45]
	v_fmac_f64_e32 v[48:49], v[58:59], v[46:47]
	v_fmac_f64_e32 v[50:51], v[58:59], v[48:49]
	v_fmac_f64_e32 v[52:53], v[58:59], v[50:51]
	v_fmac_f64_e32 v[54:55], v[58:59], v[52:53]
	v_fma_f64 v[38:39], v[58:59], v[54:55], 1.0
	v_cvt_i32_f64_e32 v23, v[56:57]
	v_fma_f64 v[38:39], v[58:59], v[38:39], 1.0
	v_ldexp_f64 v[38:39], v[38:39], v23
	v_cmp_nlt_f64_e64 s[4:5], s[34:35], v[36:37]
	v_cmp_ngt_f64_e64 s[8:9], s[36:37], v[36:37]
	v_cndmask_b32_e64 v23, v28, v39, s[4:5]
	s_and_b64 s[4:5], s[8:9], s[4:5]
	v_cndmask_b32_e64 v37, 0, v23, s[8:9]
	v_cndmask_b32_e64 v36, 0, v38, s[4:5]
	s_waitcnt lgkmcnt(0)
	v_div_scale_f64 v[38:39], s[4:5], v[20:21], v[20:21], v[36:37]
	v_rcp_f64_e32 v[40:41], v[38:39]
	v_div_scale_f64 v[42:43], s[4:5], v[36:37], v[20:21], v[36:37]
	s_or_b64 s[46:47], vcc, s[46:47]
	v_fma_f64 v[44:45], -v[38:39], v[40:41], 1.0
	v_fmac_f64_e32 v[40:41], v[40:41], v[44:45]
	v_fma_f64 v[44:45], -v[38:39], v[40:41], 1.0
	v_fmac_f64_e32 v[40:41], v[40:41], v[44:45]
	v_mul_f64 v[44:45], v[42:43], v[40:41]
	v_fma_f64 v[38:39], -v[38:39], v[44:45], v[42:43]
	s_mov_b64 vcc, s[4:5]
	v_div_fmas_f64 v[38:39], v[38:39], v[40:41], v[44:45]
	v_div_fixup_f64 v[36:37], v[38:39], v[20:21], v[36:37]
	global_store_dwordx2 v[34:35], v[36:37], off
	s_andn2_b64 exec, exec, s[46:47]
	s_cbranch_execnz .LBB510_39
	s_branch .LBB510_5
.LBB510_40:
	s_endpgm
	.section	.rodata,"a",@progbits
	.p2align	6, 0x0
	.amdhsa_kernel _ZN2at6native12_GLOBAL__N_126cunn_SpatialSoftMaxForwardIdddiNS1_22SoftMaxForwardEpilogueEEEvPT1_PKT_T2_S9_S9_
		.amdhsa_group_segment_fixed_size 0
		.amdhsa_private_segment_fixed_size 0
		.amdhsa_kernarg_size 288
		.amdhsa_user_sgpr_count 6
		.amdhsa_user_sgpr_private_segment_buffer 1
		.amdhsa_user_sgpr_dispatch_ptr 0
		.amdhsa_user_sgpr_queue_ptr 0
		.amdhsa_user_sgpr_kernarg_segment_ptr 1
		.amdhsa_user_sgpr_dispatch_id 0
		.amdhsa_user_sgpr_flat_scratch_init 0
		.amdhsa_user_sgpr_kernarg_preload_length 0
		.amdhsa_user_sgpr_kernarg_preload_offset 0
		.amdhsa_user_sgpr_private_segment_size 0
		.amdhsa_uses_dynamic_stack 0
		.amdhsa_system_sgpr_private_segment_wavefront_offset 0
		.amdhsa_system_sgpr_workgroup_id_x 1
		.amdhsa_system_sgpr_workgroup_id_y 1
		.amdhsa_system_sgpr_workgroup_id_z 0
		.amdhsa_system_sgpr_workgroup_info 0
		.amdhsa_system_vgpr_workitem_id 1
		.amdhsa_next_free_vgpr 60
		.amdhsa_next_free_sgpr 48
		.amdhsa_accum_offset 60
		.amdhsa_reserve_vcc 1
		.amdhsa_reserve_flat_scratch 0
		.amdhsa_float_round_mode_32 0
		.amdhsa_float_round_mode_16_64 0
		.amdhsa_float_denorm_mode_32 3
		.amdhsa_float_denorm_mode_16_64 3
		.amdhsa_dx10_clamp 1
		.amdhsa_ieee_mode 1
		.amdhsa_fp16_overflow 0
		.amdhsa_tg_split 0
		.amdhsa_exception_fp_ieee_invalid_op 0
		.amdhsa_exception_fp_denorm_src 0
		.amdhsa_exception_fp_ieee_div_zero 0
		.amdhsa_exception_fp_ieee_overflow 0
		.amdhsa_exception_fp_ieee_underflow 0
		.amdhsa_exception_fp_ieee_inexact 0
		.amdhsa_exception_int_div_zero 0
	.end_amdhsa_kernel
	.section	.text._ZN2at6native12_GLOBAL__N_126cunn_SpatialSoftMaxForwardIdddiNS1_22SoftMaxForwardEpilogueEEEvPT1_PKT_T2_S9_S9_,"axG",@progbits,_ZN2at6native12_GLOBAL__N_126cunn_SpatialSoftMaxForwardIdddiNS1_22SoftMaxForwardEpilogueEEEvPT1_PKT_T2_S9_S9_,comdat
.Lfunc_end510:
	.size	_ZN2at6native12_GLOBAL__N_126cunn_SpatialSoftMaxForwardIdddiNS1_22SoftMaxForwardEpilogueEEEvPT1_PKT_T2_S9_S9_, .Lfunc_end510-_ZN2at6native12_GLOBAL__N_126cunn_SpatialSoftMaxForwardIdddiNS1_22SoftMaxForwardEpilogueEEEvPT1_PKT_T2_S9_S9_
                                        ; -- End function
	.section	.AMDGPU.csdata,"",@progbits
; Kernel info:
; codeLenInByte = 2524
; NumSgprs: 52
; NumVgprs: 60
; NumAgprs: 0
; TotalNumVgprs: 60
; ScratchSize: 0
; MemoryBound: 0
; FloatMode: 240
; IeeeMode: 1
; LDSByteSize: 0 bytes/workgroup (compile time only)
; SGPRBlocks: 6
; VGPRBlocks: 7
; NumSGPRsForWavesPerEU: 52
; NumVGPRsForWavesPerEU: 60
; AccumOffset: 60
; Occupancy: 8
; WaveLimiterHint : 0
; COMPUTE_PGM_RSRC2:SCRATCH_EN: 0
; COMPUTE_PGM_RSRC2:USER_SGPR: 6
; COMPUTE_PGM_RSRC2:TRAP_HANDLER: 0
; COMPUTE_PGM_RSRC2:TGID_X_EN: 1
; COMPUTE_PGM_RSRC2:TGID_Y_EN: 1
; COMPUTE_PGM_RSRC2:TGID_Z_EN: 0
; COMPUTE_PGM_RSRC2:TIDIG_COMP_CNT: 1
; COMPUTE_PGM_RSRC3_GFX90A:ACCUM_OFFSET: 14
; COMPUTE_PGM_RSRC3_GFX90A:TG_SPLIT: 0
	.section	.text._ZN2at6native12_GLOBAL__N_126cunn_SpatialSoftMaxForwardIdddlNS1_22SoftMaxForwardEpilogueEEEvPT1_PKT_T2_S9_S9_,"axG",@progbits,_ZN2at6native12_GLOBAL__N_126cunn_SpatialSoftMaxForwardIdddlNS1_22SoftMaxForwardEpilogueEEEvPT1_PKT_T2_S9_S9_,comdat
	.globl	_ZN2at6native12_GLOBAL__N_126cunn_SpatialSoftMaxForwardIdddlNS1_22SoftMaxForwardEpilogueEEEvPT1_PKT_T2_S9_S9_ ; -- Begin function _ZN2at6native12_GLOBAL__N_126cunn_SpatialSoftMaxForwardIdddlNS1_22SoftMaxForwardEpilogueEEEvPT1_PKT_T2_S9_S9_
	.p2align	8
	.type	_ZN2at6native12_GLOBAL__N_126cunn_SpatialSoftMaxForwardIdddlNS1_22SoftMaxForwardEpilogueEEEvPT1_PKT_T2_S9_S9_,@function
_ZN2at6native12_GLOBAL__N_126cunn_SpatialSoftMaxForwardIdddlNS1_22SoftMaxForwardEpilogueEEEvPT1_PKT_T2_S9_S9_: ; @_ZN2at6native12_GLOBAL__N_126cunn_SpatialSoftMaxForwardIdddlNS1_22SoftMaxForwardEpilogueEEEvPT1_PKT_T2_S9_S9_
; %bb.0:
	s_load_dwordx8 s[8:15], s[4:5], 0x0
	s_mov_b32 s0, s7
	s_mov_b32 s7, 0
	s_waitcnt lgkmcnt(0)
	v_pk_mov_b32 v[2:3], s[12:13], s[12:13] op_sel:[0,1]
	v_cmp_ge_i64_e32 vcc, s[6:7], v[2:3]
	s_cbranch_vccnz .LBB511_40
; %bb.1:
	s_load_dword s1, s[4:5], 0x34
	s_load_dwordx4 s[16:19], s[4:5], 0x20
	s_add_u32 s20, s4, 40
	v_bfe_u32 v44, v0, 10, 10
	s_addc_u32 s21, s5, 0
	s_waitcnt lgkmcnt(0)
	s_lshr_b32 s4, s1, 16
	v_and_b32_e32 v0, 0x3ff, v0
	s_mul_i32 s0, s0, s4
	s_mul_i32 s22, s19, s4
	v_mad_u64_u32 v[4:5], s[4:5], s16, v0, 0
	v_mov_b32_e32 v6, v5
	v_mad_u64_u32 v[6:7], s[4:5], s17, v0, v[6:7]
	s_mul_i32 s4, s16, s15
	s_mul_hi_u32 s5, s16, s14
	s_add_i32 s4, s5, s4
	s_mul_i32 s5, s17, s14
	v_add_u32_e32 v2, s0, v44
	v_mov_b32_e32 v3, 0
	s_add_i32 s19, s4, s5
	s_mul_i32 s24, s16, s14
	v_mov_b32_e32 v8, s6
	v_mov_b32_e32 v5, v6
	s_mul_i32 s25, s19, s6
	v_mad_u64_u32 v[6:7], s[4:5], s24, v8, v[2:3]
	v_add_u32_e32 v7, s25, v7
	v_lshlrev_b64 v[4:5], 3, v[4:5]
	v_lshlrev_b64 v[6:7], 3, v[6:7]
	v_add_co_u32_e32 v4, vcc, v4, v6
	v_addc_co_u32_e32 v5, vcc, v5, v7, vcc
	s_mul_i32 s19, s19, s18
	s_mul_hi_u32 s4, s24, s18
	v_mov_b32_e32 v1, v3
	v_mov_b32_e32 v6, s11
	v_add_co_u32_e32 v4, vcc, s10, v4
	s_add_i32 s5, s4, s19
	s_mul_i32 s4, s24, s18
	v_addc_co_u32_e32 v5, vcc, v6, v5, vcc
	s_lshl_b64 s[24:25], s[4:5], 3
	s_mul_i32 s19, s15, s6
	v_mad_u64_u32 v[6:7], s[4:5], s14, v8, v[0:1]
	v_add_u32_e32 v7, s19, v7
	v_mul_lo_u32 v7, s16, v7
	v_mad_u64_u32 v[8:9], s[4:5], s16, v6, v[2:3]
	v_mul_lo_u32 v6, s17, v6
	v_add3_u32 v9, v6, v9, v7
	v_lshlrev_b64 v[8:9], 3, v[8:9]
	v_mov_b32_e32 v7, s11
	v_add_co_u32_e32 v6, vcc, s10, v8
	v_addc_co_u32_e32 v7, vcc, v7, v9, vcc
	s_mov_b32 s23, s7
	v_mov_b32_e32 v10, s9
	v_add_co_u32_e32 v8, vcc, s8, v8
	s_mov_b32 s8, -1
	s_mov_b32 s10, 0x652b82fe
	s_mov_b32 s30, 0xfefa39ef
	;; [unrolled: 1-line block ×6, first 2 shown]
	v_cmp_gt_i64_e64 s[0:1], s[16:17], v[2:3]
	v_cmp_gt_i64_e64 s[2:3], s[14:15], v[0:1]
	s_lshl_b64 s[26:27], s[22:23], 3
	s_lshl_b64 s[28:29], s[16:17], 3
	v_addc_co_u32_e32 v9, vcc, v10, v9, vcc
	s_mov_b32 s9, 0xffefffff
	s_mov_b32 s11, 0x3ff71547
	;; [unrolled: 1-line block ×7, first 2 shown]
	v_mov_b32_e32 v10, 0xfca7ab0c
	v_mov_b32_e32 v11, 0x3e928af3
	;; [unrolled: 1-line block ×19, first 2 shown]
	s_mov_b64 s[42:43], s[6:7]
	s_branch .LBB511_3
.LBB511_2:                              ;   in Loop: Header=BB511_3 Depth=1
	s_or_b64 exec, exec, s[44:45]
	v_mov_b32_e32 v28, s25
	v_add_co_u32_e32 v4, vcc, s24, v4
	v_addc_co_u32_e32 v5, vcc, v5, v28, vcc
	v_add_co_u32_e32 v6, vcc, s24, v6
	v_addc_co_u32_e32 v7, vcc, v7, v28, vcc
	s_add_u32 s42, s42, s18
	v_add_co_u32_e32 v8, vcc, s24, v8
	s_addc_u32 s43, s43, 0
	v_addc_co_u32_e32 v9, vcc, v9, v28, vcc
	v_pk_mov_b32 v[28:29], s[12:13], s[12:13] op_sel:[0,1]
	v_cmp_ge_i64_e32 vcc, s[42:43], v[28:29]
	s_cbranch_vccnz .LBB511_40
.LBB511_3:                              ; =>This Loop Header: Depth=1
                                        ;     Child Loop BB511_7 Depth 2
                                        ;       Child Loop BB511_12 Depth 3
                                        ;       Child Loop BB511_15 Depth 3
	;; [unrolled: 1-line block ×8, first 2 shown]
	s_and_saveexec_b64 s[44:45], s[0:1]
	s_cbranch_execz .LBB511_2
; %bb.4:                                ;   in Loop: Header=BB511_3 Depth=1
	s_load_dword s4, s[20:21], 0xc
	s_mov_b64 s[48:49], 0
	v_mov_b32_e32 v48, s7
	v_pk_mov_b32 v[30:31], v[6:7], v[6:7] op_sel:[0,1]
	v_pk_mov_b32 v[32:33], v[4:5], v[4:5] op_sel:[0,1]
	s_waitcnt lgkmcnt(0)
	s_and_b32 s6, s4, 0xffff
	v_cmp_lt_u16_e64 s[46:47], s4, 2
	v_mul_u32_u24_e32 v28, s6, v44
	s_mul_i32 s4, s29, s6
	s_mul_hi_u32 s5, s28, s6
	v_lshl_add_u32 v46, v28, 3, 0
	s_add_i32 s19, s5, s4
	v_lshl_add_u32 v47, v0, 3, v46
	s_mul_i32 s33, s28, s6
	v_mov_b32_e32 v49, s19
	v_pk_mov_b32 v[28:29], v[8:9], v[8:9] op_sel:[0,1]
	v_pk_mov_b32 v[34:35], v[2:3], v[2:3] op_sel:[0,1]
	s_branch .LBB511_7
.LBB511_5:                              ;   in Loop: Header=BB511_7 Depth=2
	s_or_b64 exec, exec, s[50:51]
.LBB511_6:                              ;   in Loop: Header=BB511_7 Depth=2
	v_mov_b32_e32 v36, s23
	v_add_co_u32_e32 v34, vcc, s22, v34
	v_addc_co_u32_e32 v35, vcc, v35, v36, vcc
	v_mov_b32_e32 v36, s27
	v_add_co_u32_e32 v32, vcc, s26, v32
	v_addc_co_u32_e32 v33, vcc, v33, v36, vcc
	v_add_co_u32_e32 v30, vcc, s26, v30
	v_addc_co_u32_e32 v31, vcc, v31, v36, vcc
	v_cmp_le_i64_e32 vcc, s[16:17], v[34:35]
	s_or_b64 s[48:49], vcc, s[48:49]
	v_add_co_u32_e32 v28, vcc, s26, v28
	v_addc_co_u32_e32 v29, vcc, v29, v36, vcc
	s_andn2_b64 exec, exec, s[48:49]
	s_cbranch_execz .LBB511_2
.LBB511_7:                              ;   Parent Loop BB511_3 Depth=1
                                        ; =>  This Loop Header: Depth=2
                                        ;       Child Loop BB511_12 Depth 3
                                        ;       Child Loop BB511_15 Depth 3
	;; [unrolled: 1-line block ×8, first 2 shown]
	s_mov_b64 s[4:5], -1
	s_and_b64 vcc, exec, s[46:47]
	s_cbranch_vccz .LBB511_20
; %bb.8:                                ;   in Loop: Header=BB511_7 Depth=2
	v_pk_mov_b32 v[36:37], s[8:9], s[8:9] op_sel:[0,1]
	s_and_saveexec_b64 s[4:5], s[2:3]
	s_cbranch_execnz .LBB511_11
; %bb.9:                                ;   in Loop: Header=BB511_7 Depth=2
	s_or_b64 exec, exec, s[4:5]
	v_pk_mov_b32 v[38:39], 0, 0
	s_and_saveexec_b64 s[50:51], s[2:3]
	s_cbranch_execnz .LBB511_14
.LBB511_10:                             ;   in Loop: Header=BB511_7 Depth=2
	s_or_b64 exec, exec, s[50:51]
	s_and_saveexec_b64 s[50:51], s[2:3]
	s_cbranch_execnz .LBB511_17
	s_branch .LBB511_19
.LBB511_11:                             ;   in Loop: Header=BB511_7 Depth=2
	s_mov_b64 s[50:51], 0
	v_pk_mov_b32 v[36:37], s[8:9], s[8:9] op_sel:[0,1]
	v_pk_mov_b32 v[38:39], v[32:33], v[32:33] op_sel:[0,1]
	;; [unrolled: 1-line block ×3, first 2 shown]
.LBB511_12:                             ;   Parent Loop BB511_3 Depth=1
                                        ;     Parent Loop BB511_7 Depth=2
                                        ; =>    This Inner Loop Header: Depth=3
	global_load_dwordx2 v[42:43], v[38:39], off
	v_add_co_u32_e32 v40, vcc, s6, v40
	v_addc_co_u32_e32 v41, vcc, v41, v48, vcc
	v_add_co_u32_e32 v38, vcc, s33, v38
	v_addc_co_u32_e32 v39, vcc, v39, v49, vcc
	v_cmp_le_i64_e32 vcc, s[14:15], v[40:41]
	s_or_b64 s[50:51], vcc, s[50:51]
	s_waitcnt vmcnt(0)
	v_cmp_lt_f64_e32 vcc, v[36:37], v[42:43]
	v_cndmask_b32_e32 v37, v37, v43, vcc
	v_cndmask_b32_e32 v36, v36, v42, vcc
	s_andn2_b64 exec, exec, s[50:51]
	s_cbranch_execnz .LBB511_12
; %bb.13:                               ;   in Loop: Header=BB511_7 Depth=2
	s_or_b64 exec, exec, s[50:51]
	s_or_b64 exec, exec, s[4:5]
	v_pk_mov_b32 v[38:39], 0, 0
	s_and_saveexec_b64 s[50:51], s[2:3]
	s_cbranch_execz .LBB511_10
.LBB511_14:                             ;   in Loop: Header=BB511_7 Depth=2
	s_mov_b64 s[52:53], 0
	v_pk_mov_b32 v[38:39], 0, 0
	v_pk_mov_b32 v[40:41], v[32:33], v[32:33] op_sel:[0,1]
	v_pk_mov_b32 v[42:43], v[0:1], v[0:1] op_sel:[0,1]
.LBB511_15:                             ;   Parent Loop BB511_3 Depth=1
                                        ;     Parent Loop BB511_7 Depth=2
                                        ; =>    This Inner Loop Header: Depth=3
	global_load_dwordx2 v[50:51], v[40:41], off
	v_pk_mov_b32 v[56:57], v[10:11], v[10:11] op_sel:[0,1]
	v_pk_mov_b32 v[58:59], v[12:13], v[12:13] op_sel:[0,1]
	s_waitcnt vmcnt(0)
	v_add_f64 v[50:51], v[50:51], -v[36:37]
	v_mul_f64 v[52:53], v[50:51], s[10:11]
	v_rndne_f64_e32 v[52:53], v[52:53]
	v_fma_f64 v[54:55], s[30:31], v[52:53], v[50:51]
	v_fmac_f64_e32 v[54:55], s[34:35], v[52:53]
	v_fmac_f64_e32 v[56:57], s[36:37], v[54:55]
	;; [unrolled: 1-line block ×3, first 2 shown]
	v_pk_mov_b32 v[56:57], v[14:15], v[14:15] op_sel:[0,1]
	v_fmac_f64_e32 v[56:57], v[54:55], v[58:59]
	v_pk_mov_b32 v[58:59], v[16:17], v[16:17] op_sel:[0,1]
	v_fmac_f64_e32 v[58:59], v[54:55], v[56:57]
	;; [unrolled: 2-line block ×7, first 2 shown]
	v_fma_f64 v[56:57], v[54:55], v[56:57], 1.0
	v_fma_f64 v[54:55], v[54:55], v[56:57], 1.0
	v_cvt_i32_f64_e32 v52, v[52:53]
	v_ldexp_f64 v[52:53], v[54:55], v52
	v_cmp_nlt_f64_e32 vcc, s[38:39], v[50:51]
	v_cmp_ngt_f64_e64 s[4:5], s[40:41], v[50:51]
	v_cndmask_b32_e32 v53, v45, v53, vcc
	s_and_b64 vcc, s[4:5], vcc
	v_cndmask_b32_e32 v50, 0, v52, vcc
	v_cndmask_b32_e64 v51, 0, v53, s[4:5]
	v_add_f64 v[38:39], v[38:39], v[50:51]
	v_add_co_u32_e32 v42, vcc, s6, v42
	v_mov_b32_e32 v50, s7
	v_addc_co_u32_e32 v43, vcc, v43, v50, vcc
	v_add_co_u32_e32 v40, vcc, s33, v40
	v_mov_b32_e32 v50, s19
	v_addc_co_u32_e32 v41, vcc, v41, v50, vcc
	v_cmp_le_i64_e32 vcc, s[14:15], v[42:43]
	s_or_b64 s[52:53], vcc, s[52:53]
	s_andn2_b64 exec, exec, s[52:53]
	s_cbranch_execnz .LBB511_15
; %bb.16:                               ;   in Loop: Header=BB511_7 Depth=2
	s_or_b64 exec, exec, s[52:53]
	s_or_b64 exec, exec, s[50:51]
	s_and_saveexec_b64 s[50:51], s[2:3]
	s_cbranch_execz .LBB511_19
.LBB511_17:                             ;   in Loop: Header=BB511_7 Depth=2
	s_mov_b64 s[52:53], 0
	s_mov_b64 s[54:55], 0
	v_pk_mov_b32 v[40:41], v[0:1], v[0:1] op_sel:[0,1]
.LBB511_18:                             ;   Parent Loop BB511_3 Depth=1
                                        ;     Parent Loop BB511_7 Depth=2
                                        ; =>    This Inner Loop Header: Depth=3
	v_add_co_u32_e32 v42, vcc, s54, v30
	v_mov_b32_e32 v58, s55
	v_addc_co_u32_e32 v43, vcc, v31, v58, vcc
	global_load_dwordx2 v[42:43], v[42:43], off
	v_pk_mov_b32 v[54:55], v[10:11], v[10:11] op_sel:[0,1]
	v_pk_mov_b32 v[56:57], v[12:13], v[12:13] op_sel:[0,1]
	s_waitcnt vmcnt(0)
	v_add_f64 v[42:43], v[42:43], -v[36:37]
	v_mul_f64 v[50:51], v[42:43], s[10:11]
	v_rndne_f64_e32 v[50:51], v[50:51]
	v_fma_f64 v[52:53], s[30:31], v[50:51], v[42:43]
	v_fmac_f64_e32 v[52:53], s[34:35], v[50:51]
	v_fmac_f64_e32 v[54:55], s[36:37], v[52:53]
	;; [unrolled: 1-line block ×3, first 2 shown]
	v_pk_mov_b32 v[54:55], v[14:15], v[14:15] op_sel:[0,1]
	v_fmac_f64_e32 v[54:55], v[52:53], v[56:57]
	v_pk_mov_b32 v[56:57], v[16:17], v[16:17] op_sel:[0,1]
	v_fmac_f64_e32 v[56:57], v[52:53], v[54:55]
	;; [unrolled: 2-line block ×7, first 2 shown]
	v_fma_f64 v[54:55], v[52:53], v[54:55], 1.0
	v_fma_f64 v[52:53], v[52:53], v[54:55], 1.0
	v_cvt_i32_f64_e32 v50, v[50:51]
	v_ldexp_f64 v[50:51], v[52:53], v50
	v_cmp_nlt_f64_e32 vcc, s[38:39], v[42:43]
	v_cmp_ngt_f64_e64 s[4:5], s[40:41], v[42:43]
	v_cndmask_b32_e32 v51, v45, v51, vcc
	s_and_b64 vcc, s[4:5], vcc
	v_cndmask_b32_e32 v42, 0, v50, vcc
	v_cndmask_b32_e64 v43, 0, v51, s[4:5]
	v_div_scale_f64 v[50:51], s[4:5], v[38:39], v[38:39], v[42:43]
	v_rcp_f64_e32 v[52:53], v[50:51]
	v_fma_f64 v[54:55], -v[50:51], v[52:53], 1.0
	v_fmac_f64_e32 v[52:53], v[52:53], v[54:55]
	v_fma_f64 v[54:55], -v[50:51], v[52:53], 1.0
	v_fmac_f64_e32 v[52:53], v[52:53], v[54:55]
	v_div_scale_f64 v[54:55], vcc, v[42:43], v[38:39], v[42:43]
	v_mul_f64 v[56:57], v[54:55], v[52:53]
	v_fma_f64 v[50:51], -v[50:51], v[56:57], v[54:55]
	s_nop 1
	v_div_fmas_f64 v[50:51], v[50:51], v[52:53], v[56:57]
	v_div_fixup_f64 v[42:43], v[50:51], v[38:39], v[42:43]
	v_add_co_u32_e32 v50, vcc, s54, v28
	v_addc_co_u32_e32 v51, vcc, v29, v58, vcc
	global_store_dwordx2 v[50:51], v[42:43], off
	v_add_co_u32_e32 v40, vcc, s6, v40
	v_mov_b32_e32 v42, s7
	v_addc_co_u32_e32 v41, vcc, v41, v42, vcc
	s_add_u32 s54, s54, s33
	s_addc_u32 s55, s55, s19
	v_cmp_le_i64_e32 vcc, s[14:15], v[40:41]
	s_or_b64 s[52:53], vcc, s[52:53]
	s_andn2_b64 exec, exec, s[52:53]
	s_cbranch_execnz .LBB511_18
.LBB511_19:                             ;   in Loop: Header=BB511_7 Depth=2
	s_or_b64 exec, exec, s[50:51]
	s_mov_b64 s[4:5], 0
.LBB511_20:                             ;   in Loop: Header=BB511_7 Depth=2
	s_and_b64 vcc, exec, s[4:5]
	s_cbranch_vccz .LBB511_6
; %bb.21:                               ;   in Loop: Header=BB511_7 Depth=2
	v_pk_mov_b32 v[36:37], s[8:9], s[8:9] op_sel:[0,1]
	s_and_saveexec_b64 s[50:51], s[2:3]
	s_cbranch_execz .LBB511_25
; %bb.22:                               ;   in Loop: Header=BB511_7 Depth=2
	s_mov_b64 s[52:53], 0
	v_pk_mov_b32 v[36:37], s[8:9], s[8:9] op_sel:[0,1]
	v_pk_mov_b32 v[38:39], v[32:33], v[32:33] op_sel:[0,1]
	;; [unrolled: 1-line block ×3, first 2 shown]
.LBB511_23:                             ;   Parent Loop BB511_3 Depth=1
                                        ;     Parent Loop BB511_7 Depth=2
                                        ; =>    This Inner Loop Header: Depth=3
	global_load_dwordx2 v[42:43], v[38:39], off
	v_mov_b32_e32 v50, s7
	v_mov_b32_e32 v51, s19
	v_add_co_u32_e32 v38, vcc, s33, v38
	v_add_co_u32_e64 v40, s[4:5], s6, v40
	v_addc_co_u32_e64 v41, s[4:5], v41, v50, s[4:5]
	v_addc_co_u32_e32 v39, vcc, v39, v51, vcc
	v_cmp_le_i64_e32 vcc, s[14:15], v[40:41]
	s_or_b64 s[52:53], vcc, s[52:53]
	s_waitcnt vmcnt(0)
	v_cmp_lt_f64_e32 vcc, v[36:37], v[42:43]
	v_cndmask_b32_e32 v37, v37, v43, vcc
	v_cndmask_b32_e32 v36, v36, v42, vcc
	s_andn2_b64 exec, exec, s[52:53]
	s_cbranch_execnz .LBB511_23
; %bb.24:                               ;   in Loop: Header=BB511_7 Depth=2
	s_or_b64 exec, exec, s[52:53]
.LBB511_25:                             ;   in Loop: Header=BB511_7 Depth=2
	s_or_b64 exec, exec, s[50:51]
	s_mov_b32 s50, s6
	s_barrier
	ds_write_b64 v47, v[36:37]
	s_branch .LBB511_27
.LBB511_26:                             ;   in Loop: Header=BB511_27 Depth=3
	s_or_b64 exec, exec, s[4:5]
	s_cmp_gt_u32 s50, 3
	s_mov_b32 s50, s51
	s_cbranch_scc0 .LBB511_29
.LBB511_27:                             ;   Parent Loop BB511_3 Depth=1
                                        ;     Parent Loop BB511_7 Depth=2
                                        ; =>    This Inner Loop Header: Depth=3
	s_lshr_b32 s51, s50, 1
	v_cmp_gt_u32_e32 vcc, s51, v0
	s_waitcnt lgkmcnt(0)
	s_barrier
	s_and_saveexec_b64 s[4:5], vcc
	s_cbranch_execz .LBB511_26
; %bb.28:                               ;   in Loop: Header=BB511_27 Depth=3
	v_lshl_add_u32 v38, s51, 3, v47
	ds_read_b64 v[36:37], v47
	ds_read_b64 v[38:39], v38
	s_waitcnt lgkmcnt(0)
	v_cmp_lt_f64_e32 vcc, v[36:37], v[38:39]
	v_cndmask_b32_e32 v37, v37, v39, vcc
	v_cndmask_b32_e32 v36, v36, v38, vcc
	ds_write_b64 v47, v[36:37]
	s_branch .LBB511_26
.LBB511_29:                             ;   in Loop: Header=BB511_7 Depth=2
	s_waitcnt lgkmcnt(0)
	s_barrier
	ds_read_b64 v[36:37], v46
	v_pk_mov_b32 v[38:39], 0, 0
	s_and_saveexec_b64 s[50:51], s[2:3]
	s_cbranch_execz .LBB511_33
; %bb.30:                               ;   in Loop: Header=BB511_7 Depth=2
	s_mov_b64 s[52:53], 0
	v_pk_mov_b32 v[38:39], 0, 0
	v_pk_mov_b32 v[40:41], v[32:33], v[32:33] op_sel:[0,1]
	v_pk_mov_b32 v[42:43], v[0:1], v[0:1] op_sel:[0,1]
.LBB511_31:                             ;   Parent Loop BB511_3 Depth=1
                                        ;     Parent Loop BB511_7 Depth=2
                                        ; =>    This Inner Loop Header: Depth=3
	global_load_dwordx2 v[50:51], v[40:41], off
	v_pk_mov_b32 v[56:57], v[10:11], v[10:11] op_sel:[0,1]
	v_pk_mov_b32 v[58:59], v[12:13], v[12:13] op_sel:[0,1]
	s_waitcnt vmcnt(0) lgkmcnt(0)
	v_add_f64 v[50:51], v[50:51], -v[36:37]
	v_mul_f64 v[52:53], v[50:51], s[10:11]
	v_rndne_f64_e32 v[52:53], v[52:53]
	v_fma_f64 v[54:55], s[30:31], v[52:53], v[50:51]
	v_fmac_f64_e32 v[54:55], s[34:35], v[52:53]
	v_fmac_f64_e32 v[56:57], s[36:37], v[54:55]
	;; [unrolled: 1-line block ×3, first 2 shown]
	v_pk_mov_b32 v[56:57], v[14:15], v[14:15] op_sel:[0,1]
	v_fmac_f64_e32 v[56:57], v[54:55], v[58:59]
	v_pk_mov_b32 v[58:59], v[16:17], v[16:17] op_sel:[0,1]
	v_fmac_f64_e32 v[58:59], v[54:55], v[56:57]
	;; [unrolled: 2-line block ×7, first 2 shown]
	v_fma_f64 v[56:57], v[54:55], v[56:57], 1.0
	v_fma_f64 v[54:55], v[54:55], v[56:57], 1.0
	v_cvt_i32_f64_e32 v52, v[52:53]
	v_ldexp_f64 v[52:53], v[54:55], v52
	v_cmp_nlt_f64_e32 vcc, s[38:39], v[50:51]
	v_cmp_ngt_f64_e64 s[4:5], s[40:41], v[50:51]
	v_cndmask_b32_e32 v53, v45, v53, vcc
	s_and_b64 vcc, s[4:5], vcc
	v_cndmask_b32_e32 v50, 0, v52, vcc
	v_cndmask_b32_e64 v51, 0, v53, s[4:5]
	v_add_f64 v[38:39], v[38:39], v[50:51]
	v_add_co_u32_e32 v42, vcc, s6, v42
	v_mov_b32_e32 v50, s7
	v_addc_co_u32_e32 v43, vcc, v43, v50, vcc
	v_add_co_u32_e32 v40, vcc, s33, v40
	v_mov_b32_e32 v50, s19
	v_addc_co_u32_e32 v41, vcc, v41, v50, vcc
	v_cmp_le_i64_e32 vcc, s[14:15], v[42:43]
	s_or_b64 s[52:53], vcc, s[52:53]
	s_andn2_b64 exec, exec, s[52:53]
	s_cbranch_execnz .LBB511_31
; %bb.32:                               ;   in Loop: Header=BB511_7 Depth=2
	s_or_b64 exec, exec, s[52:53]
.LBB511_33:                             ;   in Loop: Header=BB511_7 Depth=2
	s_or_b64 exec, exec, s[50:51]
	s_mov_b32 s50, s6
	s_waitcnt lgkmcnt(0)
	s_barrier
	ds_write_b64 v47, v[38:39]
	s_branch .LBB511_35
.LBB511_34:                             ;   in Loop: Header=BB511_35 Depth=3
	s_or_b64 exec, exec, s[4:5]
	s_cmp_gt_u32 s50, 3
	s_mov_b32 s50, s51
	s_cbranch_scc0 .LBB511_37
.LBB511_35:                             ;   Parent Loop BB511_3 Depth=1
                                        ;     Parent Loop BB511_7 Depth=2
                                        ; =>    This Inner Loop Header: Depth=3
	s_lshr_b32 s51, s50, 1
	v_cmp_gt_u32_e32 vcc, s51, v0
	s_waitcnt lgkmcnt(0)
	s_barrier
	s_and_saveexec_b64 s[4:5], vcc
	s_cbranch_execz .LBB511_34
; %bb.36:                               ;   in Loop: Header=BB511_35 Depth=3
	v_lshl_add_u32 v40, s51, 3, v47
	ds_read_b64 v[38:39], v47
	ds_read_b64 v[40:41], v40
	s_waitcnt lgkmcnt(0)
	v_add_f64 v[38:39], v[38:39], v[40:41]
	ds_write_b64 v47, v[38:39]
	s_branch .LBB511_34
.LBB511_37:                             ;   in Loop: Header=BB511_7 Depth=2
	s_waitcnt lgkmcnt(0)
	s_barrier
	s_and_saveexec_b64 s[50:51], s[2:3]
	s_cbranch_execz .LBB511_5
; %bb.38:                               ;   in Loop: Header=BB511_7 Depth=2
	ds_read_b64 v[38:39], v46
	s_mov_b64 s[52:53], 0
	s_mov_b64 s[54:55], 0
	v_pk_mov_b32 v[40:41], v[0:1], v[0:1] op_sel:[0,1]
.LBB511_39:                             ;   Parent Loop BB511_3 Depth=1
                                        ;     Parent Loop BB511_7 Depth=2
                                        ; =>    This Inner Loop Header: Depth=3
	v_add_co_u32_e32 v42, vcc, s54, v30
	v_mov_b32_e32 v58, s55
	v_addc_co_u32_e32 v43, vcc, v31, v58, vcc
	global_load_dwordx2 v[42:43], v[42:43], off
	v_pk_mov_b32 v[54:55], v[10:11], v[10:11] op_sel:[0,1]
	v_pk_mov_b32 v[56:57], v[12:13], v[12:13] op_sel:[0,1]
	s_waitcnt vmcnt(0)
	v_add_f64 v[42:43], v[42:43], -v[36:37]
	v_mul_f64 v[50:51], v[42:43], s[10:11]
	v_rndne_f64_e32 v[50:51], v[50:51]
	v_fma_f64 v[52:53], s[30:31], v[50:51], v[42:43]
	v_fmac_f64_e32 v[52:53], s[34:35], v[50:51]
	v_fmac_f64_e32 v[54:55], s[36:37], v[52:53]
	;; [unrolled: 1-line block ×3, first 2 shown]
	v_pk_mov_b32 v[54:55], v[14:15], v[14:15] op_sel:[0,1]
	v_fmac_f64_e32 v[54:55], v[52:53], v[56:57]
	v_pk_mov_b32 v[56:57], v[16:17], v[16:17] op_sel:[0,1]
	v_fmac_f64_e32 v[56:57], v[52:53], v[54:55]
	;; [unrolled: 2-line block ×7, first 2 shown]
	v_fma_f64 v[54:55], v[52:53], v[54:55], 1.0
	v_fma_f64 v[52:53], v[52:53], v[54:55], 1.0
	v_cvt_i32_f64_e32 v50, v[50:51]
	v_ldexp_f64 v[50:51], v[52:53], v50
	v_cmp_nlt_f64_e32 vcc, s[38:39], v[42:43]
	v_cmp_ngt_f64_e64 s[4:5], s[40:41], v[42:43]
	v_cndmask_b32_e32 v51, v45, v51, vcc
	s_and_b64 vcc, s[4:5], vcc
	v_cndmask_b32_e32 v42, 0, v50, vcc
	v_cndmask_b32_e64 v43, 0, v51, s[4:5]
	s_waitcnt lgkmcnt(0)
	v_div_scale_f64 v[50:51], s[4:5], v[38:39], v[38:39], v[42:43]
	v_rcp_f64_e32 v[52:53], v[50:51]
	v_fma_f64 v[54:55], -v[50:51], v[52:53], 1.0
	v_fmac_f64_e32 v[52:53], v[52:53], v[54:55]
	v_fma_f64 v[54:55], -v[50:51], v[52:53], 1.0
	v_fmac_f64_e32 v[52:53], v[52:53], v[54:55]
	v_div_scale_f64 v[54:55], vcc, v[42:43], v[38:39], v[42:43]
	v_mul_f64 v[56:57], v[54:55], v[52:53]
	v_fma_f64 v[50:51], -v[50:51], v[56:57], v[54:55]
	s_nop 1
	v_div_fmas_f64 v[50:51], v[50:51], v[52:53], v[56:57]
	v_div_fixup_f64 v[42:43], v[50:51], v[38:39], v[42:43]
	v_add_co_u32_e32 v50, vcc, s54, v28
	v_addc_co_u32_e32 v51, vcc, v29, v58, vcc
	global_store_dwordx2 v[50:51], v[42:43], off
	v_add_co_u32_e32 v40, vcc, s6, v40
	v_mov_b32_e32 v42, s7
	v_addc_co_u32_e32 v41, vcc, v41, v42, vcc
	s_add_u32 s54, s54, s33
	s_addc_u32 s55, s55, s19
	v_cmp_le_i64_e32 vcc, s[14:15], v[40:41]
	s_or_b64 s[52:53], vcc, s[52:53]
	s_andn2_b64 exec, exec, s[52:53]
	s_cbranch_execnz .LBB511_39
	s_branch .LBB511_5
.LBB511_40:
	s_endpgm
	.section	.rodata,"a",@progbits
	.p2align	6, 0x0
	.amdhsa_kernel _ZN2at6native12_GLOBAL__N_126cunn_SpatialSoftMaxForwardIdddlNS1_22SoftMaxForwardEpilogueEEEvPT1_PKT_T2_S9_S9_
		.amdhsa_group_segment_fixed_size 0
		.amdhsa_private_segment_fixed_size 0
		.amdhsa_kernarg_size 296
		.amdhsa_user_sgpr_count 6
		.amdhsa_user_sgpr_private_segment_buffer 1
		.amdhsa_user_sgpr_dispatch_ptr 0
		.amdhsa_user_sgpr_queue_ptr 0
		.amdhsa_user_sgpr_kernarg_segment_ptr 1
		.amdhsa_user_sgpr_dispatch_id 0
		.amdhsa_user_sgpr_flat_scratch_init 0
		.amdhsa_user_sgpr_kernarg_preload_length 0
		.amdhsa_user_sgpr_kernarg_preload_offset 0
		.amdhsa_user_sgpr_private_segment_size 0
		.amdhsa_uses_dynamic_stack 0
		.amdhsa_system_sgpr_private_segment_wavefront_offset 0
		.amdhsa_system_sgpr_workgroup_id_x 1
		.amdhsa_system_sgpr_workgroup_id_y 1
		.amdhsa_system_sgpr_workgroup_id_z 0
		.amdhsa_system_sgpr_workgroup_info 0
		.amdhsa_system_vgpr_workitem_id 1
		.amdhsa_next_free_vgpr 60
		.amdhsa_next_free_sgpr 56
		.amdhsa_accum_offset 60
		.amdhsa_reserve_vcc 1
		.amdhsa_reserve_flat_scratch 0
		.amdhsa_float_round_mode_32 0
		.amdhsa_float_round_mode_16_64 0
		.amdhsa_float_denorm_mode_32 3
		.amdhsa_float_denorm_mode_16_64 3
		.amdhsa_dx10_clamp 1
		.amdhsa_ieee_mode 1
		.amdhsa_fp16_overflow 0
		.amdhsa_tg_split 0
		.amdhsa_exception_fp_ieee_invalid_op 0
		.amdhsa_exception_fp_denorm_src 0
		.amdhsa_exception_fp_ieee_div_zero 0
		.amdhsa_exception_fp_ieee_overflow 0
		.amdhsa_exception_fp_ieee_underflow 0
		.amdhsa_exception_fp_ieee_inexact 0
		.amdhsa_exception_int_div_zero 0
	.end_amdhsa_kernel
	.section	.text._ZN2at6native12_GLOBAL__N_126cunn_SpatialSoftMaxForwardIdddlNS1_22SoftMaxForwardEpilogueEEEvPT1_PKT_T2_S9_S9_,"axG",@progbits,_ZN2at6native12_GLOBAL__N_126cunn_SpatialSoftMaxForwardIdddlNS1_22SoftMaxForwardEpilogueEEEvPT1_PKT_T2_S9_S9_,comdat
.Lfunc_end511:
	.size	_ZN2at6native12_GLOBAL__N_126cunn_SpatialSoftMaxForwardIdddlNS1_22SoftMaxForwardEpilogueEEEvPT1_PKT_T2_S9_S9_, .Lfunc_end511-_ZN2at6native12_GLOBAL__N_126cunn_SpatialSoftMaxForwardIdddlNS1_22SoftMaxForwardEpilogueEEEvPT1_PKT_T2_S9_S9_
                                        ; -- End function
	.section	.AMDGPU.csdata,"",@progbits
; Kernel info:
; codeLenInByte = 2776
; NumSgprs: 60
; NumVgprs: 60
; NumAgprs: 0
; TotalNumVgprs: 60
; ScratchSize: 0
; MemoryBound: 0
; FloatMode: 240
; IeeeMode: 1
; LDSByteSize: 0 bytes/workgroup (compile time only)
; SGPRBlocks: 7
; VGPRBlocks: 7
; NumSGPRsForWavesPerEU: 60
; NumVGPRsForWavesPerEU: 60
; AccumOffset: 60
; Occupancy: 8
; WaveLimiterHint : 0
; COMPUTE_PGM_RSRC2:SCRATCH_EN: 0
; COMPUTE_PGM_RSRC2:USER_SGPR: 6
; COMPUTE_PGM_RSRC2:TRAP_HANDLER: 0
; COMPUTE_PGM_RSRC2:TGID_X_EN: 1
; COMPUTE_PGM_RSRC2:TGID_Y_EN: 1
; COMPUTE_PGM_RSRC2:TGID_Z_EN: 0
; COMPUTE_PGM_RSRC2:TIDIG_COMP_CNT: 1
; COMPUTE_PGM_RSRC3_GFX90A:ACCUM_OFFSET: 14
; COMPUTE_PGM_RSRC3_GFX90A:TG_SPLIT: 0
	.section	.text._ZN2at6native12_GLOBAL__N_126cunn_SpatialSoftMaxForwardIfffiNS1_22SoftMaxForwardEpilogueEEEvPT1_PKT_T2_S9_S9_,"axG",@progbits,_ZN2at6native12_GLOBAL__N_126cunn_SpatialSoftMaxForwardIfffiNS1_22SoftMaxForwardEpilogueEEEvPT1_PKT_T2_S9_S9_,comdat
	.globl	_ZN2at6native12_GLOBAL__N_126cunn_SpatialSoftMaxForwardIfffiNS1_22SoftMaxForwardEpilogueEEEvPT1_PKT_T2_S9_S9_ ; -- Begin function _ZN2at6native12_GLOBAL__N_126cunn_SpatialSoftMaxForwardIfffiNS1_22SoftMaxForwardEpilogueEEEvPT1_PKT_T2_S9_S9_
	.p2align	8
	.type	_ZN2at6native12_GLOBAL__N_126cunn_SpatialSoftMaxForwardIfffiNS1_22SoftMaxForwardEpilogueEEEvPT1_PKT_T2_S9_S9_,@function
_ZN2at6native12_GLOBAL__N_126cunn_SpatialSoftMaxForwardIfffiNS1_22SoftMaxForwardEpilogueEEEvPT1_PKT_T2_S9_S9_: ; @_ZN2at6native12_GLOBAL__N_126cunn_SpatialSoftMaxForwardIfffiNS1_22SoftMaxForwardEpilogueEEEvPT1_PKT_T2_S9_S9_
; %bb.0:
	s_load_dwordx4 s[8:11], s[4:5], 0x10
	s_waitcnt lgkmcnt(0)
	s_cmp_ge_i32 s6, s8
	s_cbranch_scc1 .LBB512_40
; %bb.1:
	s_load_dword s0, s[4:5], 0x2c
	s_load_dwordx4 s[12:15], s[4:5], 0x0
	s_load_dwordx2 s[18:19], s[4:5], 0x20
	s_add_u32 s16, s4, 32
	s_addc_u32 s17, s5, 0
	v_and_b32_e32 v4, 0x3ff, v0
	s_waitcnt lgkmcnt(0)
	s_lshr_b32 s4, s0, 16
	s_mul_i32 s5, s7, s4
	s_mul_i32 s7, s19, s4
	;; [unrolled: 1-line block ×3, first 2 shown]
	v_bfe_u32 v2, v0, 10, 10
	v_add_u32_e32 v0, s4, v4
	v_add_u32_e32 v3, s5, v2
	v_mul_lo_u32 v0, s10, v0
	s_mul_i32 s11, s18, s10
	v_cmp_gt_i32_e64 s[0:1], s10, v3
	v_cmp_gt_i32_e64 s[2:3], s9, v4
	v_add3_u32 v5, v2, v0, s5
	s_mul_i32 s11, s11, s9
	s_mov_b32 s19, 0x3fb8aa3b
	s_mov_b32 s30, 0xc2ce8ed0
	;; [unrolled: 1-line block ×3, first 2 shown]
	v_mov_b32_e32 v6, 0x7f800000
	s_branch .LBB512_3
.LBB512_2:                              ;   in Loop: Header=BB512_3 Depth=1
	s_or_b64 exec, exec, s[20:21]
	s_add_i32 s6, s18, s6
	s_cmp_ge_i32 s6, s8
	v_add_u32_e32 v5, s11, v5
	s_cbranch_scc1 .LBB512_40
.LBB512_3:                              ; =>This Loop Header: Depth=1
                                        ;     Child Loop BB512_7 Depth 2
                                        ;       Child Loop BB512_12 Depth 3
                                        ;       Child Loop BB512_15 Depth 3
	;; [unrolled: 1-line block ×8, first 2 shown]
	s_and_saveexec_b64 s[20:21], s[0:1]
	s_cbranch_execz .LBB512_2
; %bb.4:                                ;   in Loop: Header=BB512_3 Depth=1
	s_load_dword s4, s[16:17], 0xc
	s_mov_b64 s[22:23], 0
	v_mov_b32_e32 v9, v5
	v_mov_b32_e32 v10, v3
	s_waitcnt lgkmcnt(0)
	s_and_b32 s33, s4, 0xffff
	v_mul_u32_u24_e32 v0, s33, v2
	s_cmp_lt_u32 s33, 2
	v_lshl_add_u32 v7, v0, 2, 0
	s_mul_i32 s34, s10, s33
	s_cselect_b64 s[24:25], -1, 0
	v_lshl_add_u32 v8, v4, 2, v7
	s_branch .LBB512_7
.LBB512_5:                              ;   in Loop: Header=BB512_7 Depth=2
	s_or_b64 exec, exec, s[26:27]
.LBB512_6:                              ;   in Loop: Header=BB512_7 Depth=2
	v_add_u32_e32 v10, s7, v10
	v_cmp_le_i32_e32 vcc, s10, v10
	s_or_b64 s[22:23], vcc, s[22:23]
	v_add_u32_e32 v9, s7, v9
	s_andn2_b64 exec, exec, s[22:23]
	s_cbranch_execz .LBB512_2
.LBB512_7:                              ;   Parent Loop BB512_3 Depth=1
                                        ; =>  This Loop Header: Depth=2
                                        ;       Child Loop BB512_12 Depth 3
                                        ;       Child Loop BB512_15 Depth 3
	;; [unrolled: 1-line block ×8, first 2 shown]
	s_mov_b64 s[4:5], -1
	s_and_b64 vcc, exec, s[24:25]
	s_cbranch_vccz .LBB512_20
; %bb.8:                                ;   in Loop: Header=BB512_7 Depth=2
	v_mov_b32_e32 v11, 0xff7fffff
	s_and_saveexec_b64 s[4:5], s[2:3]
	s_cbranch_execnz .LBB512_11
; %bb.9:                                ;   in Loop: Header=BB512_7 Depth=2
	s_or_b64 exec, exec, s[4:5]
	v_mov_b32_e32 v12, 0
	s_and_saveexec_b64 s[4:5], s[2:3]
	s_cbranch_execnz .LBB512_14
.LBB512_10:                             ;   in Loop: Header=BB512_7 Depth=2
	s_or_b64 exec, exec, s[4:5]
	s_and_saveexec_b64 s[26:27], s[2:3]
	s_cbranch_execnz .LBB512_17
	s_branch .LBB512_19
.LBB512_11:                             ;   in Loop: Header=BB512_7 Depth=2
	s_mov_b64 s[26:27], 0
	v_mov_b32_e32 v11, 0xff7fffff
	v_mov_b32_e32 v0, v9
	;; [unrolled: 1-line block ×3, first 2 shown]
.LBB512_12:                             ;   Parent Loop BB512_3 Depth=1
                                        ;     Parent Loop BB512_7 Depth=2
                                        ; =>    This Inner Loop Header: Depth=3
	v_ashrrev_i32_e32 v1, 31, v0
	v_lshlrev_b64 v[14:15], 2, v[0:1]
	v_mov_b32_e32 v13, s15
	v_add_co_u32_e32 v14, vcc, s14, v14
	v_addc_co_u32_e32 v15, vcc, v13, v15, vcc
	global_load_dword v1, v[14:15], off
	v_add_u32_e32 v12, s33, v12
	v_cmp_le_i32_e32 vcc, s9, v12
	s_or_b64 s[26:27], vcc, s[26:27]
	v_add_u32_e32 v0, s34, v0
	s_waitcnt vmcnt(0)
	v_cmp_lt_f32_e32 vcc, v11, v1
	v_cndmask_b32_e32 v11, v11, v1, vcc
	s_andn2_b64 exec, exec, s[26:27]
	s_cbranch_execnz .LBB512_12
; %bb.13:                               ;   in Loop: Header=BB512_7 Depth=2
	s_or_b64 exec, exec, s[26:27]
	s_or_b64 exec, exec, s[4:5]
	v_mov_b32_e32 v12, 0
	s_and_saveexec_b64 s[4:5], s[2:3]
	s_cbranch_execz .LBB512_10
.LBB512_14:                             ;   in Loop: Header=BB512_7 Depth=2
	s_mov_b64 s[26:27], 0
	v_mov_b32_e32 v12, 0
	v_mov_b32_e32 v0, v9
	;; [unrolled: 1-line block ×3, first 2 shown]
.LBB512_15:                             ;   Parent Loop BB512_3 Depth=1
                                        ;     Parent Loop BB512_7 Depth=2
                                        ; =>    This Inner Loop Header: Depth=3
	v_ashrrev_i32_e32 v1, 31, v0
	v_lshlrev_b64 v[14:15], 2, v[0:1]
	v_mov_b32_e32 v1, s15
	v_add_co_u32_e32 v14, vcc, s14, v14
	v_addc_co_u32_e32 v15, vcc, v1, v15, vcc
	global_load_dword v1, v[14:15], off
	v_add_u32_e32 v13, s33, v13
	v_cmp_le_i32_e32 vcc, s9, v13
	s_or_b64 s[26:27], vcc, s[26:27]
	v_add_u32_e32 v0, s34, v0
	s_waitcnt vmcnt(0)
	v_sub_f32_e32 v1, v1, v11
	v_mul_f32_e32 v14, 0x3fb8aa3b, v1
	v_fma_f32 v15, v1, s19, -v14
	v_rndne_f32_e32 v16, v14
	v_fmac_f32_e32 v15, 0x32a5705f, v1
	v_sub_f32_e32 v14, v14, v16
	v_add_f32_e32 v14, v14, v15
	v_cvt_i32_f32_e32 v16, v16
	v_exp_f32_e32 v14, v14
	v_cmp_ngt_f32_e32 vcc, s30, v1
	v_ldexp_f32 v14, v14, v16
	v_cndmask_b32_e32 v14, 0, v14, vcc
	v_cmp_nlt_f32_e32 vcc, s31, v1
	v_cndmask_b32_e32 v1, v6, v14, vcc
	v_add_f32_e32 v12, v12, v1
	s_andn2_b64 exec, exec, s[26:27]
	s_cbranch_execnz .LBB512_15
; %bb.16:                               ;   in Loop: Header=BB512_7 Depth=2
	s_or_b64 exec, exec, s[26:27]
	s_or_b64 exec, exec, s[4:5]
	s_and_saveexec_b64 s[26:27], s[2:3]
	s_cbranch_execz .LBB512_19
.LBB512_17:                             ;   in Loop: Header=BB512_7 Depth=2
	s_mov_b64 s[28:29], 0
	v_mov_b32_e32 v0, v9
	v_mov_b32_e32 v13, v4
.LBB512_18:                             ;   Parent Loop BB512_3 Depth=1
                                        ;     Parent Loop BB512_7 Depth=2
                                        ; =>    This Inner Loop Header: Depth=3
	v_ashrrev_i32_e32 v1, 31, v0
	v_lshlrev_b64 v[14:15], 2, v[0:1]
	v_mov_b32_e32 v1, s15
	v_add_co_u32_e32 v16, vcc, s14, v14
	v_addc_co_u32_e32 v17, vcc, v1, v15, vcc
	global_load_dword v1, v[16:17], off
	v_mov_b32_e32 v16, s13
	v_add_co_u32_e64 v14, s[4:5], s12, v14
	v_addc_co_u32_e64 v15, s[4:5], v16, v15, s[4:5]
	v_add_u32_e32 v13, s33, v13
	v_cmp_le_i32_e32 vcc, s9, v13
	s_or_b64 s[28:29], vcc, s[28:29]
	v_add_u32_e32 v0, s34, v0
	s_waitcnt vmcnt(0)
	v_sub_f32_e32 v1, v1, v11
	v_mul_f32_e32 v17, 0x3fb8aa3b, v1
	v_fma_f32 v18, v1, s19, -v17
	v_rndne_f32_e32 v19, v17
	v_fmac_f32_e32 v18, 0x32a5705f, v1
	v_sub_f32_e32 v17, v17, v19
	v_add_f32_e32 v17, v17, v18
	v_cvt_i32_f32_e32 v19, v19
	v_exp_f32_e32 v17, v17
	v_cmp_ngt_f32_e64 s[4:5], s30, v1
	v_ldexp_f32 v16, v17, v19
	v_cndmask_b32_e64 v16, 0, v16, s[4:5]
	v_cmp_nlt_f32_e64 s[4:5], s31, v1
	v_cndmask_b32_e64 v1, v6, v16, s[4:5]
	v_div_scale_f32 v16, s[4:5], v12, v12, v1
	v_rcp_f32_e32 v17, v16
	v_div_scale_f32 v18, vcc, v1, v12, v1
	v_fma_f32 v19, -v16, v17, 1.0
	v_fmac_f32_e32 v17, v19, v17
	v_mul_f32_e32 v19, v18, v17
	v_fma_f32 v20, -v16, v19, v18
	v_fmac_f32_e32 v19, v20, v17
	v_fma_f32 v16, -v16, v19, v18
	v_div_fmas_f32 v16, v16, v17, v19
	v_div_fixup_f32 v1, v16, v12, v1
	global_store_dword v[14:15], v1, off
	s_andn2_b64 exec, exec, s[28:29]
	s_cbranch_execnz .LBB512_18
.LBB512_19:                             ;   in Loop: Header=BB512_7 Depth=2
	s_or_b64 exec, exec, s[26:27]
	s_mov_b64 s[4:5], 0
.LBB512_20:                             ;   in Loop: Header=BB512_7 Depth=2
	s_and_b64 vcc, exec, s[4:5]
	s_cbranch_vccz .LBB512_6
; %bb.21:                               ;   in Loop: Header=BB512_7 Depth=2
	v_mov_b32_e32 v11, 0xff7fffff
	s_and_saveexec_b64 s[4:5], s[2:3]
	s_cbranch_execz .LBB512_25
; %bb.22:                               ;   in Loop: Header=BB512_7 Depth=2
	s_mov_b64 s[26:27], 0
	v_mov_b32_e32 v11, 0xff7fffff
	v_mov_b32_e32 v0, v9
	;; [unrolled: 1-line block ×3, first 2 shown]
.LBB512_23:                             ;   Parent Loop BB512_3 Depth=1
                                        ;     Parent Loop BB512_7 Depth=2
                                        ; =>    This Inner Loop Header: Depth=3
	v_ashrrev_i32_e32 v1, 31, v0
	v_lshlrev_b64 v[14:15], 2, v[0:1]
	v_mov_b32_e32 v13, s15
	v_add_co_u32_e32 v14, vcc, s14, v14
	v_addc_co_u32_e32 v15, vcc, v13, v15, vcc
	global_load_dword v1, v[14:15], off
	v_add_u32_e32 v12, s33, v12
	v_cmp_le_i32_e32 vcc, s9, v12
	s_or_b64 s[26:27], vcc, s[26:27]
	v_add_u32_e32 v0, s34, v0
	s_waitcnt vmcnt(0)
	v_cmp_lt_f32_e32 vcc, v11, v1
	v_cndmask_b32_e32 v11, v11, v1, vcc
	s_andn2_b64 exec, exec, s[26:27]
	s_cbranch_execnz .LBB512_23
; %bb.24:                               ;   in Loop: Header=BB512_7 Depth=2
	s_or_b64 exec, exec, s[26:27]
.LBB512_25:                             ;   in Loop: Header=BB512_7 Depth=2
	s_or_b64 exec, exec, s[4:5]
	s_mov_b32 s26, s33
	s_barrier
	ds_write_b32 v8, v11
	s_branch .LBB512_27
.LBB512_26:                             ;   in Loop: Header=BB512_27 Depth=3
	s_or_b64 exec, exec, s[4:5]
	s_cmp_gt_u32 s26, 3
	s_mov_b32 s26, s27
	s_cbranch_scc0 .LBB512_29
.LBB512_27:                             ;   Parent Loop BB512_3 Depth=1
                                        ;     Parent Loop BB512_7 Depth=2
                                        ; =>    This Inner Loop Header: Depth=3
	s_lshr_b32 s27, s26, 1
	v_cmp_gt_u32_e32 vcc, s27, v4
	s_waitcnt lgkmcnt(0)
	s_barrier
	s_and_saveexec_b64 s[4:5], vcc
	s_cbranch_execz .LBB512_26
; %bb.28:                               ;   in Loop: Header=BB512_27 Depth=3
	v_lshl_add_u32 v0, s27, 2, v8
	ds_read_b32 v1, v8
	ds_read_b32 v0, v0
	s_waitcnt lgkmcnt(0)
	v_cmp_lt_f32_e32 vcc, v1, v0
	v_cndmask_b32_e32 v0, v1, v0, vcc
	ds_write_b32 v8, v0
	s_branch .LBB512_26
.LBB512_29:                             ;   in Loop: Header=BB512_7 Depth=2
	s_waitcnt lgkmcnt(0)
	s_barrier
	ds_read_b32 v11, v7
	v_mov_b32_e32 v12, 0
	s_and_saveexec_b64 s[4:5], s[2:3]
	s_cbranch_execz .LBB512_33
; %bb.30:                               ;   in Loop: Header=BB512_7 Depth=2
	s_mov_b64 s[26:27], 0
	v_mov_b32_e32 v12, 0
	v_mov_b32_e32 v0, v9
	;; [unrolled: 1-line block ×3, first 2 shown]
.LBB512_31:                             ;   Parent Loop BB512_3 Depth=1
                                        ;     Parent Loop BB512_7 Depth=2
                                        ; =>    This Inner Loop Header: Depth=3
	v_ashrrev_i32_e32 v1, 31, v0
	v_lshlrev_b64 v[14:15], 2, v[0:1]
	v_mov_b32_e32 v1, s15
	v_add_co_u32_e32 v14, vcc, s14, v14
	v_addc_co_u32_e32 v15, vcc, v1, v15, vcc
	global_load_dword v1, v[14:15], off
	v_add_u32_e32 v13, s33, v13
	v_cmp_le_i32_e32 vcc, s9, v13
	s_or_b64 s[26:27], vcc, s[26:27]
	v_add_u32_e32 v0, s34, v0
	s_waitcnt vmcnt(0) lgkmcnt(0)
	v_sub_f32_e32 v1, v1, v11
	v_mul_f32_e32 v14, 0x3fb8aa3b, v1
	v_fma_f32 v15, v1, s19, -v14
	v_rndne_f32_e32 v16, v14
	v_fmac_f32_e32 v15, 0x32a5705f, v1
	v_sub_f32_e32 v14, v14, v16
	v_add_f32_e32 v14, v14, v15
	v_cvt_i32_f32_e32 v16, v16
	v_exp_f32_e32 v14, v14
	v_cmp_ngt_f32_e32 vcc, s30, v1
	v_ldexp_f32 v14, v14, v16
	v_cndmask_b32_e32 v14, 0, v14, vcc
	v_cmp_nlt_f32_e32 vcc, s31, v1
	v_cndmask_b32_e32 v1, v6, v14, vcc
	v_add_f32_e32 v12, v12, v1
	s_andn2_b64 exec, exec, s[26:27]
	s_cbranch_execnz .LBB512_31
; %bb.32:                               ;   in Loop: Header=BB512_7 Depth=2
	s_or_b64 exec, exec, s[26:27]
.LBB512_33:                             ;   in Loop: Header=BB512_7 Depth=2
	s_or_b64 exec, exec, s[4:5]
	s_mov_b32 s26, s33
	s_waitcnt lgkmcnt(0)
	s_barrier
	ds_write_b32 v8, v12
	s_branch .LBB512_35
.LBB512_34:                             ;   in Loop: Header=BB512_35 Depth=3
	s_or_b64 exec, exec, s[4:5]
	s_cmp_gt_u32 s26, 3
	s_mov_b32 s26, s27
	s_cbranch_scc0 .LBB512_37
.LBB512_35:                             ;   Parent Loop BB512_3 Depth=1
                                        ;     Parent Loop BB512_7 Depth=2
                                        ; =>    This Inner Loop Header: Depth=3
	s_lshr_b32 s27, s26, 1
	v_cmp_gt_u32_e32 vcc, s27, v4
	s_waitcnt lgkmcnt(0)
	s_barrier
	s_and_saveexec_b64 s[4:5], vcc
	s_cbranch_execz .LBB512_34
; %bb.36:                               ;   in Loop: Header=BB512_35 Depth=3
	v_lshl_add_u32 v0, s27, 2, v8
	ds_read_b32 v1, v8
	ds_read_b32 v0, v0
	s_waitcnt lgkmcnt(0)
	v_add_f32_e32 v0, v1, v0
	ds_write_b32 v8, v0
	s_branch .LBB512_34
.LBB512_37:                             ;   in Loop: Header=BB512_7 Depth=2
	s_waitcnt lgkmcnt(0)
	s_barrier
	s_and_saveexec_b64 s[26:27], s[2:3]
	s_cbranch_execz .LBB512_5
; %bb.38:                               ;   in Loop: Header=BB512_7 Depth=2
	ds_read_b32 v12, v7
	s_mov_b64 s[28:29], 0
	v_mov_b32_e32 v0, v9
	v_mov_b32_e32 v13, v4
.LBB512_39:                             ;   Parent Loop BB512_3 Depth=1
                                        ;     Parent Loop BB512_7 Depth=2
                                        ; =>    This Inner Loop Header: Depth=3
	v_ashrrev_i32_e32 v1, 31, v0
	v_lshlrev_b64 v[14:15], 2, v[0:1]
	v_mov_b32_e32 v1, s15
	v_add_co_u32_e32 v16, vcc, s14, v14
	v_addc_co_u32_e32 v17, vcc, v1, v15, vcc
	global_load_dword v1, v[16:17], off
	v_mov_b32_e32 v16, s13
	v_add_co_u32_e64 v14, s[4:5], s12, v14
	v_addc_co_u32_e64 v15, s[4:5], v16, v15, s[4:5]
	v_add_u32_e32 v13, s33, v13
	v_cmp_le_i32_e32 vcc, s9, v13
	s_or_b64 s[28:29], vcc, s[28:29]
	v_add_u32_e32 v0, s34, v0
	s_waitcnt vmcnt(0)
	v_sub_f32_e32 v1, v1, v11
	v_mul_f32_e32 v17, 0x3fb8aa3b, v1
	v_fma_f32 v18, v1, s19, -v17
	v_rndne_f32_e32 v19, v17
	v_fmac_f32_e32 v18, 0x32a5705f, v1
	v_sub_f32_e32 v17, v17, v19
	v_add_f32_e32 v17, v17, v18
	v_cvt_i32_f32_e32 v19, v19
	v_exp_f32_e32 v17, v17
	v_cmp_ngt_f32_e64 s[4:5], s30, v1
	v_ldexp_f32 v16, v17, v19
	v_cndmask_b32_e64 v16, 0, v16, s[4:5]
	v_cmp_nlt_f32_e64 s[4:5], s31, v1
	v_cndmask_b32_e64 v1, v6, v16, s[4:5]
	s_waitcnt lgkmcnt(0)
	v_div_scale_f32 v16, s[4:5], v12, v12, v1
	v_rcp_f32_e32 v17, v16
	v_div_scale_f32 v18, vcc, v1, v12, v1
	v_fma_f32 v19, -v16, v17, 1.0
	v_fmac_f32_e32 v17, v19, v17
	v_mul_f32_e32 v19, v18, v17
	v_fma_f32 v20, -v16, v19, v18
	v_fmac_f32_e32 v19, v20, v17
	v_fma_f32 v16, -v16, v19, v18
	v_div_fmas_f32 v16, v16, v17, v19
	v_div_fixup_f32 v1, v16, v12, v1
	global_store_dword v[14:15], v1, off
	s_andn2_b64 exec, exec, s[28:29]
	s_cbranch_execnz .LBB512_39
	s_branch .LBB512_5
.LBB512_40:
	s_endpgm
	.section	.rodata,"a",@progbits
	.p2align	6, 0x0
	.amdhsa_kernel _ZN2at6native12_GLOBAL__N_126cunn_SpatialSoftMaxForwardIfffiNS1_22SoftMaxForwardEpilogueEEEvPT1_PKT_T2_S9_S9_
		.amdhsa_group_segment_fixed_size 0
		.amdhsa_private_segment_fixed_size 0
		.amdhsa_kernarg_size 288
		.amdhsa_user_sgpr_count 6
		.amdhsa_user_sgpr_private_segment_buffer 1
		.amdhsa_user_sgpr_dispatch_ptr 0
		.amdhsa_user_sgpr_queue_ptr 0
		.amdhsa_user_sgpr_kernarg_segment_ptr 1
		.amdhsa_user_sgpr_dispatch_id 0
		.amdhsa_user_sgpr_flat_scratch_init 0
		.amdhsa_user_sgpr_kernarg_preload_length 0
		.amdhsa_user_sgpr_kernarg_preload_offset 0
		.amdhsa_user_sgpr_private_segment_size 0
		.amdhsa_uses_dynamic_stack 0
		.amdhsa_system_sgpr_private_segment_wavefront_offset 0
		.amdhsa_system_sgpr_workgroup_id_x 1
		.amdhsa_system_sgpr_workgroup_id_y 1
		.amdhsa_system_sgpr_workgroup_id_z 0
		.amdhsa_system_sgpr_workgroup_info 0
		.amdhsa_system_vgpr_workitem_id 1
		.amdhsa_next_free_vgpr 21
		.amdhsa_next_free_sgpr 35
		.amdhsa_accum_offset 24
		.amdhsa_reserve_vcc 1
		.amdhsa_reserve_flat_scratch 0
		.amdhsa_float_round_mode_32 0
		.amdhsa_float_round_mode_16_64 0
		.amdhsa_float_denorm_mode_32 3
		.amdhsa_float_denorm_mode_16_64 3
		.amdhsa_dx10_clamp 1
		.amdhsa_ieee_mode 1
		.amdhsa_fp16_overflow 0
		.amdhsa_tg_split 0
		.amdhsa_exception_fp_ieee_invalid_op 0
		.amdhsa_exception_fp_denorm_src 0
		.amdhsa_exception_fp_ieee_div_zero 0
		.amdhsa_exception_fp_ieee_overflow 0
		.amdhsa_exception_fp_ieee_underflow 0
		.amdhsa_exception_fp_ieee_inexact 0
		.amdhsa_exception_int_div_zero 0
	.end_amdhsa_kernel
	.section	.text._ZN2at6native12_GLOBAL__N_126cunn_SpatialSoftMaxForwardIfffiNS1_22SoftMaxForwardEpilogueEEEvPT1_PKT_T2_S9_S9_,"axG",@progbits,_ZN2at6native12_GLOBAL__N_126cunn_SpatialSoftMaxForwardIfffiNS1_22SoftMaxForwardEpilogueEEEvPT1_PKT_T2_S9_S9_,comdat
.Lfunc_end512:
	.size	_ZN2at6native12_GLOBAL__N_126cunn_SpatialSoftMaxForwardIfffiNS1_22SoftMaxForwardEpilogueEEEvPT1_PKT_T2_S9_S9_, .Lfunc_end512-_ZN2at6native12_GLOBAL__N_126cunn_SpatialSoftMaxForwardIfffiNS1_22SoftMaxForwardEpilogueEEEvPT1_PKT_T2_S9_S9_
                                        ; -- End function
	.section	.AMDGPU.csdata,"",@progbits
; Kernel info:
; codeLenInByte = 1720
; NumSgprs: 39
; NumVgprs: 21
; NumAgprs: 0
; TotalNumVgprs: 21
; ScratchSize: 0
; MemoryBound: 0
; FloatMode: 240
; IeeeMode: 1
; LDSByteSize: 0 bytes/workgroup (compile time only)
; SGPRBlocks: 4
; VGPRBlocks: 2
; NumSGPRsForWavesPerEU: 39
; NumVGPRsForWavesPerEU: 21
; AccumOffset: 24
; Occupancy: 8
; WaveLimiterHint : 0
; COMPUTE_PGM_RSRC2:SCRATCH_EN: 0
; COMPUTE_PGM_RSRC2:USER_SGPR: 6
; COMPUTE_PGM_RSRC2:TRAP_HANDLER: 0
; COMPUTE_PGM_RSRC2:TGID_X_EN: 1
; COMPUTE_PGM_RSRC2:TGID_Y_EN: 1
; COMPUTE_PGM_RSRC2:TGID_Z_EN: 0
; COMPUTE_PGM_RSRC2:TIDIG_COMP_CNT: 1
; COMPUTE_PGM_RSRC3_GFX90A:ACCUM_OFFSET: 5
; COMPUTE_PGM_RSRC3_GFX90A:TG_SPLIT: 0
	.section	.text._ZN2at6native12_GLOBAL__N_126cunn_SpatialSoftMaxForwardIffflNS1_22SoftMaxForwardEpilogueEEEvPT1_PKT_T2_S9_S9_,"axG",@progbits,_ZN2at6native12_GLOBAL__N_126cunn_SpatialSoftMaxForwardIffflNS1_22SoftMaxForwardEpilogueEEEvPT1_PKT_T2_S9_S9_,comdat
	.globl	_ZN2at6native12_GLOBAL__N_126cunn_SpatialSoftMaxForwardIffflNS1_22SoftMaxForwardEpilogueEEEvPT1_PKT_T2_S9_S9_ ; -- Begin function _ZN2at6native12_GLOBAL__N_126cunn_SpatialSoftMaxForwardIffflNS1_22SoftMaxForwardEpilogueEEEvPT1_PKT_T2_S9_S9_
	.p2align	8
	.type	_ZN2at6native12_GLOBAL__N_126cunn_SpatialSoftMaxForwardIffflNS1_22SoftMaxForwardEpilogueEEEvPT1_PKT_T2_S9_S9_,@function
_ZN2at6native12_GLOBAL__N_126cunn_SpatialSoftMaxForwardIffflNS1_22SoftMaxForwardEpilogueEEEvPT1_PKT_T2_S9_S9_: ; @_ZN2at6native12_GLOBAL__N_126cunn_SpatialSoftMaxForwardIffflNS1_22SoftMaxForwardEpilogueEEEvPT1_PKT_T2_S9_S9_
; %bb.0:
	s_load_dwordx8 s[8:15], s[4:5], 0x0
	s_mov_b32 s0, s7
	s_mov_b32 s7, 0
	s_waitcnt lgkmcnt(0)
	v_pk_mov_b32 v[2:3], s[12:13], s[12:13] op_sel:[0,1]
	v_cmp_ge_i64_e32 vcc, s[6:7], v[2:3]
	s_cbranch_vccnz .LBB513_40
; %bb.1:
	s_load_dword s1, s[4:5], 0x34
	s_load_dwordx4 s[16:19], s[4:5], 0x20
	s_add_u32 s20, s4, 40
	v_bfe_u32 v22, v0, 10, 10
	s_addc_u32 s21, s5, 0
	s_waitcnt lgkmcnt(0)
	s_lshr_b32 s4, s1, 16
	v_and_b32_e32 v0, 0x3ff, v0
	s_mul_i32 s0, s0, s4
	s_mul_i32 s22, s19, s4
	v_mad_u64_u32 v[4:5], s[4:5], s16, v0, 0
	v_mov_b32_e32 v6, v5
	v_mad_u64_u32 v[6:7], s[4:5], s17, v0, v[6:7]
	s_mul_i32 s4, s16, s15
	s_mul_hi_u32 s5, s16, s14
	s_add_i32 s4, s5, s4
	s_mul_i32 s5, s17, s14
	v_add_u32_e32 v2, s0, v22
	v_mov_b32_e32 v3, 0
	s_add_i32 s19, s4, s5
	s_mul_i32 s24, s16, s14
	v_mov_b32_e32 v8, s6
	v_mov_b32_e32 v5, v6
	s_mul_i32 s25, s19, s6
	v_mad_u64_u32 v[6:7], s[4:5], s24, v8, v[2:3]
	v_add_u32_e32 v7, s25, v7
	v_lshlrev_b64 v[4:5], 2, v[4:5]
	v_lshlrev_b64 v[6:7], 2, v[6:7]
	v_add_co_u32_e32 v4, vcc, v4, v6
	v_addc_co_u32_e32 v5, vcc, v5, v7, vcc
	s_mul_i32 s19, s19, s18
	s_mul_hi_u32 s4, s24, s18
	v_mov_b32_e32 v1, v3
	v_mov_b32_e32 v6, s11
	v_add_co_u32_e32 v4, vcc, s10, v4
	s_add_i32 s5, s4, s19
	s_mul_i32 s4, s24, s18
	v_addc_co_u32_e32 v5, vcc, v6, v5, vcc
	s_lshl_b64 s[24:25], s[4:5], 2
	s_mul_i32 s19, s15, s6
	v_mad_u64_u32 v[6:7], s[4:5], s14, v8, v[0:1]
	v_add_u32_e32 v7, s19, v7
	v_mul_lo_u32 v7, s16, v7
	v_mad_u64_u32 v[8:9], s[4:5], s16, v6, v[2:3]
	v_mul_lo_u32 v6, s17, v6
	v_add3_u32 v9, v6, v9, v7
	v_lshlrev_b64 v[8:9], 2, v[8:9]
	v_mov_b32_e32 v7, s11
	v_add_co_u32_e32 v6, vcc, s10, v8
	v_addc_co_u32_e32 v7, vcc, v7, v9, vcc
	s_mov_b32 s23, s7
	v_mov_b32_e32 v10, s9
	v_add_co_u32_e32 v8, vcc, s8, v8
	v_cmp_gt_i64_e64 s[0:1], s[16:17], v[2:3]
	v_cmp_gt_i64_e64 s[2:3], s[14:15], v[0:1]
	s_lshl_b64 s[26:27], s[22:23], 2
	s_lshl_b64 s[28:29], s[16:17], 2
	v_addc_co_u32_e32 v9, vcc, v10, v9, vcc
	s_mov_b32 s19, 0x3fb8aa3b
	s_mov_b32 s33, 0xc2ce8ed0
	;; [unrolled: 1-line block ×3, first 2 shown]
	v_mov_b32_e32 v23, 0x7f800000
	s_mov_b64 s[8:9], s[6:7]
	s_branch .LBB513_3
.LBB513_2:                              ;   in Loop: Header=BB513_3 Depth=1
	s_or_b64 exec, exec, s[10:11]
	v_mov_b32_e32 v10, s25
	v_add_co_u32_e32 v4, vcc, s24, v4
	v_addc_co_u32_e32 v5, vcc, v5, v10, vcc
	v_add_co_u32_e32 v6, vcc, s24, v6
	v_addc_co_u32_e32 v7, vcc, v7, v10, vcc
	s_add_u32 s8, s8, s18
	v_add_co_u32_e32 v8, vcc, s24, v8
	s_addc_u32 s9, s9, 0
	v_addc_co_u32_e32 v9, vcc, v9, v10, vcc
	v_pk_mov_b32 v[10:11], s[12:13], s[12:13] op_sel:[0,1]
	v_cmp_ge_i64_e32 vcc, s[8:9], v[10:11]
	s_cbranch_vccnz .LBB513_40
.LBB513_3:                              ; =>This Loop Header: Depth=1
                                        ;     Child Loop BB513_7 Depth 2
                                        ;       Child Loop BB513_12 Depth 3
                                        ;       Child Loop BB513_15 Depth 3
	;; [unrolled: 1-line block ×8, first 2 shown]
	s_and_saveexec_b64 s[10:11], s[0:1]
	s_cbranch_execz .LBB513_2
; %bb.4:                                ;   in Loop: Header=BB513_3 Depth=1
	s_load_dword s4, s[20:21], 0xc
	s_mov_b64 s[34:35], 0
	v_mov_b32_e32 v26, s7
	v_pk_mov_b32 v[12:13], v[6:7], v[6:7] op_sel:[0,1]
	v_pk_mov_b32 v[14:15], v[4:5], v[4:5] op_sel:[0,1]
	s_waitcnt lgkmcnt(0)
	s_and_b32 s6, s4, 0xffff
	v_cmp_lt_u16_e64 s[30:31], s4, 2
	v_mul_u32_u24_e32 v10, s6, v22
	s_mul_i32 s4, s29, s6
	s_mul_hi_u32 s5, s28, s6
	v_lshl_add_u32 v24, v10, 2, 0
	s_add_i32 s43, s5, s4
	v_lshl_add_u32 v25, v0, 2, v24
	s_mul_i32 s44, s28, s6
	v_mov_b32_e32 v27, s43
	v_pk_mov_b32 v[10:11], v[8:9], v[8:9] op_sel:[0,1]
	v_pk_mov_b32 v[16:17], v[2:3], v[2:3] op_sel:[0,1]
	s_branch .LBB513_7
.LBB513_5:                              ;   in Loop: Header=BB513_7 Depth=2
	s_or_b64 exec, exec, s[36:37]
.LBB513_6:                              ;   in Loop: Header=BB513_7 Depth=2
	v_mov_b32_e32 v18, s23
	v_add_co_u32_e32 v16, vcc, s22, v16
	v_addc_co_u32_e32 v17, vcc, v17, v18, vcc
	v_mov_b32_e32 v18, s27
	v_add_co_u32_e32 v14, vcc, s26, v14
	v_addc_co_u32_e32 v15, vcc, v15, v18, vcc
	v_add_co_u32_e32 v12, vcc, s26, v12
	v_addc_co_u32_e32 v13, vcc, v13, v18, vcc
	v_cmp_le_i64_e32 vcc, s[16:17], v[16:17]
	s_or_b64 s[34:35], vcc, s[34:35]
	v_add_co_u32_e32 v10, vcc, s26, v10
	v_addc_co_u32_e32 v11, vcc, v11, v18, vcc
	s_andn2_b64 exec, exec, s[34:35]
	s_cbranch_execz .LBB513_2
.LBB513_7:                              ;   Parent Loop BB513_3 Depth=1
                                        ; =>  This Loop Header: Depth=2
                                        ;       Child Loop BB513_12 Depth 3
                                        ;       Child Loop BB513_15 Depth 3
	;; [unrolled: 1-line block ×8, first 2 shown]
	s_mov_b64 s[4:5], -1
	s_and_b64 vcc, exec, s[30:31]
	s_cbranch_vccz .LBB513_20
; %bb.8:                                ;   in Loop: Header=BB513_7 Depth=2
	v_mov_b32_e32 v28, 0xff7fffff
	s_and_saveexec_b64 s[4:5], s[2:3]
	s_cbranch_execnz .LBB513_11
; %bb.9:                                ;   in Loop: Header=BB513_7 Depth=2
	s_or_b64 exec, exec, s[4:5]
	v_mov_b32_e32 v29, 0
	s_and_saveexec_b64 s[36:37], s[2:3]
	s_cbranch_execnz .LBB513_14
.LBB513_10:                             ;   in Loop: Header=BB513_7 Depth=2
	s_or_b64 exec, exec, s[36:37]
	s_and_saveexec_b64 s[36:37], s[2:3]
	s_cbranch_execnz .LBB513_17
	s_branch .LBB513_19
.LBB513_11:                             ;   in Loop: Header=BB513_7 Depth=2
	s_mov_b64 s[36:37], 0
	v_mov_b32_e32 v28, 0xff7fffff
	v_pk_mov_b32 v[18:19], v[14:15], v[14:15] op_sel:[0,1]
	v_pk_mov_b32 v[20:21], v[0:1], v[0:1] op_sel:[0,1]
.LBB513_12:                             ;   Parent Loop BB513_3 Depth=1
                                        ;     Parent Loop BB513_7 Depth=2
                                        ; =>    This Inner Loop Header: Depth=3
	global_load_dword v29, v[18:19], off
	v_add_co_u32_e32 v20, vcc, s6, v20
	v_addc_co_u32_e32 v21, vcc, v21, v26, vcc
	v_add_co_u32_e32 v18, vcc, s44, v18
	v_addc_co_u32_e32 v19, vcc, v19, v27, vcc
	v_cmp_le_i64_e32 vcc, s[14:15], v[20:21]
	s_or_b64 s[36:37], vcc, s[36:37]
	s_waitcnt vmcnt(0)
	v_cmp_lt_f32_e32 vcc, v28, v29
	v_cndmask_b32_e32 v28, v28, v29, vcc
	s_andn2_b64 exec, exec, s[36:37]
	s_cbranch_execnz .LBB513_12
; %bb.13:                               ;   in Loop: Header=BB513_7 Depth=2
	s_or_b64 exec, exec, s[36:37]
	s_or_b64 exec, exec, s[4:5]
	v_mov_b32_e32 v29, 0
	s_and_saveexec_b64 s[36:37], s[2:3]
	s_cbranch_execz .LBB513_10
.LBB513_14:                             ;   in Loop: Header=BB513_7 Depth=2
	s_mov_b64 s[38:39], 0
	v_mov_b32_e32 v29, 0
	v_pk_mov_b32 v[18:19], v[14:15], v[14:15] op_sel:[0,1]
	v_pk_mov_b32 v[20:21], v[0:1], v[0:1] op_sel:[0,1]
.LBB513_15:                             ;   Parent Loop BB513_3 Depth=1
                                        ;     Parent Loop BB513_7 Depth=2
                                        ; =>    This Inner Loop Header: Depth=3
	global_load_dword v30, v[18:19], off
	v_mov_b32_e32 v31, s7
	v_add_co_u32_e64 v20, s[4:5], s6, v20
	v_mov_b32_e32 v32, s43
	v_add_co_u32_e32 v18, vcc, s44, v18
	v_addc_co_u32_e64 v21, s[4:5], v21, v31, s[4:5]
	v_addc_co_u32_e32 v19, vcc, v19, v32, vcc
	v_cmp_le_i64_e32 vcc, s[14:15], v[20:21]
	s_or_b64 s[38:39], vcc, s[38:39]
	s_waitcnt vmcnt(0)
	v_sub_f32_e32 v30, v30, v28
	v_mul_f32_e32 v31, 0x3fb8aa3b, v30
	v_fma_f32 v32, v30, s19, -v31
	v_rndne_f32_e32 v33, v31
	v_fmac_f32_e32 v32, 0x32a5705f, v30
	v_sub_f32_e32 v31, v31, v33
	v_add_f32_e32 v31, v31, v32
	v_cvt_i32_f32_e32 v33, v33
	v_exp_f32_e32 v31, v31
	v_cmp_ngt_f32_e32 vcc, s33, v30
	v_ldexp_f32 v31, v31, v33
	v_cndmask_b32_e32 v31, 0, v31, vcc
	v_cmp_nlt_f32_e32 vcc, s42, v30
	v_cndmask_b32_e32 v30, v23, v31, vcc
	v_add_f32_e32 v29, v29, v30
	s_andn2_b64 exec, exec, s[38:39]
	s_cbranch_execnz .LBB513_15
; %bb.16:                               ;   in Loop: Header=BB513_7 Depth=2
	s_or_b64 exec, exec, s[38:39]
	s_or_b64 exec, exec, s[36:37]
	s_and_saveexec_b64 s[36:37], s[2:3]
	s_cbranch_execz .LBB513_19
.LBB513_17:                             ;   in Loop: Header=BB513_7 Depth=2
	s_mov_b64 s[38:39], 0
	s_mov_b64 s[40:41], 0
	v_pk_mov_b32 v[18:19], v[0:1], v[0:1] op_sel:[0,1]
.LBB513_18:                             ;   Parent Loop BB513_3 Depth=1
                                        ;     Parent Loop BB513_7 Depth=2
                                        ; =>    This Inner Loop Header: Depth=3
	v_mov_b32_e32 v30, s41
	v_add_co_u32_e32 v20, vcc, s40, v12
	v_addc_co_u32_e32 v21, vcc, v13, v30, vcc
	global_load_dword v31, v[20:21], off
	v_add_co_u32_e64 v20, s[4:5], s40, v10
	v_addc_co_u32_e64 v21, s[4:5], v11, v30, s[4:5]
	v_mov_b32_e32 v32, s7
	v_add_co_u32_e32 v18, vcc, s6, v18
	v_addc_co_u32_e32 v19, vcc, v19, v32, vcc
	s_add_u32 s40, s40, s44
	s_addc_u32 s41, s41, s43
	v_cmp_le_i64_e32 vcc, s[14:15], v[18:19]
	s_or_b64 s[38:39], vcc, s[38:39]
	s_waitcnt vmcnt(0)
	v_sub_f32_e32 v30, v31, v28
	v_mul_f32_e32 v31, 0x3fb8aa3b, v30
	v_fma_f32 v32, v30, s19, -v31
	v_rndne_f32_e32 v33, v31
	v_fmac_f32_e32 v32, 0x32a5705f, v30
	v_sub_f32_e32 v31, v31, v33
	v_add_f32_e32 v31, v31, v32
	v_cvt_i32_f32_e32 v33, v33
	v_exp_f32_e32 v31, v31
	v_cmp_ngt_f32_e32 vcc, s33, v30
	v_ldexp_f32 v31, v31, v33
	v_cndmask_b32_e32 v31, 0, v31, vcc
	v_cmp_nlt_f32_e32 vcc, s42, v30
	v_cndmask_b32_e32 v30, v23, v31, vcc
	v_div_scale_f32 v31, s[4:5], v29, v29, v30
	v_rcp_f32_e32 v32, v31
	v_div_scale_f32 v33, vcc, v30, v29, v30
	v_fma_f32 v34, -v31, v32, 1.0
	v_fmac_f32_e32 v32, v34, v32
	v_mul_f32_e32 v34, v33, v32
	v_fma_f32 v35, -v31, v34, v33
	v_fmac_f32_e32 v34, v35, v32
	v_fma_f32 v31, -v31, v34, v33
	v_div_fmas_f32 v31, v31, v32, v34
	v_div_fixup_f32 v30, v31, v29, v30
	global_store_dword v[20:21], v30, off
	s_andn2_b64 exec, exec, s[38:39]
	s_cbranch_execnz .LBB513_18
.LBB513_19:                             ;   in Loop: Header=BB513_7 Depth=2
	s_or_b64 exec, exec, s[36:37]
	s_mov_b64 s[4:5], 0
.LBB513_20:                             ;   in Loop: Header=BB513_7 Depth=2
	s_and_b64 vcc, exec, s[4:5]
	s_cbranch_vccz .LBB513_6
; %bb.21:                               ;   in Loop: Header=BB513_7 Depth=2
	v_mov_b32_e32 v28, 0xff7fffff
	s_and_saveexec_b64 s[36:37], s[2:3]
	s_cbranch_execz .LBB513_25
; %bb.22:                               ;   in Loop: Header=BB513_7 Depth=2
	s_mov_b64 s[38:39], 0
	v_mov_b32_e32 v28, 0xff7fffff
	v_pk_mov_b32 v[18:19], v[14:15], v[14:15] op_sel:[0,1]
	v_pk_mov_b32 v[20:21], v[0:1], v[0:1] op_sel:[0,1]
.LBB513_23:                             ;   Parent Loop BB513_3 Depth=1
                                        ;     Parent Loop BB513_7 Depth=2
                                        ; =>    This Inner Loop Header: Depth=3
	global_load_dword v29, v[18:19], off
	v_mov_b32_e32 v30, s7
	v_mov_b32_e32 v31, s43
	v_add_co_u32_e32 v18, vcc, s44, v18
	v_add_co_u32_e64 v20, s[4:5], s6, v20
	v_addc_co_u32_e64 v21, s[4:5], v21, v30, s[4:5]
	v_addc_co_u32_e32 v19, vcc, v19, v31, vcc
	v_cmp_le_i64_e32 vcc, s[14:15], v[20:21]
	s_or_b64 s[38:39], vcc, s[38:39]
	s_waitcnt vmcnt(0)
	v_cmp_lt_f32_e32 vcc, v28, v29
	v_cndmask_b32_e32 v28, v28, v29, vcc
	s_andn2_b64 exec, exec, s[38:39]
	s_cbranch_execnz .LBB513_23
; %bb.24:                               ;   in Loop: Header=BB513_7 Depth=2
	s_or_b64 exec, exec, s[38:39]
.LBB513_25:                             ;   in Loop: Header=BB513_7 Depth=2
	s_or_b64 exec, exec, s[36:37]
	s_mov_b32 s36, s6
	s_barrier
	ds_write_b32 v25, v28
	s_branch .LBB513_27
.LBB513_26:                             ;   in Loop: Header=BB513_27 Depth=3
	s_or_b64 exec, exec, s[4:5]
	s_cmp_gt_u32 s36, 3
	s_mov_b32 s36, s37
	s_cbranch_scc0 .LBB513_29
.LBB513_27:                             ;   Parent Loop BB513_3 Depth=1
                                        ;     Parent Loop BB513_7 Depth=2
                                        ; =>    This Inner Loop Header: Depth=3
	s_lshr_b32 s37, s36, 1
	v_cmp_gt_u32_e32 vcc, s37, v0
	s_waitcnt lgkmcnt(0)
	s_barrier
	s_and_saveexec_b64 s[4:5], vcc
	s_cbranch_execz .LBB513_26
; %bb.28:                               ;   in Loop: Header=BB513_27 Depth=3
	v_lshl_add_u32 v18, s37, 2, v25
	ds_read_b32 v19, v25
	ds_read_b32 v18, v18
	s_waitcnt lgkmcnt(0)
	v_cmp_lt_f32_e32 vcc, v19, v18
	v_cndmask_b32_e32 v18, v19, v18, vcc
	ds_write_b32 v25, v18
	s_branch .LBB513_26
.LBB513_29:                             ;   in Loop: Header=BB513_7 Depth=2
	s_waitcnt lgkmcnt(0)
	s_barrier
	ds_read_b32 v28, v24
	v_mov_b32_e32 v29, 0
	s_and_saveexec_b64 s[36:37], s[2:3]
	s_cbranch_execz .LBB513_33
; %bb.30:                               ;   in Loop: Header=BB513_7 Depth=2
	s_mov_b64 s[38:39], 0
	v_mov_b32_e32 v29, 0
	v_pk_mov_b32 v[18:19], v[14:15], v[14:15] op_sel:[0,1]
	v_pk_mov_b32 v[20:21], v[0:1], v[0:1] op_sel:[0,1]
.LBB513_31:                             ;   Parent Loop BB513_3 Depth=1
                                        ;     Parent Loop BB513_7 Depth=2
                                        ; =>    This Inner Loop Header: Depth=3
	global_load_dword v30, v[18:19], off
	v_mov_b32_e32 v31, s7
	v_add_co_u32_e64 v20, s[4:5], s6, v20
	v_mov_b32_e32 v32, s43
	v_add_co_u32_e32 v18, vcc, s44, v18
	v_addc_co_u32_e64 v21, s[4:5], v21, v31, s[4:5]
	v_addc_co_u32_e32 v19, vcc, v19, v32, vcc
	v_cmp_le_i64_e32 vcc, s[14:15], v[20:21]
	s_or_b64 s[38:39], vcc, s[38:39]
	s_waitcnt vmcnt(0) lgkmcnt(0)
	v_sub_f32_e32 v30, v30, v28
	v_mul_f32_e32 v31, 0x3fb8aa3b, v30
	v_fma_f32 v32, v30, s19, -v31
	v_rndne_f32_e32 v33, v31
	v_fmac_f32_e32 v32, 0x32a5705f, v30
	v_sub_f32_e32 v31, v31, v33
	v_add_f32_e32 v31, v31, v32
	v_cvt_i32_f32_e32 v33, v33
	v_exp_f32_e32 v31, v31
	v_cmp_ngt_f32_e32 vcc, s33, v30
	v_ldexp_f32 v31, v31, v33
	v_cndmask_b32_e32 v31, 0, v31, vcc
	v_cmp_nlt_f32_e32 vcc, s42, v30
	v_cndmask_b32_e32 v30, v23, v31, vcc
	v_add_f32_e32 v29, v29, v30
	s_andn2_b64 exec, exec, s[38:39]
	s_cbranch_execnz .LBB513_31
; %bb.32:                               ;   in Loop: Header=BB513_7 Depth=2
	s_or_b64 exec, exec, s[38:39]
.LBB513_33:                             ;   in Loop: Header=BB513_7 Depth=2
	s_or_b64 exec, exec, s[36:37]
	s_mov_b32 s36, s6
	s_waitcnt lgkmcnt(0)
	s_barrier
	ds_write_b32 v25, v29
	s_branch .LBB513_35
.LBB513_34:                             ;   in Loop: Header=BB513_35 Depth=3
	s_or_b64 exec, exec, s[4:5]
	s_cmp_gt_u32 s36, 3
	s_mov_b32 s36, s37
	s_cbranch_scc0 .LBB513_37
.LBB513_35:                             ;   Parent Loop BB513_3 Depth=1
                                        ;     Parent Loop BB513_7 Depth=2
                                        ; =>    This Inner Loop Header: Depth=3
	s_lshr_b32 s37, s36, 1
	v_cmp_gt_u32_e32 vcc, s37, v0
	s_waitcnt lgkmcnt(0)
	s_barrier
	s_and_saveexec_b64 s[4:5], vcc
	s_cbranch_execz .LBB513_34
; %bb.36:                               ;   in Loop: Header=BB513_35 Depth=3
	v_lshl_add_u32 v18, s37, 2, v25
	ds_read_b32 v19, v25
	ds_read_b32 v18, v18
	s_waitcnt lgkmcnt(0)
	v_add_f32_e32 v18, v19, v18
	ds_write_b32 v25, v18
	s_branch .LBB513_34
.LBB513_37:                             ;   in Loop: Header=BB513_7 Depth=2
	s_waitcnt lgkmcnt(0)
	s_barrier
	s_and_saveexec_b64 s[36:37], s[2:3]
	s_cbranch_execz .LBB513_5
; %bb.38:                               ;   in Loop: Header=BB513_7 Depth=2
	ds_read_b32 v20, v24
	s_mov_b64 s[38:39], 0
	s_mov_b64 s[40:41], 0
	v_pk_mov_b32 v[18:19], v[0:1], v[0:1] op_sel:[0,1]
.LBB513_39:                             ;   Parent Loop BB513_3 Depth=1
                                        ;     Parent Loop BB513_7 Depth=2
                                        ; =>    This Inner Loop Header: Depth=3
	v_mov_b32_e32 v21, s41
	v_add_co_u32_e32 v30, vcc, s40, v12
	v_addc_co_u32_e32 v31, vcc, v13, v21, vcc
	global_load_dword v29, v[30:31], off
	v_add_co_u32_e64 v30, s[4:5], s40, v10
	v_addc_co_u32_e64 v31, s[4:5], v11, v21, s[4:5]
	v_mov_b32_e32 v32, s7
	v_add_co_u32_e32 v18, vcc, s6, v18
	v_addc_co_u32_e32 v19, vcc, v19, v32, vcc
	s_add_u32 s40, s40, s44
	s_addc_u32 s41, s41, s43
	v_cmp_le_i64_e32 vcc, s[14:15], v[18:19]
	s_or_b64 s[38:39], vcc, s[38:39]
	s_waitcnt vmcnt(0)
	v_sub_f32_e32 v21, v29, v28
	v_mul_f32_e32 v29, 0x3fb8aa3b, v21
	v_fma_f32 v32, v21, s19, -v29
	v_rndne_f32_e32 v33, v29
	v_fmac_f32_e32 v32, 0x32a5705f, v21
	v_sub_f32_e32 v29, v29, v33
	v_add_f32_e32 v29, v29, v32
	v_cvt_i32_f32_e32 v33, v33
	v_exp_f32_e32 v29, v29
	v_cmp_ngt_f32_e32 vcc, s33, v21
	v_ldexp_f32 v29, v29, v33
	v_cndmask_b32_e32 v29, 0, v29, vcc
	v_cmp_nlt_f32_e32 vcc, s42, v21
	v_cndmask_b32_e32 v21, v23, v29, vcc
	s_waitcnt lgkmcnt(0)
	v_div_scale_f32 v29, s[4:5], v20, v20, v21
	v_rcp_f32_e32 v32, v29
	v_div_scale_f32 v33, vcc, v21, v20, v21
	v_fma_f32 v34, -v29, v32, 1.0
	v_fmac_f32_e32 v32, v34, v32
	v_mul_f32_e32 v34, v33, v32
	v_fma_f32 v35, -v29, v34, v33
	v_fmac_f32_e32 v34, v35, v32
	v_fma_f32 v29, -v29, v34, v33
	v_div_fmas_f32 v29, v29, v32, v34
	v_div_fixup_f32 v21, v29, v20, v21
	global_store_dword v[30:31], v21, off
	s_andn2_b64 exec, exec, s[38:39]
	s_cbranch_execnz .LBB513_39
	s_branch .LBB513_5
.LBB513_40:
	s_endpgm
	.section	.rodata,"a",@progbits
	.p2align	6, 0x0
	.amdhsa_kernel _ZN2at6native12_GLOBAL__N_126cunn_SpatialSoftMaxForwardIffflNS1_22SoftMaxForwardEpilogueEEEvPT1_PKT_T2_S9_S9_
		.amdhsa_group_segment_fixed_size 0
		.amdhsa_private_segment_fixed_size 0
		.amdhsa_kernarg_size 296
		.amdhsa_user_sgpr_count 6
		.amdhsa_user_sgpr_private_segment_buffer 1
		.amdhsa_user_sgpr_dispatch_ptr 0
		.amdhsa_user_sgpr_queue_ptr 0
		.amdhsa_user_sgpr_kernarg_segment_ptr 1
		.amdhsa_user_sgpr_dispatch_id 0
		.amdhsa_user_sgpr_flat_scratch_init 0
		.amdhsa_user_sgpr_kernarg_preload_length 0
		.amdhsa_user_sgpr_kernarg_preload_offset 0
		.amdhsa_user_sgpr_private_segment_size 0
		.amdhsa_uses_dynamic_stack 0
		.amdhsa_system_sgpr_private_segment_wavefront_offset 0
		.amdhsa_system_sgpr_workgroup_id_x 1
		.amdhsa_system_sgpr_workgroup_id_y 1
		.amdhsa_system_sgpr_workgroup_id_z 0
		.amdhsa_system_sgpr_workgroup_info 0
		.amdhsa_system_vgpr_workitem_id 1
		.amdhsa_next_free_vgpr 36
		.amdhsa_next_free_sgpr 45
		.amdhsa_accum_offset 36
		.amdhsa_reserve_vcc 1
		.amdhsa_reserve_flat_scratch 0
		.amdhsa_float_round_mode_32 0
		.amdhsa_float_round_mode_16_64 0
		.amdhsa_float_denorm_mode_32 3
		.amdhsa_float_denorm_mode_16_64 3
		.amdhsa_dx10_clamp 1
		.amdhsa_ieee_mode 1
		.amdhsa_fp16_overflow 0
		.amdhsa_tg_split 0
		.amdhsa_exception_fp_ieee_invalid_op 0
		.amdhsa_exception_fp_denorm_src 0
		.amdhsa_exception_fp_ieee_div_zero 0
		.amdhsa_exception_fp_ieee_overflow 0
		.amdhsa_exception_fp_ieee_underflow 0
		.amdhsa_exception_fp_ieee_inexact 0
		.amdhsa_exception_int_div_zero 0
	.end_amdhsa_kernel
	.section	.text._ZN2at6native12_GLOBAL__N_126cunn_SpatialSoftMaxForwardIffflNS1_22SoftMaxForwardEpilogueEEEvPT1_PKT_T2_S9_S9_,"axG",@progbits,_ZN2at6native12_GLOBAL__N_126cunn_SpatialSoftMaxForwardIffflNS1_22SoftMaxForwardEpilogueEEEvPT1_PKT_T2_S9_S9_,comdat
.Lfunc_end513:
	.size	_ZN2at6native12_GLOBAL__N_126cunn_SpatialSoftMaxForwardIffflNS1_22SoftMaxForwardEpilogueEEEvPT1_PKT_T2_S9_S9_, .Lfunc_end513-_ZN2at6native12_GLOBAL__N_126cunn_SpatialSoftMaxForwardIffflNS1_22SoftMaxForwardEpilogueEEEvPT1_PKT_T2_S9_S9_
                                        ; -- End function
	.section	.AMDGPU.csdata,"",@progbits
; Kernel info:
; codeLenInByte = 2020
; NumSgprs: 49
; NumVgprs: 36
; NumAgprs: 0
; TotalNumVgprs: 36
; ScratchSize: 0
; MemoryBound: 0
; FloatMode: 240
; IeeeMode: 1
; LDSByteSize: 0 bytes/workgroup (compile time only)
; SGPRBlocks: 6
; VGPRBlocks: 4
; NumSGPRsForWavesPerEU: 49
; NumVGPRsForWavesPerEU: 36
; AccumOffset: 36
; Occupancy: 8
; WaveLimiterHint : 0
; COMPUTE_PGM_RSRC2:SCRATCH_EN: 0
; COMPUTE_PGM_RSRC2:USER_SGPR: 6
; COMPUTE_PGM_RSRC2:TRAP_HANDLER: 0
; COMPUTE_PGM_RSRC2:TGID_X_EN: 1
; COMPUTE_PGM_RSRC2:TGID_Y_EN: 1
; COMPUTE_PGM_RSRC2:TGID_Z_EN: 0
; COMPUTE_PGM_RSRC2:TIDIG_COMP_CNT: 1
; COMPUTE_PGM_RSRC3_GFX90A:ACCUM_OFFSET: 8
; COMPUTE_PGM_RSRC3_GFX90A:TG_SPLIT: 0
	.section	.text._ZN2at6native12_GLOBAL__N_126cunn_SpatialSoftMaxForwardIN3c104HalfEfS4_iNS1_22SoftMaxForwardEpilogueEEEvPT1_PKT_T2_SB_SB_,"axG",@progbits,_ZN2at6native12_GLOBAL__N_126cunn_SpatialSoftMaxForwardIN3c104HalfEfS4_iNS1_22SoftMaxForwardEpilogueEEEvPT1_PKT_T2_SB_SB_,comdat
	.globl	_ZN2at6native12_GLOBAL__N_126cunn_SpatialSoftMaxForwardIN3c104HalfEfS4_iNS1_22SoftMaxForwardEpilogueEEEvPT1_PKT_T2_SB_SB_ ; -- Begin function _ZN2at6native12_GLOBAL__N_126cunn_SpatialSoftMaxForwardIN3c104HalfEfS4_iNS1_22SoftMaxForwardEpilogueEEEvPT1_PKT_T2_SB_SB_
	.p2align	8
	.type	_ZN2at6native12_GLOBAL__N_126cunn_SpatialSoftMaxForwardIN3c104HalfEfS4_iNS1_22SoftMaxForwardEpilogueEEEvPT1_PKT_T2_SB_SB_,@function
_ZN2at6native12_GLOBAL__N_126cunn_SpatialSoftMaxForwardIN3c104HalfEfS4_iNS1_22SoftMaxForwardEpilogueEEEvPT1_PKT_T2_SB_SB_: ; @_ZN2at6native12_GLOBAL__N_126cunn_SpatialSoftMaxForwardIN3c104HalfEfS4_iNS1_22SoftMaxForwardEpilogueEEEvPT1_PKT_T2_SB_SB_
; %bb.0:
	s_load_dwordx4 s[8:11], s[4:5], 0x10
	s_waitcnt lgkmcnt(0)
	s_cmp_ge_i32 s6, s8
	s_cbranch_scc1 .LBB514_40
; %bb.1:
	s_load_dword s0, s[4:5], 0x2c
	s_load_dwordx4 s[12:15], s[4:5], 0x0
	s_load_dwordx2 s[18:19], s[4:5], 0x20
	s_add_u32 s16, s4, 32
	s_addc_u32 s17, s5, 0
	v_and_b32_e32 v4, 0x3ff, v0
	s_waitcnt lgkmcnt(0)
	s_lshr_b32 s4, s0, 16
	s_mul_i32 s5, s7, s4
	s_mul_i32 s7, s19, s4
	;; [unrolled: 1-line block ×3, first 2 shown]
	v_bfe_u32 v2, v0, 10, 10
	v_add_u32_e32 v0, s4, v4
	v_add_u32_e32 v3, s5, v2
	v_mul_lo_u32 v0, s10, v0
	s_mul_i32 s11, s18, s10
	v_cmp_gt_i32_e64 s[0:1], s10, v3
	v_cmp_gt_i32_e64 s[2:3], s9, v4
	v_add3_u32 v5, v2, v0, s5
	s_mul_i32 s11, s11, s9
	s_mov_b32 s19, 0x3fb8aa3b
	s_mov_b32 s30, 0xc2ce8ed0
	;; [unrolled: 1-line block ×3, first 2 shown]
	v_mov_b32_e32 v6, 0x7f800000
	s_branch .LBB514_3
.LBB514_2:                              ;   in Loop: Header=BB514_3 Depth=1
	s_or_b64 exec, exec, s[20:21]
	s_add_i32 s6, s18, s6
	s_cmp_ge_i32 s6, s8
	v_add_u32_e32 v5, s11, v5
	s_cbranch_scc1 .LBB514_40
.LBB514_3:                              ; =>This Loop Header: Depth=1
                                        ;     Child Loop BB514_7 Depth 2
                                        ;       Child Loop BB514_12 Depth 3
                                        ;       Child Loop BB514_15 Depth 3
	;; [unrolled: 1-line block ×8, first 2 shown]
	s_and_saveexec_b64 s[20:21], s[0:1]
	s_cbranch_execz .LBB514_2
; %bb.4:                                ;   in Loop: Header=BB514_3 Depth=1
	s_load_dword s4, s[16:17], 0xc
	s_mov_b64 s[22:23], 0
	v_mov_b32_e32 v9, v5
	v_mov_b32_e32 v10, v3
	s_waitcnt lgkmcnt(0)
	s_and_b32 s33, s4, 0xffff
	v_mul_u32_u24_e32 v0, s33, v2
	s_cmp_lt_u32 s33, 2
	v_lshl_add_u32 v7, v0, 2, 0
	s_mul_i32 s34, s10, s33
	s_cselect_b64 s[24:25], -1, 0
	v_lshl_add_u32 v8, v4, 2, v7
	s_branch .LBB514_7
.LBB514_5:                              ;   in Loop: Header=BB514_7 Depth=2
	s_or_b64 exec, exec, s[26:27]
.LBB514_6:                              ;   in Loop: Header=BB514_7 Depth=2
	v_add_u32_e32 v10, s7, v10
	v_cmp_le_i32_e32 vcc, s10, v10
	s_or_b64 s[22:23], vcc, s[22:23]
	v_add_u32_e32 v9, s7, v9
	s_andn2_b64 exec, exec, s[22:23]
	s_cbranch_execz .LBB514_2
.LBB514_7:                              ;   Parent Loop BB514_3 Depth=1
                                        ; =>  This Loop Header: Depth=2
                                        ;       Child Loop BB514_12 Depth 3
                                        ;       Child Loop BB514_15 Depth 3
	;; [unrolled: 1-line block ×8, first 2 shown]
	s_mov_b64 s[4:5], -1
	s_and_b64 vcc, exec, s[24:25]
	s_cbranch_vccz .LBB514_20
; %bb.8:                                ;   in Loop: Header=BB514_7 Depth=2
	v_mov_b32_e32 v11, 0xff7fffff
	s_and_saveexec_b64 s[4:5], s[2:3]
	s_cbranch_execnz .LBB514_11
; %bb.9:                                ;   in Loop: Header=BB514_7 Depth=2
	s_or_b64 exec, exec, s[4:5]
	v_mov_b32_e32 v12, 0
	s_and_saveexec_b64 s[4:5], s[2:3]
	s_cbranch_execnz .LBB514_14
.LBB514_10:                             ;   in Loop: Header=BB514_7 Depth=2
	s_or_b64 exec, exec, s[4:5]
	s_and_saveexec_b64 s[26:27], s[2:3]
	s_cbranch_execnz .LBB514_17
	s_branch .LBB514_19
.LBB514_11:                             ;   in Loop: Header=BB514_7 Depth=2
	s_mov_b64 s[26:27], 0
	v_mov_b32_e32 v11, 0xff7fffff
	v_mov_b32_e32 v0, v9
	;; [unrolled: 1-line block ×3, first 2 shown]
.LBB514_12:                             ;   Parent Loop BB514_3 Depth=1
                                        ;     Parent Loop BB514_7 Depth=2
                                        ; =>    This Inner Loop Header: Depth=3
	v_ashrrev_i32_e32 v1, 31, v0
	v_lshlrev_b64 v[14:15], 1, v[0:1]
	v_mov_b32_e32 v13, s15
	v_add_co_u32_e32 v14, vcc, s14, v14
	v_addc_co_u32_e32 v15, vcc, v13, v15, vcc
	global_load_ushort v1, v[14:15], off
	v_add_u32_e32 v12, s33, v12
	v_cmp_le_i32_e32 vcc, s9, v12
	s_or_b64 s[26:27], vcc, s[26:27]
	v_add_u32_e32 v0, s34, v0
	s_waitcnt vmcnt(0)
	v_cvt_f32_f16_e32 v1, v1
	v_cmp_lt_f32_e32 vcc, v11, v1
	v_cndmask_b32_e32 v11, v11, v1, vcc
	s_andn2_b64 exec, exec, s[26:27]
	s_cbranch_execnz .LBB514_12
; %bb.13:                               ;   in Loop: Header=BB514_7 Depth=2
	s_or_b64 exec, exec, s[26:27]
	s_or_b64 exec, exec, s[4:5]
	v_mov_b32_e32 v12, 0
	s_and_saveexec_b64 s[4:5], s[2:3]
	s_cbranch_execz .LBB514_10
.LBB514_14:                             ;   in Loop: Header=BB514_7 Depth=2
	s_mov_b64 s[26:27], 0
	v_mov_b32_e32 v12, 0
	v_mov_b32_e32 v0, v9
	;; [unrolled: 1-line block ×3, first 2 shown]
.LBB514_15:                             ;   Parent Loop BB514_3 Depth=1
                                        ;     Parent Loop BB514_7 Depth=2
                                        ; =>    This Inner Loop Header: Depth=3
	v_ashrrev_i32_e32 v1, 31, v0
	v_lshlrev_b64 v[14:15], 1, v[0:1]
	v_mov_b32_e32 v1, s15
	v_add_co_u32_e32 v14, vcc, s14, v14
	v_addc_co_u32_e32 v15, vcc, v1, v15, vcc
	global_load_ushort v1, v[14:15], off
	v_add_u32_e32 v13, s33, v13
	v_cmp_le_i32_e32 vcc, s9, v13
	s_or_b64 s[26:27], vcc, s[26:27]
	v_add_u32_e32 v0, s34, v0
	s_waitcnt vmcnt(0)
	v_cvt_f32_f16_e32 v1, v1
	v_sub_f32_e32 v1, v1, v11
	v_mul_f32_e32 v14, 0x3fb8aa3b, v1
	v_fma_f32 v15, v1, s19, -v14
	v_rndne_f32_e32 v16, v14
	v_fmac_f32_e32 v15, 0x32a5705f, v1
	v_sub_f32_e32 v14, v14, v16
	v_add_f32_e32 v14, v14, v15
	v_cvt_i32_f32_e32 v16, v16
	v_exp_f32_e32 v14, v14
	v_cmp_ngt_f32_e32 vcc, s30, v1
	v_ldexp_f32 v14, v14, v16
	v_cndmask_b32_e32 v14, 0, v14, vcc
	v_cmp_nlt_f32_e32 vcc, s31, v1
	v_cndmask_b32_e32 v1, v6, v14, vcc
	v_add_f32_e32 v12, v12, v1
	s_andn2_b64 exec, exec, s[26:27]
	s_cbranch_execnz .LBB514_15
; %bb.16:                               ;   in Loop: Header=BB514_7 Depth=2
	s_or_b64 exec, exec, s[26:27]
	s_or_b64 exec, exec, s[4:5]
	s_and_saveexec_b64 s[26:27], s[2:3]
	s_cbranch_execz .LBB514_19
.LBB514_17:                             ;   in Loop: Header=BB514_7 Depth=2
	s_mov_b64 s[28:29], 0
	v_mov_b32_e32 v0, v9
	v_mov_b32_e32 v13, v4
.LBB514_18:                             ;   Parent Loop BB514_3 Depth=1
                                        ;     Parent Loop BB514_7 Depth=2
                                        ; =>    This Inner Loop Header: Depth=3
	v_ashrrev_i32_e32 v1, 31, v0
	v_lshlrev_b64 v[14:15], 1, v[0:1]
	v_mov_b32_e32 v1, s15
	v_add_co_u32_e32 v16, vcc, s14, v14
	v_addc_co_u32_e32 v17, vcc, v1, v15, vcc
	global_load_ushort v1, v[16:17], off
	v_add_u32_e32 v13, s33, v13
	v_add_u32_e32 v0, s34, v0
	s_waitcnt vmcnt(0)
	v_cvt_f32_f16_e32 v1, v1
	v_sub_f32_e32 v1, v1, v11
	v_mul_f32_e32 v16, 0x3fb8aa3b, v1
	v_fma_f32 v17, v1, s19, -v16
	v_rndne_f32_e32 v18, v16
	v_fmac_f32_e32 v17, 0x32a5705f, v1
	v_sub_f32_e32 v16, v16, v18
	v_add_f32_e32 v16, v16, v17
	v_cvt_i32_f32_e32 v18, v18
	v_exp_f32_e32 v16, v16
	v_cmp_ngt_f32_e32 vcc, s30, v1
	v_mov_b32_e32 v17, s13
	v_ldexp_f32 v16, v16, v18
	v_cndmask_b32_e32 v16, 0, v16, vcc
	v_cmp_nlt_f32_e32 vcc, s31, v1
	v_cndmask_b32_e32 v1, v6, v16, vcc
	v_div_scale_f32 v16, s[4:5], v12, v12, v1
	v_rcp_f32_e32 v18, v16
	v_div_scale_f32 v19, vcc, v1, v12, v1
	v_cmp_le_i32_e64 s[4:5], s9, v13
	v_fma_f32 v20, -v16, v18, 1.0
	v_fmac_f32_e32 v18, v20, v18
	v_mul_f32_e32 v20, v19, v18
	v_fma_f32 v21, -v16, v20, v19
	v_fmac_f32_e32 v20, v21, v18
	v_fma_f32 v16, -v16, v20, v19
	v_div_fmas_f32 v16, v16, v18, v20
	v_div_fixup_f32 v1, v16, v12, v1
	v_cvt_f16_f32_e32 v1, v1
	v_add_co_u32_e32 v14, vcc, s12, v14
	v_addc_co_u32_e32 v15, vcc, v17, v15, vcc
	s_or_b64 s[28:29], s[4:5], s[28:29]
	global_store_short v[14:15], v1, off
	s_andn2_b64 exec, exec, s[28:29]
	s_cbranch_execnz .LBB514_18
.LBB514_19:                             ;   in Loop: Header=BB514_7 Depth=2
	s_or_b64 exec, exec, s[26:27]
	s_mov_b64 s[4:5], 0
.LBB514_20:                             ;   in Loop: Header=BB514_7 Depth=2
	s_and_b64 vcc, exec, s[4:5]
	s_cbranch_vccz .LBB514_6
; %bb.21:                               ;   in Loop: Header=BB514_7 Depth=2
	v_mov_b32_e32 v11, 0xff7fffff
	s_and_saveexec_b64 s[4:5], s[2:3]
	s_cbranch_execz .LBB514_25
; %bb.22:                               ;   in Loop: Header=BB514_7 Depth=2
	s_mov_b64 s[26:27], 0
	v_mov_b32_e32 v11, 0xff7fffff
	v_mov_b32_e32 v0, v9
	;; [unrolled: 1-line block ×3, first 2 shown]
.LBB514_23:                             ;   Parent Loop BB514_3 Depth=1
                                        ;     Parent Loop BB514_7 Depth=2
                                        ; =>    This Inner Loop Header: Depth=3
	v_ashrrev_i32_e32 v1, 31, v0
	v_lshlrev_b64 v[14:15], 1, v[0:1]
	v_mov_b32_e32 v13, s15
	v_add_co_u32_e32 v14, vcc, s14, v14
	v_addc_co_u32_e32 v15, vcc, v13, v15, vcc
	global_load_ushort v1, v[14:15], off
	v_add_u32_e32 v12, s33, v12
	v_cmp_le_i32_e32 vcc, s9, v12
	s_or_b64 s[26:27], vcc, s[26:27]
	v_add_u32_e32 v0, s34, v0
	s_waitcnt vmcnt(0)
	v_cvt_f32_f16_e32 v1, v1
	v_cmp_lt_f32_e32 vcc, v11, v1
	v_cndmask_b32_e32 v11, v11, v1, vcc
	s_andn2_b64 exec, exec, s[26:27]
	s_cbranch_execnz .LBB514_23
; %bb.24:                               ;   in Loop: Header=BB514_7 Depth=2
	s_or_b64 exec, exec, s[26:27]
.LBB514_25:                             ;   in Loop: Header=BB514_7 Depth=2
	s_or_b64 exec, exec, s[4:5]
	s_mov_b32 s26, s33
	s_barrier
	ds_write_b32 v8, v11
	s_branch .LBB514_27
.LBB514_26:                             ;   in Loop: Header=BB514_27 Depth=3
	s_or_b64 exec, exec, s[4:5]
	s_cmp_gt_u32 s26, 3
	s_mov_b32 s26, s27
	s_cbranch_scc0 .LBB514_29
.LBB514_27:                             ;   Parent Loop BB514_3 Depth=1
                                        ;     Parent Loop BB514_7 Depth=2
                                        ; =>    This Inner Loop Header: Depth=3
	s_lshr_b32 s27, s26, 1
	v_cmp_gt_u32_e32 vcc, s27, v4
	s_waitcnt lgkmcnt(0)
	s_barrier
	s_and_saveexec_b64 s[4:5], vcc
	s_cbranch_execz .LBB514_26
; %bb.28:                               ;   in Loop: Header=BB514_27 Depth=3
	v_lshl_add_u32 v0, s27, 2, v8
	ds_read_b32 v1, v8
	ds_read_b32 v0, v0
	s_waitcnt lgkmcnt(0)
	v_cmp_lt_f32_e32 vcc, v1, v0
	v_cndmask_b32_e32 v0, v1, v0, vcc
	ds_write_b32 v8, v0
	s_branch .LBB514_26
.LBB514_29:                             ;   in Loop: Header=BB514_7 Depth=2
	s_waitcnt lgkmcnt(0)
	s_barrier
	ds_read_b32 v11, v7
	v_mov_b32_e32 v12, 0
	s_and_saveexec_b64 s[4:5], s[2:3]
	s_cbranch_execz .LBB514_33
; %bb.30:                               ;   in Loop: Header=BB514_7 Depth=2
	s_mov_b64 s[26:27], 0
	v_mov_b32_e32 v12, 0
	v_mov_b32_e32 v0, v9
	;; [unrolled: 1-line block ×3, first 2 shown]
.LBB514_31:                             ;   Parent Loop BB514_3 Depth=1
                                        ;     Parent Loop BB514_7 Depth=2
                                        ; =>    This Inner Loop Header: Depth=3
	v_ashrrev_i32_e32 v1, 31, v0
	v_lshlrev_b64 v[14:15], 1, v[0:1]
	v_mov_b32_e32 v1, s15
	v_add_co_u32_e32 v14, vcc, s14, v14
	v_addc_co_u32_e32 v15, vcc, v1, v15, vcc
	global_load_ushort v1, v[14:15], off
	v_add_u32_e32 v13, s33, v13
	v_cmp_le_i32_e32 vcc, s9, v13
	s_or_b64 s[26:27], vcc, s[26:27]
	v_add_u32_e32 v0, s34, v0
	s_waitcnt vmcnt(0)
	v_cvt_f32_f16_e32 v1, v1
	s_waitcnt lgkmcnt(0)
	v_sub_f32_e32 v1, v1, v11
	v_mul_f32_e32 v14, 0x3fb8aa3b, v1
	v_fma_f32 v15, v1, s19, -v14
	v_rndne_f32_e32 v16, v14
	v_fmac_f32_e32 v15, 0x32a5705f, v1
	v_sub_f32_e32 v14, v14, v16
	v_add_f32_e32 v14, v14, v15
	v_cvt_i32_f32_e32 v16, v16
	v_exp_f32_e32 v14, v14
	v_cmp_ngt_f32_e32 vcc, s30, v1
	v_ldexp_f32 v14, v14, v16
	v_cndmask_b32_e32 v14, 0, v14, vcc
	v_cmp_nlt_f32_e32 vcc, s31, v1
	v_cndmask_b32_e32 v1, v6, v14, vcc
	v_add_f32_e32 v12, v12, v1
	s_andn2_b64 exec, exec, s[26:27]
	s_cbranch_execnz .LBB514_31
; %bb.32:                               ;   in Loop: Header=BB514_7 Depth=2
	s_or_b64 exec, exec, s[26:27]
.LBB514_33:                             ;   in Loop: Header=BB514_7 Depth=2
	s_or_b64 exec, exec, s[4:5]
	s_mov_b32 s26, s33
	s_waitcnt lgkmcnt(0)
	s_barrier
	ds_write_b32 v8, v12
	s_branch .LBB514_35
.LBB514_34:                             ;   in Loop: Header=BB514_35 Depth=3
	s_or_b64 exec, exec, s[4:5]
	s_cmp_gt_u32 s26, 3
	s_mov_b32 s26, s27
	s_cbranch_scc0 .LBB514_37
.LBB514_35:                             ;   Parent Loop BB514_3 Depth=1
                                        ;     Parent Loop BB514_7 Depth=2
                                        ; =>    This Inner Loop Header: Depth=3
	s_lshr_b32 s27, s26, 1
	v_cmp_gt_u32_e32 vcc, s27, v4
	s_waitcnt lgkmcnt(0)
	s_barrier
	s_and_saveexec_b64 s[4:5], vcc
	s_cbranch_execz .LBB514_34
; %bb.36:                               ;   in Loop: Header=BB514_35 Depth=3
	v_lshl_add_u32 v0, s27, 2, v8
	ds_read_b32 v1, v8
	ds_read_b32 v0, v0
	s_waitcnt lgkmcnt(0)
	v_add_f32_e32 v0, v1, v0
	ds_write_b32 v8, v0
	s_branch .LBB514_34
.LBB514_37:                             ;   in Loop: Header=BB514_7 Depth=2
	s_waitcnt lgkmcnt(0)
	s_barrier
	s_and_saveexec_b64 s[26:27], s[2:3]
	s_cbranch_execz .LBB514_5
; %bb.38:                               ;   in Loop: Header=BB514_7 Depth=2
	ds_read_b32 v12, v7
	s_mov_b64 s[28:29], 0
	v_mov_b32_e32 v0, v9
	v_mov_b32_e32 v13, v4
.LBB514_39:                             ;   Parent Loop BB514_3 Depth=1
                                        ;     Parent Loop BB514_7 Depth=2
                                        ; =>    This Inner Loop Header: Depth=3
	v_ashrrev_i32_e32 v1, 31, v0
	v_lshlrev_b64 v[14:15], 1, v[0:1]
	v_mov_b32_e32 v1, s15
	v_add_co_u32_e32 v16, vcc, s14, v14
	v_addc_co_u32_e32 v17, vcc, v1, v15, vcc
	global_load_ushort v1, v[16:17], off
	v_add_u32_e32 v13, s33, v13
	v_add_u32_e32 v0, s34, v0
	s_waitcnt vmcnt(0)
	v_cvt_f32_f16_e32 v1, v1
	v_sub_f32_e32 v1, v1, v11
	v_mul_f32_e32 v16, 0x3fb8aa3b, v1
	v_fma_f32 v17, v1, s19, -v16
	v_rndne_f32_e32 v18, v16
	v_fmac_f32_e32 v17, 0x32a5705f, v1
	v_sub_f32_e32 v16, v16, v18
	v_add_f32_e32 v16, v16, v17
	v_cvt_i32_f32_e32 v18, v18
	v_exp_f32_e32 v16, v16
	v_cmp_ngt_f32_e32 vcc, s30, v1
	v_mov_b32_e32 v17, s13
	v_ldexp_f32 v16, v16, v18
	v_cndmask_b32_e32 v16, 0, v16, vcc
	v_cmp_nlt_f32_e32 vcc, s31, v1
	v_cndmask_b32_e32 v1, v6, v16, vcc
	s_waitcnt lgkmcnt(0)
	v_div_scale_f32 v16, s[4:5], v12, v12, v1
	v_rcp_f32_e32 v18, v16
	v_div_scale_f32 v19, vcc, v1, v12, v1
	v_cmp_le_i32_e64 s[4:5], s9, v13
	v_fma_f32 v20, -v16, v18, 1.0
	v_fmac_f32_e32 v18, v20, v18
	v_mul_f32_e32 v20, v19, v18
	v_fma_f32 v21, -v16, v20, v19
	v_fmac_f32_e32 v20, v21, v18
	v_fma_f32 v16, -v16, v20, v19
	v_div_fmas_f32 v16, v16, v18, v20
	v_div_fixup_f32 v1, v16, v12, v1
	v_cvt_f16_f32_e32 v1, v1
	v_add_co_u32_e32 v14, vcc, s12, v14
	v_addc_co_u32_e32 v15, vcc, v17, v15, vcc
	s_or_b64 s[28:29], s[4:5], s[28:29]
	global_store_short v[14:15], v1, off
	s_andn2_b64 exec, exec, s[28:29]
	s_cbranch_execnz .LBB514_39
	s_branch .LBB514_5
.LBB514_40:
	s_endpgm
	.section	.rodata,"a",@progbits
	.p2align	6, 0x0
	.amdhsa_kernel _ZN2at6native12_GLOBAL__N_126cunn_SpatialSoftMaxForwardIN3c104HalfEfS4_iNS1_22SoftMaxForwardEpilogueEEEvPT1_PKT_T2_SB_SB_
		.amdhsa_group_segment_fixed_size 0
		.amdhsa_private_segment_fixed_size 0
		.amdhsa_kernarg_size 288
		.amdhsa_user_sgpr_count 6
		.amdhsa_user_sgpr_private_segment_buffer 1
		.amdhsa_user_sgpr_dispatch_ptr 0
		.amdhsa_user_sgpr_queue_ptr 0
		.amdhsa_user_sgpr_kernarg_segment_ptr 1
		.amdhsa_user_sgpr_dispatch_id 0
		.amdhsa_user_sgpr_flat_scratch_init 0
		.amdhsa_user_sgpr_kernarg_preload_length 0
		.amdhsa_user_sgpr_kernarg_preload_offset 0
		.amdhsa_user_sgpr_private_segment_size 0
		.amdhsa_uses_dynamic_stack 0
		.amdhsa_system_sgpr_private_segment_wavefront_offset 0
		.amdhsa_system_sgpr_workgroup_id_x 1
		.amdhsa_system_sgpr_workgroup_id_y 1
		.amdhsa_system_sgpr_workgroup_id_z 0
		.amdhsa_system_sgpr_workgroup_info 0
		.amdhsa_system_vgpr_workitem_id 1
		.amdhsa_next_free_vgpr 22
		.amdhsa_next_free_sgpr 35
		.amdhsa_accum_offset 24
		.amdhsa_reserve_vcc 1
		.amdhsa_reserve_flat_scratch 0
		.amdhsa_float_round_mode_32 0
		.amdhsa_float_round_mode_16_64 0
		.amdhsa_float_denorm_mode_32 3
		.amdhsa_float_denorm_mode_16_64 3
		.amdhsa_dx10_clamp 1
		.amdhsa_ieee_mode 1
		.amdhsa_fp16_overflow 0
		.amdhsa_tg_split 0
		.amdhsa_exception_fp_ieee_invalid_op 0
		.amdhsa_exception_fp_denorm_src 0
		.amdhsa_exception_fp_ieee_div_zero 0
		.amdhsa_exception_fp_ieee_overflow 0
		.amdhsa_exception_fp_ieee_underflow 0
		.amdhsa_exception_fp_ieee_inexact 0
		.amdhsa_exception_int_div_zero 0
	.end_amdhsa_kernel
	.section	.text._ZN2at6native12_GLOBAL__N_126cunn_SpatialSoftMaxForwardIN3c104HalfEfS4_iNS1_22SoftMaxForwardEpilogueEEEvPT1_PKT_T2_SB_SB_,"axG",@progbits,_ZN2at6native12_GLOBAL__N_126cunn_SpatialSoftMaxForwardIN3c104HalfEfS4_iNS1_22SoftMaxForwardEpilogueEEEvPT1_PKT_T2_SB_SB_,comdat
.Lfunc_end514:
	.size	_ZN2at6native12_GLOBAL__N_126cunn_SpatialSoftMaxForwardIN3c104HalfEfS4_iNS1_22SoftMaxForwardEpilogueEEEvPT1_PKT_T2_SB_SB_, .Lfunc_end514-_ZN2at6native12_GLOBAL__N_126cunn_SpatialSoftMaxForwardIN3c104HalfEfS4_iNS1_22SoftMaxForwardEpilogueEEEvPT1_PKT_T2_SB_SB_
                                        ; -- End function
	.section	.AMDGPU.csdata,"",@progbits
; Kernel info:
; codeLenInByte = 1716
; NumSgprs: 39
; NumVgprs: 22
; NumAgprs: 0
; TotalNumVgprs: 22
; ScratchSize: 0
; MemoryBound: 0
; FloatMode: 240
; IeeeMode: 1
; LDSByteSize: 0 bytes/workgroup (compile time only)
; SGPRBlocks: 4
; VGPRBlocks: 2
; NumSGPRsForWavesPerEU: 39
; NumVGPRsForWavesPerEU: 22
; AccumOffset: 24
; Occupancy: 8
; WaveLimiterHint : 0
; COMPUTE_PGM_RSRC2:SCRATCH_EN: 0
; COMPUTE_PGM_RSRC2:USER_SGPR: 6
; COMPUTE_PGM_RSRC2:TRAP_HANDLER: 0
; COMPUTE_PGM_RSRC2:TGID_X_EN: 1
; COMPUTE_PGM_RSRC2:TGID_Y_EN: 1
; COMPUTE_PGM_RSRC2:TGID_Z_EN: 0
; COMPUTE_PGM_RSRC2:TIDIG_COMP_CNT: 1
; COMPUTE_PGM_RSRC3_GFX90A:ACCUM_OFFSET: 5
; COMPUTE_PGM_RSRC3_GFX90A:TG_SPLIT: 0
	.section	.text._ZN2at6native12_GLOBAL__N_126cunn_SpatialSoftMaxForwardIN3c104HalfEffiNS1_22SoftMaxForwardEpilogueEEEvPT1_PKT_T2_SB_SB_,"axG",@progbits,_ZN2at6native12_GLOBAL__N_126cunn_SpatialSoftMaxForwardIN3c104HalfEffiNS1_22SoftMaxForwardEpilogueEEEvPT1_PKT_T2_SB_SB_,comdat
	.globl	_ZN2at6native12_GLOBAL__N_126cunn_SpatialSoftMaxForwardIN3c104HalfEffiNS1_22SoftMaxForwardEpilogueEEEvPT1_PKT_T2_SB_SB_ ; -- Begin function _ZN2at6native12_GLOBAL__N_126cunn_SpatialSoftMaxForwardIN3c104HalfEffiNS1_22SoftMaxForwardEpilogueEEEvPT1_PKT_T2_SB_SB_
	.p2align	8
	.type	_ZN2at6native12_GLOBAL__N_126cunn_SpatialSoftMaxForwardIN3c104HalfEffiNS1_22SoftMaxForwardEpilogueEEEvPT1_PKT_T2_SB_SB_,@function
_ZN2at6native12_GLOBAL__N_126cunn_SpatialSoftMaxForwardIN3c104HalfEffiNS1_22SoftMaxForwardEpilogueEEEvPT1_PKT_T2_SB_SB_: ; @_ZN2at6native12_GLOBAL__N_126cunn_SpatialSoftMaxForwardIN3c104HalfEffiNS1_22SoftMaxForwardEpilogueEEEvPT1_PKT_T2_SB_SB_
; %bb.0:
	s_load_dwordx4 s[8:11], s[4:5], 0x10
	s_waitcnt lgkmcnt(0)
	s_cmp_ge_i32 s6, s8
	s_cbranch_scc1 .LBB515_40
; %bb.1:
	s_load_dword s0, s[4:5], 0x2c
	s_load_dwordx4 s[12:15], s[4:5], 0x0
	s_load_dwordx2 s[18:19], s[4:5], 0x20
	s_add_u32 s16, s4, 32
	s_addc_u32 s17, s5, 0
	v_and_b32_e32 v4, 0x3ff, v0
	s_waitcnt lgkmcnt(0)
	s_lshr_b32 s4, s0, 16
	s_mul_i32 s5, s7, s4
	s_mul_i32 s7, s19, s4
	;; [unrolled: 1-line block ×3, first 2 shown]
	v_bfe_u32 v2, v0, 10, 10
	v_add_u32_e32 v0, s4, v4
	v_add_u32_e32 v3, s5, v2
	v_mul_lo_u32 v0, s10, v0
	s_mul_i32 s11, s18, s10
	v_cmp_gt_i32_e64 s[0:1], s10, v3
	v_cmp_gt_i32_e64 s[2:3], s9, v4
	v_add3_u32 v5, v2, v0, s5
	s_mul_i32 s11, s11, s9
	s_mov_b32 s19, 0x3fb8aa3b
	s_mov_b32 s30, 0xc2ce8ed0
	;; [unrolled: 1-line block ×3, first 2 shown]
	v_mov_b32_e32 v6, 0x7f800000
	s_branch .LBB515_3
.LBB515_2:                              ;   in Loop: Header=BB515_3 Depth=1
	s_or_b64 exec, exec, s[20:21]
	s_add_i32 s6, s18, s6
	s_cmp_ge_i32 s6, s8
	v_add_u32_e32 v5, s11, v5
	s_cbranch_scc1 .LBB515_40
.LBB515_3:                              ; =>This Loop Header: Depth=1
                                        ;     Child Loop BB515_7 Depth 2
                                        ;       Child Loop BB515_12 Depth 3
                                        ;       Child Loop BB515_15 Depth 3
	;; [unrolled: 1-line block ×8, first 2 shown]
	s_and_saveexec_b64 s[20:21], s[0:1]
	s_cbranch_execz .LBB515_2
; %bb.4:                                ;   in Loop: Header=BB515_3 Depth=1
	s_load_dword s4, s[16:17], 0xc
	s_mov_b64 s[22:23], 0
	v_mov_b32_e32 v9, v5
	v_mov_b32_e32 v10, v3
	s_waitcnt lgkmcnt(0)
	s_and_b32 s33, s4, 0xffff
	v_mul_u32_u24_e32 v0, s33, v2
	s_cmp_lt_u32 s33, 2
	v_lshl_add_u32 v7, v0, 2, 0
	s_mul_i32 s34, s10, s33
	s_cselect_b64 s[24:25], -1, 0
	v_lshl_add_u32 v8, v4, 2, v7
	s_branch .LBB515_7
.LBB515_5:                              ;   in Loop: Header=BB515_7 Depth=2
	s_or_b64 exec, exec, s[26:27]
.LBB515_6:                              ;   in Loop: Header=BB515_7 Depth=2
	v_add_u32_e32 v10, s7, v10
	v_cmp_le_i32_e32 vcc, s10, v10
	s_or_b64 s[22:23], vcc, s[22:23]
	v_add_u32_e32 v9, s7, v9
	s_andn2_b64 exec, exec, s[22:23]
	s_cbranch_execz .LBB515_2
.LBB515_7:                              ;   Parent Loop BB515_3 Depth=1
                                        ; =>  This Loop Header: Depth=2
                                        ;       Child Loop BB515_12 Depth 3
                                        ;       Child Loop BB515_15 Depth 3
	;; [unrolled: 1-line block ×8, first 2 shown]
	s_mov_b64 s[4:5], -1
	s_and_b64 vcc, exec, s[24:25]
	s_cbranch_vccz .LBB515_20
; %bb.8:                                ;   in Loop: Header=BB515_7 Depth=2
	v_mov_b32_e32 v11, 0xff7fffff
	s_and_saveexec_b64 s[4:5], s[2:3]
	s_cbranch_execnz .LBB515_11
; %bb.9:                                ;   in Loop: Header=BB515_7 Depth=2
	s_or_b64 exec, exec, s[4:5]
	v_mov_b32_e32 v12, 0
	s_and_saveexec_b64 s[4:5], s[2:3]
	s_cbranch_execnz .LBB515_14
.LBB515_10:                             ;   in Loop: Header=BB515_7 Depth=2
	s_or_b64 exec, exec, s[4:5]
	s_and_saveexec_b64 s[26:27], s[2:3]
	s_cbranch_execnz .LBB515_17
	s_branch .LBB515_19
.LBB515_11:                             ;   in Loop: Header=BB515_7 Depth=2
	s_mov_b64 s[26:27], 0
	v_mov_b32_e32 v11, 0xff7fffff
	v_mov_b32_e32 v0, v9
	;; [unrolled: 1-line block ×3, first 2 shown]
.LBB515_12:                             ;   Parent Loop BB515_3 Depth=1
                                        ;     Parent Loop BB515_7 Depth=2
                                        ; =>    This Inner Loop Header: Depth=3
	v_ashrrev_i32_e32 v1, 31, v0
	v_lshlrev_b64 v[14:15], 1, v[0:1]
	v_mov_b32_e32 v13, s15
	v_add_co_u32_e32 v14, vcc, s14, v14
	v_addc_co_u32_e32 v15, vcc, v13, v15, vcc
	global_load_ushort v1, v[14:15], off
	v_add_u32_e32 v12, s33, v12
	v_cmp_le_i32_e32 vcc, s9, v12
	s_or_b64 s[26:27], vcc, s[26:27]
	v_add_u32_e32 v0, s34, v0
	s_waitcnt vmcnt(0)
	v_cvt_f32_f16_e32 v1, v1
	v_cmp_lt_f32_e32 vcc, v11, v1
	v_cndmask_b32_e32 v11, v11, v1, vcc
	s_andn2_b64 exec, exec, s[26:27]
	s_cbranch_execnz .LBB515_12
; %bb.13:                               ;   in Loop: Header=BB515_7 Depth=2
	s_or_b64 exec, exec, s[26:27]
	s_or_b64 exec, exec, s[4:5]
	v_mov_b32_e32 v12, 0
	s_and_saveexec_b64 s[4:5], s[2:3]
	s_cbranch_execz .LBB515_10
.LBB515_14:                             ;   in Loop: Header=BB515_7 Depth=2
	s_mov_b64 s[26:27], 0
	v_mov_b32_e32 v12, 0
	v_mov_b32_e32 v0, v9
	;; [unrolled: 1-line block ×3, first 2 shown]
.LBB515_15:                             ;   Parent Loop BB515_3 Depth=1
                                        ;     Parent Loop BB515_7 Depth=2
                                        ; =>    This Inner Loop Header: Depth=3
	v_ashrrev_i32_e32 v1, 31, v0
	v_lshlrev_b64 v[14:15], 1, v[0:1]
	v_mov_b32_e32 v1, s15
	v_add_co_u32_e32 v14, vcc, s14, v14
	v_addc_co_u32_e32 v15, vcc, v1, v15, vcc
	global_load_ushort v1, v[14:15], off
	v_add_u32_e32 v13, s33, v13
	v_cmp_le_i32_e32 vcc, s9, v13
	s_or_b64 s[26:27], vcc, s[26:27]
	v_add_u32_e32 v0, s34, v0
	s_waitcnt vmcnt(0)
	v_cvt_f32_f16_e32 v1, v1
	v_sub_f32_e32 v1, v1, v11
	v_mul_f32_e32 v14, 0x3fb8aa3b, v1
	v_fma_f32 v15, v1, s19, -v14
	v_rndne_f32_e32 v16, v14
	v_fmac_f32_e32 v15, 0x32a5705f, v1
	v_sub_f32_e32 v14, v14, v16
	v_add_f32_e32 v14, v14, v15
	v_cvt_i32_f32_e32 v16, v16
	v_exp_f32_e32 v14, v14
	v_cmp_ngt_f32_e32 vcc, s30, v1
	v_ldexp_f32 v14, v14, v16
	v_cndmask_b32_e32 v14, 0, v14, vcc
	v_cmp_nlt_f32_e32 vcc, s31, v1
	v_cndmask_b32_e32 v1, v6, v14, vcc
	v_add_f32_e32 v12, v12, v1
	s_andn2_b64 exec, exec, s[26:27]
	s_cbranch_execnz .LBB515_15
; %bb.16:                               ;   in Loop: Header=BB515_7 Depth=2
	s_or_b64 exec, exec, s[26:27]
	s_or_b64 exec, exec, s[4:5]
	s_and_saveexec_b64 s[26:27], s[2:3]
	s_cbranch_execz .LBB515_19
.LBB515_17:                             ;   in Loop: Header=BB515_7 Depth=2
	s_mov_b64 s[28:29], 0
	v_mov_b32_e32 v0, v9
	v_mov_b32_e32 v13, v4
.LBB515_18:                             ;   Parent Loop BB515_3 Depth=1
                                        ;     Parent Loop BB515_7 Depth=2
                                        ; =>    This Inner Loop Header: Depth=3
	v_ashrrev_i32_e32 v1, 31, v0
	v_lshlrev_b64 v[14:15], 1, v[0:1]
	v_mov_b32_e32 v16, s15
	v_add_co_u32_e32 v14, vcc, s14, v14
	v_addc_co_u32_e32 v15, vcc, v16, v15, vcc
	global_load_ushort v14, v[14:15], off
	v_mov_b32_e32 v16, s13
	v_add_u32_e32 v13, s33, v13
	v_cmp_le_i32_e32 vcc, s9, v13
	s_or_b64 s[28:29], vcc, s[28:29]
	s_waitcnt vmcnt(0)
	v_cvt_f32_f16_e32 v17, v14
	v_lshlrev_b64 v[14:15], 2, v[0:1]
	v_add_co_u32_e64 v14, s[4:5], s12, v14
	v_sub_f32_e32 v1, v17, v11
	v_mul_f32_e32 v17, 0x3fb8aa3b, v1
	v_fma_f32 v18, v1, s19, -v17
	v_rndne_f32_e32 v19, v17
	v_fmac_f32_e32 v18, 0x32a5705f, v1
	v_sub_f32_e32 v17, v17, v19
	v_add_f32_e32 v17, v17, v18
	v_cvt_i32_f32_e32 v19, v19
	v_exp_f32_e32 v17, v17
	v_addc_co_u32_e64 v15, s[4:5], v16, v15, s[4:5]
	v_cmp_ngt_f32_e64 s[4:5], s30, v1
	v_ldexp_f32 v16, v17, v19
	v_cndmask_b32_e64 v16, 0, v16, s[4:5]
	v_cmp_nlt_f32_e64 s[4:5], s31, v1
	v_cndmask_b32_e64 v1, v6, v16, s[4:5]
	v_div_scale_f32 v16, s[4:5], v12, v12, v1
	v_rcp_f32_e32 v17, v16
	v_div_scale_f32 v18, vcc, v1, v12, v1
	v_add_u32_e32 v0, s34, v0
	v_fma_f32 v19, -v16, v17, 1.0
	v_fmac_f32_e32 v17, v19, v17
	v_mul_f32_e32 v19, v18, v17
	v_fma_f32 v20, -v16, v19, v18
	v_fmac_f32_e32 v19, v20, v17
	v_fma_f32 v16, -v16, v19, v18
	v_div_fmas_f32 v16, v16, v17, v19
	v_div_fixup_f32 v1, v16, v12, v1
	global_store_dword v[14:15], v1, off
	s_andn2_b64 exec, exec, s[28:29]
	s_cbranch_execnz .LBB515_18
.LBB515_19:                             ;   in Loop: Header=BB515_7 Depth=2
	s_or_b64 exec, exec, s[26:27]
	s_mov_b64 s[4:5], 0
.LBB515_20:                             ;   in Loop: Header=BB515_7 Depth=2
	s_and_b64 vcc, exec, s[4:5]
	s_cbranch_vccz .LBB515_6
; %bb.21:                               ;   in Loop: Header=BB515_7 Depth=2
	v_mov_b32_e32 v11, 0xff7fffff
	s_and_saveexec_b64 s[4:5], s[2:3]
	s_cbranch_execz .LBB515_25
; %bb.22:                               ;   in Loop: Header=BB515_7 Depth=2
	s_mov_b64 s[26:27], 0
	v_mov_b32_e32 v11, 0xff7fffff
	v_mov_b32_e32 v0, v9
	;; [unrolled: 1-line block ×3, first 2 shown]
.LBB515_23:                             ;   Parent Loop BB515_3 Depth=1
                                        ;     Parent Loop BB515_7 Depth=2
                                        ; =>    This Inner Loop Header: Depth=3
	v_ashrrev_i32_e32 v1, 31, v0
	v_lshlrev_b64 v[14:15], 1, v[0:1]
	v_mov_b32_e32 v13, s15
	v_add_co_u32_e32 v14, vcc, s14, v14
	v_addc_co_u32_e32 v15, vcc, v13, v15, vcc
	global_load_ushort v1, v[14:15], off
	v_add_u32_e32 v12, s33, v12
	v_cmp_le_i32_e32 vcc, s9, v12
	s_or_b64 s[26:27], vcc, s[26:27]
	v_add_u32_e32 v0, s34, v0
	s_waitcnt vmcnt(0)
	v_cvt_f32_f16_e32 v1, v1
	v_cmp_lt_f32_e32 vcc, v11, v1
	v_cndmask_b32_e32 v11, v11, v1, vcc
	s_andn2_b64 exec, exec, s[26:27]
	s_cbranch_execnz .LBB515_23
; %bb.24:                               ;   in Loop: Header=BB515_7 Depth=2
	s_or_b64 exec, exec, s[26:27]
.LBB515_25:                             ;   in Loop: Header=BB515_7 Depth=2
	s_or_b64 exec, exec, s[4:5]
	s_mov_b32 s26, s33
	s_barrier
	ds_write_b32 v8, v11
	s_branch .LBB515_27
.LBB515_26:                             ;   in Loop: Header=BB515_27 Depth=3
	s_or_b64 exec, exec, s[4:5]
	s_cmp_gt_u32 s26, 3
	s_mov_b32 s26, s27
	s_cbranch_scc0 .LBB515_29
.LBB515_27:                             ;   Parent Loop BB515_3 Depth=1
                                        ;     Parent Loop BB515_7 Depth=2
                                        ; =>    This Inner Loop Header: Depth=3
	s_lshr_b32 s27, s26, 1
	v_cmp_gt_u32_e32 vcc, s27, v4
	s_waitcnt lgkmcnt(0)
	s_barrier
	s_and_saveexec_b64 s[4:5], vcc
	s_cbranch_execz .LBB515_26
; %bb.28:                               ;   in Loop: Header=BB515_27 Depth=3
	v_lshl_add_u32 v0, s27, 2, v8
	ds_read_b32 v1, v8
	ds_read_b32 v0, v0
	s_waitcnt lgkmcnt(0)
	v_cmp_lt_f32_e32 vcc, v1, v0
	v_cndmask_b32_e32 v0, v1, v0, vcc
	ds_write_b32 v8, v0
	s_branch .LBB515_26
.LBB515_29:                             ;   in Loop: Header=BB515_7 Depth=2
	s_waitcnt lgkmcnt(0)
	s_barrier
	ds_read_b32 v11, v7
	v_mov_b32_e32 v12, 0
	s_and_saveexec_b64 s[4:5], s[2:3]
	s_cbranch_execz .LBB515_33
; %bb.30:                               ;   in Loop: Header=BB515_7 Depth=2
	s_mov_b64 s[26:27], 0
	v_mov_b32_e32 v12, 0
	v_mov_b32_e32 v0, v9
	;; [unrolled: 1-line block ×3, first 2 shown]
.LBB515_31:                             ;   Parent Loop BB515_3 Depth=1
                                        ;     Parent Loop BB515_7 Depth=2
                                        ; =>    This Inner Loop Header: Depth=3
	v_ashrrev_i32_e32 v1, 31, v0
	v_lshlrev_b64 v[14:15], 1, v[0:1]
	v_mov_b32_e32 v1, s15
	v_add_co_u32_e32 v14, vcc, s14, v14
	v_addc_co_u32_e32 v15, vcc, v1, v15, vcc
	global_load_ushort v1, v[14:15], off
	v_add_u32_e32 v13, s33, v13
	v_cmp_le_i32_e32 vcc, s9, v13
	s_or_b64 s[26:27], vcc, s[26:27]
	v_add_u32_e32 v0, s34, v0
	s_waitcnt vmcnt(0)
	v_cvt_f32_f16_e32 v1, v1
	s_waitcnt lgkmcnt(0)
	v_sub_f32_e32 v1, v1, v11
	v_mul_f32_e32 v14, 0x3fb8aa3b, v1
	v_fma_f32 v15, v1, s19, -v14
	v_rndne_f32_e32 v16, v14
	v_fmac_f32_e32 v15, 0x32a5705f, v1
	v_sub_f32_e32 v14, v14, v16
	v_add_f32_e32 v14, v14, v15
	v_cvt_i32_f32_e32 v16, v16
	v_exp_f32_e32 v14, v14
	v_cmp_ngt_f32_e32 vcc, s30, v1
	v_ldexp_f32 v14, v14, v16
	v_cndmask_b32_e32 v14, 0, v14, vcc
	v_cmp_nlt_f32_e32 vcc, s31, v1
	v_cndmask_b32_e32 v1, v6, v14, vcc
	v_add_f32_e32 v12, v12, v1
	s_andn2_b64 exec, exec, s[26:27]
	s_cbranch_execnz .LBB515_31
; %bb.32:                               ;   in Loop: Header=BB515_7 Depth=2
	s_or_b64 exec, exec, s[26:27]
.LBB515_33:                             ;   in Loop: Header=BB515_7 Depth=2
	s_or_b64 exec, exec, s[4:5]
	s_mov_b32 s26, s33
	s_waitcnt lgkmcnt(0)
	s_barrier
	ds_write_b32 v8, v12
	s_branch .LBB515_35
.LBB515_34:                             ;   in Loop: Header=BB515_35 Depth=3
	s_or_b64 exec, exec, s[4:5]
	s_cmp_gt_u32 s26, 3
	s_mov_b32 s26, s27
	s_cbranch_scc0 .LBB515_37
.LBB515_35:                             ;   Parent Loop BB515_3 Depth=1
                                        ;     Parent Loop BB515_7 Depth=2
                                        ; =>    This Inner Loop Header: Depth=3
	s_lshr_b32 s27, s26, 1
	v_cmp_gt_u32_e32 vcc, s27, v4
	s_waitcnt lgkmcnt(0)
	s_barrier
	s_and_saveexec_b64 s[4:5], vcc
	s_cbranch_execz .LBB515_34
; %bb.36:                               ;   in Loop: Header=BB515_35 Depth=3
	v_lshl_add_u32 v0, s27, 2, v8
	ds_read_b32 v1, v8
	ds_read_b32 v0, v0
	s_waitcnt lgkmcnt(0)
	v_add_f32_e32 v0, v1, v0
	ds_write_b32 v8, v0
	s_branch .LBB515_34
.LBB515_37:                             ;   in Loop: Header=BB515_7 Depth=2
	s_waitcnt lgkmcnt(0)
	s_barrier
	s_and_saveexec_b64 s[26:27], s[2:3]
	s_cbranch_execz .LBB515_5
; %bb.38:                               ;   in Loop: Header=BB515_7 Depth=2
	ds_read_b32 v12, v7
	s_mov_b64 s[28:29], 0
	v_mov_b32_e32 v0, v9
	v_mov_b32_e32 v13, v4
.LBB515_39:                             ;   Parent Loop BB515_3 Depth=1
                                        ;     Parent Loop BB515_7 Depth=2
                                        ; =>    This Inner Loop Header: Depth=3
	v_ashrrev_i32_e32 v1, 31, v0
	v_lshlrev_b64 v[14:15], 1, v[0:1]
	v_mov_b32_e32 v16, s15
	v_add_co_u32_e32 v14, vcc, s14, v14
	v_addc_co_u32_e32 v15, vcc, v16, v15, vcc
	global_load_ushort v14, v[14:15], off
	v_mov_b32_e32 v16, s13
	v_add_u32_e32 v13, s33, v13
	v_cmp_le_i32_e32 vcc, s9, v13
	s_or_b64 s[28:29], vcc, s[28:29]
	s_waitcnt vmcnt(0)
	v_cvt_f32_f16_e32 v17, v14
	v_lshlrev_b64 v[14:15], 2, v[0:1]
	v_add_co_u32_e64 v14, s[4:5], s12, v14
	v_sub_f32_e32 v1, v17, v11
	v_mul_f32_e32 v17, 0x3fb8aa3b, v1
	v_fma_f32 v18, v1, s19, -v17
	v_rndne_f32_e32 v19, v17
	v_fmac_f32_e32 v18, 0x32a5705f, v1
	v_sub_f32_e32 v17, v17, v19
	v_add_f32_e32 v17, v17, v18
	v_cvt_i32_f32_e32 v19, v19
	v_exp_f32_e32 v17, v17
	v_addc_co_u32_e64 v15, s[4:5], v16, v15, s[4:5]
	v_cmp_ngt_f32_e64 s[4:5], s30, v1
	v_ldexp_f32 v16, v17, v19
	v_cndmask_b32_e64 v16, 0, v16, s[4:5]
	v_cmp_nlt_f32_e64 s[4:5], s31, v1
	v_cndmask_b32_e64 v1, v6, v16, s[4:5]
	s_waitcnt lgkmcnt(0)
	v_div_scale_f32 v16, s[4:5], v12, v12, v1
	v_rcp_f32_e32 v17, v16
	v_div_scale_f32 v18, vcc, v1, v12, v1
	v_add_u32_e32 v0, s34, v0
	v_fma_f32 v19, -v16, v17, 1.0
	v_fmac_f32_e32 v17, v19, v17
	v_mul_f32_e32 v19, v18, v17
	v_fma_f32 v20, -v16, v19, v18
	v_fmac_f32_e32 v19, v20, v17
	v_fma_f32 v16, -v16, v19, v18
	v_div_fmas_f32 v16, v16, v17, v19
	v_div_fixup_f32 v1, v16, v12, v1
	global_store_dword v[14:15], v1, off
	s_andn2_b64 exec, exec, s[28:29]
	s_cbranch_execnz .LBB515_39
	s_branch .LBB515_5
.LBB515_40:
	s_endpgm
	.section	.rodata,"a",@progbits
	.p2align	6, 0x0
	.amdhsa_kernel _ZN2at6native12_GLOBAL__N_126cunn_SpatialSoftMaxForwardIN3c104HalfEffiNS1_22SoftMaxForwardEpilogueEEEvPT1_PKT_T2_SB_SB_
		.amdhsa_group_segment_fixed_size 0
		.amdhsa_private_segment_fixed_size 0
		.amdhsa_kernarg_size 288
		.amdhsa_user_sgpr_count 6
		.amdhsa_user_sgpr_private_segment_buffer 1
		.amdhsa_user_sgpr_dispatch_ptr 0
		.amdhsa_user_sgpr_queue_ptr 0
		.amdhsa_user_sgpr_kernarg_segment_ptr 1
		.amdhsa_user_sgpr_dispatch_id 0
		.amdhsa_user_sgpr_flat_scratch_init 0
		.amdhsa_user_sgpr_kernarg_preload_length 0
		.amdhsa_user_sgpr_kernarg_preload_offset 0
		.amdhsa_user_sgpr_private_segment_size 0
		.amdhsa_uses_dynamic_stack 0
		.amdhsa_system_sgpr_private_segment_wavefront_offset 0
		.amdhsa_system_sgpr_workgroup_id_x 1
		.amdhsa_system_sgpr_workgroup_id_y 1
		.amdhsa_system_sgpr_workgroup_id_z 0
		.amdhsa_system_sgpr_workgroup_info 0
		.amdhsa_system_vgpr_workitem_id 1
		.amdhsa_next_free_vgpr 21
		.amdhsa_next_free_sgpr 35
		.amdhsa_accum_offset 24
		.amdhsa_reserve_vcc 1
		.amdhsa_reserve_flat_scratch 0
		.amdhsa_float_round_mode_32 0
		.amdhsa_float_round_mode_16_64 0
		.amdhsa_float_denorm_mode_32 3
		.amdhsa_float_denorm_mode_16_64 3
		.amdhsa_dx10_clamp 1
		.amdhsa_ieee_mode 1
		.amdhsa_fp16_overflow 0
		.amdhsa_tg_split 0
		.amdhsa_exception_fp_ieee_invalid_op 0
		.amdhsa_exception_fp_denorm_src 0
		.amdhsa_exception_fp_ieee_div_zero 0
		.amdhsa_exception_fp_ieee_overflow 0
		.amdhsa_exception_fp_ieee_underflow 0
		.amdhsa_exception_fp_ieee_inexact 0
		.amdhsa_exception_int_div_zero 0
	.end_amdhsa_kernel
	.section	.text._ZN2at6native12_GLOBAL__N_126cunn_SpatialSoftMaxForwardIN3c104HalfEffiNS1_22SoftMaxForwardEpilogueEEEvPT1_PKT_T2_SB_SB_,"axG",@progbits,_ZN2at6native12_GLOBAL__N_126cunn_SpatialSoftMaxForwardIN3c104HalfEffiNS1_22SoftMaxForwardEpilogueEEEvPT1_PKT_T2_SB_SB_,comdat
.Lfunc_end515:
	.size	_ZN2at6native12_GLOBAL__N_126cunn_SpatialSoftMaxForwardIN3c104HalfEffiNS1_22SoftMaxForwardEpilogueEEEvPT1_PKT_T2_SB_SB_, .Lfunc_end515-_ZN2at6native12_GLOBAL__N_126cunn_SpatialSoftMaxForwardIN3c104HalfEffiNS1_22SoftMaxForwardEpilogueEEEvPT1_PKT_T2_SB_SB_
                                        ; -- End function
	.section	.AMDGPU.csdata,"",@progbits
; Kernel info:
; codeLenInByte = 1764
; NumSgprs: 39
; NumVgprs: 21
; NumAgprs: 0
; TotalNumVgprs: 21
; ScratchSize: 0
; MemoryBound: 0
; FloatMode: 240
; IeeeMode: 1
; LDSByteSize: 0 bytes/workgroup (compile time only)
; SGPRBlocks: 4
; VGPRBlocks: 2
; NumSGPRsForWavesPerEU: 39
; NumVGPRsForWavesPerEU: 21
; AccumOffset: 24
; Occupancy: 8
; WaveLimiterHint : 0
; COMPUTE_PGM_RSRC2:SCRATCH_EN: 0
; COMPUTE_PGM_RSRC2:USER_SGPR: 6
; COMPUTE_PGM_RSRC2:TRAP_HANDLER: 0
; COMPUTE_PGM_RSRC2:TGID_X_EN: 1
; COMPUTE_PGM_RSRC2:TGID_Y_EN: 1
; COMPUTE_PGM_RSRC2:TGID_Z_EN: 0
; COMPUTE_PGM_RSRC2:TIDIG_COMP_CNT: 1
; COMPUTE_PGM_RSRC3_GFX90A:ACCUM_OFFSET: 5
; COMPUTE_PGM_RSRC3_GFX90A:TG_SPLIT: 0
	.section	.text._ZN2at6native12_GLOBAL__N_126cunn_SpatialSoftMaxForwardIN3c104HalfEfS4_lNS1_22SoftMaxForwardEpilogueEEEvPT1_PKT_T2_SB_SB_,"axG",@progbits,_ZN2at6native12_GLOBAL__N_126cunn_SpatialSoftMaxForwardIN3c104HalfEfS4_lNS1_22SoftMaxForwardEpilogueEEEvPT1_PKT_T2_SB_SB_,comdat
	.globl	_ZN2at6native12_GLOBAL__N_126cunn_SpatialSoftMaxForwardIN3c104HalfEfS4_lNS1_22SoftMaxForwardEpilogueEEEvPT1_PKT_T2_SB_SB_ ; -- Begin function _ZN2at6native12_GLOBAL__N_126cunn_SpatialSoftMaxForwardIN3c104HalfEfS4_lNS1_22SoftMaxForwardEpilogueEEEvPT1_PKT_T2_SB_SB_
	.p2align	8
	.type	_ZN2at6native12_GLOBAL__N_126cunn_SpatialSoftMaxForwardIN3c104HalfEfS4_lNS1_22SoftMaxForwardEpilogueEEEvPT1_PKT_T2_SB_SB_,@function
_ZN2at6native12_GLOBAL__N_126cunn_SpatialSoftMaxForwardIN3c104HalfEfS4_lNS1_22SoftMaxForwardEpilogueEEEvPT1_PKT_T2_SB_SB_: ; @_ZN2at6native12_GLOBAL__N_126cunn_SpatialSoftMaxForwardIN3c104HalfEfS4_lNS1_22SoftMaxForwardEpilogueEEEvPT1_PKT_T2_SB_SB_
; %bb.0:
	s_load_dwordx8 s[8:15], s[4:5], 0x0
	s_mov_b32 s0, s7
	s_mov_b32 s7, 0
	s_waitcnt lgkmcnt(0)
	v_pk_mov_b32 v[2:3], s[12:13], s[12:13] op_sel:[0,1]
	v_cmp_ge_i64_e32 vcc, s[6:7], v[2:3]
	s_cbranch_vccnz .LBB516_40
; %bb.1:
	s_load_dword s1, s[4:5], 0x34
	s_load_dwordx4 s[16:19], s[4:5], 0x20
	s_add_u32 s20, s4, 40
	v_bfe_u32 v22, v0, 10, 10
	s_addc_u32 s21, s5, 0
	s_waitcnt lgkmcnt(0)
	s_lshr_b32 s4, s1, 16
	v_and_b32_e32 v0, 0x3ff, v0
	s_mul_i32 s0, s0, s4
	s_mul_i32 s22, s19, s4
	v_mad_u64_u32 v[4:5], s[4:5], s16, v0, 0
	v_mov_b32_e32 v6, v5
	v_mad_u64_u32 v[6:7], s[4:5], s17, v0, v[6:7]
	s_mul_i32 s4, s16, s15
	s_mul_hi_u32 s5, s16, s14
	s_add_i32 s4, s5, s4
	s_mul_i32 s5, s17, s14
	v_add_u32_e32 v2, s0, v22
	v_mov_b32_e32 v3, 0
	s_add_i32 s19, s4, s5
	s_mul_i32 s24, s16, s14
	v_mov_b32_e32 v8, s6
	v_mov_b32_e32 v5, v6
	s_mul_i32 s25, s19, s6
	v_mad_u64_u32 v[6:7], s[4:5], s24, v8, v[2:3]
	v_add_u32_e32 v7, s25, v7
	v_lshlrev_b64 v[4:5], 1, v[4:5]
	v_lshlrev_b64 v[6:7], 1, v[6:7]
	v_add_co_u32_e32 v4, vcc, v4, v6
	v_addc_co_u32_e32 v5, vcc, v5, v7, vcc
	s_mul_i32 s19, s19, s18
	s_mul_hi_u32 s4, s24, s18
	v_mov_b32_e32 v1, v3
	v_mov_b32_e32 v6, s11
	v_add_co_u32_e32 v4, vcc, s10, v4
	s_add_i32 s5, s4, s19
	s_mul_i32 s4, s24, s18
	v_addc_co_u32_e32 v5, vcc, v6, v5, vcc
	s_lshl_b64 s[24:25], s[4:5], 1
	s_mul_i32 s19, s15, s6
	v_mad_u64_u32 v[6:7], s[4:5], s14, v8, v[0:1]
	v_add_u32_e32 v7, s19, v7
	v_mul_lo_u32 v7, s16, v7
	v_mad_u64_u32 v[8:9], s[4:5], s16, v6, v[2:3]
	v_mul_lo_u32 v6, s17, v6
	v_add3_u32 v9, v6, v9, v7
	v_lshlrev_b64 v[8:9], 1, v[8:9]
	v_mov_b32_e32 v7, s11
	v_add_co_u32_e32 v6, vcc, s10, v8
	v_addc_co_u32_e32 v7, vcc, v7, v9, vcc
	s_mov_b32 s23, s7
	v_mov_b32_e32 v10, s9
	v_add_co_u32_e32 v8, vcc, s8, v8
	v_cmp_gt_i64_e64 s[0:1], s[16:17], v[2:3]
	v_cmp_gt_i64_e64 s[2:3], s[14:15], v[0:1]
	s_lshl_b64 s[26:27], s[22:23], 1
	s_lshl_b64 s[28:29], s[16:17], 1
	v_addc_co_u32_e32 v9, vcc, v10, v9, vcc
	s_mov_b32 s19, 0x3fb8aa3b
	s_mov_b32 s33, 0xc2ce8ed0
	;; [unrolled: 1-line block ×3, first 2 shown]
	v_mov_b32_e32 v23, 0x7f800000
	s_mov_b64 s[8:9], s[6:7]
	s_branch .LBB516_3
.LBB516_2:                              ;   in Loop: Header=BB516_3 Depth=1
	s_or_b64 exec, exec, s[10:11]
	v_mov_b32_e32 v10, s25
	v_add_co_u32_e32 v4, vcc, s24, v4
	v_addc_co_u32_e32 v5, vcc, v5, v10, vcc
	v_add_co_u32_e32 v6, vcc, s24, v6
	v_addc_co_u32_e32 v7, vcc, v7, v10, vcc
	s_add_u32 s8, s8, s18
	v_add_co_u32_e32 v8, vcc, s24, v8
	s_addc_u32 s9, s9, 0
	v_addc_co_u32_e32 v9, vcc, v9, v10, vcc
	v_pk_mov_b32 v[10:11], s[12:13], s[12:13] op_sel:[0,1]
	v_cmp_ge_i64_e32 vcc, s[8:9], v[10:11]
	s_cbranch_vccnz .LBB516_40
.LBB516_3:                              ; =>This Loop Header: Depth=1
                                        ;     Child Loop BB516_7 Depth 2
                                        ;       Child Loop BB516_12 Depth 3
                                        ;       Child Loop BB516_15 Depth 3
	;; [unrolled: 1-line block ×8, first 2 shown]
	s_and_saveexec_b64 s[10:11], s[0:1]
	s_cbranch_execz .LBB516_2
; %bb.4:                                ;   in Loop: Header=BB516_3 Depth=1
	s_load_dword s4, s[20:21], 0xc
	s_mov_b64 s[34:35], 0
	v_mov_b32_e32 v26, s7
	v_pk_mov_b32 v[12:13], v[6:7], v[6:7] op_sel:[0,1]
	v_pk_mov_b32 v[14:15], v[4:5], v[4:5] op_sel:[0,1]
	s_waitcnt lgkmcnt(0)
	s_and_b32 s6, s4, 0xffff
	v_cmp_lt_u16_e64 s[30:31], s4, 2
	v_mul_u32_u24_e32 v10, s6, v22
	s_mul_i32 s4, s29, s6
	s_mul_hi_u32 s5, s28, s6
	v_lshl_add_u32 v24, v10, 2, 0
	s_add_i32 s43, s5, s4
	v_lshl_add_u32 v25, v0, 2, v24
	s_mul_i32 s44, s28, s6
	v_mov_b32_e32 v27, s43
	v_pk_mov_b32 v[10:11], v[8:9], v[8:9] op_sel:[0,1]
	v_pk_mov_b32 v[16:17], v[2:3], v[2:3] op_sel:[0,1]
	s_branch .LBB516_7
.LBB516_5:                              ;   in Loop: Header=BB516_7 Depth=2
	s_or_b64 exec, exec, s[36:37]
.LBB516_6:                              ;   in Loop: Header=BB516_7 Depth=2
	v_mov_b32_e32 v18, s23
	v_add_co_u32_e32 v16, vcc, s22, v16
	v_addc_co_u32_e32 v17, vcc, v17, v18, vcc
	v_mov_b32_e32 v18, s27
	v_add_co_u32_e32 v14, vcc, s26, v14
	v_addc_co_u32_e32 v15, vcc, v15, v18, vcc
	v_add_co_u32_e32 v12, vcc, s26, v12
	v_addc_co_u32_e32 v13, vcc, v13, v18, vcc
	v_cmp_le_i64_e32 vcc, s[16:17], v[16:17]
	s_or_b64 s[34:35], vcc, s[34:35]
	v_add_co_u32_e32 v10, vcc, s26, v10
	v_addc_co_u32_e32 v11, vcc, v11, v18, vcc
	s_andn2_b64 exec, exec, s[34:35]
	s_cbranch_execz .LBB516_2
.LBB516_7:                              ;   Parent Loop BB516_3 Depth=1
                                        ; =>  This Loop Header: Depth=2
                                        ;       Child Loop BB516_12 Depth 3
                                        ;       Child Loop BB516_15 Depth 3
	;; [unrolled: 1-line block ×8, first 2 shown]
	s_mov_b64 s[4:5], -1
	s_and_b64 vcc, exec, s[30:31]
	s_cbranch_vccz .LBB516_20
; %bb.8:                                ;   in Loop: Header=BB516_7 Depth=2
	v_mov_b32_e32 v28, 0xff7fffff
	s_and_saveexec_b64 s[4:5], s[2:3]
	s_cbranch_execnz .LBB516_11
; %bb.9:                                ;   in Loop: Header=BB516_7 Depth=2
	s_or_b64 exec, exec, s[4:5]
	v_mov_b32_e32 v29, 0
	s_and_saveexec_b64 s[36:37], s[2:3]
	s_cbranch_execnz .LBB516_14
.LBB516_10:                             ;   in Loop: Header=BB516_7 Depth=2
	s_or_b64 exec, exec, s[36:37]
	s_and_saveexec_b64 s[36:37], s[2:3]
	s_cbranch_execnz .LBB516_17
	s_branch .LBB516_19
.LBB516_11:                             ;   in Loop: Header=BB516_7 Depth=2
	s_mov_b64 s[36:37], 0
	v_mov_b32_e32 v28, 0xff7fffff
	v_pk_mov_b32 v[18:19], v[14:15], v[14:15] op_sel:[0,1]
	v_pk_mov_b32 v[20:21], v[0:1], v[0:1] op_sel:[0,1]
.LBB516_12:                             ;   Parent Loop BB516_3 Depth=1
                                        ;     Parent Loop BB516_7 Depth=2
                                        ; =>    This Inner Loop Header: Depth=3
	global_load_ushort v29, v[18:19], off
	v_add_co_u32_e32 v20, vcc, s6, v20
	v_addc_co_u32_e32 v21, vcc, v21, v26, vcc
	v_add_co_u32_e32 v18, vcc, s44, v18
	v_addc_co_u32_e32 v19, vcc, v19, v27, vcc
	v_cmp_le_i64_e32 vcc, s[14:15], v[20:21]
	s_or_b64 s[36:37], vcc, s[36:37]
	s_waitcnt vmcnt(0)
	v_cvt_f32_f16_e32 v29, v29
	v_cmp_lt_f32_e32 vcc, v28, v29
	v_cndmask_b32_e32 v28, v28, v29, vcc
	s_andn2_b64 exec, exec, s[36:37]
	s_cbranch_execnz .LBB516_12
; %bb.13:                               ;   in Loop: Header=BB516_7 Depth=2
	s_or_b64 exec, exec, s[36:37]
	s_or_b64 exec, exec, s[4:5]
	v_mov_b32_e32 v29, 0
	s_and_saveexec_b64 s[36:37], s[2:3]
	s_cbranch_execz .LBB516_10
.LBB516_14:                             ;   in Loop: Header=BB516_7 Depth=2
	s_mov_b64 s[38:39], 0
	v_mov_b32_e32 v29, 0
	v_pk_mov_b32 v[18:19], v[14:15], v[14:15] op_sel:[0,1]
	v_pk_mov_b32 v[20:21], v[0:1], v[0:1] op_sel:[0,1]
.LBB516_15:                             ;   Parent Loop BB516_3 Depth=1
                                        ;     Parent Loop BB516_7 Depth=2
                                        ; =>    This Inner Loop Header: Depth=3
	global_load_ushort v30, v[18:19], off
	v_mov_b32_e32 v31, s7
	v_add_co_u32_e64 v20, s[4:5], s6, v20
	v_mov_b32_e32 v32, s43
	v_add_co_u32_e32 v18, vcc, s44, v18
	v_addc_co_u32_e64 v21, s[4:5], v21, v31, s[4:5]
	v_addc_co_u32_e32 v19, vcc, v19, v32, vcc
	v_cmp_le_i64_e32 vcc, s[14:15], v[20:21]
	s_or_b64 s[38:39], vcc, s[38:39]
	s_waitcnt vmcnt(0)
	v_cvt_f32_f16_e32 v30, v30
	v_sub_f32_e32 v30, v30, v28
	v_mul_f32_e32 v31, 0x3fb8aa3b, v30
	v_fma_f32 v32, v30, s19, -v31
	v_rndne_f32_e32 v33, v31
	v_fmac_f32_e32 v32, 0x32a5705f, v30
	v_sub_f32_e32 v31, v31, v33
	v_add_f32_e32 v31, v31, v32
	v_cvt_i32_f32_e32 v33, v33
	v_exp_f32_e32 v31, v31
	v_cmp_ngt_f32_e32 vcc, s33, v30
	v_ldexp_f32 v31, v31, v33
	v_cndmask_b32_e32 v31, 0, v31, vcc
	v_cmp_nlt_f32_e32 vcc, s42, v30
	v_cndmask_b32_e32 v30, v23, v31, vcc
	v_add_f32_e32 v29, v29, v30
	s_andn2_b64 exec, exec, s[38:39]
	s_cbranch_execnz .LBB516_15
; %bb.16:                               ;   in Loop: Header=BB516_7 Depth=2
	s_or_b64 exec, exec, s[38:39]
	s_or_b64 exec, exec, s[36:37]
	s_and_saveexec_b64 s[36:37], s[2:3]
	s_cbranch_execz .LBB516_19
.LBB516_17:                             ;   in Loop: Header=BB516_7 Depth=2
	s_mov_b64 s[38:39], 0
	s_mov_b64 s[40:41], 0
	v_pk_mov_b32 v[18:19], v[0:1], v[0:1] op_sel:[0,1]
.LBB516_18:                             ;   Parent Loop BB516_3 Depth=1
                                        ;     Parent Loop BB516_7 Depth=2
                                        ; =>    This Inner Loop Header: Depth=3
	v_mov_b32_e32 v30, s41
	v_add_co_u32_e32 v20, vcc, s40, v12
	v_addc_co_u32_e32 v21, vcc, v13, v30, vcc
	global_load_ushort v31, v[20:21], off
	v_add_co_u32_e64 v20, s[4:5], s40, v10
	v_addc_co_u32_e64 v21, s[4:5], v11, v30, s[4:5]
	v_mov_b32_e32 v32, s7
	v_add_co_u32_e32 v18, vcc, s6, v18
	v_addc_co_u32_e32 v19, vcc, v19, v32, vcc
	s_add_u32 s40, s40, s44
	s_addc_u32 s41, s41, s43
	s_waitcnt vmcnt(0)
	v_cvt_f32_f16_e32 v30, v31
	v_sub_f32_e32 v30, v30, v28
	v_mul_f32_e32 v31, 0x3fb8aa3b, v30
	v_fma_f32 v32, v30, s19, -v31
	v_rndne_f32_e32 v33, v31
	v_fmac_f32_e32 v32, 0x32a5705f, v30
	v_sub_f32_e32 v31, v31, v33
	v_add_f32_e32 v31, v31, v32
	v_cvt_i32_f32_e32 v33, v33
	v_exp_f32_e32 v31, v31
	v_cmp_ngt_f32_e32 vcc, s33, v30
	v_ldexp_f32 v31, v31, v33
	v_cndmask_b32_e32 v31, 0, v31, vcc
	v_cmp_nlt_f32_e32 vcc, s42, v30
	v_cndmask_b32_e32 v30, v23, v31, vcc
	v_div_scale_f32 v31, s[4:5], v29, v29, v30
	v_rcp_f32_e32 v32, v31
	v_div_scale_f32 v33, vcc, v30, v29, v30
	v_fma_f32 v34, -v31, v32, 1.0
	v_fmac_f32_e32 v32, v34, v32
	v_mul_f32_e32 v34, v33, v32
	v_fma_f32 v35, -v31, v34, v33
	v_fmac_f32_e32 v34, v35, v32
	v_fma_f32 v31, -v31, v34, v33
	v_div_fmas_f32 v31, v31, v32, v34
	v_div_fixup_f32 v30, v31, v29, v30
	v_cvt_f16_f32_e32 v30, v30
	v_cmp_le_i64_e32 vcc, s[14:15], v[18:19]
	s_or_b64 s[38:39], vcc, s[38:39]
	global_store_short v[20:21], v30, off
	s_andn2_b64 exec, exec, s[38:39]
	s_cbranch_execnz .LBB516_18
.LBB516_19:                             ;   in Loop: Header=BB516_7 Depth=2
	s_or_b64 exec, exec, s[36:37]
	s_mov_b64 s[4:5], 0
.LBB516_20:                             ;   in Loop: Header=BB516_7 Depth=2
	s_and_b64 vcc, exec, s[4:5]
	s_cbranch_vccz .LBB516_6
; %bb.21:                               ;   in Loop: Header=BB516_7 Depth=2
	v_mov_b32_e32 v28, 0xff7fffff
	s_and_saveexec_b64 s[36:37], s[2:3]
	s_cbranch_execz .LBB516_25
; %bb.22:                               ;   in Loop: Header=BB516_7 Depth=2
	s_mov_b64 s[38:39], 0
	v_mov_b32_e32 v28, 0xff7fffff
	v_pk_mov_b32 v[18:19], v[14:15], v[14:15] op_sel:[0,1]
	v_pk_mov_b32 v[20:21], v[0:1], v[0:1] op_sel:[0,1]
.LBB516_23:                             ;   Parent Loop BB516_3 Depth=1
                                        ;     Parent Loop BB516_7 Depth=2
                                        ; =>    This Inner Loop Header: Depth=3
	global_load_ushort v29, v[18:19], off
	v_mov_b32_e32 v30, s7
	v_mov_b32_e32 v31, s43
	v_add_co_u32_e32 v18, vcc, s44, v18
	v_add_co_u32_e64 v20, s[4:5], s6, v20
	v_addc_co_u32_e64 v21, s[4:5], v21, v30, s[4:5]
	v_addc_co_u32_e32 v19, vcc, v19, v31, vcc
	v_cmp_le_i64_e32 vcc, s[14:15], v[20:21]
	s_or_b64 s[38:39], vcc, s[38:39]
	s_waitcnt vmcnt(0)
	v_cvt_f32_f16_e32 v29, v29
	v_cmp_lt_f32_e32 vcc, v28, v29
	v_cndmask_b32_e32 v28, v28, v29, vcc
	s_andn2_b64 exec, exec, s[38:39]
	s_cbranch_execnz .LBB516_23
; %bb.24:                               ;   in Loop: Header=BB516_7 Depth=2
	s_or_b64 exec, exec, s[38:39]
.LBB516_25:                             ;   in Loop: Header=BB516_7 Depth=2
	s_or_b64 exec, exec, s[36:37]
	s_mov_b32 s36, s6
	s_barrier
	ds_write_b32 v25, v28
	s_branch .LBB516_27
.LBB516_26:                             ;   in Loop: Header=BB516_27 Depth=3
	s_or_b64 exec, exec, s[4:5]
	s_cmp_gt_u32 s36, 3
	s_mov_b32 s36, s37
	s_cbranch_scc0 .LBB516_29
.LBB516_27:                             ;   Parent Loop BB516_3 Depth=1
                                        ;     Parent Loop BB516_7 Depth=2
                                        ; =>    This Inner Loop Header: Depth=3
	s_lshr_b32 s37, s36, 1
	v_cmp_gt_u32_e32 vcc, s37, v0
	s_waitcnt lgkmcnt(0)
	s_barrier
	s_and_saveexec_b64 s[4:5], vcc
	s_cbranch_execz .LBB516_26
; %bb.28:                               ;   in Loop: Header=BB516_27 Depth=3
	v_lshl_add_u32 v18, s37, 2, v25
	ds_read_b32 v19, v25
	ds_read_b32 v18, v18
	s_waitcnt lgkmcnt(0)
	v_cmp_lt_f32_e32 vcc, v19, v18
	v_cndmask_b32_e32 v18, v19, v18, vcc
	ds_write_b32 v25, v18
	s_branch .LBB516_26
.LBB516_29:                             ;   in Loop: Header=BB516_7 Depth=2
	s_waitcnt lgkmcnt(0)
	s_barrier
	ds_read_b32 v28, v24
	v_mov_b32_e32 v29, 0
	s_and_saveexec_b64 s[36:37], s[2:3]
	s_cbranch_execz .LBB516_33
; %bb.30:                               ;   in Loop: Header=BB516_7 Depth=2
	s_mov_b64 s[38:39], 0
	v_mov_b32_e32 v29, 0
	v_pk_mov_b32 v[18:19], v[14:15], v[14:15] op_sel:[0,1]
	v_pk_mov_b32 v[20:21], v[0:1], v[0:1] op_sel:[0,1]
.LBB516_31:                             ;   Parent Loop BB516_3 Depth=1
                                        ;     Parent Loop BB516_7 Depth=2
                                        ; =>    This Inner Loop Header: Depth=3
	global_load_ushort v30, v[18:19], off
	v_mov_b32_e32 v31, s7
	v_add_co_u32_e64 v20, s[4:5], s6, v20
	v_mov_b32_e32 v32, s43
	v_add_co_u32_e32 v18, vcc, s44, v18
	v_addc_co_u32_e64 v21, s[4:5], v21, v31, s[4:5]
	v_addc_co_u32_e32 v19, vcc, v19, v32, vcc
	v_cmp_le_i64_e32 vcc, s[14:15], v[20:21]
	s_or_b64 s[38:39], vcc, s[38:39]
	s_waitcnt vmcnt(0)
	v_cvt_f32_f16_e32 v30, v30
	s_waitcnt lgkmcnt(0)
	v_sub_f32_e32 v30, v30, v28
	v_mul_f32_e32 v31, 0x3fb8aa3b, v30
	v_fma_f32 v32, v30, s19, -v31
	v_rndne_f32_e32 v33, v31
	v_fmac_f32_e32 v32, 0x32a5705f, v30
	v_sub_f32_e32 v31, v31, v33
	v_add_f32_e32 v31, v31, v32
	v_cvt_i32_f32_e32 v33, v33
	v_exp_f32_e32 v31, v31
	v_cmp_ngt_f32_e32 vcc, s33, v30
	v_ldexp_f32 v31, v31, v33
	v_cndmask_b32_e32 v31, 0, v31, vcc
	v_cmp_nlt_f32_e32 vcc, s42, v30
	v_cndmask_b32_e32 v30, v23, v31, vcc
	v_add_f32_e32 v29, v29, v30
	s_andn2_b64 exec, exec, s[38:39]
	s_cbranch_execnz .LBB516_31
; %bb.32:                               ;   in Loop: Header=BB516_7 Depth=2
	s_or_b64 exec, exec, s[38:39]
.LBB516_33:                             ;   in Loop: Header=BB516_7 Depth=2
	s_or_b64 exec, exec, s[36:37]
	s_mov_b32 s36, s6
	s_waitcnt lgkmcnt(0)
	s_barrier
	ds_write_b32 v25, v29
	s_branch .LBB516_35
.LBB516_34:                             ;   in Loop: Header=BB516_35 Depth=3
	s_or_b64 exec, exec, s[4:5]
	s_cmp_gt_u32 s36, 3
	s_mov_b32 s36, s37
	s_cbranch_scc0 .LBB516_37
.LBB516_35:                             ;   Parent Loop BB516_3 Depth=1
                                        ;     Parent Loop BB516_7 Depth=2
                                        ; =>    This Inner Loop Header: Depth=3
	s_lshr_b32 s37, s36, 1
	v_cmp_gt_u32_e32 vcc, s37, v0
	s_waitcnt lgkmcnt(0)
	s_barrier
	s_and_saveexec_b64 s[4:5], vcc
	s_cbranch_execz .LBB516_34
; %bb.36:                               ;   in Loop: Header=BB516_35 Depth=3
	v_lshl_add_u32 v18, s37, 2, v25
	ds_read_b32 v19, v25
	ds_read_b32 v18, v18
	s_waitcnt lgkmcnt(0)
	v_add_f32_e32 v18, v19, v18
	ds_write_b32 v25, v18
	s_branch .LBB516_34
.LBB516_37:                             ;   in Loop: Header=BB516_7 Depth=2
	s_waitcnt lgkmcnt(0)
	s_barrier
	s_and_saveexec_b64 s[36:37], s[2:3]
	s_cbranch_execz .LBB516_5
; %bb.38:                               ;   in Loop: Header=BB516_7 Depth=2
	ds_read_b32 v20, v24
	s_mov_b64 s[38:39], 0
	s_mov_b64 s[40:41], 0
	v_pk_mov_b32 v[18:19], v[0:1], v[0:1] op_sel:[0,1]
.LBB516_39:                             ;   Parent Loop BB516_3 Depth=1
                                        ;     Parent Loop BB516_7 Depth=2
                                        ; =>    This Inner Loop Header: Depth=3
	v_mov_b32_e32 v21, s41
	v_add_co_u32_e32 v30, vcc, s40, v12
	v_addc_co_u32_e32 v31, vcc, v13, v21, vcc
	global_load_ushort v29, v[30:31], off
	v_add_co_u32_e64 v30, s[4:5], s40, v10
	v_addc_co_u32_e64 v31, s[4:5], v11, v21, s[4:5]
	v_mov_b32_e32 v32, s7
	v_add_co_u32_e32 v18, vcc, s6, v18
	v_addc_co_u32_e32 v19, vcc, v19, v32, vcc
	s_add_u32 s40, s40, s44
	s_addc_u32 s41, s41, s43
	s_waitcnt vmcnt(0)
	v_cvt_f32_f16_e32 v21, v29
	v_sub_f32_e32 v21, v21, v28
	v_mul_f32_e32 v29, 0x3fb8aa3b, v21
	v_fma_f32 v32, v21, s19, -v29
	v_rndne_f32_e32 v33, v29
	v_fmac_f32_e32 v32, 0x32a5705f, v21
	v_sub_f32_e32 v29, v29, v33
	v_add_f32_e32 v29, v29, v32
	v_cvt_i32_f32_e32 v33, v33
	v_exp_f32_e32 v29, v29
	v_cmp_ngt_f32_e32 vcc, s33, v21
	v_ldexp_f32 v29, v29, v33
	v_cndmask_b32_e32 v29, 0, v29, vcc
	v_cmp_nlt_f32_e32 vcc, s42, v21
	v_cndmask_b32_e32 v21, v23, v29, vcc
	s_waitcnt lgkmcnt(0)
	v_div_scale_f32 v29, s[4:5], v20, v20, v21
	v_rcp_f32_e32 v32, v29
	v_div_scale_f32 v33, vcc, v21, v20, v21
	v_fma_f32 v34, -v29, v32, 1.0
	v_fmac_f32_e32 v32, v34, v32
	v_mul_f32_e32 v34, v33, v32
	v_fma_f32 v35, -v29, v34, v33
	v_fmac_f32_e32 v34, v35, v32
	v_fma_f32 v29, -v29, v34, v33
	v_div_fmas_f32 v29, v29, v32, v34
	v_div_fixup_f32 v21, v29, v20, v21
	v_cvt_f16_f32_e32 v21, v21
	v_cmp_le_i64_e32 vcc, s[14:15], v[18:19]
	s_or_b64 s[38:39], vcc, s[38:39]
	global_store_short v[30:31], v21, off
	s_andn2_b64 exec, exec, s[38:39]
	s_cbranch_execnz .LBB516_39
	s_branch .LBB516_5
.LBB516_40:
	s_endpgm
	.section	.rodata,"a",@progbits
	.p2align	6, 0x0
	.amdhsa_kernel _ZN2at6native12_GLOBAL__N_126cunn_SpatialSoftMaxForwardIN3c104HalfEfS4_lNS1_22SoftMaxForwardEpilogueEEEvPT1_PKT_T2_SB_SB_
		.amdhsa_group_segment_fixed_size 0
		.amdhsa_private_segment_fixed_size 0
		.amdhsa_kernarg_size 296
		.amdhsa_user_sgpr_count 6
		.amdhsa_user_sgpr_private_segment_buffer 1
		.amdhsa_user_sgpr_dispatch_ptr 0
		.amdhsa_user_sgpr_queue_ptr 0
		.amdhsa_user_sgpr_kernarg_segment_ptr 1
		.amdhsa_user_sgpr_dispatch_id 0
		.amdhsa_user_sgpr_flat_scratch_init 0
		.amdhsa_user_sgpr_kernarg_preload_length 0
		.amdhsa_user_sgpr_kernarg_preload_offset 0
		.amdhsa_user_sgpr_private_segment_size 0
		.amdhsa_uses_dynamic_stack 0
		.amdhsa_system_sgpr_private_segment_wavefront_offset 0
		.amdhsa_system_sgpr_workgroup_id_x 1
		.amdhsa_system_sgpr_workgroup_id_y 1
		.amdhsa_system_sgpr_workgroup_id_z 0
		.amdhsa_system_sgpr_workgroup_info 0
		.amdhsa_system_vgpr_workitem_id 1
		.amdhsa_next_free_vgpr 36
		.amdhsa_next_free_sgpr 45
		.amdhsa_accum_offset 36
		.amdhsa_reserve_vcc 1
		.amdhsa_reserve_flat_scratch 0
		.amdhsa_float_round_mode_32 0
		.amdhsa_float_round_mode_16_64 0
		.amdhsa_float_denorm_mode_32 3
		.amdhsa_float_denorm_mode_16_64 3
		.amdhsa_dx10_clamp 1
		.amdhsa_ieee_mode 1
		.amdhsa_fp16_overflow 0
		.amdhsa_tg_split 0
		.amdhsa_exception_fp_ieee_invalid_op 0
		.amdhsa_exception_fp_denorm_src 0
		.amdhsa_exception_fp_ieee_div_zero 0
		.amdhsa_exception_fp_ieee_overflow 0
		.amdhsa_exception_fp_ieee_underflow 0
		.amdhsa_exception_fp_ieee_inexact 0
		.amdhsa_exception_int_div_zero 0
	.end_amdhsa_kernel
	.section	.text._ZN2at6native12_GLOBAL__N_126cunn_SpatialSoftMaxForwardIN3c104HalfEfS4_lNS1_22SoftMaxForwardEpilogueEEEvPT1_PKT_T2_SB_SB_,"axG",@progbits,_ZN2at6native12_GLOBAL__N_126cunn_SpatialSoftMaxForwardIN3c104HalfEfS4_lNS1_22SoftMaxForwardEpilogueEEEvPT1_PKT_T2_SB_SB_,comdat
.Lfunc_end516:
	.size	_ZN2at6native12_GLOBAL__N_126cunn_SpatialSoftMaxForwardIN3c104HalfEfS4_lNS1_22SoftMaxForwardEpilogueEEEvPT1_PKT_T2_SB_SB_, .Lfunc_end516-_ZN2at6native12_GLOBAL__N_126cunn_SpatialSoftMaxForwardIN3c104HalfEfS4_lNS1_22SoftMaxForwardEpilogueEEEvPT1_PKT_T2_SB_SB_
                                        ; -- End function
	.section	.AMDGPU.csdata,"",@progbits
; Kernel info:
; codeLenInByte = 2056
; NumSgprs: 49
; NumVgprs: 36
; NumAgprs: 0
; TotalNumVgprs: 36
; ScratchSize: 0
; MemoryBound: 0
; FloatMode: 240
; IeeeMode: 1
; LDSByteSize: 0 bytes/workgroup (compile time only)
; SGPRBlocks: 6
; VGPRBlocks: 4
; NumSGPRsForWavesPerEU: 49
; NumVGPRsForWavesPerEU: 36
; AccumOffset: 36
; Occupancy: 8
; WaveLimiterHint : 0
; COMPUTE_PGM_RSRC2:SCRATCH_EN: 0
; COMPUTE_PGM_RSRC2:USER_SGPR: 6
; COMPUTE_PGM_RSRC2:TRAP_HANDLER: 0
; COMPUTE_PGM_RSRC2:TGID_X_EN: 1
; COMPUTE_PGM_RSRC2:TGID_Y_EN: 1
; COMPUTE_PGM_RSRC2:TGID_Z_EN: 0
; COMPUTE_PGM_RSRC2:TIDIG_COMP_CNT: 1
; COMPUTE_PGM_RSRC3_GFX90A:ACCUM_OFFSET: 8
; COMPUTE_PGM_RSRC3_GFX90A:TG_SPLIT: 0
	.section	.text._ZN2at6native12_GLOBAL__N_126cunn_SpatialSoftMaxForwardIN3c104HalfEfflNS1_22SoftMaxForwardEpilogueEEEvPT1_PKT_T2_SB_SB_,"axG",@progbits,_ZN2at6native12_GLOBAL__N_126cunn_SpatialSoftMaxForwardIN3c104HalfEfflNS1_22SoftMaxForwardEpilogueEEEvPT1_PKT_T2_SB_SB_,comdat
	.globl	_ZN2at6native12_GLOBAL__N_126cunn_SpatialSoftMaxForwardIN3c104HalfEfflNS1_22SoftMaxForwardEpilogueEEEvPT1_PKT_T2_SB_SB_ ; -- Begin function _ZN2at6native12_GLOBAL__N_126cunn_SpatialSoftMaxForwardIN3c104HalfEfflNS1_22SoftMaxForwardEpilogueEEEvPT1_PKT_T2_SB_SB_
	.p2align	8
	.type	_ZN2at6native12_GLOBAL__N_126cunn_SpatialSoftMaxForwardIN3c104HalfEfflNS1_22SoftMaxForwardEpilogueEEEvPT1_PKT_T2_SB_SB_,@function
_ZN2at6native12_GLOBAL__N_126cunn_SpatialSoftMaxForwardIN3c104HalfEfflNS1_22SoftMaxForwardEpilogueEEEvPT1_PKT_T2_SB_SB_: ; @_ZN2at6native12_GLOBAL__N_126cunn_SpatialSoftMaxForwardIN3c104HalfEfflNS1_22SoftMaxForwardEpilogueEEEvPT1_PKT_T2_SB_SB_
; %bb.0:
	s_load_dwordx8 s[12:19], s[4:5], 0x0
	s_mov_b32 s0, s7
	s_mov_b32 s7, 0
	s_waitcnt lgkmcnt(0)
	v_pk_mov_b32 v[2:3], s[16:17], s[16:17] op_sel:[0,1]
	v_cmp_ge_i64_e32 vcc, s[6:7], v[2:3]
	s_cbranch_vccnz .LBB517_58
; %bb.1:
	s_load_dwordx4 s[20:23], s[4:5], 0x20
	s_load_dword s1, s[4:5], 0x34
	v_and_b32_e32 v14, 0x3ff, v0
	v_bfe_u32 v39, v0, 10, 10
	v_mov_b32_e32 v12, 0
	s_waitcnt lgkmcnt(0)
	s_mul_i32 s2, s20, s19
	s_mul_hi_u32 s3, s20, s18
	s_mul_i32 s8, s21, s18
	s_add_i32 s2, s3, s2
	s_add_i32 s54, s2, s8
	s_add_u32 s24, s4, 40
	s_addc_u32 s25, s5, 0
	s_lshr_b32 s4, s1, 16
	s_mul_i32 s0, s0, s4
	s_mul_i32 s26, s23, s4
	v_mad_u64_u32 v[16:17], s[4:5], s20, v14, 0
	s_mul_i32 s33, s20, s18
	v_add_u32_e32 v10, s0, v39
	v_mov_b32_e32 v11, v12
	v_mov_b32_e32 v2, v17
	;; [unrolled: 1-line block ×3, first 2 shown]
	v_mad_u64_u32 v[2:3], s[4:5], s21, v14, v[2:3]
	s_mul_i32 s8, s54, s6
	v_mad_u64_u32 v[18:19], s[4:5], s33, v4, v[10:11]
	v_mov_b32_e32 v17, v2
	v_add_u32_e32 v19, s8, v19
	v_lshlrev_b64 v[2:3], 1, v[16:17]
	v_lshlrev_b64 v[4:5], 1, v[18:19]
	v_add_co_u32_e32 v2, vcc, v2, v4
	v_addc_co_u32_e32 v3, vcc, v3, v5, vcc
	s_mul_i32 s4, s54, s22
	s_mul_hi_u32 s5, s33, s22
	v_mov_b32_e32 v15, v12
	s_mov_b32 s27, s7
	v_mov_b32_e32 v4, s15
	v_add_co_u32_e32 v20, vcc, s14, v2
	s_add_i32 s29, s5, s4
	s_mul_i32 s28, s33, s22
	v_cmp_gt_i64_e64 s[0:1], s[20:21], v[10:11]
	v_cmp_gt_i64_e64 s[2:3], s[18:19], v[14:15]
	v_mov_b32_e32 v0, v14
	v_mov_b32_e32 v1, v12
	s_mov_b32 s23, s20
	s_mov_b32 s55, s21
	;; [unrolled: 1-line block ×4, first 2 shown]
	v_addc_co_u32_e32 v21, vcc, v4, v3, vcc
	s_lshl_b64 s[30:31], s[28:29], 1
	s_lshl_b64 s[34:35], s[26:27], 1
	;; [unrolled: 1-line block ×4, first 2 shown]
	s_mov_b32 s58, 0x3fb8aa3b
	s_mov_b32 s59, 0xc2ce8ed0
	;; [unrolled: 1-line block ×3, first 2 shown]
	v_mov_b32_e32 v50, 0x7f800000
	v_mov_b32_e32 v51, 0x4f800000
	s_mov_b64 s[40:41], s[6:7]
	s_branch .LBB517_3
.LBB517_2:                              ;   in Loop: Header=BB517_3 Depth=1
	s_or_b64 exec, exec, s[42:43]
	v_mov_b32_e32 v2, s31
	v_add_co_u32_e32 v20, vcc, s30, v20
	v_addc_co_u32_e32 v21, vcc, v21, v2, vcc
	s_add_u32 s40, s40, s22
	v_mov_b32_e32 v2, s29
	v_add_co_u32_e32 v18, vcc, s28, v18
	s_addc_u32 s41, s41, 0
	v_addc_co_u32_e32 v19, vcc, v19, v2, vcc
	v_pk_mov_b32 v[2:3], s[16:17], s[16:17] op_sel:[0,1]
	v_cmp_ge_i64_e32 vcc, s[40:41], v[2:3]
	s_cbranch_vccnz .LBB517_58
.LBB517_3:                              ; =>This Loop Header: Depth=1
                                        ;     Child Loop BB517_7 Depth 2
                                        ;       Child Loop BB517_12 Depth 3
                                        ;       Child Loop BB517_15 Depth 3
	;; [unrolled: 1-line block ×10, first 2 shown]
	s_and_saveexec_b64 s[42:43], s[0:1]
	s_cbranch_execz .LBB517_2
; %bb.4:                                ;   in Loop: Header=BB517_3 Depth=1
	s_load_dword s8, s[24:25], 0xc
	s_mul_i32 s4, s33, s41
	s_mul_hi_u32 s5, s33, s40
	s_add_i32 s4, s5, s4
	s_mul_i32 s5, s54, s40
	s_waitcnt lgkmcnt(0)
	s_and_b32 s62, s8, 0xffff
	v_mul_u32_u24_e32 v2, s62, v39
	v_lshl_add_u32 v52, v2, 2, 0
	v_add_co_u32_e32 v2, vcc, s62, v14
	s_add_i32 s6, s4, s5
	v_addc_co_u32_e64 v3, s[4:5], 0, 0, vcc
	v_cmp_gt_i64_e32 vcc, s[18:19], v[2:3]
	v_mov_b32_e32 v5, s18
	v_mov_b32_e32 v4, s19
	v_cndmask_b32_e32 v5, v2, v5, vcc
	v_cndmask_b32_e64 v6, 0, 1, vcc
	v_cndmask_b32_e32 v4, v3, v4, vcc
	v_cndmask_b32_e64 v22, 1, 2, vcc
	v_sub_co_u32_e32 v5, vcc, v5, v6
	v_subbrev_co_u32_e32 v4, vcc, 0, v4, vcc
	v_sub_co_u32_e32 v54, vcc, v5, v2
	v_subb_co_u32_e32 v13, vcc, v4, v3, vcc
	v_add_co_u32_e32 v6, vcc, v22, v54
	v_and_b32_e32 v24, -2, v6
	v_cmp_lt_u16_e64 s[44:45], s8, 2
	v_addc_co_u32_e32 v7, vcc, 0, v13, vcc
	v_mad_u64_u32 v[26:27], s[8:9], v24, s62, v[14:15]
	v_mov_b32_e32 v2, v27
	v_add_co_u32_e32 v4, vcc, s62, v14
	s_mul_i32 s10, s37, s62
	s_mul_hi_u32 s11, s36, s62
	v_mov_b32_e32 v25, v7
	v_mad_u64_u32 v[2:3], s[8:9], v7, s62, v[2:3]
	v_addc_co_u32_e64 v5, s[8:9], 0, 0, vcc
	s_lshl_b32 s63, s62, 1
	s_add_i32 s67, s11, s10
	s_mul_i32 s10, s39, s62
	s_mul_hi_u32 s11, s38, s62
	s_mul_i32 s61, s33, s40
	v_lshl_add_u32 v53, v14, 2, v52
	v_cmp_lt_u64_e64 s[4:5], 1, v[6:7]
	v_mov_b32_e32 v27, v2
	v_mov_b32_e32 v2, v0
	;; [unrolled: 1-line block ×3, first 2 shown]
	s_mov_b32 s64, s7
	s_mov_b32 s65, s63
	;; [unrolled: 1-line block ×3, first 2 shown]
	v_cmp_ne_u64_e64 s[8:9], v[6:7], v[24:25]
	s_mul_i32 s68, s36, s62
	s_add_i32 s69, s11, s10
	s_mul_i32 s70, s38, s62
	s_mov_b64 s[46:47], 0
	v_pk_mov_b32 v[28:29], v[18:19], v[18:19] op_sel:[0,1]
	v_pk_mov_b32 v[30:31], v[20:21], v[20:21] op_sel:[0,1]
	;; [unrolled: 1-line block ×3, first 2 shown]
	s_branch .LBB517_7
.LBB517_5:                              ;   in Loop: Header=BB517_7 Depth=2
	s_or_b64 exec, exec, s[48:49]
.LBB517_6:                              ;   in Loop: Header=BB517_7 Depth=2
	v_mov_b32_e32 v6, s27
	v_add_co_u32_e32 v32, vcc, s26, v32
	v_addc_co_u32_e32 v33, vcc, v33, v6, vcc
	v_mov_b32_e32 v7, s35
	v_add_co_u32_e32 v30, vcc, s34, v30
	v_addc_co_u32_e32 v31, vcc, v31, v7, vcc
	v_cmp_le_i64_e32 vcc, s[20:21], v[32:33]
	s_or_b64 s[46:47], vcc, s[46:47]
	v_add_co_u32_e32 v28, vcc, s26, v28
	v_addc_co_u32_e32 v29, vcc, v29, v6, vcc
	s_andn2_b64 exec, exec, s[46:47]
	s_cbranch_execz .LBB517_2
.LBB517_7:                              ;   Parent Loop BB517_3 Depth=1
                                        ; =>  This Loop Header: Depth=2
                                        ;       Child Loop BB517_12 Depth 3
                                        ;       Child Loop BB517_15 Depth 3
	;; [unrolled: 1-line block ×10, first 2 shown]
	v_mov_b32_e32 v6, s6
	v_add_co_u32_e32 v34, vcc, s61, v32
	v_addc_co_u32_e32 v35, vcc, v33, v6, vcc
	s_mov_b64 s[10:11], -1
	s_and_b64 vcc, exec, s[44:45]
	s_cbranch_vccz .LBB517_27
; %bb.8:                                ;   in Loop: Header=BB517_7 Depth=2
	v_mov_b32_e32 v36, 0xff7fffff
	s_and_saveexec_b64 s[48:49], s[2:3]
	s_cbranch_execnz .LBB517_11
; %bb.9:                                ;   in Loop: Header=BB517_7 Depth=2
	s_or_b64 exec, exec, s[48:49]
	s_waitcnt lgkmcnt(0)
	v_mov_b32_e32 v38, 0
	s_and_saveexec_b64 s[48:49], s[2:3]
	s_cbranch_execnz .LBB517_14
.LBB517_10:                             ;   in Loop: Header=BB517_7 Depth=2
	s_or_b64 exec, exec, s[48:49]
	s_and_saveexec_b64 s[48:49], s[2:3]
	s_cbranch_execnz .LBB517_17
	s_branch .LBB517_26
.LBB517_11:                             ;   in Loop: Header=BB517_7 Depth=2
	s_mov_b64 s[50:51], 0
	v_mov_b32_e32 v36, 0xff7fffff
	v_pk_mov_b32 v[6:7], v[30:31], v[30:31] op_sel:[0,1]
	v_pk_mov_b32 v[8:9], v[14:15], v[14:15] op_sel:[0,1]
.LBB517_12:                             ;   Parent Loop BB517_3 Depth=1
                                        ;     Parent Loop BB517_7 Depth=2
                                        ; =>    This Inner Loop Header: Depth=3
	global_load_ushort v23, v[6:7], off
	v_mov_b32_e32 v37, s7
	s_waitcnt lgkmcnt(0)
	v_mov_b32_e32 v38, s67
	v_add_co_u32_e32 v6, vcc, s68, v6
	v_add_co_u32_e64 v8, s[10:11], s62, v8
	v_addc_co_u32_e64 v9, s[10:11], v9, v37, s[10:11]
	v_addc_co_u32_e32 v7, vcc, v7, v38, vcc
	v_cmp_le_i64_e32 vcc, s[18:19], v[8:9]
	s_or_b64 s[50:51], vcc, s[50:51]
	s_waitcnt vmcnt(0)
	v_cvt_f32_f16_e32 v23, v23
	v_cmp_lt_f32_e32 vcc, v36, v23
	v_cndmask_b32_e32 v36, v36, v23, vcc
	s_andn2_b64 exec, exec, s[50:51]
	s_cbranch_execnz .LBB517_12
; %bb.13:                               ;   in Loop: Header=BB517_7 Depth=2
	s_or_b64 exec, exec, s[50:51]
	s_or_b64 exec, exec, s[48:49]
	v_mov_b32_e32 v38, 0
	s_and_saveexec_b64 s[48:49], s[2:3]
	s_cbranch_execz .LBB517_10
.LBB517_14:                             ;   in Loop: Header=BB517_7 Depth=2
	s_mov_b64 s[50:51], 0
	v_mov_b32_e32 v38, 0
	v_pk_mov_b32 v[6:7], v[30:31], v[30:31] op_sel:[0,1]
	v_pk_mov_b32 v[8:9], v[14:15], v[14:15] op_sel:[0,1]
.LBB517_15:                             ;   Parent Loop BB517_3 Depth=1
                                        ;     Parent Loop BB517_7 Depth=2
                                        ; =>    This Inner Loop Header: Depth=3
	global_load_ushort v23, v[6:7], off
	v_mov_b32_e32 v37, s7
	v_add_co_u32_e64 v8, s[10:11], s62, v8
	v_mov_b32_e32 v40, s67
	v_add_co_u32_e32 v6, vcc, s68, v6
	v_addc_co_u32_e64 v9, s[10:11], v9, v37, s[10:11]
	v_addc_co_u32_e32 v7, vcc, v7, v40, vcc
	v_cmp_le_i64_e32 vcc, s[18:19], v[8:9]
	s_or_b64 s[50:51], vcc, s[50:51]
	s_waitcnt vmcnt(0)
	v_cvt_f32_f16_e32 v23, v23
	v_sub_f32_e32 v23, v23, v36
	v_mul_f32_e32 v37, 0x3fb8aa3b, v23
	v_fma_f32 v40, v23, s58, -v37
	v_rndne_f32_e32 v41, v37
	v_fmac_f32_e32 v40, 0x32a5705f, v23
	v_sub_f32_e32 v37, v37, v41
	v_add_f32_e32 v37, v37, v40
	v_cvt_i32_f32_e32 v41, v41
	v_exp_f32_e32 v37, v37
	v_cmp_ngt_f32_e32 vcc, s59, v23
	v_ldexp_f32 v37, v37, v41
	v_cndmask_b32_e32 v37, 0, v37, vcc
	v_cmp_nlt_f32_e32 vcc, s60, v23
	v_cndmask_b32_e32 v23, v50, v37, vcc
	v_add_f32_e32 v38, v38, v23
	s_andn2_b64 exec, exec, s[50:51]
	s_cbranch_execnz .LBB517_15
; %bb.16:                               ;   in Loop: Header=BB517_7 Depth=2
	s_or_b64 exec, exec, s[50:51]
	s_or_b64 exec, exec, s[48:49]
	s_and_saveexec_b64 s[48:49], s[2:3]
	s_cbranch_execz .LBB517_26
.LBB517_17:                             ;   in Loop: Header=BB517_7 Depth=2
	s_mov_b64 s[50:51], -1
	v_pk_mov_b32 v[6:7], v[14:15], v[14:15] op_sel:[0,1]
	v_pk_mov_b32 v[8:9], v[16:17], v[16:17] op_sel:[0,1]
	s_and_saveexec_b64 s[10:11], s[4:5]
	s_cbranch_execz .LBB517_23
; %bb.18:                               ;   in Loop: Header=BB517_7 Depth=2
	v_pk_mov_b32 v[8:9], v[4:5], v[4:5] op_sel:[0,1]
	v_mov_b32_e32 v40, v34
	v_mov_b32_e32 v41, v35
	;; [unrolled: 1-line block ×4, first 2 shown]
	s_mov_b64 s[50:51], 0
	v_pk_mov_b32 v[42:43], v[24:25], v[24:25] op_sel:[0,1]
	v_pk_mov_b32 v[6:7], v[2:3], v[2:3] op_sel:[0,1]
.LBB517_19:                             ;   Parent Loop BB517_3 Depth=1
                                        ;     Parent Loop BB517_7 Depth=2
                                        ; =>    This Inner Loop Header: Depth=3
	v_mul_lo_u32 v46, v8, s57
	v_mul_lo_u32 v47, v9, s56
	v_mad_u64_u32 v[44:45], s[52:53], v8, s56, v[40:41]
	v_add3_u32 v45, v47, v45, v46
	v_mul_lo_u32 v48, v6, s55
	v_mul_lo_u32 v49, v7, s23
	v_mad_u64_u32 v[46:47], s[52:53], v6, s23, v[34:35]
	v_add3_u32 v47, v49, v47, v48
	v_lshlrev_b64 v[48:49], 1, v[46:47]
	v_add_co_u32_e32 v48, vcc, s14, v48
	v_mov_b32_e32 v55, s15
	v_addc_co_u32_e32 v49, vcc, v55, v49, vcc
	v_lshlrev_b64 v[56:57], 1, v[44:45]
	v_add_co_u32_e32 v56, vcc, s14, v56
	v_addc_co_u32_e32 v57, vcc, v55, v57, vcc
	global_load_ushort v48, v[48:49], off
	s_nop 0
	global_load_ushort v49, v[56:57], off
	v_lshlrev_b64 v[46:47], 2, v[46:47]
	v_lshlrev_b64 v[44:45], 2, v[44:45]
	s_waitcnt vmcnt(1)
	v_cvt_f32_f16_e32 v48, v48
	s_waitcnt vmcnt(0)
	v_cvt_f32_f16_e32 v49, v49
	v_pk_add_f32 v[48:49], v[48:49], v[36:37] neg_lo:[0,1] neg_hi:[0,1]
	v_mul_f32_e32 v55, 0x3fb8aa3b, v48
	v_fma_f32 v56, v48, s58, -v55
	v_rndne_f32_e32 v57, v55
	v_fmac_f32_e32 v56, 0x32a5705f, v48
	v_sub_f32_e32 v55, v55, v57
	v_add_f32_e32 v55, v55, v56
	v_exp_f32_e32 v55, v55
	v_cvt_i32_f32_e32 v56, v57
	v_cmp_ngt_f32_e32 vcc, s59, v48
	v_ldexp_f32 v55, v55, v56
	v_cndmask_b32_e32 v55, 0, v55, vcc
	v_cmp_nlt_f32_e32 vcc, s60, v48
	v_cndmask_b32_e32 v48, v50, v55, vcc
	v_mul_f32_e32 v55, 0x3fb8aa3b, v49
	v_fma_f32 v56, v49, s58, -v55
	v_rndne_f32_e32 v57, v55
	v_fmac_f32_e32 v56, 0x32a5705f, v49
	v_sub_f32_e32 v55, v55, v57
	v_add_f32_e32 v55, v55, v56
	v_exp_f32_e32 v55, v55
	v_cvt_i32_f32_e32 v56, v57
	v_cmp_ngt_f32_e32 vcc, s59, v49
	v_ldexp_f32 v55, v55, v56
	v_cndmask_b32_e32 v55, 0, v55, vcc
	v_cmp_nlt_f32_e32 vcc, s60, v49
	v_cndmask_b32_e32 v49, v50, v55, vcc
	v_div_scale_f32 v55, s[52:53], v23, v23, v49
	v_rcp_f32_e32 v56, v55
	v_fma_f32 v57, -v55, v56, 1.0
	v_fmac_f32_e32 v56, v57, v56
	v_div_scale_f32 v57, vcc, v49, v23, v49
	v_mul_f32_e32 v58, v57, v56
	v_fma_f32 v59, -v55, v58, v57
	v_fmac_f32_e32 v58, v59, v56
	v_fma_f32 v55, -v55, v58, v57
	v_div_fmas_f32 v55, v55, v56, v58
	v_div_fixup_f32 v49, v55, v23, v49
	v_div_scale_f32 v55, s[52:53], v38, v38, v48
	v_rcp_f32_e32 v56, v55
	v_fma_f32 v57, -v55, v56, 1.0
	v_fmac_f32_e32 v56, v57, v56
	v_div_scale_f32 v57, vcc, v48, v38, v48
	v_mul_f32_e32 v58, v57, v56
	v_fma_f32 v59, -v55, v58, v57
	v_fmac_f32_e32 v58, v59, v56
	v_fma_f32 v55, -v55, v58, v57
	v_div_fmas_f32 v55, v55, v56, v58
	v_div_fixup_f32 v48, v55, v38, v48
	v_add_co_u32_e32 v46, vcc, s12, v46
	v_mov_b32_e32 v55, s13
	v_addc_co_u32_e32 v47, vcc, v55, v47, vcc
	v_add_co_u32_e32 v44, vcc, s12, v44
	v_addc_co_u32_e32 v45, vcc, v55, v45, vcc
	global_store_dword v[46:47], v48, off
	global_store_dword v[44:45], v49, off
	v_add_co_u32_e32 v8, vcc, s65, v8
	v_mov_b32_e32 v44, s66
	v_addc_co_u32_e32 v9, vcc, v9, v44, vcc
	v_add_co_u32_e32 v6, vcc, s63, v6
	v_mov_b32_e32 v44, s64
	v_addc_co_u32_e32 v7, vcc, v7, v44, vcc
	v_add_co_u32_e32 v42, vcc, -2, v42
	v_addc_co_u32_e32 v43, vcc, -1, v43, vcc
	v_cmp_eq_u64_e32 vcc, 0, v[42:43]
	s_or_b64 s[50:51], vcc, s[50:51]
	s_andn2_b64 exec, exec, s[50:51]
	s_cbranch_execnz .LBB517_19
; %bb.20:                               ;   in Loop: Header=BB517_7 Depth=2
	s_or_b64 exec, exec, s[50:51]
	s_mov_b64 s[50:51], 0
                                        ; implicit-def: $vgpr8_vgpr9
	s_and_saveexec_b64 s[52:53], s[8:9]
	s_xor_b64 s[52:53], exec, s[52:53]
; %bb.21:                               ;   in Loop: Header=BB517_7 Depth=2
	v_mul_lo_u32 v6, s21, v26
	v_mul_lo_u32 v7, s20, v27
	v_mad_u64_u32 v[8:9], s[72:73], s20, v26, 0
	s_mov_b64 s[50:51], exec
	v_add3_u32 v9, v9, v7, v6
; %bb.22:                               ;   in Loop: Header=BB517_7 Depth=2
	s_or_b64 exec, exec, s[52:53]
	s_orn2_b64 s[50:51], s[50:51], exec
	v_pk_mov_b32 v[6:7], v[26:27], v[26:27] op_sel:[0,1]
.LBB517_23:                             ;   in Loop: Header=BB517_7 Depth=2
	s_or_b64 exec, exec, s[10:11]
	s_and_b64 exec, exec, s[50:51]
	s_cbranch_execz .LBB517_26
; %bb.24:                               ;   in Loop: Header=BB517_7 Depth=2
	v_add_co_u32_e32 v40, vcc, v28, v8
	v_addc_co_u32_e32 v41, vcc, v29, v9, vcc
	v_lshlrev_b64 v[8:9], 1, v[40:41]
	v_mov_b32_e32 v23, s15
	v_add_co_u32_e32 v8, vcc, s14, v8
	v_addc_co_u32_e32 v9, vcc, v23, v9, vcc
	v_lshlrev_b64 v[40:41], 2, v[40:41]
	v_mov_b32_e32 v23, s13
	v_add_co_u32_e32 v40, vcc, s12, v40
	v_addc_co_u32_e32 v41, vcc, v23, v41, vcc
	s_mov_b64 s[50:51], 0
.LBB517_25:                             ;   Parent Loop BB517_3 Depth=1
                                        ;     Parent Loop BB517_7 Depth=2
                                        ; =>    This Inner Loop Header: Depth=3
	global_load_ushort v23, v[8:9], off
	v_mov_b32_e32 v37, s7
	v_add_co_u32_e64 v6, s[10:11], s62, v6
	v_mov_b32_e32 v42, s67
	v_add_co_u32_e32 v8, vcc, s68, v8
	v_addc_co_u32_e64 v7, s[10:11], v7, v37, s[10:11]
	v_addc_co_u32_e32 v9, vcc, v9, v42, vcc
	v_cmp_le_i64_e32 vcc, s[18:19], v[6:7]
	s_or_b64 s[50:51], vcc, s[50:51]
	v_mov_b32_e32 v43, s69
	s_waitcnt vmcnt(0)
	v_cvt_f32_f16_e32 v23, v23
	v_sub_f32_e32 v23, v23, v36
	v_mul_f32_e32 v37, 0x3fb8aa3b, v23
	v_fma_f32 v42, v23, s58, -v37
	v_rndne_f32_e32 v44, v37
	v_fmac_f32_e32 v42, 0x32a5705f, v23
	v_sub_f32_e32 v37, v37, v44
	v_add_f32_e32 v37, v37, v42
	v_cvt_i32_f32_e32 v44, v44
	v_exp_f32_e32 v37, v37
	v_cmp_ngt_f32_e32 vcc, s59, v23
	v_ldexp_f32 v37, v37, v44
	v_cndmask_b32_e32 v37, 0, v37, vcc
	v_cmp_nlt_f32_e32 vcc, s60, v23
	v_cndmask_b32_e32 v23, v50, v37, vcc
	v_div_scale_f32 v37, s[10:11], v38, v38, v23
	v_rcp_f32_e32 v44, v37
	v_div_scale_f32 v42, vcc, v23, v38, v23
	v_fma_f32 v45, -v37, v44, 1.0
	v_fmac_f32_e32 v44, v45, v44
	v_mul_f32_e32 v45, v42, v44
	v_fma_f32 v46, -v37, v45, v42
	v_fmac_f32_e32 v45, v46, v44
	v_fma_f32 v37, -v37, v45, v42
	v_div_fmas_f32 v37, v37, v44, v45
	v_div_fixup_f32 v23, v37, v38, v23
	global_store_dword v[40:41], v23, off
	v_add_co_u32_e32 v40, vcc, s70, v40
	v_addc_co_u32_e32 v41, vcc, v41, v43, vcc
	s_andn2_b64 exec, exec, s[50:51]
	s_cbranch_execnz .LBB517_25
.LBB517_26:                             ;   in Loop: Header=BB517_7 Depth=2
	s_or_b64 exec, exec, s[48:49]
	s_mov_b64 s[10:11], 0
.LBB517_27:                             ;   in Loop: Header=BB517_7 Depth=2
	s_and_b64 vcc, exec, s[10:11]
	s_cbranch_vccz .LBB517_6
; %bb.28:                               ;   in Loop: Header=BB517_7 Depth=2
	v_mov_b32_e32 v23, 0xff7fffff
	s_and_saveexec_b64 s[48:49], s[2:3]
	s_cbranch_execz .LBB517_32
; %bb.29:                               ;   in Loop: Header=BB517_7 Depth=2
	s_mov_b64 s[50:51], 0
	v_mov_b32_e32 v23, 0xff7fffff
	v_pk_mov_b32 v[6:7], v[30:31], v[30:31] op_sel:[0,1]
	v_pk_mov_b32 v[8:9], v[14:15], v[14:15] op_sel:[0,1]
.LBB517_30:                             ;   Parent Loop BB517_3 Depth=1
                                        ;     Parent Loop BB517_7 Depth=2
                                        ; =>    This Inner Loop Header: Depth=3
	global_load_ushort v36, v[6:7], off
	v_mov_b32_e32 v37, s7
	s_waitcnt lgkmcnt(0)
	v_mov_b32_e32 v38, s67
	v_add_co_u32_e32 v6, vcc, s68, v6
	v_add_co_u32_e64 v8, s[10:11], s62, v8
	v_addc_co_u32_e64 v9, s[10:11], v9, v37, s[10:11]
	v_addc_co_u32_e32 v7, vcc, v7, v38, vcc
	v_cmp_le_i64_e32 vcc, s[18:19], v[8:9]
	s_or_b64 s[50:51], vcc, s[50:51]
	s_waitcnt vmcnt(0)
	v_cvt_f32_f16_e32 v36, v36
	v_cmp_lt_f32_e32 vcc, v23, v36
	v_cndmask_b32_e32 v23, v23, v36, vcc
	s_andn2_b64 exec, exec, s[50:51]
	s_cbranch_execnz .LBB517_30
; %bb.31:                               ;   in Loop: Header=BB517_7 Depth=2
	s_or_b64 exec, exec, s[50:51]
.LBB517_32:                             ;   in Loop: Header=BB517_7 Depth=2
	s_or_b64 exec, exec, s[48:49]
	s_mov_b32 s48, s62
	s_barrier
	ds_write_b32 v53, v23
	s_branch .LBB517_34
.LBB517_33:                             ;   in Loop: Header=BB517_34 Depth=3
	s_or_b64 exec, exec, s[10:11]
	s_cmp_gt_u32 s48, 3
	s_mov_b32 s48, s49
	s_cbranch_scc0 .LBB517_36
.LBB517_34:                             ;   Parent Loop BB517_3 Depth=1
                                        ;     Parent Loop BB517_7 Depth=2
                                        ; =>    This Inner Loop Header: Depth=3
	s_lshr_b32 s49, s48, 1
	v_cmp_gt_u32_e32 vcc, s49, v14
	s_waitcnt lgkmcnt(0)
	s_barrier
	s_and_saveexec_b64 s[10:11], vcc
	s_cbranch_execz .LBB517_33
; %bb.35:                               ;   in Loop: Header=BB517_34 Depth=3
	v_lshl_add_u32 v6, s49, 2, v53
	ds_read_b32 v7, v53
	ds_read_b32 v6, v6
	s_waitcnt lgkmcnt(0)
	v_cmp_lt_f32_e32 vcc, v7, v6
	v_cndmask_b32_e32 v6, v7, v6, vcc
	ds_write_b32 v53, v6
	s_branch .LBB517_33
.LBB517_36:                             ;   in Loop: Header=BB517_7 Depth=2
	s_waitcnt lgkmcnt(0)
	s_barrier
	ds_read_b32 v36, v52
	v_mov_b32_e32 v23, 0
	s_and_saveexec_b64 s[48:49], s[2:3]
	s_cbranch_execz .LBB517_40
; %bb.37:                               ;   in Loop: Header=BB517_7 Depth=2
	s_mov_b64 s[50:51], 0
	v_mov_b32_e32 v23, 0
	v_pk_mov_b32 v[6:7], v[30:31], v[30:31] op_sel:[0,1]
	v_pk_mov_b32 v[8:9], v[14:15], v[14:15] op_sel:[0,1]
.LBB517_38:                             ;   Parent Loop BB517_3 Depth=1
                                        ;     Parent Loop BB517_7 Depth=2
                                        ; =>    This Inner Loop Header: Depth=3
	global_load_ushort v37, v[6:7], off
	v_mov_b32_e32 v38, s7
	v_add_co_u32_e64 v8, s[10:11], s62, v8
	v_mov_b32_e32 v40, s67
	v_add_co_u32_e32 v6, vcc, s68, v6
	v_addc_co_u32_e64 v9, s[10:11], v9, v38, s[10:11]
	v_addc_co_u32_e32 v7, vcc, v7, v40, vcc
	v_cmp_le_i64_e32 vcc, s[18:19], v[8:9]
	s_or_b64 s[50:51], vcc, s[50:51]
	s_waitcnt vmcnt(0)
	v_cvt_f32_f16_e32 v37, v37
	s_waitcnt lgkmcnt(0)
	v_sub_f32_e32 v37, v37, v36
	v_mul_f32_e32 v38, 0x3fb8aa3b, v37
	v_fma_f32 v40, v37, s58, -v38
	v_rndne_f32_e32 v41, v38
	v_fmac_f32_e32 v40, 0x32a5705f, v37
	v_sub_f32_e32 v38, v38, v41
	v_add_f32_e32 v38, v38, v40
	v_cvt_i32_f32_e32 v41, v41
	v_exp_f32_e32 v38, v38
	v_cmp_ngt_f32_e32 vcc, s59, v37
	v_ldexp_f32 v38, v38, v41
	v_cndmask_b32_e32 v38, 0, v38, vcc
	v_cmp_nlt_f32_e32 vcc, s60, v37
	v_cndmask_b32_e32 v37, v50, v38, vcc
	v_add_f32_e32 v23, v23, v37
	s_andn2_b64 exec, exec, s[50:51]
	s_cbranch_execnz .LBB517_38
; %bb.39:                               ;   in Loop: Header=BB517_7 Depth=2
	s_or_b64 exec, exec, s[50:51]
.LBB517_40:                             ;   in Loop: Header=BB517_7 Depth=2
	s_or_b64 exec, exec, s[48:49]
	s_mov_b32 s48, s62
	s_waitcnt lgkmcnt(0)
	s_barrier
	ds_write_b32 v53, v23
	s_branch .LBB517_42
.LBB517_41:                             ;   in Loop: Header=BB517_42 Depth=3
	s_or_b64 exec, exec, s[10:11]
	s_cmp_gt_u32 s48, 3
	s_mov_b32 s48, s49
	s_cbranch_scc0 .LBB517_44
.LBB517_42:                             ;   Parent Loop BB517_3 Depth=1
                                        ;     Parent Loop BB517_7 Depth=2
                                        ; =>    This Inner Loop Header: Depth=3
	s_lshr_b32 s49, s48, 1
	v_cmp_gt_u32_e32 vcc, s49, v14
	s_waitcnt lgkmcnt(0)
	s_barrier
	s_and_saveexec_b64 s[10:11], vcc
	s_cbranch_execz .LBB517_41
; %bb.43:                               ;   in Loop: Header=BB517_42 Depth=3
	v_lshl_add_u32 v6, s49, 2, v53
	ds_read_b32 v7, v53
	ds_read_b32 v6, v6
	s_waitcnt lgkmcnt(0)
	v_add_f32_e32 v6, v7, v6
	ds_write_b32 v53, v6
	s_branch .LBB517_41
.LBB517_44:                             ;   in Loop: Header=BB517_7 Depth=2
	s_waitcnt lgkmcnt(0)
	s_barrier
	s_and_saveexec_b64 s[48:49], s[2:3]
	s_cbranch_execz .LBB517_5
; %bb.45:                               ;   in Loop: Header=BB517_7 Depth=2
	ds_read_b32 v38, v52
	v_cmp_ne_u64_e32 vcc, 0, v[12:13]
                                        ; implicit-def: $vgpr6_vgpr7
	s_and_saveexec_b64 s[10:11], vcc
	s_xor_b64 s[50:51], exec, s[10:11]
	s_cbranch_execz .LBB517_47
; %bb.46:                               ;   in Loop: Header=BB517_7 Depth=2
	v_cvt_f32_u32_e32 v6, s62
	s_sub_u32 s10, 0, s62
	s_subb_u32 s11, 0, 0
	v_mac_f32_e32 v6, 0, v51
	v_rcp_f32_e32 v6, v6
	v_mul_f32_e32 v6, 0x5f7ffffc, v6
	v_mul_f32_e32 v7, 0x2f800000, v6
	v_trunc_f32_e32 v7, v7
	v_mac_f32_e32 v6, 0xcf800000, v7
	v_cvt_u32_f32_e32 v7, v7
	v_cvt_u32_f32_e32 v6, v6
	v_mul_lo_u32 v8, s10, v7
	v_mul_hi_u32 v23, s10, v6
	v_mul_lo_u32 v9, s11, v6
	v_add_u32_e32 v8, v23, v8
	v_mul_lo_u32 v37, s10, v6
	v_add_u32_e32 v8, v8, v9
	v_mul_hi_u32 v23, v6, v37
	v_mul_lo_u32 v40, v6, v8
	v_mul_hi_u32 v9, v6, v8
	v_add_co_u32_e32 v23, vcc, v23, v40
	v_addc_co_u32_e32 v9, vcc, 0, v9, vcc
	v_mul_hi_u32 v41, v7, v37
	v_mul_lo_u32 v37, v7, v37
	v_add_co_u32_e32 v23, vcc, v23, v37
	v_mul_hi_u32 v40, v7, v8
	v_addc_co_u32_e32 v9, vcc, v9, v41, vcc
	v_addc_co_u32_e32 v23, vcc, 0, v40, vcc
	v_mul_lo_u32 v8, v7, v8
	v_add_co_u32_e32 v8, vcc, v9, v8
	v_addc_co_u32_e32 v9, vcc, 0, v23, vcc
	v_add_co_u32_e32 v6, vcc, v6, v8
	v_addc_co_u32_e32 v7, vcc, v7, v9, vcc
	v_mul_lo_u32 v8, s10, v7
	v_mul_hi_u32 v9, s10, v6
	v_add_u32_e32 v8, v9, v8
	v_mul_lo_u32 v9, s11, v6
	v_add_u32_e32 v8, v8, v9
	v_mul_lo_u32 v23, s10, v6
	v_mul_hi_u32 v37, v7, v23
	v_mul_lo_u32 v40, v7, v23
	v_mul_lo_u32 v42, v6, v8
	v_mul_hi_u32 v23, v6, v23
	v_mul_hi_u32 v41, v6, v8
	v_add_co_u32_e32 v23, vcc, v23, v42
	v_addc_co_u32_e32 v41, vcc, 0, v41, vcc
	v_add_co_u32_e32 v23, vcc, v23, v40
	v_mul_hi_u32 v9, v7, v8
	v_addc_co_u32_e32 v23, vcc, v41, v37, vcc
	v_addc_co_u32_e32 v9, vcc, 0, v9, vcc
	v_mul_lo_u32 v8, v7, v8
	v_add_co_u32_e32 v8, vcc, v23, v8
	v_addc_co_u32_e32 v9, vcc, 0, v9, vcc
	v_add_co_u32_e32 v8, vcc, v6, v8
	v_addc_co_u32_e32 v9, vcc, v7, v9, vcc
	v_mad_u64_u32 v[6:7], s[10:11], v54, v9, 0
	v_mul_hi_u32 v23, v54, v8
	v_add_co_u32_e32 v23, vcc, v23, v6
	v_addc_co_u32_e32 v37, vcc, 0, v7, vcc
	v_mad_u64_u32 v[6:7], s[10:11], v13, v9, 0
	v_mad_u64_u32 v[8:9], s[10:11], v13, v8, 0
	v_add_co_u32_e32 v8, vcc, v23, v8
	v_addc_co_u32_e32 v8, vcc, v37, v9, vcc
	v_addc_co_u32_e32 v7, vcc, 0, v7, vcc
	v_add_co_u32_e32 v23, vcc, v8, v6
	v_addc_co_u32_e32 v37, vcc, 0, v7, vcc
	v_mad_u64_u32 v[6:7], s[10:11], s62, v23, 0
	v_mov_b32_e32 v8, v7
	v_mad_u64_u32 v[8:9], s[10:11], s62, v37, v[8:9]
	v_sub_co_u32_e32 v6, vcc, v54, v6
	v_subb_co_u32_e32 v7, vcc, v13, v8, vcc
	v_subrev_co_u32_e32 v8, vcc, s62, v6
	v_subbrev_co_u32_e32 v9, vcc, 0, v7, vcc
	v_cmp_le_u32_e32 vcc, s62, v8
	v_cndmask_b32_e64 v8, 0, -1, vcc
	v_cmp_eq_u32_e32 vcc, 0, v9
	v_cndmask_b32_e32 v8, -1, v8, vcc
	v_add_co_u32_e32 v9, vcc, 2, v23
	v_addc_co_u32_e32 v40, vcc, 0, v37, vcc
	v_add_co_u32_e32 v41, vcc, 1, v23
	v_cmp_le_u32_e64 s[10:11], s62, v6
	v_addc_co_u32_e32 v42, vcc, 0, v37, vcc
	v_cndmask_b32_e64 v6, 0, -1, s[10:11]
	v_cmp_eq_u32_e64 s[10:11], 0, v7
	v_cmp_ne_u32_e32 vcc, 0, v8
	v_cndmask_b32_e64 v6, -1, v6, s[10:11]
	v_cndmask_b32_e32 v8, v42, v40, vcc
	v_cmp_ne_u32_e64 s[10:11], 0, v6
	v_cndmask_b32_e32 v6, v41, v9, vcc
	v_cndmask_b32_e64 v7, v37, v8, s[10:11]
	v_cndmask_b32_e64 v6, v23, v6, s[10:11]
.LBB517_47:                             ;   in Loop: Header=BB517_7 Depth=2
	s_andn2_saveexec_b64 s[10:11], s[50:51]
	s_cbranch_execz .LBB517_49
; %bb.48:                               ;   in Loop: Header=BB517_7 Depth=2
	v_cvt_f32_u32_e32 v6, s62
	s_sub_i32 s50, 0, s62
	v_rcp_iflag_f32_e32 v6, v6
	v_mul_f32_e32 v6, 0x4f7ffffe, v6
	v_cvt_u32_f32_e32 v6, v6
	v_mul_lo_u32 v7, s50, v6
	v_mul_hi_u32 v7, v6, v7
	v_add_u32_e32 v6, v6, v7
	v_mul_hi_u32 v6, v54, v6
	v_mul_lo_u32 v7, v6, s62
	v_sub_u32_e32 v7, v54, v7
	v_add_u32_e32 v8, 1, v6
	v_subrev_u32_e32 v9, s62, v7
	v_cmp_le_u32_e32 vcc, s62, v7
	v_cndmask_b32_e32 v7, v7, v9, vcc
	v_cndmask_b32_e32 v6, v6, v8, vcc
	v_add_u32_e32 v8, 1, v6
	v_cmp_le_u32_e32 vcc, s62, v7
	v_cndmask_b32_e32 v6, v6, v8, vcc
	v_mov_b32_e32 v7, v12
.LBB517_49:                             ;   in Loop: Header=BB517_7 Depth=2
	s_or_b64 exec, exec, s[10:11]
	v_add_co_u32_e32 v40, vcc, v22, v6
	v_addc_co_u32_e32 v41, vcc, 0, v7, vcc
	v_cmp_lt_u64_e32 vcc, 1, v[40:41]
	s_mov_b64 s[50:51], -1
	v_pk_mov_b32 v[6:7], v[14:15], v[14:15] op_sel:[0,1]
	v_pk_mov_b32 v[8:9], v[16:17], v[16:17] op_sel:[0,1]
	s_and_saveexec_b64 s[10:11], vcc
	s_cbranch_execz .LBB517_55
; %bb.50:                               ;   in Loop: Header=BB517_7 Depth=2
	v_and_b32_e32 v42, -2, v40
	v_mov_b32_e32 v43, v41
	v_pk_mov_b32 v[8:9], v[4:5], v[4:5] op_sel:[0,1]
	v_mov_b32_e32 v44, v34
	v_mov_b32_e32 v45, v35
	;; [unrolled: 1-line block ×3, first 2 shown]
	s_waitcnt lgkmcnt(0)
	v_mov_b32_e32 v23, v38
	s_mov_b64 s[50:51], 0
	v_pk_mov_b32 v[46:47], v[42:43], v[42:43] op_sel:[0,1]
	v_pk_mov_b32 v[6:7], v[2:3], v[2:3] op_sel:[0,1]
.LBB517_51:                             ;   Parent Loop BB517_3 Depth=1
                                        ;     Parent Loop BB517_7 Depth=2
                                        ; =>    This Inner Loop Header: Depth=3
	v_mul_lo_u32 v55, v8, s57
	v_mul_lo_u32 v56, v9, s56
	v_mad_u64_u32 v[48:49], s[52:53], v8, s56, v[44:45]
	v_add3_u32 v49, v56, v49, v55
	v_mul_lo_u32 v55, v6, s55
	v_mul_lo_u32 v58, v7, s23
	v_mad_u64_u32 v[56:57], s[52:53], v6, s23, v[34:35]
	v_add3_u32 v57, v58, v57, v55
	v_lshlrev_b64 v[58:59], 1, v[56:57]
	v_add_co_u32_e32 v58, vcc, s14, v58
	v_mov_b32_e32 v55, s15
	v_addc_co_u32_e32 v59, vcc, v55, v59, vcc
	v_lshlrev_b64 v[60:61], 1, v[48:49]
	v_add_co_u32_e32 v60, vcc, s14, v60
	v_addc_co_u32_e32 v61, vcc, v55, v61, vcc
	global_load_ushort v55, v[58:59], off
	s_nop 0
	global_load_ushort v58, v[60:61], off
	v_lshlrev_b64 v[56:57], 2, v[56:57]
	v_lshlrev_b64 v[48:49], 2, v[48:49]
	s_waitcnt vmcnt(0)
	v_cvt_f32_f16_e32 v59, v58
	v_cvt_f32_f16_e32 v58, v55
	v_pk_add_f32 v[58:59], v[58:59], v[36:37] neg_lo:[0,1] neg_hi:[0,1]
	v_mul_f32_e32 v55, 0x3fb8aa3b, v58
	v_fma_f32 v60, v58, s58, -v55
	v_rndne_f32_e32 v61, v55
	v_fmac_f32_e32 v60, 0x32a5705f, v58
	v_sub_f32_e32 v55, v55, v61
	v_add_f32_e32 v55, v55, v60
	v_exp_f32_e32 v55, v55
	v_cvt_i32_f32_e32 v60, v61
	v_cmp_ngt_f32_e32 vcc, s59, v58
	v_ldexp_f32 v55, v55, v60
	v_cndmask_b32_e32 v55, 0, v55, vcc
	v_cmp_nlt_f32_e32 vcc, s60, v58
	v_mul_f32_e32 v58, 0x3fb8aa3b, v59
	v_fma_f32 v60, v59, s58, -v58
	v_rndne_f32_e32 v61, v58
	v_fmac_f32_e32 v60, 0x32a5705f, v59
	v_sub_f32_e32 v58, v58, v61
	v_add_f32_e32 v58, v58, v60
	v_exp_f32_e32 v58, v58
	v_cvt_i32_f32_e32 v60, v61
	v_cndmask_b32_e32 v55, v50, v55, vcc
	v_cmp_ngt_f32_e32 vcc, s59, v59
	v_ldexp_f32 v58, v58, v60
	v_cndmask_b32_e32 v58, 0, v58, vcc
	v_cmp_nlt_f32_e32 vcc, s60, v59
	v_cndmask_b32_e32 v58, v50, v58, vcc
	v_div_scale_f32 v59, s[52:53], v23, v23, v58
	v_rcp_f32_e32 v60, v59
	v_fma_f32 v61, -v59, v60, 1.0
	v_fmac_f32_e32 v60, v61, v60
	v_div_scale_f32 v61, vcc, v58, v23, v58
	v_mul_f32_e32 v62, v61, v60
	v_fma_f32 v63, -v59, v62, v61
	v_fmac_f32_e32 v62, v63, v60
	v_fma_f32 v59, -v59, v62, v61
	v_div_fmas_f32 v59, v59, v60, v62
	v_div_fixup_f32 v58, v59, v23, v58
	v_div_scale_f32 v59, s[52:53], v38, v38, v55
	v_rcp_f32_e32 v60, v59
	v_fma_f32 v61, -v59, v60, 1.0
	v_fmac_f32_e32 v60, v61, v60
	v_div_scale_f32 v61, vcc, v55, v38, v55
	v_mul_f32_e32 v62, v61, v60
	v_fma_f32 v63, -v59, v62, v61
	v_fmac_f32_e32 v62, v63, v60
	v_fma_f32 v59, -v59, v62, v61
	v_div_fmas_f32 v59, v59, v60, v62
	v_div_fixup_f32 v55, v59, v38, v55
	v_add_co_u32_e32 v56, vcc, s12, v56
	v_mov_b32_e32 v59, s13
	v_addc_co_u32_e32 v57, vcc, v59, v57, vcc
	v_add_co_u32_e32 v48, vcc, s12, v48
	v_addc_co_u32_e32 v49, vcc, v59, v49, vcc
	global_store_dword v[56:57], v55, off
	global_store_dword v[48:49], v58, off
	v_add_co_u32_e32 v8, vcc, s65, v8
	v_mov_b32_e32 v48, s66
	v_addc_co_u32_e32 v9, vcc, v9, v48, vcc
	v_add_co_u32_e32 v6, vcc, s63, v6
	v_mov_b32_e32 v48, s64
	v_addc_co_u32_e32 v7, vcc, v7, v48, vcc
	v_add_co_u32_e32 v46, vcc, -2, v46
	v_addc_co_u32_e32 v47, vcc, -1, v47, vcc
	v_cmp_eq_u64_e32 vcc, 0, v[46:47]
	s_or_b64 s[50:51], vcc, s[50:51]
	s_andn2_b64 exec, exec, s[50:51]
	s_cbranch_execnz .LBB517_51
; %bb.52:                               ;   in Loop: Header=BB517_7 Depth=2
	s_or_b64 exec, exec, s[50:51]
	v_cmp_ne_u64_e32 vcc, v[40:41], v[42:43]
	s_mov_b64 s[50:51], 0
                                        ; implicit-def: $vgpr6_vgpr7
                                        ; implicit-def: $vgpr8_vgpr9
	s_and_saveexec_b64 s[52:53], vcc
	s_xor_b64 s[52:53], exec, s[52:53]
; %bb.53:                               ;   in Loop: Header=BB517_7 Depth=2
	v_mad_u64_u32 v[6:7], s[72:73], v42, s62, v[14:15]
	v_mov_b32_e32 v8, v7
	v_mad_u64_u32 v[8:9], s[72:73], v43, s62, v[8:9]
	v_mov_b32_e32 v7, v8
	v_mul_lo_u32 v23, s21, v6
	v_mul_lo_u32 v34, s20, v8
	v_mad_u64_u32 v[8:9], s[72:73], s20, v6, 0
	s_mov_b64 s[50:51], exec
	v_add3_u32 v9, v9, v34, v23
; %bb.54:                               ;   in Loop: Header=BB517_7 Depth=2
	s_or_b64 exec, exec, s[52:53]
	s_orn2_b64 s[50:51], s[50:51], exec
.LBB517_55:                             ;   in Loop: Header=BB517_7 Depth=2
	s_or_b64 exec, exec, s[10:11]
	s_and_b64 exec, exec, s[50:51]
	s_cbranch_execz .LBB517_5
; %bb.56:                               ;   in Loop: Header=BB517_7 Depth=2
	v_add_co_u32_e32 v34, vcc, v28, v8
	v_addc_co_u32_e32 v35, vcc, v29, v9, vcc
	v_lshlrev_b64 v[8:9], 1, v[34:35]
	v_mov_b32_e32 v23, s15
	v_add_co_u32_e32 v8, vcc, s14, v8
	v_addc_co_u32_e32 v9, vcc, v23, v9, vcc
	v_lshlrev_b64 v[34:35], 2, v[34:35]
	v_mov_b32_e32 v23, s13
	v_add_co_u32_e32 v34, vcc, s12, v34
	v_addc_co_u32_e32 v35, vcc, v23, v35, vcc
	s_mov_b64 s[50:51], 0
.LBB517_57:                             ;   Parent Loop BB517_3 Depth=1
                                        ;     Parent Loop BB517_7 Depth=2
                                        ; =>    This Inner Loop Header: Depth=3
	global_load_ushort v23, v[8:9], off
	v_mov_b32_e32 v37, s7
	v_add_co_u32_e64 v6, s[10:11], s62, v6
	v_mov_b32_e32 v40, s67
	v_add_co_u32_e32 v8, vcc, s68, v8
	v_addc_co_u32_e64 v7, s[10:11], v7, v37, s[10:11]
	v_addc_co_u32_e32 v9, vcc, v9, v40, vcc
	v_cmp_le_i64_e32 vcc, s[18:19], v[6:7]
	s_or_b64 s[50:51], vcc, s[50:51]
	v_mov_b32_e32 v41, s69
	s_waitcnt vmcnt(0)
	v_cvt_f32_f16_e32 v23, v23
	v_sub_f32_e32 v23, v23, v36
	v_mul_f32_e32 v37, 0x3fb8aa3b, v23
	v_fma_f32 v40, v23, s58, -v37
	v_rndne_f32_e32 v42, v37
	v_fmac_f32_e32 v40, 0x32a5705f, v23
	v_sub_f32_e32 v37, v37, v42
	v_add_f32_e32 v37, v37, v40
	v_cvt_i32_f32_e32 v42, v42
	v_exp_f32_e32 v37, v37
	v_cmp_ngt_f32_e32 vcc, s59, v23
	v_ldexp_f32 v37, v37, v42
	v_cndmask_b32_e32 v37, 0, v37, vcc
	v_cmp_nlt_f32_e32 vcc, s60, v23
	v_cndmask_b32_e32 v23, v50, v37, vcc
	s_waitcnt lgkmcnt(0)
	v_div_scale_f32 v37, s[10:11], v38, v38, v23
	v_rcp_f32_e32 v42, v37
	v_div_scale_f32 v40, vcc, v23, v38, v23
	v_fma_f32 v43, -v37, v42, 1.0
	v_fmac_f32_e32 v42, v43, v42
	v_mul_f32_e32 v43, v40, v42
	v_fma_f32 v44, -v37, v43, v40
	v_fmac_f32_e32 v43, v44, v42
	v_fma_f32 v37, -v37, v43, v40
	v_div_fmas_f32 v37, v37, v42, v43
	v_div_fixup_f32 v23, v37, v38, v23
	global_store_dword v[34:35], v23, off
	v_add_co_u32_e32 v34, vcc, s70, v34
	v_addc_co_u32_e32 v35, vcc, v35, v41, vcc
	s_andn2_b64 exec, exec, s[50:51]
	s_cbranch_execnz .LBB517_57
	s_branch .LBB517_5
.LBB517_58:
	s_endpgm
	.section	.rodata,"a",@progbits
	.p2align	6, 0x0
	.amdhsa_kernel _ZN2at6native12_GLOBAL__N_126cunn_SpatialSoftMaxForwardIN3c104HalfEfflNS1_22SoftMaxForwardEpilogueEEEvPT1_PKT_T2_SB_SB_
		.amdhsa_group_segment_fixed_size 0
		.amdhsa_private_segment_fixed_size 0
		.amdhsa_kernarg_size 296
		.amdhsa_user_sgpr_count 6
		.amdhsa_user_sgpr_private_segment_buffer 1
		.amdhsa_user_sgpr_dispatch_ptr 0
		.amdhsa_user_sgpr_queue_ptr 0
		.amdhsa_user_sgpr_kernarg_segment_ptr 1
		.amdhsa_user_sgpr_dispatch_id 0
		.amdhsa_user_sgpr_flat_scratch_init 0
		.amdhsa_user_sgpr_kernarg_preload_length 0
		.amdhsa_user_sgpr_kernarg_preload_offset 0
		.amdhsa_user_sgpr_private_segment_size 0
		.amdhsa_uses_dynamic_stack 0
		.amdhsa_system_sgpr_private_segment_wavefront_offset 0
		.amdhsa_system_sgpr_workgroup_id_x 1
		.amdhsa_system_sgpr_workgroup_id_y 1
		.amdhsa_system_sgpr_workgroup_id_z 0
		.amdhsa_system_sgpr_workgroup_info 0
		.amdhsa_system_vgpr_workitem_id 1
		.amdhsa_next_free_vgpr 64
		.amdhsa_next_free_sgpr 74
		.amdhsa_accum_offset 64
		.amdhsa_reserve_vcc 1
		.amdhsa_reserve_flat_scratch 0
		.amdhsa_float_round_mode_32 0
		.amdhsa_float_round_mode_16_64 0
		.amdhsa_float_denorm_mode_32 3
		.amdhsa_float_denorm_mode_16_64 3
		.amdhsa_dx10_clamp 1
		.amdhsa_ieee_mode 1
		.amdhsa_fp16_overflow 0
		.amdhsa_tg_split 0
		.amdhsa_exception_fp_ieee_invalid_op 0
		.amdhsa_exception_fp_denorm_src 0
		.amdhsa_exception_fp_ieee_div_zero 0
		.amdhsa_exception_fp_ieee_overflow 0
		.amdhsa_exception_fp_ieee_underflow 0
		.amdhsa_exception_fp_ieee_inexact 0
		.amdhsa_exception_int_div_zero 0
	.end_amdhsa_kernel
	.section	.text._ZN2at6native12_GLOBAL__N_126cunn_SpatialSoftMaxForwardIN3c104HalfEfflNS1_22SoftMaxForwardEpilogueEEEvPT1_PKT_T2_SB_SB_,"axG",@progbits,_ZN2at6native12_GLOBAL__N_126cunn_SpatialSoftMaxForwardIN3c104HalfEfflNS1_22SoftMaxForwardEpilogueEEEvPT1_PKT_T2_SB_SB_,comdat
.Lfunc_end517:
	.size	_ZN2at6native12_GLOBAL__N_126cunn_SpatialSoftMaxForwardIN3c104HalfEfflNS1_22SoftMaxForwardEpilogueEEEvPT1_PKT_T2_SB_SB_, .Lfunc_end517-_ZN2at6native12_GLOBAL__N_126cunn_SpatialSoftMaxForwardIN3c104HalfEfflNS1_22SoftMaxForwardEpilogueEEEvPT1_PKT_T2_SB_SB_
                                        ; -- End function
	.section	.AMDGPU.csdata,"",@progbits
; Kernel info:
; codeLenInByte = 4320
; NumSgprs: 78
; NumVgprs: 64
; NumAgprs: 0
; TotalNumVgprs: 64
; ScratchSize: 0
; MemoryBound: 0
; FloatMode: 240
; IeeeMode: 1
; LDSByteSize: 0 bytes/workgroup (compile time only)
; SGPRBlocks: 9
; VGPRBlocks: 7
; NumSGPRsForWavesPerEU: 78
; NumVGPRsForWavesPerEU: 64
; AccumOffset: 64
; Occupancy: 8
; WaveLimiterHint : 0
; COMPUTE_PGM_RSRC2:SCRATCH_EN: 0
; COMPUTE_PGM_RSRC2:USER_SGPR: 6
; COMPUTE_PGM_RSRC2:TRAP_HANDLER: 0
; COMPUTE_PGM_RSRC2:TGID_X_EN: 1
; COMPUTE_PGM_RSRC2:TGID_Y_EN: 1
; COMPUTE_PGM_RSRC2:TGID_Z_EN: 0
; COMPUTE_PGM_RSRC2:TIDIG_COMP_CNT: 1
; COMPUTE_PGM_RSRC3_GFX90A:ACCUM_OFFSET: 15
; COMPUTE_PGM_RSRC3_GFX90A:TG_SPLIT: 0
	.section	.text._ZN2at6native12_GLOBAL__N_126cunn_SpatialSoftMaxForwardIN3c108BFloat16EfS4_iNS1_22SoftMaxForwardEpilogueEEEvPT1_PKT_T2_SB_SB_,"axG",@progbits,_ZN2at6native12_GLOBAL__N_126cunn_SpatialSoftMaxForwardIN3c108BFloat16EfS4_iNS1_22SoftMaxForwardEpilogueEEEvPT1_PKT_T2_SB_SB_,comdat
	.globl	_ZN2at6native12_GLOBAL__N_126cunn_SpatialSoftMaxForwardIN3c108BFloat16EfS4_iNS1_22SoftMaxForwardEpilogueEEEvPT1_PKT_T2_SB_SB_ ; -- Begin function _ZN2at6native12_GLOBAL__N_126cunn_SpatialSoftMaxForwardIN3c108BFloat16EfS4_iNS1_22SoftMaxForwardEpilogueEEEvPT1_PKT_T2_SB_SB_
	.p2align	8
	.type	_ZN2at6native12_GLOBAL__N_126cunn_SpatialSoftMaxForwardIN3c108BFloat16EfS4_iNS1_22SoftMaxForwardEpilogueEEEvPT1_PKT_T2_SB_SB_,@function
_ZN2at6native12_GLOBAL__N_126cunn_SpatialSoftMaxForwardIN3c108BFloat16EfS4_iNS1_22SoftMaxForwardEpilogueEEEvPT1_PKT_T2_SB_SB_: ; @_ZN2at6native12_GLOBAL__N_126cunn_SpatialSoftMaxForwardIN3c108BFloat16EfS4_iNS1_22SoftMaxForwardEpilogueEEEvPT1_PKT_T2_SB_SB_
; %bb.0:
	s_load_dwordx4 s[8:11], s[4:5], 0x10
	s_waitcnt lgkmcnt(0)
	s_cmp_ge_i32 s6, s8
	s_cbranch_scc1 .LBB518_40
; %bb.1:
	s_load_dword s0, s[4:5], 0x2c
	s_load_dwordx4 s[12:15], s[4:5], 0x0
	s_load_dwordx2 s[18:19], s[4:5], 0x20
	s_add_u32 s16, s4, 32
	s_addc_u32 s17, s5, 0
	v_and_b32_e32 v4, 0x3ff, v0
	s_waitcnt lgkmcnt(0)
	s_lshr_b32 s4, s0, 16
	s_mul_i32 s5, s7, s4
	s_mul_i32 s7, s19, s4
	;; [unrolled: 1-line block ×3, first 2 shown]
	v_bfe_u32 v2, v0, 10, 10
	v_add_u32_e32 v0, s4, v4
	v_add_u32_e32 v3, s5, v2
	v_mul_lo_u32 v0, s10, v0
	s_mul_i32 s11, s18, s10
	v_cmp_gt_i32_e64 s[0:1], s10, v3
	v_cmp_gt_i32_e64 s[2:3], s9, v4
	v_add3_u32 v5, v2, v0, s5
	s_mul_i32 s11, s11, s9
	s_mov_b32 s19, 0x3fb8aa3b
	s_mov_b32 s30, 0xc2ce8ed0
	;; [unrolled: 1-line block ×3, first 2 shown]
	s_movk_i32 s33, 0x7fff
	v_mov_b32_e32 v6, 0x7f800000
	v_mov_b32_e32 v7, 0x7fc0
	s_branch .LBB518_3
.LBB518_2:                              ;   in Loop: Header=BB518_3 Depth=1
	s_or_b64 exec, exec, s[20:21]
	s_add_i32 s6, s18, s6
	s_cmp_ge_i32 s6, s8
	v_add_u32_e32 v5, s11, v5
	s_cbranch_scc1 .LBB518_40
.LBB518_3:                              ; =>This Loop Header: Depth=1
                                        ;     Child Loop BB518_7 Depth 2
                                        ;       Child Loop BB518_12 Depth 3
                                        ;       Child Loop BB518_15 Depth 3
	;; [unrolled: 1-line block ×8, first 2 shown]
	s_and_saveexec_b64 s[20:21], s[0:1]
	s_cbranch_execz .LBB518_2
; %bb.4:                                ;   in Loop: Header=BB518_3 Depth=1
	s_load_dword s4, s[16:17], 0xc
	s_mov_b64 s[22:23], 0
	v_mov_b32_e32 v10, v5
	v_mov_b32_e32 v11, v3
	s_waitcnt lgkmcnt(0)
	s_and_b32 s34, s4, 0xffff
	v_mul_u32_u24_e32 v0, s34, v2
	s_cmp_lt_u32 s34, 2
	v_lshl_add_u32 v8, v0, 2, 0
	s_mul_i32 s35, s10, s34
	s_cselect_b64 s[24:25], -1, 0
	v_lshl_add_u32 v9, v4, 2, v8
	s_branch .LBB518_7
.LBB518_5:                              ;   in Loop: Header=BB518_7 Depth=2
	s_or_b64 exec, exec, s[26:27]
.LBB518_6:                              ;   in Loop: Header=BB518_7 Depth=2
	v_add_u32_e32 v11, s7, v11
	v_cmp_le_i32_e32 vcc, s10, v11
	s_or_b64 s[22:23], vcc, s[22:23]
	v_add_u32_e32 v10, s7, v10
	s_andn2_b64 exec, exec, s[22:23]
	s_cbranch_execz .LBB518_2
.LBB518_7:                              ;   Parent Loop BB518_3 Depth=1
                                        ; =>  This Loop Header: Depth=2
                                        ;       Child Loop BB518_12 Depth 3
                                        ;       Child Loop BB518_15 Depth 3
	;; [unrolled: 1-line block ×8, first 2 shown]
	s_mov_b64 s[4:5], -1
	s_and_b64 vcc, exec, s[24:25]
	s_cbranch_vccz .LBB518_20
; %bb.8:                                ;   in Loop: Header=BB518_7 Depth=2
	v_mov_b32_e32 v12, 0xff7fffff
	s_and_saveexec_b64 s[4:5], s[2:3]
	s_cbranch_execnz .LBB518_11
; %bb.9:                                ;   in Loop: Header=BB518_7 Depth=2
	s_or_b64 exec, exec, s[4:5]
	v_mov_b32_e32 v13, 0
	s_and_saveexec_b64 s[4:5], s[2:3]
	s_cbranch_execnz .LBB518_14
.LBB518_10:                             ;   in Loop: Header=BB518_7 Depth=2
	s_or_b64 exec, exec, s[4:5]
	s_and_saveexec_b64 s[26:27], s[2:3]
	s_cbranch_execnz .LBB518_17
	s_branch .LBB518_19
.LBB518_11:                             ;   in Loop: Header=BB518_7 Depth=2
	s_mov_b64 s[26:27], 0
	v_mov_b32_e32 v12, 0xff7fffff
	v_mov_b32_e32 v0, v10
	;; [unrolled: 1-line block ×3, first 2 shown]
.LBB518_12:                             ;   Parent Loop BB518_3 Depth=1
                                        ;     Parent Loop BB518_7 Depth=2
                                        ; =>    This Inner Loop Header: Depth=3
	v_ashrrev_i32_e32 v1, 31, v0
	v_lshlrev_b64 v[14:15], 1, v[0:1]
	v_mov_b32_e32 v16, s15
	v_add_co_u32_e32 v14, vcc, s14, v14
	v_addc_co_u32_e32 v15, vcc, v16, v15, vcc
	global_load_ushort v1, v[14:15], off
	v_add_u32_e32 v13, s34, v13
	v_cmp_le_i32_e32 vcc, s9, v13
	s_or_b64 s[26:27], vcc, s[26:27]
	v_add_u32_e32 v0, s35, v0
	s_waitcnt vmcnt(0)
	v_lshlrev_b32_e32 v1, 16, v1
	v_cmp_lt_f32_e32 vcc, v12, v1
	v_cndmask_b32_e32 v12, v12, v1, vcc
	s_andn2_b64 exec, exec, s[26:27]
	s_cbranch_execnz .LBB518_12
; %bb.13:                               ;   in Loop: Header=BB518_7 Depth=2
	s_or_b64 exec, exec, s[26:27]
	s_or_b64 exec, exec, s[4:5]
	v_mov_b32_e32 v13, 0
	s_and_saveexec_b64 s[4:5], s[2:3]
	s_cbranch_execz .LBB518_10
.LBB518_14:                             ;   in Loop: Header=BB518_7 Depth=2
	s_mov_b64 s[26:27], 0
	v_mov_b32_e32 v13, 0
	v_mov_b32_e32 v0, v10
	;; [unrolled: 1-line block ×3, first 2 shown]
.LBB518_15:                             ;   Parent Loop BB518_3 Depth=1
                                        ;     Parent Loop BB518_7 Depth=2
                                        ; =>    This Inner Loop Header: Depth=3
	v_ashrrev_i32_e32 v1, 31, v0
	v_lshlrev_b64 v[16:17], 1, v[0:1]
	v_mov_b32_e32 v1, s15
	v_add_co_u32_e32 v16, vcc, s14, v16
	v_addc_co_u32_e32 v17, vcc, v1, v17, vcc
	global_load_ushort v1, v[16:17], off
	v_add_u32_e32 v14, s34, v14
	v_cmp_le_i32_e32 vcc, s9, v14
	s_or_b64 s[26:27], vcc, s[26:27]
	v_add_u32_e32 v0, s35, v0
	s_waitcnt vmcnt(0)
	v_lshlrev_b32_e32 v1, 16, v1
	v_sub_f32_e32 v1, v1, v12
	v_mul_f32_e32 v15, 0x3fb8aa3b, v1
	v_fma_f32 v16, v1, s19, -v15
	v_rndne_f32_e32 v17, v15
	v_fmac_f32_e32 v16, 0x32a5705f, v1
	v_sub_f32_e32 v15, v15, v17
	v_add_f32_e32 v15, v15, v16
	v_cvt_i32_f32_e32 v17, v17
	v_exp_f32_e32 v15, v15
	v_cmp_ngt_f32_e32 vcc, s30, v1
	v_ldexp_f32 v15, v15, v17
	v_cndmask_b32_e32 v15, 0, v15, vcc
	v_cmp_nlt_f32_e32 vcc, s31, v1
	v_cndmask_b32_e32 v1, v6, v15, vcc
	v_add_f32_e32 v13, v13, v1
	s_andn2_b64 exec, exec, s[26:27]
	s_cbranch_execnz .LBB518_15
; %bb.16:                               ;   in Loop: Header=BB518_7 Depth=2
	s_or_b64 exec, exec, s[26:27]
	s_or_b64 exec, exec, s[4:5]
	s_and_saveexec_b64 s[26:27], s[2:3]
	s_cbranch_execz .LBB518_19
.LBB518_17:                             ;   in Loop: Header=BB518_7 Depth=2
	s_mov_b64 s[28:29], 0
	v_mov_b32_e32 v0, v10
	v_mov_b32_e32 v14, v4
.LBB518_18:                             ;   Parent Loop BB518_3 Depth=1
                                        ;     Parent Loop BB518_7 Depth=2
                                        ; =>    This Inner Loop Header: Depth=3
	v_ashrrev_i32_e32 v1, 31, v0
	v_lshlrev_b64 v[16:17], 1, v[0:1]
	v_mov_b32_e32 v1, s15
	v_add_co_u32_e32 v18, vcc, s14, v16
	v_addc_co_u32_e32 v19, vcc, v1, v17, vcc
	global_load_ushort v1, v[18:19], off
	v_mov_b32_e32 v15, s13
	v_add_co_u32_e64 v16, s[4:5], s12, v16
	v_addc_co_u32_e64 v17, s[4:5], v15, v17, s[4:5]
	v_add_u32_e32 v14, s34, v14
	v_cmp_le_i32_e32 vcc, s9, v14
	s_or_b64 s[28:29], vcc, s[28:29]
	v_add_u32_e32 v0, s35, v0
	s_waitcnt vmcnt(0)
	v_lshlrev_b32_e32 v1, 16, v1
	v_sub_f32_e32 v1, v1, v12
	v_mul_f32_e32 v18, 0x3fb8aa3b, v1
	v_fma_f32 v19, v1, s19, -v18
	v_rndne_f32_e32 v20, v18
	v_fmac_f32_e32 v19, 0x32a5705f, v1
	v_sub_f32_e32 v18, v18, v20
	v_add_f32_e32 v18, v18, v19
	v_cvt_i32_f32_e32 v20, v20
	v_exp_f32_e32 v18, v18
	v_cmp_ngt_f32_e64 s[4:5], s30, v1
	v_ldexp_f32 v15, v18, v20
	v_cndmask_b32_e64 v15, 0, v15, s[4:5]
	v_cmp_nlt_f32_e64 s[4:5], s31, v1
	v_cndmask_b32_e64 v1, v6, v15, s[4:5]
	v_div_scale_f32 v15, s[4:5], v13, v13, v1
	v_rcp_f32_e32 v18, v15
	v_div_scale_f32 v19, vcc, v1, v13, v1
	v_fma_f32 v20, -v15, v18, 1.0
	v_fmac_f32_e32 v18, v20, v18
	v_mul_f32_e32 v20, v19, v18
	v_fma_f32 v21, -v15, v20, v19
	v_fmac_f32_e32 v20, v21, v18
	v_fma_f32 v15, -v15, v20, v19
	v_div_fmas_f32 v15, v15, v18, v20
	v_div_fixup_f32 v1, v15, v13, v1
	v_bfe_u32 v15, v1, 16, 1
	v_add3_u32 v15, v1, v15, s33
	v_lshrrev_b32_e32 v15, 16, v15
	v_cmp_o_f32_e32 vcc, v1, v1
	v_cndmask_b32_e32 v1, v7, v15, vcc
	global_store_short v[16:17], v1, off
	s_andn2_b64 exec, exec, s[28:29]
	s_cbranch_execnz .LBB518_18
.LBB518_19:                             ;   in Loop: Header=BB518_7 Depth=2
	s_or_b64 exec, exec, s[26:27]
	s_mov_b64 s[4:5], 0
.LBB518_20:                             ;   in Loop: Header=BB518_7 Depth=2
	s_and_b64 vcc, exec, s[4:5]
	s_cbranch_vccz .LBB518_6
; %bb.21:                               ;   in Loop: Header=BB518_7 Depth=2
	v_mov_b32_e32 v12, 0xff7fffff
	s_and_saveexec_b64 s[4:5], s[2:3]
	s_cbranch_execz .LBB518_25
; %bb.22:                               ;   in Loop: Header=BB518_7 Depth=2
	s_mov_b64 s[26:27], 0
	v_mov_b32_e32 v12, 0xff7fffff
	v_mov_b32_e32 v0, v10
	;; [unrolled: 1-line block ×3, first 2 shown]
.LBB518_23:                             ;   Parent Loop BB518_3 Depth=1
                                        ;     Parent Loop BB518_7 Depth=2
                                        ; =>    This Inner Loop Header: Depth=3
	v_ashrrev_i32_e32 v1, 31, v0
	v_lshlrev_b64 v[14:15], 1, v[0:1]
	v_mov_b32_e32 v16, s15
	v_add_co_u32_e32 v14, vcc, s14, v14
	v_addc_co_u32_e32 v15, vcc, v16, v15, vcc
	global_load_ushort v1, v[14:15], off
	v_add_u32_e32 v13, s34, v13
	v_cmp_le_i32_e32 vcc, s9, v13
	s_or_b64 s[26:27], vcc, s[26:27]
	v_add_u32_e32 v0, s35, v0
	s_waitcnt vmcnt(0)
	v_lshlrev_b32_e32 v1, 16, v1
	v_cmp_lt_f32_e32 vcc, v12, v1
	v_cndmask_b32_e32 v12, v12, v1, vcc
	s_andn2_b64 exec, exec, s[26:27]
	s_cbranch_execnz .LBB518_23
; %bb.24:                               ;   in Loop: Header=BB518_7 Depth=2
	s_or_b64 exec, exec, s[26:27]
.LBB518_25:                             ;   in Loop: Header=BB518_7 Depth=2
	s_or_b64 exec, exec, s[4:5]
	s_mov_b32 s26, s34
	s_barrier
	ds_write_b32 v9, v12
	s_branch .LBB518_27
.LBB518_26:                             ;   in Loop: Header=BB518_27 Depth=3
	s_or_b64 exec, exec, s[4:5]
	s_cmp_gt_u32 s26, 3
	s_mov_b32 s26, s27
	s_cbranch_scc0 .LBB518_29
.LBB518_27:                             ;   Parent Loop BB518_3 Depth=1
                                        ;     Parent Loop BB518_7 Depth=2
                                        ; =>    This Inner Loop Header: Depth=3
	s_lshr_b32 s27, s26, 1
	v_cmp_gt_u32_e32 vcc, s27, v4
	s_waitcnt lgkmcnt(0)
	s_barrier
	s_and_saveexec_b64 s[4:5], vcc
	s_cbranch_execz .LBB518_26
; %bb.28:                               ;   in Loop: Header=BB518_27 Depth=3
	v_lshl_add_u32 v0, s27, 2, v9
	ds_read_b32 v1, v9
	ds_read_b32 v0, v0
	s_waitcnt lgkmcnt(0)
	v_cmp_lt_f32_e32 vcc, v1, v0
	v_cndmask_b32_e32 v0, v1, v0, vcc
	ds_write_b32 v9, v0
	s_branch .LBB518_26
.LBB518_29:                             ;   in Loop: Header=BB518_7 Depth=2
	s_waitcnt lgkmcnt(0)
	s_barrier
	ds_read_b32 v12, v8
	v_mov_b32_e32 v13, 0
	s_and_saveexec_b64 s[4:5], s[2:3]
	s_cbranch_execz .LBB518_33
; %bb.30:                               ;   in Loop: Header=BB518_7 Depth=2
	s_mov_b64 s[26:27], 0
	v_mov_b32_e32 v13, 0
	v_mov_b32_e32 v0, v10
	v_mov_b32_e32 v14, v4
.LBB518_31:                             ;   Parent Loop BB518_3 Depth=1
                                        ;     Parent Loop BB518_7 Depth=2
                                        ; =>    This Inner Loop Header: Depth=3
	v_ashrrev_i32_e32 v1, 31, v0
	v_lshlrev_b64 v[16:17], 1, v[0:1]
	v_mov_b32_e32 v1, s15
	v_add_co_u32_e32 v16, vcc, s14, v16
	v_addc_co_u32_e32 v17, vcc, v1, v17, vcc
	global_load_ushort v1, v[16:17], off
	v_add_u32_e32 v14, s34, v14
	v_cmp_le_i32_e32 vcc, s9, v14
	s_or_b64 s[26:27], vcc, s[26:27]
	v_add_u32_e32 v0, s35, v0
	s_waitcnt vmcnt(0)
	v_lshlrev_b32_e32 v1, 16, v1
	s_waitcnt lgkmcnt(0)
	v_sub_f32_e32 v1, v1, v12
	v_mul_f32_e32 v15, 0x3fb8aa3b, v1
	v_fma_f32 v16, v1, s19, -v15
	v_rndne_f32_e32 v17, v15
	v_fmac_f32_e32 v16, 0x32a5705f, v1
	v_sub_f32_e32 v15, v15, v17
	v_add_f32_e32 v15, v15, v16
	v_cvt_i32_f32_e32 v17, v17
	v_exp_f32_e32 v15, v15
	v_cmp_ngt_f32_e32 vcc, s30, v1
	v_ldexp_f32 v15, v15, v17
	v_cndmask_b32_e32 v15, 0, v15, vcc
	v_cmp_nlt_f32_e32 vcc, s31, v1
	v_cndmask_b32_e32 v1, v6, v15, vcc
	v_add_f32_e32 v13, v13, v1
	s_andn2_b64 exec, exec, s[26:27]
	s_cbranch_execnz .LBB518_31
; %bb.32:                               ;   in Loop: Header=BB518_7 Depth=2
	s_or_b64 exec, exec, s[26:27]
.LBB518_33:                             ;   in Loop: Header=BB518_7 Depth=2
	s_or_b64 exec, exec, s[4:5]
	s_mov_b32 s26, s34
	s_waitcnt lgkmcnt(0)
	s_barrier
	ds_write_b32 v9, v13
	s_branch .LBB518_35
.LBB518_34:                             ;   in Loop: Header=BB518_35 Depth=3
	s_or_b64 exec, exec, s[4:5]
	s_cmp_gt_u32 s26, 3
	s_mov_b32 s26, s27
	s_cbranch_scc0 .LBB518_37
.LBB518_35:                             ;   Parent Loop BB518_3 Depth=1
                                        ;     Parent Loop BB518_7 Depth=2
                                        ; =>    This Inner Loop Header: Depth=3
	s_lshr_b32 s27, s26, 1
	v_cmp_gt_u32_e32 vcc, s27, v4
	s_waitcnt lgkmcnt(0)
	s_barrier
	s_and_saveexec_b64 s[4:5], vcc
	s_cbranch_execz .LBB518_34
; %bb.36:                               ;   in Loop: Header=BB518_35 Depth=3
	v_lshl_add_u32 v0, s27, 2, v9
	ds_read_b32 v1, v9
	ds_read_b32 v0, v0
	s_waitcnt lgkmcnt(0)
	v_add_f32_e32 v0, v1, v0
	ds_write_b32 v9, v0
	s_branch .LBB518_34
.LBB518_37:                             ;   in Loop: Header=BB518_7 Depth=2
	s_waitcnt lgkmcnt(0)
	s_barrier
	s_and_saveexec_b64 s[26:27], s[2:3]
	s_cbranch_execz .LBB518_5
; %bb.38:                               ;   in Loop: Header=BB518_7 Depth=2
	ds_read_b32 v13, v8
	s_mov_b64 s[28:29], 0
	v_mov_b32_e32 v0, v10
	v_mov_b32_e32 v14, v4
.LBB518_39:                             ;   Parent Loop BB518_3 Depth=1
                                        ;     Parent Loop BB518_7 Depth=2
                                        ; =>    This Inner Loop Header: Depth=3
	v_ashrrev_i32_e32 v1, 31, v0
	v_lshlrev_b64 v[16:17], 1, v[0:1]
	v_mov_b32_e32 v1, s15
	v_add_co_u32_e32 v18, vcc, s14, v16
	v_addc_co_u32_e32 v19, vcc, v1, v17, vcc
	global_load_ushort v1, v[18:19], off
	v_mov_b32_e32 v15, s13
	v_add_co_u32_e64 v16, s[4:5], s12, v16
	v_addc_co_u32_e64 v17, s[4:5], v15, v17, s[4:5]
	v_add_u32_e32 v14, s34, v14
	v_cmp_le_i32_e32 vcc, s9, v14
	s_or_b64 s[28:29], vcc, s[28:29]
	v_add_u32_e32 v0, s35, v0
	s_waitcnt vmcnt(0)
	v_lshlrev_b32_e32 v1, 16, v1
	v_sub_f32_e32 v1, v1, v12
	v_mul_f32_e32 v18, 0x3fb8aa3b, v1
	v_fma_f32 v19, v1, s19, -v18
	v_rndne_f32_e32 v20, v18
	v_fmac_f32_e32 v19, 0x32a5705f, v1
	v_sub_f32_e32 v18, v18, v20
	v_add_f32_e32 v18, v18, v19
	v_cvt_i32_f32_e32 v20, v20
	v_exp_f32_e32 v18, v18
	v_cmp_ngt_f32_e64 s[4:5], s30, v1
	v_ldexp_f32 v15, v18, v20
	v_cndmask_b32_e64 v15, 0, v15, s[4:5]
	v_cmp_nlt_f32_e64 s[4:5], s31, v1
	v_cndmask_b32_e64 v1, v6, v15, s[4:5]
	s_waitcnt lgkmcnt(0)
	v_div_scale_f32 v15, s[4:5], v13, v13, v1
	v_rcp_f32_e32 v18, v15
	v_div_scale_f32 v19, vcc, v1, v13, v1
	v_fma_f32 v20, -v15, v18, 1.0
	v_fmac_f32_e32 v18, v20, v18
	v_mul_f32_e32 v20, v19, v18
	v_fma_f32 v21, -v15, v20, v19
	v_fmac_f32_e32 v20, v21, v18
	v_fma_f32 v15, -v15, v20, v19
	v_div_fmas_f32 v15, v15, v18, v20
	v_div_fixup_f32 v1, v15, v13, v1
	v_bfe_u32 v15, v1, 16, 1
	v_add3_u32 v15, v1, v15, s33
	v_lshrrev_b32_e32 v15, 16, v15
	v_cmp_o_f32_e32 vcc, v1, v1
	v_cndmask_b32_e32 v1, v7, v15, vcc
	global_store_short v[16:17], v1, off
	s_andn2_b64 exec, exec, s[28:29]
	s_cbranch_execnz .LBB518_39
	s_branch .LBB518_5
.LBB518_40:
	s_endpgm
	.section	.rodata,"a",@progbits
	.p2align	6, 0x0
	.amdhsa_kernel _ZN2at6native12_GLOBAL__N_126cunn_SpatialSoftMaxForwardIN3c108BFloat16EfS4_iNS1_22SoftMaxForwardEpilogueEEEvPT1_PKT_T2_SB_SB_
		.amdhsa_group_segment_fixed_size 0
		.amdhsa_private_segment_fixed_size 0
		.amdhsa_kernarg_size 288
		.amdhsa_user_sgpr_count 6
		.amdhsa_user_sgpr_private_segment_buffer 1
		.amdhsa_user_sgpr_dispatch_ptr 0
		.amdhsa_user_sgpr_queue_ptr 0
		.amdhsa_user_sgpr_kernarg_segment_ptr 1
		.amdhsa_user_sgpr_dispatch_id 0
		.amdhsa_user_sgpr_flat_scratch_init 0
		.amdhsa_user_sgpr_kernarg_preload_length 0
		.amdhsa_user_sgpr_kernarg_preload_offset 0
		.amdhsa_user_sgpr_private_segment_size 0
		.amdhsa_uses_dynamic_stack 0
		.amdhsa_system_sgpr_private_segment_wavefront_offset 0
		.amdhsa_system_sgpr_workgroup_id_x 1
		.amdhsa_system_sgpr_workgroup_id_y 1
		.amdhsa_system_sgpr_workgroup_id_z 0
		.amdhsa_system_sgpr_workgroup_info 0
		.amdhsa_system_vgpr_workitem_id 1
		.amdhsa_next_free_vgpr 22
		.amdhsa_next_free_sgpr 36
		.amdhsa_accum_offset 24
		.amdhsa_reserve_vcc 1
		.amdhsa_reserve_flat_scratch 0
		.amdhsa_float_round_mode_32 0
		.amdhsa_float_round_mode_16_64 0
		.amdhsa_float_denorm_mode_32 3
		.amdhsa_float_denorm_mode_16_64 3
		.amdhsa_dx10_clamp 1
		.amdhsa_ieee_mode 1
		.amdhsa_fp16_overflow 0
		.amdhsa_tg_split 0
		.amdhsa_exception_fp_ieee_invalid_op 0
		.amdhsa_exception_fp_denorm_src 0
		.amdhsa_exception_fp_ieee_div_zero 0
		.amdhsa_exception_fp_ieee_overflow 0
		.amdhsa_exception_fp_ieee_underflow 0
		.amdhsa_exception_fp_ieee_inexact 0
		.amdhsa_exception_int_div_zero 0
	.end_amdhsa_kernel
	.section	.text._ZN2at6native12_GLOBAL__N_126cunn_SpatialSoftMaxForwardIN3c108BFloat16EfS4_iNS1_22SoftMaxForwardEpilogueEEEvPT1_PKT_T2_SB_SB_,"axG",@progbits,_ZN2at6native12_GLOBAL__N_126cunn_SpatialSoftMaxForwardIN3c108BFloat16EfS4_iNS1_22SoftMaxForwardEpilogueEEEvPT1_PKT_T2_SB_SB_,comdat
.Lfunc_end518:
	.size	_ZN2at6native12_GLOBAL__N_126cunn_SpatialSoftMaxForwardIN3c108BFloat16EfS4_iNS1_22SoftMaxForwardEpilogueEEEvPT1_PKT_T2_SB_SB_, .Lfunc_end518-_ZN2at6native12_GLOBAL__N_126cunn_SpatialSoftMaxForwardIN3c108BFloat16EfS4_iNS1_22SoftMaxForwardEpilogueEEEvPT1_PKT_T2_SB_SB_
                                        ; -- End function
	.section	.AMDGPU.csdata,"",@progbits
; Kernel info:
; codeLenInByte = 1816
; NumSgprs: 40
; NumVgprs: 22
; NumAgprs: 0
; TotalNumVgprs: 22
; ScratchSize: 0
; MemoryBound: 0
; FloatMode: 240
; IeeeMode: 1
; LDSByteSize: 0 bytes/workgroup (compile time only)
; SGPRBlocks: 4
; VGPRBlocks: 2
; NumSGPRsForWavesPerEU: 40
; NumVGPRsForWavesPerEU: 22
; AccumOffset: 24
; Occupancy: 8
; WaveLimiterHint : 0
; COMPUTE_PGM_RSRC2:SCRATCH_EN: 0
; COMPUTE_PGM_RSRC2:USER_SGPR: 6
; COMPUTE_PGM_RSRC2:TRAP_HANDLER: 0
; COMPUTE_PGM_RSRC2:TGID_X_EN: 1
; COMPUTE_PGM_RSRC2:TGID_Y_EN: 1
; COMPUTE_PGM_RSRC2:TGID_Z_EN: 0
; COMPUTE_PGM_RSRC2:TIDIG_COMP_CNT: 1
; COMPUTE_PGM_RSRC3_GFX90A:ACCUM_OFFSET: 5
; COMPUTE_PGM_RSRC3_GFX90A:TG_SPLIT: 0
	.section	.text._ZN2at6native12_GLOBAL__N_126cunn_SpatialSoftMaxForwardIN3c108BFloat16EffiNS1_22SoftMaxForwardEpilogueEEEvPT1_PKT_T2_SB_SB_,"axG",@progbits,_ZN2at6native12_GLOBAL__N_126cunn_SpatialSoftMaxForwardIN3c108BFloat16EffiNS1_22SoftMaxForwardEpilogueEEEvPT1_PKT_T2_SB_SB_,comdat
	.globl	_ZN2at6native12_GLOBAL__N_126cunn_SpatialSoftMaxForwardIN3c108BFloat16EffiNS1_22SoftMaxForwardEpilogueEEEvPT1_PKT_T2_SB_SB_ ; -- Begin function _ZN2at6native12_GLOBAL__N_126cunn_SpatialSoftMaxForwardIN3c108BFloat16EffiNS1_22SoftMaxForwardEpilogueEEEvPT1_PKT_T2_SB_SB_
	.p2align	8
	.type	_ZN2at6native12_GLOBAL__N_126cunn_SpatialSoftMaxForwardIN3c108BFloat16EffiNS1_22SoftMaxForwardEpilogueEEEvPT1_PKT_T2_SB_SB_,@function
_ZN2at6native12_GLOBAL__N_126cunn_SpatialSoftMaxForwardIN3c108BFloat16EffiNS1_22SoftMaxForwardEpilogueEEEvPT1_PKT_T2_SB_SB_: ; @_ZN2at6native12_GLOBAL__N_126cunn_SpatialSoftMaxForwardIN3c108BFloat16EffiNS1_22SoftMaxForwardEpilogueEEEvPT1_PKT_T2_SB_SB_
; %bb.0:
	s_load_dwordx4 s[8:11], s[4:5], 0x10
	s_waitcnt lgkmcnt(0)
	s_cmp_ge_i32 s6, s8
	s_cbranch_scc1 .LBB519_40
; %bb.1:
	s_load_dword s0, s[4:5], 0x2c
	s_load_dwordx4 s[12:15], s[4:5], 0x0
	s_load_dwordx2 s[18:19], s[4:5], 0x20
	s_add_u32 s16, s4, 32
	s_addc_u32 s17, s5, 0
	v_and_b32_e32 v4, 0x3ff, v0
	s_waitcnt lgkmcnt(0)
	s_lshr_b32 s4, s0, 16
	s_mul_i32 s5, s7, s4
	s_mul_i32 s7, s19, s4
	;; [unrolled: 1-line block ×3, first 2 shown]
	v_bfe_u32 v2, v0, 10, 10
	v_add_u32_e32 v0, s4, v4
	v_add_u32_e32 v3, s5, v2
	v_mul_lo_u32 v0, s10, v0
	s_mul_i32 s11, s18, s10
	v_cmp_gt_i32_e64 s[0:1], s10, v3
	v_cmp_gt_i32_e64 s[2:3], s9, v4
	v_add3_u32 v5, v2, v0, s5
	s_mul_i32 s11, s11, s9
	s_mov_b32 s19, 0x3fb8aa3b
	s_mov_b32 s30, 0xc2ce8ed0
	;; [unrolled: 1-line block ×3, first 2 shown]
	v_mov_b32_e32 v6, 0x7f800000
	s_branch .LBB519_3
.LBB519_2:                              ;   in Loop: Header=BB519_3 Depth=1
	s_or_b64 exec, exec, s[20:21]
	s_add_i32 s6, s18, s6
	s_cmp_ge_i32 s6, s8
	v_add_u32_e32 v5, s11, v5
	s_cbranch_scc1 .LBB519_40
.LBB519_3:                              ; =>This Loop Header: Depth=1
                                        ;     Child Loop BB519_7 Depth 2
                                        ;       Child Loop BB519_12 Depth 3
                                        ;       Child Loop BB519_15 Depth 3
	;; [unrolled: 1-line block ×8, first 2 shown]
	s_and_saveexec_b64 s[20:21], s[0:1]
	s_cbranch_execz .LBB519_2
; %bb.4:                                ;   in Loop: Header=BB519_3 Depth=1
	s_load_dword s4, s[16:17], 0xc
	s_mov_b64 s[22:23], 0
	v_mov_b32_e32 v9, v5
	v_mov_b32_e32 v10, v3
	s_waitcnt lgkmcnt(0)
	s_and_b32 s33, s4, 0xffff
	v_mul_u32_u24_e32 v0, s33, v2
	s_cmp_lt_u32 s33, 2
	v_lshl_add_u32 v7, v0, 2, 0
	s_mul_i32 s34, s10, s33
	s_cselect_b64 s[24:25], -1, 0
	v_lshl_add_u32 v8, v4, 2, v7
	s_branch .LBB519_7
.LBB519_5:                              ;   in Loop: Header=BB519_7 Depth=2
	s_or_b64 exec, exec, s[26:27]
.LBB519_6:                              ;   in Loop: Header=BB519_7 Depth=2
	v_add_u32_e32 v10, s7, v10
	v_cmp_le_i32_e32 vcc, s10, v10
	s_or_b64 s[22:23], vcc, s[22:23]
	v_add_u32_e32 v9, s7, v9
	s_andn2_b64 exec, exec, s[22:23]
	s_cbranch_execz .LBB519_2
.LBB519_7:                              ;   Parent Loop BB519_3 Depth=1
                                        ; =>  This Loop Header: Depth=2
                                        ;       Child Loop BB519_12 Depth 3
                                        ;       Child Loop BB519_15 Depth 3
	;; [unrolled: 1-line block ×8, first 2 shown]
	s_mov_b64 s[4:5], -1
	s_and_b64 vcc, exec, s[24:25]
	s_cbranch_vccz .LBB519_20
; %bb.8:                                ;   in Loop: Header=BB519_7 Depth=2
	v_mov_b32_e32 v11, 0xff7fffff
	s_and_saveexec_b64 s[4:5], s[2:3]
	s_cbranch_execnz .LBB519_11
; %bb.9:                                ;   in Loop: Header=BB519_7 Depth=2
	s_or_b64 exec, exec, s[4:5]
	v_mov_b32_e32 v12, 0
	s_and_saveexec_b64 s[4:5], s[2:3]
	s_cbranch_execnz .LBB519_14
.LBB519_10:                             ;   in Loop: Header=BB519_7 Depth=2
	s_or_b64 exec, exec, s[4:5]
	s_and_saveexec_b64 s[26:27], s[2:3]
	s_cbranch_execnz .LBB519_17
	s_branch .LBB519_19
.LBB519_11:                             ;   in Loop: Header=BB519_7 Depth=2
	s_mov_b64 s[26:27], 0
	v_mov_b32_e32 v11, 0xff7fffff
	v_mov_b32_e32 v0, v9
	;; [unrolled: 1-line block ×3, first 2 shown]
.LBB519_12:                             ;   Parent Loop BB519_3 Depth=1
                                        ;     Parent Loop BB519_7 Depth=2
                                        ; =>    This Inner Loop Header: Depth=3
	v_ashrrev_i32_e32 v1, 31, v0
	v_lshlrev_b64 v[14:15], 1, v[0:1]
	v_mov_b32_e32 v13, s15
	v_add_co_u32_e32 v14, vcc, s14, v14
	v_addc_co_u32_e32 v15, vcc, v13, v15, vcc
	global_load_ushort v1, v[14:15], off
	v_add_u32_e32 v12, s33, v12
	v_cmp_le_i32_e32 vcc, s9, v12
	s_or_b64 s[26:27], vcc, s[26:27]
	v_add_u32_e32 v0, s34, v0
	s_waitcnt vmcnt(0)
	v_lshlrev_b32_e32 v1, 16, v1
	v_cmp_lt_f32_e32 vcc, v11, v1
	v_cndmask_b32_e32 v11, v11, v1, vcc
	s_andn2_b64 exec, exec, s[26:27]
	s_cbranch_execnz .LBB519_12
; %bb.13:                               ;   in Loop: Header=BB519_7 Depth=2
	s_or_b64 exec, exec, s[26:27]
	s_or_b64 exec, exec, s[4:5]
	v_mov_b32_e32 v12, 0
	s_and_saveexec_b64 s[4:5], s[2:3]
	s_cbranch_execz .LBB519_10
.LBB519_14:                             ;   in Loop: Header=BB519_7 Depth=2
	s_mov_b64 s[26:27], 0
	v_mov_b32_e32 v12, 0
	v_mov_b32_e32 v0, v9
	v_mov_b32_e32 v13, v4
.LBB519_15:                             ;   Parent Loop BB519_3 Depth=1
                                        ;     Parent Loop BB519_7 Depth=2
                                        ; =>    This Inner Loop Header: Depth=3
	v_ashrrev_i32_e32 v1, 31, v0
	v_lshlrev_b64 v[14:15], 1, v[0:1]
	v_mov_b32_e32 v1, s15
	v_add_co_u32_e32 v14, vcc, s14, v14
	v_addc_co_u32_e32 v15, vcc, v1, v15, vcc
	global_load_ushort v1, v[14:15], off
	v_add_u32_e32 v13, s33, v13
	v_cmp_le_i32_e32 vcc, s9, v13
	s_or_b64 s[26:27], vcc, s[26:27]
	v_add_u32_e32 v0, s34, v0
	s_waitcnt vmcnt(0)
	v_lshlrev_b32_e32 v1, 16, v1
	v_sub_f32_e32 v1, v1, v11
	v_mul_f32_e32 v14, 0x3fb8aa3b, v1
	v_fma_f32 v15, v1, s19, -v14
	v_rndne_f32_e32 v16, v14
	v_fmac_f32_e32 v15, 0x32a5705f, v1
	v_sub_f32_e32 v14, v14, v16
	v_add_f32_e32 v14, v14, v15
	v_cvt_i32_f32_e32 v16, v16
	v_exp_f32_e32 v14, v14
	v_cmp_ngt_f32_e32 vcc, s30, v1
	v_ldexp_f32 v14, v14, v16
	v_cndmask_b32_e32 v14, 0, v14, vcc
	v_cmp_nlt_f32_e32 vcc, s31, v1
	v_cndmask_b32_e32 v1, v6, v14, vcc
	v_add_f32_e32 v12, v12, v1
	s_andn2_b64 exec, exec, s[26:27]
	s_cbranch_execnz .LBB519_15
; %bb.16:                               ;   in Loop: Header=BB519_7 Depth=2
	s_or_b64 exec, exec, s[26:27]
	s_or_b64 exec, exec, s[4:5]
	s_and_saveexec_b64 s[26:27], s[2:3]
	s_cbranch_execz .LBB519_19
.LBB519_17:                             ;   in Loop: Header=BB519_7 Depth=2
	s_mov_b64 s[28:29], 0
	v_mov_b32_e32 v0, v9
	v_mov_b32_e32 v13, v4
.LBB519_18:                             ;   Parent Loop BB519_3 Depth=1
                                        ;     Parent Loop BB519_7 Depth=2
                                        ; =>    This Inner Loop Header: Depth=3
	v_ashrrev_i32_e32 v1, 31, v0
	v_lshlrev_b64 v[14:15], 1, v[0:1]
	v_mov_b32_e32 v16, s15
	v_add_co_u32_e32 v14, vcc, s14, v14
	v_addc_co_u32_e32 v15, vcc, v16, v15, vcc
	global_load_ushort v16, v[14:15], off
	v_lshlrev_b64 v[14:15], 2, v[0:1]
	v_mov_b32_e32 v17, s13
	v_add_co_u32_e64 v14, s[4:5], s12, v14
	v_addc_co_u32_e64 v15, s[4:5], v17, v15, s[4:5]
	v_add_u32_e32 v13, s33, v13
	v_cmp_le_i32_e32 vcc, s9, v13
	s_or_b64 s[28:29], vcc, s[28:29]
	v_add_u32_e32 v0, s34, v0
	s_waitcnt vmcnt(0)
	v_lshlrev_b32_e32 v1, 16, v16
	v_sub_f32_e32 v1, v1, v11
	v_mul_f32_e32 v16, 0x3fb8aa3b, v1
	v_fma_f32 v18, v1, s19, -v16
	v_rndne_f32_e32 v19, v16
	v_fmac_f32_e32 v18, 0x32a5705f, v1
	v_sub_f32_e32 v16, v16, v19
	v_add_f32_e32 v16, v16, v18
	v_cvt_i32_f32_e32 v19, v19
	v_exp_f32_e32 v16, v16
	v_cmp_ngt_f32_e64 s[4:5], s30, v1
	v_ldexp_f32 v16, v16, v19
	v_cndmask_b32_e64 v16, 0, v16, s[4:5]
	v_cmp_nlt_f32_e64 s[4:5], s31, v1
	v_cndmask_b32_e64 v1, v6, v16, s[4:5]
	v_div_scale_f32 v16, s[4:5], v12, v12, v1
	v_rcp_f32_e32 v17, v16
	v_div_scale_f32 v18, vcc, v1, v12, v1
	v_fma_f32 v19, -v16, v17, 1.0
	v_fmac_f32_e32 v17, v19, v17
	v_mul_f32_e32 v19, v18, v17
	v_fma_f32 v20, -v16, v19, v18
	v_fmac_f32_e32 v19, v20, v17
	v_fma_f32 v16, -v16, v19, v18
	v_div_fmas_f32 v16, v16, v17, v19
	v_div_fixup_f32 v1, v16, v12, v1
	global_store_dword v[14:15], v1, off
	s_andn2_b64 exec, exec, s[28:29]
	s_cbranch_execnz .LBB519_18
.LBB519_19:                             ;   in Loop: Header=BB519_7 Depth=2
	s_or_b64 exec, exec, s[26:27]
	s_mov_b64 s[4:5], 0
.LBB519_20:                             ;   in Loop: Header=BB519_7 Depth=2
	s_and_b64 vcc, exec, s[4:5]
	s_cbranch_vccz .LBB519_6
; %bb.21:                               ;   in Loop: Header=BB519_7 Depth=2
	v_mov_b32_e32 v11, 0xff7fffff
	s_and_saveexec_b64 s[4:5], s[2:3]
	s_cbranch_execz .LBB519_25
; %bb.22:                               ;   in Loop: Header=BB519_7 Depth=2
	s_mov_b64 s[26:27], 0
	v_mov_b32_e32 v11, 0xff7fffff
	v_mov_b32_e32 v0, v9
	;; [unrolled: 1-line block ×3, first 2 shown]
.LBB519_23:                             ;   Parent Loop BB519_3 Depth=1
                                        ;     Parent Loop BB519_7 Depth=2
                                        ; =>    This Inner Loop Header: Depth=3
	v_ashrrev_i32_e32 v1, 31, v0
	v_lshlrev_b64 v[14:15], 1, v[0:1]
	v_mov_b32_e32 v13, s15
	v_add_co_u32_e32 v14, vcc, s14, v14
	v_addc_co_u32_e32 v15, vcc, v13, v15, vcc
	global_load_ushort v1, v[14:15], off
	v_add_u32_e32 v12, s33, v12
	v_cmp_le_i32_e32 vcc, s9, v12
	s_or_b64 s[26:27], vcc, s[26:27]
	v_add_u32_e32 v0, s34, v0
	s_waitcnt vmcnt(0)
	v_lshlrev_b32_e32 v1, 16, v1
	v_cmp_lt_f32_e32 vcc, v11, v1
	v_cndmask_b32_e32 v11, v11, v1, vcc
	s_andn2_b64 exec, exec, s[26:27]
	s_cbranch_execnz .LBB519_23
; %bb.24:                               ;   in Loop: Header=BB519_7 Depth=2
	s_or_b64 exec, exec, s[26:27]
.LBB519_25:                             ;   in Loop: Header=BB519_7 Depth=2
	s_or_b64 exec, exec, s[4:5]
	s_mov_b32 s26, s33
	s_barrier
	ds_write_b32 v8, v11
	s_branch .LBB519_27
.LBB519_26:                             ;   in Loop: Header=BB519_27 Depth=3
	s_or_b64 exec, exec, s[4:5]
	s_cmp_gt_u32 s26, 3
	s_mov_b32 s26, s27
	s_cbranch_scc0 .LBB519_29
.LBB519_27:                             ;   Parent Loop BB519_3 Depth=1
                                        ;     Parent Loop BB519_7 Depth=2
                                        ; =>    This Inner Loop Header: Depth=3
	s_lshr_b32 s27, s26, 1
	v_cmp_gt_u32_e32 vcc, s27, v4
	s_waitcnt lgkmcnt(0)
	s_barrier
	s_and_saveexec_b64 s[4:5], vcc
	s_cbranch_execz .LBB519_26
; %bb.28:                               ;   in Loop: Header=BB519_27 Depth=3
	v_lshl_add_u32 v0, s27, 2, v8
	ds_read_b32 v1, v8
	ds_read_b32 v0, v0
	s_waitcnt lgkmcnt(0)
	v_cmp_lt_f32_e32 vcc, v1, v0
	v_cndmask_b32_e32 v0, v1, v0, vcc
	ds_write_b32 v8, v0
	s_branch .LBB519_26
.LBB519_29:                             ;   in Loop: Header=BB519_7 Depth=2
	s_waitcnt lgkmcnt(0)
	s_barrier
	ds_read_b32 v11, v7
	v_mov_b32_e32 v12, 0
	s_and_saveexec_b64 s[4:5], s[2:3]
	s_cbranch_execz .LBB519_33
; %bb.30:                               ;   in Loop: Header=BB519_7 Depth=2
	s_mov_b64 s[26:27], 0
	v_mov_b32_e32 v12, 0
	v_mov_b32_e32 v0, v9
	;; [unrolled: 1-line block ×3, first 2 shown]
.LBB519_31:                             ;   Parent Loop BB519_3 Depth=1
                                        ;     Parent Loop BB519_7 Depth=2
                                        ; =>    This Inner Loop Header: Depth=3
	v_ashrrev_i32_e32 v1, 31, v0
	v_lshlrev_b64 v[14:15], 1, v[0:1]
	v_mov_b32_e32 v1, s15
	v_add_co_u32_e32 v14, vcc, s14, v14
	v_addc_co_u32_e32 v15, vcc, v1, v15, vcc
	global_load_ushort v1, v[14:15], off
	v_add_u32_e32 v13, s33, v13
	v_cmp_le_i32_e32 vcc, s9, v13
	s_or_b64 s[26:27], vcc, s[26:27]
	v_add_u32_e32 v0, s34, v0
	s_waitcnt vmcnt(0)
	v_lshlrev_b32_e32 v1, 16, v1
	s_waitcnt lgkmcnt(0)
	v_sub_f32_e32 v1, v1, v11
	v_mul_f32_e32 v14, 0x3fb8aa3b, v1
	v_fma_f32 v15, v1, s19, -v14
	v_rndne_f32_e32 v16, v14
	v_fmac_f32_e32 v15, 0x32a5705f, v1
	v_sub_f32_e32 v14, v14, v16
	v_add_f32_e32 v14, v14, v15
	v_cvt_i32_f32_e32 v16, v16
	v_exp_f32_e32 v14, v14
	v_cmp_ngt_f32_e32 vcc, s30, v1
	v_ldexp_f32 v14, v14, v16
	v_cndmask_b32_e32 v14, 0, v14, vcc
	v_cmp_nlt_f32_e32 vcc, s31, v1
	v_cndmask_b32_e32 v1, v6, v14, vcc
	v_add_f32_e32 v12, v12, v1
	s_andn2_b64 exec, exec, s[26:27]
	s_cbranch_execnz .LBB519_31
; %bb.32:                               ;   in Loop: Header=BB519_7 Depth=2
	s_or_b64 exec, exec, s[26:27]
.LBB519_33:                             ;   in Loop: Header=BB519_7 Depth=2
	s_or_b64 exec, exec, s[4:5]
	s_mov_b32 s26, s33
	s_waitcnt lgkmcnt(0)
	s_barrier
	ds_write_b32 v8, v12
	s_branch .LBB519_35
.LBB519_34:                             ;   in Loop: Header=BB519_35 Depth=3
	s_or_b64 exec, exec, s[4:5]
	s_cmp_gt_u32 s26, 3
	s_mov_b32 s26, s27
	s_cbranch_scc0 .LBB519_37
.LBB519_35:                             ;   Parent Loop BB519_3 Depth=1
                                        ;     Parent Loop BB519_7 Depth=2
                                        ; =>    This Inner Loop Header: Depth=3
	s_lshr_b32 s27, s26, 1
	v_cmp_gt_u32_e32 vcc, s27, v4
	s_waitcnt lgkmcnt(0)
	s_barrier
	s_and_saveexec_b64 s[4:5], vcc
	s_cbranch_execz .LBB519_34
; %bb.36:                               ;   in Loop: Header=BB519_35 Depth=3
	v_lshl_add_u32 v0, s27, 2, v8
	ds_read_b32 v1, v8
	ds_read_b32 v0, v0
	s_waitcnt lgkmcnt(0)
	v_add_f32_e32 v0, v1, v0
	ds_write_b32 v8, v0
	s_branch .LBB519_34
.LBB519_37:                             ;   in Loop: Header=BB519_7 Depth=2
	s_waitcnt lgkmcnt(0)
	s_barrier
	s_and_saveexec_b64 s[26:27], s[2:3]
	s_cbranch_execz .LBB519_5
; %bb.38:                               ;   in Loop: Header=BB519_7 Depth=2
	ds_read_b32 v12, v7
	s_mov_b64 s[28:29], 0
	v_mov_b32_e32 v0, v9
	v_mov_b32_e32 v13, v4
.LBB519_39:                             ;   Parent Loop BB519_3 Depth=1
                                        ;     Parent Loop BB519_7 Depth=2
                                        ; =>    This Inner Loop Header: Depth=3
	v_ashrrev_i32_e32 v1, 31, v0
	v_lshlrev_b64 v[14:15], 1, v[0:1]
	v_mov_b32_e32 v16, s15
	v_add_co_u32_e32 v14, vcc, s14, v14
	v_addc_co_u32_e32 v15, vcc, v16, v15, vcc
	global_load_ushort v16, v[14:15], off
	v_lshlrev_b64 v[14:15], 2, v[0:1]
	v_mov_b32_e32 v17, s13
	v_add_co_u32_e64 v14, s[4:5], s12, v14
	v_addc_co_u32_e64 v15, s[4:5], v17, v15, s[4:5]
	v_add_u32_e32 v13, s33, v13
	v_cmp_le_i32_e32 vcc, s9, v13
	s_or_b64 s[28:29], vcc, s[28:29]
	v_add_u32_e32 v0, s34, v0
	s_waitcnt vmcnt(0)
	v_lshlrev_b32_e32 v1, 16, v16
	v_sub_f32_e32 v1, v1, v11
	v_mul_f32_e32 v16, 0x3fb8aa3b, v1
	v_fma_f32 v18, v1, s19, -v16
	v_rndne_f32_e32 v19, v16
	v_fmac_f32_e32 v18, 0x32a5705f, v1
	v_sub_f32_e32 v16, v16, v19
	v_add_f32_e32 v16, v16, v18
	v_cvt_i32_f32_e32 v19, v19
	v_exp_f32_e32 v16, v16
	v_cmp_ngt_f32_e64 s[4:5], s30, v1
	v_ldexp_f32 v16, v16, v19
	v_cndmask_b32_e64 v16, 0, v16, s[4:5]
	v_cmp_nlt_f32_e64 s[4:5], s31, v1
	v_cndmask_b32_e64 v1, v6, v16, s[4:5]
	s_waitcnt lgkmcnt(0)
	v_div_scale_f32 v16, s[4:5], v12, v12, v1
	v_rcp_f32_e32 v17, v16
	v_div_scale_f32 v18, vcc, v1, v12, v1
	v_fma_f32 v19, -v16, v17, 1.0
	v_fmac_f32_e32 v17, v19, v17
	v_mul_f32_e32 v19, v18, v17
	v_fma_f32 v20, -v16, v19, v18
	v_fmac_f32_e32 v19, v20, v17
	v_fma_f32 v16, -v16, v19, v18
	v_div_fmas_f32 v16, v16, v17, v19
	v_div_fixup_f32 v1, v16, v12, v1
	global_store_dword v[14:15], v1, off
	s_andn2_b64 exec, exec, s[28:29]
	s_cbranch_execnz .LBB519_39
	s_branch .LBB519_5
.LBB519_40:
	s_endpgm
	.section	.rodata,"a",@progbits
	.p2align	6, 0x0
	.amdhsa_kernel _ZN2at6native12_GLOBAL__N_126cunn_SpatialSoftMaxForwardIN3c108BFloat16EffiNS1_22SoftMaxForwardEpilogueEEEvPT1_PKT_T2_SB_SB_
		.amdhsa_group_segment_fixed_size 0
		.amdhsa_private_segment_fixed_size 0
		.amdhsa_kernarg_size 288
		.amdhsa_user_sgpr_count 6
		.amdhsa_user_sgpr_private_segment_buffer 1
		.amdhsa_user_sgpr_dispatch_ptr 0
		.amdhsa_user_sgpr_queue_ptr 0
		.amdhsa_user_sgpr_kernarg_segment_ptr 1
		.amdhsa_user_sgpr_dispatch_id 0
		.amdhsa_user_sgpr_flat_scratch_init 0
		.amdhsa_user_sgpr_kernarg_preload_length 0
		.amdhsa_user_sgpr_kernarg_preload_offset 0
		.amdhsa_user_sgpr_private_segment_size 0
		.amdhsa_uses_dynamic_stack 0
		.amdhsa_system_sgpr_private_segment_wavefront_offset 0
		.amdhsa_system_sgpr_workgroup_id_x 1
		.amdhsa_system_sgpr_workgroup_id_y 1
		.amdhsa_system_sgpr_workgroup_id_z 0
		.amdhsa_system_sgpr_workgroup_info 0
		.amdhsa_system_vgpr_workitem_id 1
		.amdhsa_next_free_vgpr 21
		.amdhsa_next_free_sgpr 35
		.amdhsa_accum_offset 24
		.amdhsa_reserve_vcc 1
		.amdhsa_reserve_flat_scratch 0
		.amdhsa_float_round_mode_32 0
		.amdhsa_float_round_mode_16_64 0
		.amdhsa_float_denorm_mode_32 3
		.amdhsa_float_denorm_mode_16_64 3
		.amdhsa_dx10_clamp 1
		.amdhsa_ieee_mode 1
		.amdhsa_fp16_overflow 0
		.amdhsa_tg_split 0
		.amdhsa_exception_fp_ieee_invalid_op 0
		.amdhsa_exception_fp_denorm_src 0
		.amdhsa_exception_fp_ieee_div_zero 0
		.amdhsa_exception_fp_ieee_overflow 0
		.amdhsa_exception_fp_ieee_underflow 0
		.amdhsa_exception_fp_ieee_inexact 0
		.amdhsa_exception_int_div_zero 0
	.end_amdhsa_kernel
	.section	.text._ZN2at6native12_GLOBAL__N_126cunn_SpatialSoftMaxForwardIN3c108BFloat16EffiNS1_22SoftMaxForwardEpilogueEEEvPT1_PKT_T2_SB_SB_,"axG",@progbits,_ZN2at6native12_GLOBAL__N_126cunn_SpatialSoftMaxForwardIN3c108BFloat16EffiNS1_22SoftMaxForwardEpilogueEEEvPT1_PKT_T2_SB_SB_,comdat
.Lfunc_end519:
	.size	_ZN2at6native12_GLOBAL__N_126cunn_SpatialSoftMaxForwardIN3c108BFloat16EffiNS1_22SoftMaxForwardEpilogueEEEvPT1_PKT_T2_SB_SB_, .Lfunc_end519-_ZN2at6native12_GLOBAL__N_126cunn_SpatialSoftMaxForwardIN3c108BFloat16EffiNS1_22SoftMaxForwardEpilogueEEEvPT1_PKT_T2_SB_SB_
                                        ; -- End function
	.section	.AMDGPU.csdata,"",@progbits
; Kernel info:
; codeLenInByte = 1764
; NumSgprs: 39
; NumVgprs: 21
; NumAgprs: 0
; TotalNumVgprs: 21
; ScratchSize: 0
; MemoryBound: 0
; FloatMode: 240
; IeeeMode: 1
; LDSByteSize: 0 bytes/workgroup (compile time only)
; SGPRBlocks: 4
; VGPRBlocks: 2
; NumSGPRsForWavesPerEU: 39
; NumVGPRsForWavesPerEU: 21
; AccumOffset: 24
; Occupancy: 8
; WaveLimiterHint : 0
; COMPUTE_PGM_RSRC2:SCRATCH_EN: 0
; COMPUTE_PGM_RSRC2:USER_SGPR: 6
; COMPUTE_PGM_RSRC2:TRAP_HANDLER: 0
; COMPUTE_PGM_RSRC2:TGID_X_EN: 1
; COMPUTE_PGM_RSRC2:TGID_Y_EN: 1
; COMPUTE_PGM_RSRC2:TGID_Z_EN: 0
; COMPUTE_PGM_RSRC2:TIDIG_COMP_CNT: 1
; COMPUTE_PGM_RSRC3_GFX90A:ACCUM_OFFSET: 5
; COMPUTE_PGM_RSRC3_GFX90A:TG_SPLIT: 0
	.section	.text._ZN2at6native12_GLOBAL__N_126cunn_SpatialSoftMaxForwardIN3c108BFloat16EfS4_lNS1_22SoftMaxForwardEpilogueEEEvPT1_PKT_T2_SB_SB_,"axG",@progbits,_ZN2at6native12_GLOBAL__N_126cunn_SpatialSoftMaxForwardIN3c108BFloat16EfS4_lNS1_22SoftMaxForwardEpilogueEEEvPT1_PKT_T2_SB_SB_,comdat
	.globl	_ZN2at6native12_GLOBAL__N_126cunn_SpatialSoftMaxForwardIN3c108BFloat16EfS4_lNS1_22SoftMaxForwardEpilogueEEEvPT1_PKT_T2_SB_SB_ ; -- Begin function _ZN2at6native12_GLOBAL__N_126cunn_SpatialSoftMaxForwardIN3c108BFloat16EfS4_lNS1_22SoftMaxForwardEpilogueEEEvPT1_PKT_T2_SB_SB_
	.p2align	8
	.type	_ZN2at6native12_GLOBAL__N_126cunn_SpatialSoftMaxForwardIN3c108BFloat16EfS4_lNS1_22SoftMaxForwardEpilogueEEEvPT1_PKT_T2_SB_SB_,@function
_ZN2at6native12_GLOBAL__N_126cunn_SpatialSoftMaxForwardIN3c108BFloat16EfS4_lNS1_22SoftMaxForwardEpilogueEEEvPT1_PKT_T2_SB_SB_: ; @_ZN2at6native12_GLOBAL__N_126cunn_SpatialSoftMaxForwardIN3c108BFloat16EfS4_lNS1_22SoftMaxForwardEpilogueEEEvPT1_PKT_T2_SB_SB_
; %bb.0:
	s_load_dwordx8 s[8:15], s[4:5], 0x0
	s_mov_b32 s0, s7
	s_mov_b32 s7, 0
	s_waitcnt lgkmcnt(0)
	v_pk_mov_b32 v[2:3], s[12:13], s[12:13] op_sel:[0,1]
	v_cmp_ge_i64_e32 vcc, s[6:7], v[2:3]
	s_cbranch_vccnz .LBB520_40
; %bb.1:
	s_load_dword s1, s[4:5], 0x34
	s_load_dwordx4 s[16:19], s[4:5], 0x20
	s_add_u32 s20, s4, 40
	v_bfe_u32 v22, v0, 10, 10
	s_addc_u32 s21, s5, 0
	s_waitcnt lgkmcnt(0)
	s_lshr_b32 s4, s1, 16
	v_and_b32_e32 v0, 0x3ff, v0
	s_mul_i32 s0, s0, s4
	s_mul_i32 s22, s19, s4
	v_mad_u64_u32 v[4:5], s[4:5], s16, v0, 0
	v_mov_b32_e32 v6, v5
	v_mad_u64_u32 v[6:7], s[4:5], s17, v0, v[6:7]
	s_mul_i32 s4, s16, s15
	s_mul_hi_u32 s5, s16, s14
	s_add_i32 s4, s5, s4
	s_mul_i32 s5, s17, s14
	v_add_u32_e32 v2, s0, v22
	v_mov_b32_e32 v3, 0
	s_add_i32 s19, s4, s5
	s_mul_i32 s24, s16, s14
	v_mov_b32_e32 v8, s6
	v_mov_b32_e32 v5, v6
	s_mul_i32 s25, s19, s6
	v_mad_u64_u32 v[6:7], s[4:5], s24, v8, v[2:3]
	v_add_u32_e32 v7, s25, v7
	v_lshlrev_b64 v[4:5], 1, v[4:5]
	v_lshlrev_b64 v[6:7], 1, v[6:7]
	v_add_co_u32_e32 v4, vcc, v4, v6
	v_addc_co_u32_e32 v5, vcc, v5, v7, vcc
	s_mul_i32 s19, s19, s18
	s_mul_hi_u32 s4, s24, s18
	v_mov_b32_e32 v1, v3
	v_mov_b32_e32 v6, s11
	v_add_co_u32_e32 v4, vcc, s10, v4
	s_add_i32 s5, s4, s19
	s_mul_i32 s4, s24, s18
	v_addc_co_u32_e32 v5, vcc, v6, v5, vcc
	s_lshl_b64 s[24:25], s[4:5], 1
	s_mul_i32 s19, s15, s6
	v_mad_u64_u32 v[6:7], s[4:5], s14, v8, v[0:1]
	v_add_u32_e32 v7, s19, v7
	v_mul_lo_u32 v7, s16, v7
	v_mad_u64_u32 v[8:9], s[4:5], s16, v6, v[2:3]
	v_mul_lo_u32 v6, s17, v6
	v_add3_u32 v9, v6, v9, v7
	v_lshlrev_b64 v[8:9], 1, v[8:9]
	v_mov_b32_e32 v7, s11
	v_add_co_u32_e32 v6, vcc, s10, v8
	v_addc_co_u32_e32 v7, vcc, v7, v9, vcc
	s_mov_b32 s23, s7
	v_mov_b32_e32 v10, s9
	v_add_co_u32_e32 v8, vcc, s8, v8
	v_cmp_gt_i64_e64 s[0:1], s[16:17], v[2:3]
	v_cmp_gt_i64_e64 s[2:3], s[14:15], v[0:1]
	s_lshl_b64 s[26:27], s[22:23], 1
	s_lshl_b64 s[28:29], s[16:17], 1
	v_addc_co_u32_e32 v9, vcc, v10, v9, vcc
	s_mov_b32 s19, 0x3fb8aa3b
	s_mov_b32 s33, 0xc2ce8ed0
	;; [unrolled: 1-line block ×3, first 2 shown]
	s_movk_i32 s43, 0x7fff
	v_mov_b32_e32 v23, 0x7f800000
	v_mov_b32_e32 v24, 0x7fc0
	s_mov_b64 s[8:9], s[6:7]
	s_branch .LBB520_3
.LBB520_2:                              ;   in Loop: Header=BB520_3 Depth=1
	s_or_b64 exec, exec, s[10:11]
	v_mov_b32_e32 v10, s25
	v_add_co_u32_e32 v4, vcc, s24, v4
	v_addc_co_u32_e32 v5, vcc, v5, v10, vcc
	v_add_co_u32_e32 v6, vcc, s24, v6
	v_addc_co_u32_e32 v7, vcc, v7, v10, vcc
	s_add_u32 s8, s8, s18
	v_add_co_u32_e32 v8, vcc, s24, v8
	s_addc_u32 s9, s9, 0
	v_addc_co_u32_e32 v9, vcc, v9, v10, vcc
	v_pk_mov_b32 v[10:11], s[12:13], s[12:13] op_sel:[0,1]
	v_cmp_ge_i64_e32 vcc, s[8:9], v[10:11]
	s_cbranch_vccnz .LBB520_40
.LBB520_3:                              ; =>This Loop Header: Depth=1
                                        ;     Child Loop BB520_7 Depth 2
                                        ;       Child Loop BB520_12 Depth 3
                                        ;       Child Loop BB520_15 Depth 3
	;; [unrolled: 1-line block ×8, first 2 shown]
	s_and_saveexec_b64 s[10:11], s[0:1]
	s_cbranch_execz .LBB520_2
; %bb.4:                                ;   in Loop: Header=BB520_3 Depth=1
	s_load_dword s4, s[20:21], 0xc
	s_mov_b64 s[34:35], 0
	v_mov_b32_e32 v27, s7
	v_pk_mov_b32 v[12:13], v[6:7], v[6:7] op_sel:[0,1]
	v_pk_mov_b32 v[14:15], v[4:5], v[4:5] op_sel:[0,1]
	s_waitcnt lgkmcnt(0)
	s_and_b32 s6, s4, 0xffff
	v_cmp_lt_u16_e64 s[30:31], s4, 2
	v_mul_u32_u24_e32 v10, s6, v22
	s_mul_i32 s4, s29, s6
	s_mul_hi_u32 s5, s28, s6
	v_lshl_add_u32 v25, v10, 2, 0
	s_add_i32 s44, s5, s4
	v_lshl_add_u32 v26, v0, 2, v25
	s_mul_i32 s45, s28, s6
	v_mov_b32_e32 v28, s44
	v_pk_mov_b32 v[10:11], v[8:9], v[8:9] op_sel:[0,1]
	v_pk_mov_b32 v[16:17], v[2:3], v[2:3] op_sel:[0,1]
	s_branch .LBB520_7
.LBB520_5:                              ;   in Loop: Header=BB520_7 Depth=2
	s_or_b64 exec, exec, s[36:37]
.LBB520_6:                              ;   in Loop: Header=BB520_7 Depth=2
	v_mov_b32_e32 v18, s23
	v_add_co_u32_e32 v16, vcc, s22, v16
	v_addc_co_u32_e32 v17, vcc, v17, v18, vcc
	v_mov_b32_e32 v18, s27
	v_add_co_u32_e32 v14, vcc, s26, v14
	v_addc_co_u32_e32 v15, vcc, v15, v18, vcc
	v_add_co_u32_e32 v12, vcc, s26, v12
	v_addc_co_u32_e32 v13, vcc, v13, v18, vcc
	v_cmp_le_i64_e32 vcc, s[16:17], v[16:17]
	s_or_b64 s[34:35], vcc, s[34:35]
	v_add_co_u32_e32 v10, vcc, s26, v10
	v_addc_co_u32_e32 v11, vcc, v11, v18, vcc
	s_andn2_b64 exec, exec, s[34:35]
	s_cbranch_execz .LBB520_2
.LBB520_7:                              ;   Parent Loop BB520_3 Depth=1
                                        ; =>  This Loop Header: Depth=2
                                        ;       Child Loop BB520_12 Depth 3
                                        ;       Child Loop BB520_15 Depth 3
	;; [unrolled: 1-line block ×8, first 2 shown]
	s_mov_b64 s[4:5], -1
	s_and_b64 vcc, exec, s[30:31]
	s_cbranch_vccz .LBB520_20
; %bb.8:                                ;   in Loop: Header=BB520_7 Depth=2
	v_mov_b32_e32 v29, 0xff7fffff
	s_and_saveexec_b64 s[4:5], s[2:3]
	s_cbranch_execnz .LBB520_11
; %bb.9:                                ;   in Loop: Header=BB520_7 Depth=2
	s_or_b64 exec, exec, s[4:5]
	v_mov_b32_e32 v30, 0
	s_and_saveexec_b64 s[36:37], s[2:3]
	s_cbranch_execnz .LBB520_14
.LBB520_10:                             ;   in Loop: Header=BB520_7 Depth=2
	s_or_b64 exec, exec, s[36:37]
	s_and_saveexec_b64 s[36:37], s[2:3]
	s_cbranch_execnz .LBB520_17
	s_branch .LBB520_19
.LBB520_11:                             ;   in Loop: Header=BB520_7 Depth=2
	s_mov_b64 s[36:37], 0
	v_mov_b32_e32 v29, 0xff7fffff
	v_pk_mov_b32 v[18:19], v[14:15], v[14:15] op_sel:[0,1]
	v_pk_mov_b32 v[20:21], v[0:1], v[0:1] op_sel:[0,1]
.LBB520_12:                             ;   Parent Loop BB520_3 Depth=1
                                        ;     Parent Loop BB520_7 Depth=2
                                        ; =>    This Inner Loop Header: Depth=3
	global_load_ushort v30, v[18:19], off
	v_add_co_u32_e32 v20, vcc, s6, v20
	v_addc_co_u32_e32 v21, vcc, v21, v27, vcc
	v_add_co_u32_e32 v18, vcc, s45, v18
	v_addc_co_u32_e32 v19, vcc, v19, v28, vcc
	v_cmp_le_i64_e32 vcc, s[14:15], v[20:21]
	s_or_b64 s[36:37], vcc, s[36:37]
	s_waitcnt vmcnt(0)
	v_lshlrev_b32_e32 v30, 16, v30
	v_cmp_lt_f32_e32 vcc, v29, v30
	v_cndmask_b32_e32 v29, v29, v30, vcc
	s_andn2_b64 exec, exec, s[36:37]
	s_cbranch_execnz .LBB520_12
; %bb.13:                               ;   in Loop: Header=BB520_7 Depth=2
	s_or_b64 exec, exec, s[36:37]
	s_or_b64 exec, exec, s[4:5]
	v_mov_b32_e32 v30, 0
	s_and_saveexec_b64 s[36:37], s[2:3]
	s_cbranch_execz .LBB520_10
.LBB520_14:                             ;   in Loop: Header=BB520_7 Depth=2
	s_mov_b64 s[38:39], 0
	v_mov_b32_e32 v30, 0
	v_pk_mov_b32 v[18:19], v[14:15], v[14:15] op_sel:[0,1]
	v_pk_mov_b32 v[20:21], v[0:1], v[0:1] op_sel:[0,1]
.LBB520_15:                             ;   Parent Loop BB520_3 Depth=1
                                        ;     Parent Loop BB520_7 Depth=2
                                        ; =>    This Inner Loop Header: Depth=3
	global_load_ushort v31, v[18:19], off
	v_mov_b32_e32 v32, s7
	v_add_co_u32_e64 v20, s[4:5], s6, v20
	v_mov_b32_e32 v33, s44
	v_add_co_u32_e32 v18, vcc, s45, v18
	v_addc_co_u32_e64 v21, s[4:5], v21, v32, s[4:5]
	v_addc_co_u32_e32 v19, vcc, v19, v33, vcc
	v_cmp_le_i64_e32 vcc, s[14:15], v[20:21]
	s_or_b64 s[38:39], vcc, s[38:39]
	s_waitcnt vmcnt(0)
	v_lshlrev_b32_e32 v31, 16, v31
	v_sub_f32_e32 v31, v31, v29
	v_mul_f32_e32 v32, 0x3fb8aa3b, v31
	v_fma_f32 v33, v31, s19, -v32
	v_rndne_f32_e32 v34, v32
	v_fmac_f32_e32 v33, 0x32a5705f, v31
	v_sub_f32_e32 v32, v32, v34
	v_add_f32_e32 v32, v32, v33
	v_cvt_i32_f32_e32 v34, v34
	v_exp_f32_e32 v32, v32
	v_cmp_ngt_f32_e32 vcc, s33, v31
	v_ldexp_f32 v32, v32, v34
	v_cndmask_b32_e32 v32, 0, v32, vcc
	v_cmp_nlt_f32_e32 vcc, s42, v31
	v_cndmask_b32_e32 v31, v23, v32, vcc
	v_add_f32_e32 v30, v30, v31
	s_andn2_b64 exec, exec, s[38:39]
	s_cbranch_execnz .LBB520_15
; %bb.16:                               ;   in Loop: Header=BB520_7 Depth=2
	s_or_b64 exec, exec, s[38:39]
	s_or_b64 exec, exec, s[36:37]
	s_and_saveexec_b64 s[36:37], s[2:3]
	s_cbranch_execz .LBB520_19
.LBB520_17:                             ;   in Loop: Header=BB520_7 Depth=2
	s_mov_b64 s[38:39], 0
	s_mov_b64 s[40:41], 0
	v_pk_mov_b32 v[18:19], v[0:1], v[0:1] op_sel:[0,1]
.LBB520_18:                             ;   Parent Loop BB520_3 Depth=1
                                        ;     Parent Loop BB520_7 Depth=2
                                        ; =>    This Inner Loop Header: Depth=3
	v_mov_b32_e32 v31, s41
	v_add_co_u32_e32 v20, vcc, s40, v12
	v_addc_co_u32_e32 v21, vcc, v13, v31, vcc
	global_load_ushort v32, v[20:21], off
	v_add_co_u32_e64 v20, s[4:5], s40, v10
	v_addc_co_u32_e64 v21, s[4:5], v11, v31, s[4:5]
	v_mov_b32_e32 v33, s7
	v_add_co_u32_e32 v18, vcc, s6, v18
	v_addc_co_u32_e32 v19, vcc, v19, v33, vcc
	s_add_u32 s40, s40, s45
	s_addc_u32 s41, s41, s44
	v_cmp_le_i64_e32 vcc, s[14:15], v[18:19]
	s_or_b64 s[38:39], vcc, s[38:39]
	s_waitcnt vmcnt(0)
	v_lshlrev_b32_e32 v31, 16, v32
	v_sub_f32_e32 v31, v31, v29
	v_mul_f32_e32 v32, 0x3fb8aa3b, v31
	v_fma_f32 v33, v31, s19, -v32
	v_rndne_f32_e32 v34, v32
	v_fmac_f32_e32 v33, 0x32a5705f, v31
	v_sub_f32_e32 v32, v32, v34
	v_add_f32_e32 v32, v32, v33
	v_cvt_i32_f32_e32 v34, v34
	v_exp_f32_e32 v32, v32
	v_cmp_ngt_f32_e32 vcc, s33, v31
	v_ldexp_f32 v32, v32, v34
	v_cndmask_b32_e32 v32, 0, v32, vcc
	v_cmp_nlt_f32_e32 vcc, s42, v31
	v_cndmask_b32_e32 v31, v23, v32, vcc
	v_div_scale_f32 v32, s[4:5], v30, v30, v31
	v_rcp_f32_e32 v33, v32
	v_div_scale_f32 v34, vcc, v31, v30, v31
	v_fma_f32 v35, -v32, v33, 1.0
	v_fmac_f32_e32 v33, v35, v33
	v_mul_f32_e32 v35, v34, v33
	v_fma_f32 v36, -v32, v35, v34
	v_fmac_f32_e32 v35, v36, v33
	v_fma_f32 v32, -v32, v35, v34
	v_div_fmas_f32 v32, v32, v33, v35
	v_div_fixup_f32 v31, v32, v30, v31
	v_bfe_u32 v32, v31, 16, 1
	v_add3_u32 v32, v31, v32, s43
	v_lshrrev_b32_e32 v32, 16, v32
	v_cmp_o_f32_e32 vcc, v31, v31
	v_cndmask_b32_e32 v31, v24, v32, vcc
	global_store_short v[20:21], v31, off
	s_andn2_b64 exec, exec, s[38:39]
	s_cbranch_execnz .LBB520_18
.LBB520_19:                             ;   in Loop: Header=BB520_7 Depth=2
	s_or_b64 exec, exec, s[36:37]
	s_mov_b64 s[4:5], 0
.LBB520_20:                             ;   in Loop: Header=BB520_7 Depth=2
	s_and_b64 vcc, exec, s[4:5]
	s_cbranch_vccz .LBB520_6
; %bb.21:                               ;   in Loop: Header=BB520_7 Depth=2
	v_mov_b32_e32 v29, 0xff7fffff
	s_and_saveexec_b64 s[36:37], s[2:3]
	s_cbranch_execz .LBB520_25
; %bb.22:                               ;   in Loop: Header=BB520_7 Depth=2
	s_mov_b64 s[38:39], 0
	v_mov_b32_e32 v29, 0xff7fffff
	v_pk_mov_b32 v[18:19], v[14:15], v[14:15] op_sel:[0,1]
	v_pk_mov_b32 v[20:21], v[0:1], v[0:1] op_sel:[0,1]
.LBB520_23:                             ;   Parent Loop BB520_3 Depth=1
                                        ;     Parent Loop BB520_7 Depth=2
                                        ; =>    This Inner Loop Header: Depth=3
	global_load_ushort v30, v[18:19], off
	v_mov_b32_e32 v31, s7
	v_mov_b32_e32 v32, s44
	v_add_co_u32_e32 v18, vcc, s45, v18
	v_add_co_u32_e64 v20, s[4:5], s6, v20
	v_addc_co_u32_e64 v21, s[4:5], v21, v31, s[4:5]
	v_addc_co_u32_e32 v19, vcc, v19, v32, vcc
	v_cmp_le_i64_e32 vcc, s[14:15], v[20:21]
	s_or_b64 s[38:39], vcc, s[38:39]
	s_waitcnt vmcnt(0)
	v_lshlrev_b32_e32 v30, 16, v30
	v_cmp_lt_f32_e32 vcc, v29, v30
	v_cndmask_b32_e32 v29, v29, v30, vcc
	s_andn2_b64 exec, exec, s[38:39]
	s_cbranch_execnz .LBB520_23
; %bb.24:                               ;   in Loop: Header=BB520_7 Depth=2
	s_or_b64 exec, exec, s[38:39]
.LBB520_25:                             ;   in Loop: Header=BB520_7 Depth=2
	s_or_b64 exec, exec, s[36:37]
	s_mov_b32 s36, s6
	s_barrier
	ds_write_b32 v26, v29
	s_branch .LBB520_27
.LBB520_26:                             ;   in Loop: Header=BB520_27 Depth=3
	s_or_b64 exec, exec, s[4:5]
	s_cmp_gt_u32 s36, 3
	s_mov_b32 s36, s37
	s_cbranch_scc0 .LBB520_29
.LBB520_27:                             ;   Parent Loop BB520_3 Depth=1
                                        ;     Parent Loop BB520_7 Depth=2
                                        ; =>    This Inner Loop Header: Depth=3
	s_lshr_b32 s37, s36, 1
	v_cmp_gt_u32_e32 vcc, s37, v0
	s_waitcnt lgkmcnt(0)
	s_barrier
	s_and_saveexec_b64 s[4:5], vcc
	s_cbranch_execz .LBB520_26
; %bb.28:                               ;   in Loop: Header=BB520_27 Depth=3
	v_lshl_add_u32 v18, s37, 2, v26
	ds_read_b32 v19, v26
	ds_read_b32 v18, v18
	s_waitcnt lgkmcnt(0)
	v_cmp_lt_f32_e32 vcc, v19, v18
	v_cndmask_b32_e32 v18, v19, v18, vcc
	ds_write_b32 v26, v18
	s_branch .LBB520_26
.LBB520_29:                             ;   in Loop: Header=BB520_7 Depth=2
	s_waitcnt lgkmcnt(0)
	s_barrier
	ds_read_b32 v29, v25
	v_mov_b32_e32 v30, 0
	s_and_saveexec_b64 s[36:37], s[2:3]
	s_cbranch_execz .LBB520_33
; %bb.30:                               ;   in Loop: Header=BB520_7 Depth=2
	s_mov_b64 s[38:39], 0
	v_mov_b32_e32 v30, 0
	v_pk_mov_b32 v[18:19], v[14:15], v[14:15] op_sel:[0,1]
	v_pk_mov_b32 v[20:21], v[0:1], v[0:1] op_sel:[0,1]
.LBB520_31:                             ;   Parent Loop BB520_3 Depth=1
                                        ;     Parent Loop BB520_7 Depth=2
                                        ; =>    This Inner Loop Header: Depth=3
	global_load_ushort v31, v[18:19], off
	v_mov_b32_e32 v32, s7
	v_add_co_u32_e64 v20, s[4:5], s6, v20
	v_mov_b32_e32 v33, s44
	v_add_co_u32_e32 v18, vcc, s45, v18
	v_addc_co_u32_e64 v21, s[4:5], v21, v32, s[4:5]
	v_addc_co_u32_e32 v19, vcc, v19, v33, vcc
	v_cmp_le_i64_e32 vcc, s[14:15], v[20:21]
	s_or_b64 s[38:39], vcc, s[38:39]
	s_waitcnt vmcnt(0)
	v_lshlrev_b32_e32 v31, 16, v31
	s_waitcnt lgkmcnt(0)
	v_sub_f32_e32 v31, v31, v29
	v_mul_f32_e32 v32, 0x3fb8aa3b, v31
	v_fma_f32 v33, v31, s19, -v32
	v_rndne_f32_e32 v34, v32
	v_fmac_f32_e32 v33, 0x32a5705f, v31
	v_sub_f32_e32 v32, v32, v34
	v_add_f32_e32 v32, v32, v33
	v_cvt_i32_f32_e32 v34, v34
	v_exp_f32_e32 v32, v32
	v_cmp_ngt_f32_e32 vcc, s33, v31
	v_ldexp_f32 v32, v32, v34
	v_cndmask_b32_e32 v32, 0, v32, vcc
	v_cmp_nlt_f32_e32 vcc, s42, v31
	v_cndmask_b32_e32 v31, v23, v32, vcc
	v_add_f32_e32 v30, v30, v31
	s_andn2_b64 exec, exec, s[38:39]
	s_cbranch_execnz .LBB520_31
; %bb.32:                               ;   in Loop: Header=BB520_7 Depth=2
	s_or_b64 exec, exec, s[38:39]
.LBB520_33:                             ;   in Loop: Header=BB520_7 Depth=2
	s_or_b64 exec, exec, s[36:37]
	s_mov_b32 s36, s6
	s_waitcnt lgkmcnt(0)
	s_barrier
	ds_write_b32 v26, v30
	s_branch .LBB520_35
.LBB520_34:                             ;   in Loop: Header=BB520_35 Depth=3
	s_or_b64 exec, exec, s[4:5]
	s_cmp_gt_u32 s36, 3
	s_mov_b32 s36, s37
	s_cbranch_scc0 .LBB520_37
.LBB520_35:                             ;   Parent Loop BB520_3 Depth=1
                                        ;     Parent Loop BB520_7 Depth=2
                                        ; =>    This Inner Loop Header: Depth=3
	s_lshr_b32 s37, s36, 1
	v_cmp_gt_u32_e32 vcc, s37, v0
	s_waitcnt lgkmcnt(0)
	s_barrier
	s_and_saveexec_b64 s[4:5], vcc
	s_cbranch_execz .LBB520_34
; %bb.36:                               ;   in Loop: Header=BB520_35 Depth=3
	v_lshl_add_u32 v18, s37, 2, v26
	ds_read_b32 v19, v26
	ds_read_b32 v18, v18
	s_waitcnt lgkmcnt(0)
	v_add_f32_e32 v18, v19, v18
	ds_write_b32 v26, v18
	s_branch .LBB520_34
.LBB520_37:                             ;   in Loop: Header=BB520_7 Depth=2
	s_waitcnt lgkmcnt(0)
	s_barrier
	s_and_saveexec_b64 s[36:37], s[2:3]
	s_cbranch_execz .LBB520_5
; %bb.38:                               ;   in Loop: Header=BB520_7 Depth=2
	ds_read_b32 v20, v25
	s_mov_b64 s[38:39], 0
	s_mov_b64 s[40:41], 0
	v_pk_mov_b32 v[18:19], v[0:1], v[0:1] op_sel:[0,1]
.LBB520_39:                             ;   Parent Loop BB520_3 Depth=1
                                        ;     Parent Loop BB520_7 Depth=2
                                        ; =>    This Inner Loop Header: Depth=3
	v_mov_b32_e32 v21, s41
	v_add_co_u32_e32 v30, vcc, s40, v12
	v_addc_co_u32_e32 v31, vcc, v13, v21, vcc
	global_load_ushort v32, v[30:31], off
	v_add_co_u32_e64 v30, s[4:5], s40, v10
	v_addc_co_u32_e64 v31, s[4:5], v11, v21, s[4:5]
	v_mov_b32_e32 v33, s7
	v_add_co_u32_e32 v18, vcc, s6, v18
	v_addc_co_u32_e32 v19, vcc, v19, v33, vcc
	s_add_u32 s40, s40, s45
	s_addc_u32 s41, s41, s44
	v_cmp_le_i64_e32 vcc, s[14:15], v[18:19]
	s_or_b64 s[38:39], vcc, s[38:39]
	s_waitcnt vmcnt(0)
	v_lshlrev_b32_e32 v21, 16, v32
	v_sub_f32_e32 v21, v21, v29
	v_mul_f32_e32 v32, 0x3fb8aa3b, v21
	v_fma_f32 v33, v21, s19, -v32
	v_rndne_f32_e32 v34, v32
	v_fmac_f32_e32 v33, 0x32a5705f, v21
	v_sub_f32_e32 v32, v32, v34
	v_add_f32_e32 v32, v32, v33
	v_cvt_i32_f32_e32 v34, v34
	v_exp_f32_e32 v32, v32
	v_cmp_ngt_f32_e32 vcc, s33, v21
	v_ldexp_f32 v32, v32, v34
	v_cndmask_b32_e32 v32, 0, v32, vcc
	v_cmp_nlt_f32_e32 vcc, s42, v21
	v_cndmask_b32_e32 v21, v23, v32, vcc
	s_waitcnt lgkmcnt(0)
	v_div_scale_f32 v32, s[4:5], v20, v20, v21
	v_rcp_f32_e32 v33, v32
	v_div_scale_f32 v34, vcc, v21, v20, v21
	v_fma_f32 v35, -v32, v33, 1.0
	v_fmac_f32_e32 v33, v35, v33
	v_mul_f32_e32 v35, v34, v33
	v_fma_f32 v36, -v32, v35, v34
	v_fmac_f32_e32 v35, v36, v33
	v_fma_f32 v32, -v32, v35, v34
	v_div_fmas_f32 v32, v32, v33, v35
	v_div_fixup_f32 v21, v32, v20, v21
	v_bfe_u32 v32, v21, 16, 1
	v_add3_u32 v32, v21, v32, s43
	v_lshrrev_b32_e32 v32, 16, v32
	v_cmp_o_f32_e32 vcc, v21, v21
	v_cndmask_b32_e32 v21, v24, v32, vcc
	global_store_short v[30:31], v21, off
	s_andn2_b64 exec, exec, s[38:39]
	s_cbranch_execnz .LBB520_39
	s_branch .LBB520_5
.LBB520_40:
	s_endpgm
	.section	.rodata,"a",@progbits
	.p2align	6, 0x0
	.amdhsa_kernel _ZN2at6native12_GLOBAL__N_126cunn_SpatialSoftMaxForwardIN3c108BFloat16EfS4_lNS1_22SoftMaxForwardEpilogueEEEvPT1_PKT_T2_SB_SB_
		.amdhsa_group_segment_fixed_size 0
		.amdhsa_private_segment_fixed_size 0
		.amdhsa_kernarg_size 296
		.amdhsa_user_sgpr_count 6
		.amdhsa_user_sgpr_private_segment_buffer 1
		.amdhsa_user_sgpr_dispatch_ptr 0
		.amdhsa_user_sgpr_queue_ptr 0
		.amdhsa_user_sgpr_kernarg_segment_ptr 1
		.amdhsa_user_sgpr_dispatch_id 0
		.amdhsa_user_sgpr_flat_scratch_init 0
		.amdhsa_user_sgpr_kernarg_preload_length 0
		.amdhsa_user_sgpr_kernarg_preload_offset 0
		.amdhsa_user_sgpr_private_segment_size 0
		.amdhsa_uses_dynamic_stack 0
		.amdhsa_system_sgpr_private_segment_wavefront_offset 0
		.amdhsa_system_sgpr_workgroup_id_x 1
		.amdhsa_system_sgpr_workgroup_id_y 1
		.amdhsa_system_sgpr_workgroup_id_z 0
		.amdhsa_system_sgpr_workgroup_info 0
		.amdhsa_system_vgpr_workitem_id 1
		.amdhsa_next_free_vgpr 37
		.amdhsa_next_free_sgpr 46
		.amdhsa_accum_offset 40
		.amdhsa_reserve_vcc 1
		.amdhsa_reserve_flat_scratch 0
		.amdhsa_float_round_mode_32 0
		.amdhsa_float_round_mode_16_64 0
		.amdhsa_float_denorm_mode_32 3
		.amdhsa_float_denorm_mode_16_64 3
		.amdhsa_dx10_clamp 1
		.amdhsa_ieee_mode 1
		.amdhsa_fp16_overflow 0
		.amdhsa_tg_split 0
		.amdhsa_exception_fp_ieee_invalid_op 0
		.amdhsa_exception_fp_denorm_src 0
		.amdhsa_exception_fp_ieee_div_zero 0
		.amdhsa_exception_fp_ieee_overflow 0
		.amdhsa_exception_fp_ieee_underflow 0
		.amdhsa_exception_fp_ieee_inexact 0
		.amdhsa_exception_int_div_zero 0
	.end_amdhsa_kernel
	.section	.text._ZN2at6native12_GLOBAL__N_126cunn_SpatialSoftMaxForwardIN3c108BFloat16EfS4_lNS1_22SoftMaxForwardEpilogueEEEvPT1_PKT_T2_SB_SB_,"axG",@progbits,_ZN2at6native12_GLOBAL__N_126cunn_SpatialSoftMaxForwardIN3c108BFloat16EfS4_lNS1_22SoftMaxForwardEpilogueEEEvPT1_PKT_T2_SB_SB_,comdat
.Lfunc_end520:
	.size	_ZN2at6native12_GLOBAL__N_126cunn_SpatialSoftMaxForwardIN3c108BFloat16EfS4_lNS1_22SoftMaxForwardEpilogueEEEvPT1_PKT_T2_SB_SB_, .Lfunc_end520-_ZN2at6native12_GLOBAL__N_126cunn_SpatialSoftMaxForwardIN3c108BFloat16EfS4_lNS1_22SoftMaxForwardEpilogueEEEvPT1_PKT_T2_SB_SB_
                                        ; -- End function
	.section	.AMDGPU.csdata,"",@progbits
; Kernel info:
; codeLenInByte = 2116
; NumSgprs: 50
; NumVgprs: 37
; NumAgprs: 0
; TotalNumVgprs: 37
; ScratchSize: 0
; MemoryBound: 0
; FloatMode: 240
; IeeeMode: 1
; LDSByteSize: 0 bytes/workgroup (compile time only)
; SGPRBlocks: 6
; VGPRBlocks: 4
; NumSGPRsForWavesPerEU: 50
; NumVGPRsForWavesPerEU: 37
; AccumOffset: 40
; Occupancy: 8
; WaveLimiterHint : 0
; COMPUTE_PGM_RSRC2:SCRATCH_EN: 0
; COMPUTE_PGM_RSRC2:USER_SGPR: 6
; COMPUTE_PGM_RSRC2:TRAP_HANDLER: 0
; COMPUTE_PGM_RSRC2:TGID_X_EN: 1
; COMPUTE_PGM_RSRC2:TGID_Y_EN: 1
; COMPUTE_PGM_RSRC2:TGID_Z_EN: 0
; COMPUTE_PGM_RSRC2:TIDIG_COMP_CNT: 1
; COMPUTE_PGM_RSRC3_GFX90A:ACCUM_OFFSET: 9
; COMPUTE_PGM_RSRC3_GFX90A:TG_SPLIT: 0
	.section	.text._ZN2at6native12_GLOBAL__N_126cunn_SpatialSoftMaxForwardIN3c108BFloat16EfflNS1_22SoftMaxForwardEpilogueEEEvPT1_PKT_T2_SB_SB_,"axG",@progbits,_ZN2at6native12_GLOBAL__N_126cunn_SpatialSoftMaxForwardIN3c108BFloat16EfflNS1_22SoftMaxForwardEpilogueEEEvPT1_PKT_T2_SB_SB_,comdat
	.globl	_ZN2at6native12_GLOBAL__N_126cunn_SpatialSoftMaxForwardIN3c108BFloat16EfflNS1_22SoftMaxForwardEpilogueEEEvPT1_PKT_T2_SB_SB_ ; -- Begin function _ZN2at6native12_GLOBAL__N_126cunn_SpatialSoftMaxForwardIN3c108BFloat16EfflNS1_22SoftMaxForwardEpilogueEEEvPT1_PKT_T2_SB_SB_
	.p2align	8
	.type	_ZN2at6native12_GLOBAL__N_126cunn_SpatialSoftMaxForwardIN3c108BFloat16EfflNS1_22SoftMaxForwardEpilogueEEEvPT1_PKT_T2_SB_SB_,@function
_ZN2at6native12_GLOBAL__N_126cunn_SpatialSoftMaxForwardIN3c108BFloat16EfflNS1_22SoftMaxForwardEpilogueEEEvPT1_PKT_T2_SB_SB_: ; @_ZN2at6native12_GLOBAL__N_126cunn_SpatialSoftMaxForwardIN3c108BFloat16EfflNS1_22SoftMaxForwardEpilogueEEEvPT1_PKT_T2_SB_SB_
; %bb.0:
	s_load_dwordx8 s[12:19], s[4:5], 0x0
	s_mov_b32 s0, s7
	s_mov_b32 s7, 0
	s_waitcnt lgkmcnt(0)
	v_pk_mov_b32 v[2:3], s[16:17], s[16:17] op_sel:[0,1]
	v_cmp_ge_i64_e32 vcc, s[6:7], v[2:3]
	s_cbranch_vccnz .LBB521_58
; %bb.1:
	s_load_dwordx4 s[20:23], s[4:5], 0x20
	s_load_dword s1, s[4:5], 0x34
	v_and_b32_e32 v14, 0x3ff, v0
	v_bfe_u32 v39, v0, 10, 10
	v_mov_b32_e32 v12, 0
	s_waitcnt lgkmcnt(0)
	s_mul_i32 s2, s20, s19
	s_mul_hi_u32 s3, s20, s18
	s_mul_i32 s8, s21, s18
	s_add_i32 s2, s3, s2
	s_add_i32 s54, s2, s8
	s_add_u32 s24, s4, 40
	s_addc_u32 s25, s5, 0
	s_lshr_b32 s4, s1, 16
	s_mul_i32 s0, s0, s4
	s_mul_i32 s26, s23, s4
	v_mad_u64_u32 v[16:17], s[4:5], s20, v14, 0
	s_mul_i32 s33, s20, s18
	v_add_u32_e32 v10, s0, v39
	v_mov_b32_e32 v11, v12
	v_mov_b32_e32 v2, v17
	;; [unrolled: 1-line block ×3, first 2 shown]
	v_mad_u64_u32 v[2:3], s[4:5], s21, v14, v[2:3]
	s_mul_i32 s8, s54, s6
	v_mad_u64_u32 v[18:19], s[4:5], s33, v4, v[10:11]
	v_mov_b32_e32 v17, v2
	v_add_u32_e32 v19, s8, v19
	v_lshlrev_b64 v[2:3], 1, v[16:17]
	v_lshlrev_b64 v[4:5], 1, v[18:19]
	v_add_co_u32_e32 v2, vcc, v2, v4
	v_addc_co_u32_e32 v3, vcc, v3, v5, vcc
	s_mul_i32 s4, s54, s22
	s_mul_hi_u32 s5, s33, s22
	v_mov_b32_e32 v15, v12
	s_mov_b32 s27, s7
	v_mov_b32_e32 v4, s15
	v_add_co_u32_e32 v20, vcc, s14, v2
	s_add_i32 s29, s5, s4
	s_mul_i32 s28, s33, s22
	v_cmp_gt_i64_e64 s[0:1], s[20:21], v[10:11]
	v_cmp_gt_i64_e64 s[2:3], s[18:19], v[14:15]
	v_mov_b32_e32 v0, v14
	v_mov_b32_e32 v1, v12
	s_mov_b32 s23, s20
	s_mov_b32 s55, s21
	;; [unrolled: 1-line block ×4, first 2 shown]
	v_addc_co_u32_e32 v21, vcc, v4, v3, vcc
	s_lshl_b64 s[30:31], s[28:29], 1
	s_lshl_b64 s[34:35], s[26:27], 1
	;; [unrolled: 1-line block ×4, first 2 shown]
	s_mov_b32 s58, 0x3fb8aa3b
	s_mov_b32 s59, 0xc2ce8ed0
	;; [unrolled: 1-line block ×3, first 2 shown]
	v_mov_b32_e32 v50, 0x7f800000
	v_mov_b32_e32 v51, 0x4f800000
	s_mov_b64 s[40:41], s[6:7]
	s_branch .LBB521_3
.LBB521_2:                              ;   in Loop: Header=BB521_3 Depth=1
	s_or_b64 exec, exec, s[42:43]
	v_mov_b32_e32 v2, s31
	v_add_co_u32_e32 v20, vcc, s30, v20
	v_addc_co_u32_e32 v21, vcc, v21, v2, vcc
	s_add_u32 s40, s40, s22
	v_mov_b32_e32 v2, s29
	v_add_co_u32_e32 v18, vcc, s28, v18
	s_addc_u32 s41, s41, 0
	v_addc_co_u32_e32 v19, vcc, v19, v2, vcc
	v_pk_mov_b32 v[2:3], s[16:17], s[16:17] op_sel:[0,1]
	v_cmp_ge_i64_e32 vcc, s[40:41], v[2:3]
	s_cbranch_vccnz .LBB521_58
.LBB521_3:                              ; =>This Loop Header: Depth=1
                                        ;     Child Loop BB521_7 Depth 2
                                        ;       Child Loop BB521_12 Depth 3
                                        ;       Child Loop BB521_15 Depth 3
	;; [unrolled: 1-line block ×10, first 2 shown]
	s_and_saveexec_b64 s[42:43], s[0:1]
	s_cbranch_execz .LBB521_2
; %bb.4:                                ;   in Loop: Header=BB521_3 Depth=1
	s_load_dword s8, s[24:25], 0xc
	s_mul_i32 s4, s33, s41
	s_mul_hi_u32 s5, s33, s40
	s_add_i32 s4, s5, s4
	s_mul_i32 s5, s54, s40
	s_waitcnt lgkmcnt(0)
	s_and_b32 s62, s8, 0xffff
	v_mul_u32_u24_e32 v2, s62, v39
	v_lshl_add_u32 v52, v2, 2, 0
	v_add_co_u32_e32 v2, vcc, s62, v14
	s_add_i32 s6, s4, s5
	v_addc_co_u32_e64 v3, s[4:5], 0, 0, vcc
	v_cmp_gt_i64_e32 vcc, s[18:19], v[2:3]
	v_mov_b32_e32 v5, s18
	v_mov_b32_e32 v4, s19
	v_cndmask_b32_e32 v5, v2, v5, vcc
	v_cndmask_b32_e64 v6, 0, 1, vcc
	v_cndmask_b32_e32 v4, v3, v4, vcc
	v_cndmask_b32_e64 v22, 1, 2, vcc
	v_sub_co_u32_e32 v5, vcc, v5, v6
	v_subbrev_co_u32_e32 v4, vcc, 0, v4, vcc
	v_sub_co_u32_e32 v54, vcc, v5, v2
	v_subb_co_u32_e32 v13, vcc, v4, v3, vcc
	v_add_co_u32_e32 v6, vcc, v22, v54
	v_and_b32_e32 v24, -2, v6
	v_cmp_lt_u16_e64 s[44:45], s8, 2
	v_addc_co_u32_e32 v7, vcc, 0, v13, vcc
	v_mad_u64_u32 v[26:27], s[8:9], v24, s62, v[14:15]
	v_mov_b32_e32 v2, v27
	v_add_co_u32_e32 v4, vcc, s62, v14
	s_mul_i32 s10, s37, s62
	s_mul_hi_u32 s11, s36, s62
	v_mov_b32_e32 v25, v7
	v_mad_u64_u32 v[2:3], s[8:9], v7, s62, v[2:3]
	v_addc_co_u32_e64 v5, s[8:9], 0, 0, vcc
	s_lshl_b32 s63, s62, 1
	s_add_i32 s67, s11, s10
	s_mul_i32 s10, s39, s62
	s_mul_hi_u32 s11, s38, s62
	s_mul_i32 s61, s33, s40
	v_lshl_add_u32 v53, v14, 2, v52
	v_cmp_lt_u64_e64 s[4:5], 1, v[6:7]
	v_mov_b32_e32 v27, v2
	v_mov_b32_e32 v2, v0
	;; [unrolled: 1-line block ×3, first 2 shown]
	s_mov_b32 s64, s7
	s_mov_b32 s65, s63
	;; [unrolled: 1-line block ×3, first 2 shown]
	v_cmp_ne_u64_e64 s[8:9], v[6:7], v[24:25]
	s_mul_i32 s68, s36, s62
	s_add_i32 s69, s11, s10
	s_mul_i32 s70, s38, s62
	s_mov_b64 s[46:47], 0
	v_pk_mov_b32 v[28:29], v[18:19], v[18:19] op_sel:[0,1]
	v_pk_mov_b32 v[30:31], v[20:21], v[20:21] op_sel:[0,1]
	v_pk_mov_b32 v[32:33], v[10:11], v[10:11] op_sel:[0,1]
	s_branch .LBB521_7
.LBB521_5:                              ;   in Loop: Header=BB521_7 Depth=2
	s_or_b64 exec, exec, s[48:49]
.LBB521_6:                              ;   in Loop: Header=BB521_7 Depth=2
	v_mov_b32_e32 v6, s27
	v_add_co_u32_e32 v32, vcc, s26, v32
	v_addc_co_u32_e32 v33, vcc, v33, v6, vcc
	v_mov_b32_e32 v7, s35
	v_add_co_u32_e32 v30, vcc, s34, v30
	v_addc_co_u32_e32 v31, vcc, v31, v7, vcc
	v_cmp_le_i64_e32 vcc, s[20:21], v[32:33]
	s_or_b64 s[46:47], vcc, s[46:47]
	v_add_co_u32_e32 v28, vcc, s26, v28
	v_addc_co_u32_e32 v29, vcc, v29, v6, vcc
	s_andn2_b64 exec, exec, s[46:47]
	s_cbranch_execz .LBB521_2
.LBB521_7:                              ;   Parent Loop BB521_3 Depth=1
                                        ; =>  This Loop Header: Depth=2
                                        ;       Child Loop BB521_12 Depth 3
                                        ;       Child Loop BB521_15 Depth 3
	;; [unrolled: 1-line block ×10, first 2 shown]
	v_mov_b32_e32 v6, s6
	v_add_co_u32_e32 v34, vcc, s61, v32
	v_addc_co_u32_e32 v35, vcc, v33, v6, vcc
	s_mov_b64 s[10:11], -1
	s_and_b64 vcc, exec, s[44:45]
	s_cbranch_vccz .LBB521_27
; %bb.8:                                ;   in Loop: Header=BB521_7 Depth=2
	v_mov_b32_e32 v36, 0xff7fffff
	s_and_saveexec_b64 s[48:49], s[2:3]
	s_cbranch_execnz .LBB521_11
; %bb.9:                                ;   in Loop: Header=BB521_7 Depth=2
	s_or_b64 exec, exec, s[48:49]
	s_waitcnt lgkmcnt(0)
	v_mov_b32_e32 v38, 0
	s_and_saveexec_b64 s[48:49], s[2:3]
	s_cbranch_execnz .LBB521_14
.LBB521_10:                             ;   in Loop: Header=BB521_7 Depth=2
	s_or_b64 exec, exec, s[48:49]
	s_and_saveexec_b64 s[48:49], s[2:3]
	s_cbranch_execnz .LBB521_17
	s_branch .LBB521_26
.LBB521_11:                             ;   in Loop: Header=BB521_7 Depth=2
	s_mov_b64 s[50:51], 0
	v_mov_b32_e32 v36, 0xff7fffff
	v_pk_mov_b32 v[6:7], v[30:31], v[30:31] op_sel:[0,1]
	v_pk_mov_b32 v[8:9], v[14:15], v[14:15] op_sel:[0,1]
.LBB521_12:                             ;   Parent Loop BB521_3 Depth=1
                                        ;     Parent Loop BB521_7 Depth=2
                                        ; =>    This Inner Loop Header: Depth=3
	global_load_ushort v23, v[6:7], off
	v_mov_b32_e32 v37, s7
	s_waitcnt lgkmcnt(0)
	v_mov_b32_e32 v38, s67
	v_add_co_u32_e32 v6, vcc, s68, v6
	v_add_co_u32_e64 v8, s[10:11], s62, v8
	v_addc_co_u32_e64 v9, s[10:11], v9, v37, s[10:11]
	v_addc_co_u32_e32 v7, vcc, v7, v38, vcc
	v_cmp_le_i64_e32 vcc, s[18:19], v[8:9]
	s_or_b64 s[50:51], vcc, s[50:51]
	s_waitcnt vmcnt(0)
	v_lshlrev_b32_e32 v23, 16, v23
	v_cmp_lt_f32_e32 vcc, v36, v23
	v_cndmask_b32_e32 v36, v36, v23, vcc
	s_andn2_b64 exec, exec, s[50:51]
	s_cbranch_execnz .LBB521_12
; %bb.13:                               ;   in Loop: Header=BB521_7 Depth=2
	s_or_b64 exec, exec, s[50:51]
	s_or_b64 exec, exec, s[48:49]
	v_mov_b32_e32 v38, 0
	s_and_saveexec_b64 s[48:49], s[2:3]
	s_cbranch_execz .LBB521_10
.LBB521_14:                             ;   in Loop: Header=BB521_7 Depth=2
	s_mov_b64 s[50:51], 0
	v_mov_b32_e32 v38, 0
	v_pk_mov_b32 v[6:7], v[30:31], v[30:31] op_sel:[0,1]
	v_pk_mov_b32 v[8:9], v[14:15], v[14:15] op_sel:[0,1]
.LBB521_15:                             ;   Parent Loop BB521_3 Depth=1
                                        ;     Parent Loop BB521_7 Depth=2
                                        ; =>    This Inner Loop Header: Depth=3
	global_load_ushort v23, v[6:7], off
	v_mov_b32_e32 v37, s7
	v_add_co_u32_e64 v8, s[10:11], s62, v8
	v_mov_b32_e32 v40, s67
	v_add_co_u32_e32 v6, vcc, s68, v6
	v_addc_co_u32_e64 v9, s[10:11], v9, v37, s[10:11]
	v_addc_co_u32_e32 v7, vcc, v7, v40, vcc
	v_cmp_le_i64_e32 vcc, s[18:19], v[8:9]
	s_or_b64 s[50:51], vcc, s[50:51]
	s_waitcnt vmcnt(0)
	v_lshlrev_b32_e32 v23, 16, v23
	v_sub_f32_e32 v23, v23, v36
	v_mul_f32_e32 v37, 0x3fb8aa3b, v23
	v_fma_f32 v40, v23, s58, -v37
	v_rndne_f32_e32 v41, v37
	v_fmac_f32_e32 v40, 0x32a5705f, v23
	v_sub_f32_e32 v37, v37, v41
	v_add_f32_e32 v37, v37, v40
	v_cvt_i32_f32_e32 v41, v41
	v_exp_f32_e32 v37, v37
	v_cmp_ngt_f32_e32 vcc, s59, v23
	v_ldexp_f32 v37, v37, v41
	v_cndmask_b32_e32 v37, 0, v37, vcc
	v_cmp_nlt_f32_e32 vcc, s60, v23
	v_cndmask_b32_e32 v23, v50, v37, vcc
	v_add_f32_e32 v38, v38, v23
	s_andn2_b64 exec, exec, s[50:51]
	s_cbranch_execnz .LBB521_15
; %bb.16:                               ;   in Loop: Header=BB521_7 Depth=2
	s_or_b64 exec, exec, s[50:51]
	s_or_b64 exec, exec, s[48:49]
	s_and_saveexec_b64 s[48:49], s[2:3]
	s_cbranch_execz .LBB521_26
.LBB521_17:                             ;   in Loop: Header=BB521_7 Depth=2
	s_mov_b64 s[50:51], -1
	v_pk_mov_b32 v[6:7], v[14:15], v[14:15] op_sel:[0,1]
	v_pk_mov_b32 v[8:9], v[16:17], v[16:17] op_sel:[0,1]
	s_and_saveexec_b64 s[10:11], s[4:5]
	s_cbranch_execz .LBB521_23
; %bb.18:                               ;   in Loop: Header=BB521_7 Depth=2
	v_pk_mov_b32 v[8:9], v[4:5], v[4:5] op_sel:[0,1]
	v_mov_b32_e32 v40, v34
	v_mov_b32_e32 v41, v35
	;; [unrolled: 1-line block ×4, first 2 shown]
	s_mov_b64 s[50:51], 0
	v_pk_mov_b32 v[42:43], v[24:25], v[24:25] op_sel:[0,1]
	v_pk_mov_b32 v[6:7], v[2:3], v[2:3] op_sel:[0,1]
.LBB521_19:                             ;   Parent Loop BB521_3 Depth=1
                                        ;     Parent Loop BB521_7 Depth=2
                                        ; =>    This Inner Loop Header: Depth=3
	v_mul_lo_u32 v46, v8, s57
	v_mul_lo_u32 v47, v9, s56
	v_mad_u64_u32 v[44:45], s[52:53], v8, s56, v[40:41]
	v_add3_u32 v45, v47, v45, v46
	v_mul_lo_u32 v48, v6, s55
	v_mul_lo_u32 v49, v7, s23
	v_mad_u64_u32 v[46:47], s[52:53], v6, s23, v[34:35]
	v_add3_u32 v47, v49, v47, v48
	v_lshlrev_b64 v[48:49], 1, v[46:47]
	v_add_co_u32_e32 v48, vcc, s14, v48
	v_mov_b32_e32 v55, s15
	v_addc_co_u32_e32 v49, vcc, v55, v49, vcc
	v_lshlrev_b64 v[56:57], 1, v[44:45]
	v_add_co_u32_e32 v56, vcc, s14, v56
	v_addc_co_u32_e32 v57, vcc, v55, v57, vcc
	global_load_ushort v48, v[48:49], off
	s_nop 0
	global_load_ushort v49, v[56:57], off
	v_lshlrev_b64 v[46:47], 2, v[46:47]
	v_lshlrev_b64 v[44:45], 2, v[44:45]
	s_waitcnt vmcnt(1)
	v_lshlrev_b32_e32 v48, 16, v48
	s_waitcnt vmcnt(0)
	v_lshlrev_b32_e32 v49, 16, v49
	v_pk_add_f32 v[48:49], v[48:49], v[36:37] neg_lo:[0,1] neg_hi:[0,1]
	v_mul_f32_e32 v55, 0x3fb8aa3b, v48
	v_fma_f32 v56, v48, s58, -v55
	v_rndne_f32_e32 v57, v55
	v_fmac_f32_e32 v56, 0x32a5705f, v48
	v_sub_f32_e32 v55, v55, v57
	v_add_f32_e32 v55, v55, v56
	v_exp_f32_e32 v55, v55
	v_cvt_i32_f32_e32 v56, v57
	v_cmp_ngt_f32_e32 vcc, s59, v48
	v_ldexp_f32 v55, v55, v56
	v_cndmask_b32_e32 v55, 0, v55, vcc
	v_cmp_nlt_f32_e32 vcc, s60, v48
	v_cndmask_b32_e32 v48, v50, v55, vcc
	v_mul_f32_e32 v55, 0x3fb8aa3b, v49
	v_fma_f32 v56, v49, s58, -v55
	v_rndne_f32_e32 v57, v55
	v_fmac_f32_e32 v56, 0x32a5705f, v49
	v_sub_f32_e32 v55, v55, v57
	v_add_f32_e32 v55, v55, v56
	v_exp_f32_e32 v55, v55
	v_cvt_i32_f32_e32 v56, v57
	v_cmp_ngt_f32_e32 vcc, s59, v49
	v_ldexp_f32 v55, v55, v56
	v_cndmask_b32_e32 v55, 0, v55, vcc
	v_cmp_nlt_f32_e32 vcc, s60, v49
	v_cndmask_b32_e32 v49, v50, v55, vcc
	v_div_scale_f32 v55, s[52:53], v23, v23, v49
	v_rcp_f32_e32 v56, v55
	v_fma_f32 v57, -v55, v56, 1.0
	v_fmac_f32_e32 v56, v57, v56
	v_div_scale_f32 v57, vcc, v49, v23, v49
	v_mul_f32_e32 v58, v57, v56
	v_fma_f32 v59, -v55, v58, v57
	v_fmac_f32_e32 v58, v59, v56
	v_fma_f32 v55, -v55, v58, v57
	v_div_fmas_f32 v55, v55, v56, v58
	v_div_fixup_f32 v49, v55, v23, v49
	v_div_scale_f32 v55, s[52:53], v38, v38, v48
	v_rcp_f32_e32 v56, v55
	v_fma_f32 v57, -v55, v56, 1.0
	v_fmac_f32_e32 v56, v57, v56
	v_div_scale_f32 v57, vcc, v48, v38, v48
	v_mul_f32_e32 v58, v57, v56
	v_fma_f32 v59, -v55, v58, v57
	v_fmac_f32_e32 v58, v59, v56
	v_fma_f32 v55, -v55, v58, v57
	v_div_fmas_f32 v55, v55, v56, v58
	v_div_fixup_f32 v48, v55, v38, v48
	v_add_co_u32_e32 v46, vcc, s12, v46
	v_mov_b32_e32 v55, s13
	v_addc_co_u32_e32 v47, vcc, v55, v47, vcc
	v_add_co_u32_e32 v44, vcc, s12, v44
	v_addc_co_u32_e32 v45, vcc, v55, v45, vcc
	global_store_dword v[46:47], v48, off
	global_store_dword v[44:45], v49, off
	v_add_co_u32_e32 v8, vcc, s65, v8
	v_mov_b32_e32 v44, s66
	v_addc_co_u32_e32 v9, vcc, v9, v44, vcc
	v_add_co_u32_e32 v6, vcc, s63, v6
	v_mov_b32_e32 v44, s64
	v_addc_co_u32_e32 v7, vcc, v7, v44, vcc
	v_add_co_u32_e32 v42, vcc, -2, v42
	v_addc_co_u32_e32 v43, vcc, -1, v43, vcc
	v_cmp_eq_u64_e32 vcc, 0, v[42:43]
	s_or_b64 s[50:51], vcc, s[50:51]
	s_andn2_b64 exec, exec, s[50:51]
	s_cbranch_execnz .LBB521_19
; %bb.20:                               ;   in Loop: Header=BB521_7 Depth=2
	s_or_b64 exec, exec, s[50:51]
	s_mov_b64 s[50:51], 0
                                        ; implicit-def: $vgpr8_vgpr9
	s_and_saveexec_b64 s[52:53], s[8:9]
	s_xor_b64 s[52:53], exec, s[52:53]
; %bb.21:                               ;   in Loop: Header=BB521_7 Depth=2
	v_mul_lo_u32 v6, s21, v26
	v_mul_lo_u32 v7, s20, v27
	v_mad_u64_u32 v[8:9], s[72:73], s20, v26, 0
	s_mov_b64 s[50:51], exec
	v_add3_u32 v9, v9, v7, v6
; %bb.22:                               ;   in Loop: Header=BB521_7 Depth=2
	s_or_b64 exec, exec, s[52:53]
	s_orn2_b64 s[50:51], s[50:51], exec
	v_pk_mov_b32 v[6:7], v[26:27], v[26:27] op_sel:[0,1]
.LBB521_23:                             ;   in Loop: Header=BB521_7 Depth=2
	s_or_b64 exec, exec, s[10:11]
	s_and_b64 exec, exec, s[50:51]
	s_cbranch_execz .LBB521_26
; %bb.24:                               ;   in Loop: Header=BB521_7 Depth=2
	v_add_co_u32_e32 v40, vcc, v28, v8
	v_addc_co_u32_e32 v41, vcc, v29, v9, vcc
	v_lshlrev_b64 v[8:9], 1, v[40:41]
	v_mov_b32_e32 v23, s15
	v_add_co_u32_e32 v8, vcc, s14, v8
	v_addc_co_u32_e32 v9, vcc, v23, v9, vcc
	v_lshlrev_b64 v[40:41], 2, v[40:41]
	v_mov_b32_e32 v23, s13
	v_add_co_u32_e32 v40, vcc, s12, v40
	v_addc_co_u32_e32 v41, vcc, v23, v41, vcc
	s_mov_b64 s[50:51], 0
.LBB521_25:                             ;   Parent Loop BB521_3 Depth=1
                                        ;     Parent Loop BB521_7 Depth=2
                                        ; =>    This Inner Loop Header: Depth=3
	global_load_ushort v23, v[8:9], off
	v_mov_b32_e32 v37, s7
	v_add_co_u32_e64 v6, s[10:11], s62, v6
	v_mov_b32_e32 v42, s67
	v_add_co_u32_e32 v8, vcc, s68, v8
	v_addc_co_u32_e64 v7, s[10:11], v7, v37, s[10:11]
	v_addc_co_u32_e32 v9, vcc, v9, v42, vcc
	v_cmp_le_i64_e32 vcc, s[18:19], v[6:7]
	s_or_b64 s[50:51], vcc, s[50:51]
	v_mov_b32_e32 v43, s69
	s_waitcnt vmcnt(0)
	v_lshlrev_b32_e32 v23, 16, v23
	v_sub_f32_e32 v23, v23, v36
	v_mul_f32_e32 v37, 0x3fb8aa3b, v23
	v_fma_f32 v42, v23, s58, -v37
	v_rndne_f32_e32 v44, v37
	v_fmac_f32_e32 v42, 0x32a5705f, v23
	v_sub_f32_e32 v37, v37, v44
	v_add_f32_e32 v37, v37, v42
	v_cvt_i32_f32_e32 v44, v44
	v_exp_f32_e32 v37, v37
	v_cmp_ngt_f32_e32 vcc, s59, v23
	v_ldexp_f32 v37, v37, v44
	v_cndmask_b32_e32 v37, 0, v37, vcc
	v_cmp_nlt_f32_e32 vcc, s60, v23
	v_cndmask_b32_e32 v23, v50, v37, vcc
	v_div_scale_f32 v37, s[10:11], v38, v38, v23
	v_rcp_f32_e32 v44, v37
	v_div_scale_f32 v42, vcc, v23, v38, v23
	v_fma_f32 v45, -v37, v44, 1.0
	v_fmac_f32_e32 v44, v45, v44
	v_mul_f32_e32 v45, v42, v44
	v_fma_f32 v46, -v37, v45, v42
	v_fmac_f32_e32 v45, v46, v44
	v_fma_f32 v37, -v37, v45, v42
	v_div_fmas_f32 v37, v37, v44, v45
	v_div_fixup_f32 v23, v37, v38, v23
	global_store_dword v[40:41], v23, off
	v_add_co_u32_e32 v40, vcc, s70, v40
	v_addc_co_u32_e32 v41, vcc, v41, v43, vcc
	s_andn2_b64 exec, exec, s[50:51]
	s_cbranch_execnz .LBB521_25
.LBB521_26:                             ;   in Loop: Header=BB521_7 Depth=2
	s_or_b64 exec, exec, s[48:49]
	s_mov_b64 s[10:11], 0
.LBB521_27:                             ;   in Loop: Header=BB521_7 Depth=2
	s_and_b64 vcc, exec, s[10:11]
	s_cbranch_vccz .LBB521_6
; %bb.28:                               ;   in Loop: Header=BB521_7 Depth=2
	v_mov_b32_e32 v23, 0xff7fffff
	s_and_saveexec_b64 s[48:49], s[2:3]
	s_cbranch_execz .LBB521_32
; %bb.29:                               ;   in Loop: Header=BB521_7 Depth=2
	s_mov_b64 s[50:51], 0
	v_mov_b32_e32 v23, 0xff7fffff
	v_pk_mov_b32 v[6:7], v[30:31], v[30:31] op_sel:[0,1]
	v_pk_mov_b32 v[8:9], v[14:15], v[14:15] op_sel:[0,1]
.LBB521_30:                             ;   Parent Loop BB521_3 Depth=1
                                        ;     Parent Loop BB521_7 Depth=2
                                        ; =>    This Inner Loop Header: Depth=3
	global_load_ushort v36, v[6:7], off
	v_mov_b32_e32 v37, s7
	s_waitcnt lgkmcnt(0)
	v_mov_b32_e32 v38, s67
	v_add_co_u32_e32 v6, vcc, s68, v6
	v_add_co_u32_e64 v8, s[10:11], s62, v8
	v_addc_co_u32_e64 v9, s[10:11], v9, v37, s[10:11]
	v_addc_co_u32_e32 v7, vcc, v7, v38, vcc
	v_cmp_le_i64_e32 vcc, s[18:19], v[8:9]
	s_or_b64 s[50:51], vcc, s[50:51]
	s_waitcnt vmcnt(0)
	v_lshlrev_b32_e32 v36, 16, v36
	v_cmp_lt_f32_e32 vcc, v23, v36
	v_cndmask_b32_e32 v23, v23, v36, vcc
	s_andn2_b64 exec, exec, s[50:51]
	s_cbranch_execnz .LBB521_30
; %bb.31:                               ;   in Loop: Header=BB521_7 Depth=2
	s_or_b64 exec, exec, s[50:51]
.LBB521_32:                             ;   in Loop: Header=BB521_7 Depth=2
	s_or_b64 exec, exec, s[48:49]
	s_mov_b32 s48, s62
	s_barrier
	ds_write_b32 v53, v23
	s_branch .LBB521_34
.LBB521_33:                             ;   in Loop: Header=BB521_34 Depth=3
	s_or_b64 exec, exec, s[10:11]
	s_cmp_gt_u32 s48, 3
	s_mov_b32 s48, s49
	s_cbranch_scc0 .LBB521_36
.LBB521_34:                             ;   Parent Loop BB521_3 Depth=1
                                        ;     Parent Loop BB521_7 Depth=2
                                        ; =>    This Inner Loop Header: Depth=3
	s_lshr_b32 s49, s48, 1
	v_cmp_gt_u32_e32 vcc, s49, v14
	s_waitcnt lgkmcnt(0)
	s_barrier
	s_and_saveexec_b64 s[10:11], vcc
	s_cbranch_execz .LBB521_33
; %bb.35:                               ;   in Loop: Header=BB521_34 Depth=3
	v_lshl_add_u32 v6, s49, 2, v53
	ds_read_b32 v7, v53
	ds_read_b32 v6, v6
	s_waitcnt lgkmcnt(0)
	v_cmp_lt_f32_e32 vcc, v7, v6
	v_cndmask_b32_e32 v6, v7, v6, vcc
	ds_write_b32 v53, v6
	s_branch .LBB521_33
.LBB521_36:                             ;   in Loop: Header=BB521_7 Depth=2
	s_waitcnt lgkmcnt(0)
	s_barrier
	ds_read_b32 v36, v52
	v_mov_b32_e32 v23, 0
	s_and_saveexec_b64 s[48:49], s[2:3]
	s_cbranch_execz .LBB521_40
; %bb.37:                               ;   in Loop: Header=BB521_7 Depth=2
	s_mov_b64 s[50:51], 0
	v_mov_b32_e32 v23, 0
	v_pk_mov_b32 v[6:7], v[30:31], v[30:31] op_sel:[0,1]
	v_pk_mov_b32 v[8:9], v[14:15], v[14:15] op_sel:[0,1]
.LBB521_38:                             ;   Parent Loop BB521_3 Depth=1
                                        ;     Parent Loop BB521_7 Depth=2
                                        ; =>    This Inner Loop Header: Depth=3
	global_load_ushort v37, v[6:7], off
	v_mov_b32_e32 v38, s7
	v_add_co_u32_e64 v8, s[10:11], s62, v8
	v_mov_b32_e32 v40, s67
	v_add_co_u32_e32 v6, vcc, s68, v6
	v_addc_co_u32_e64 v9, s[10:11], v9, v38, s[10:11]
	v_addc_co_u32_e32 v7, vcc, v7, v40, vcc
	v_cmp_le_i64_e32 vcc, s[18:19], v[8:9]
	s_or_b64 s[50:51], vcc, s[50:51]
	s_waitcnt vmcnt(0)
	v_lshlrev_b32_e32 v37, 16, v37
	s_waitcnt lgkmcnt(0)
	v_sub_f32_e32 v37, v37, v36
	v_mul_f32_e32 v38, 0x3fb8aa3b, v37
	v_fma_f32 v40, v37, s58, -v38
	v_rndne_f32_e32 v41, v38
	v_fmac_f32_e32 v40, 0x32a5705f, v37
	v_sub_f32_e32 v38, v38, v41
	v_add_f32_e32 v38, v38, v40
	v_cvt_i32_f32_e32 v41, v41
	v_exp_f32_e32 v38, v38
	v_cmp_ngt_f32_e32 vcc, s59, v37
	v_ldexp_f32 v38, v38, v41
	v_cndmask_b32_e32 v38, 0, v38, vcc
	v_cmp_nlt_f32_e32 vcc, s60, v37
	v_cndmask_b32_e32 v37, v50, v38, vcc
	v_add_f32_e32 v23, v23, v37
	s_andn2_b64 exec, exec, s[50:51]
	s_cbranch_execnz .LBB521_38
; %bb.39:                               ;   in Loop: Header=BB521_7 Depth=2
	s_or_b64 exec, exec, s[50:51]
.LBB521_40:                             ;   in Loop: Header=BB521_7 Depth=2
	s_or_b64 exec, exec, s[48:49]
	s_mov_b32 s48, s62
	s_waitcnt lgkmcnt(0)
	s_barrier
	ds_write_b32 v53, v23
	s_branch .LBB521_42
.LBB521_41:                             ;   in Loop: Header=BB521_42 Depth=3
	s_or_b64 exec, exec, s[10:11]
	s_cmp_gt_u32 s48, 3
	s_mov_b32 s48, s49
	s_cbranch_scc0 .LBB521_44
.LBB521_42:                             ;   Parent Loop BB521_3 Depth=1
                                        ;     Parent Loop BB521_7 Depth=2
                                        ; =>    This Inner Loop Header: Depth=3
	s_lshr_b32 s49, s48, 1
	v_cmp_gt_u32_e32 vcc, s49, v14
	s_waitcnt lgkmcnt(0)
	s_barrier
	s_and_saveexec_b64 s[10:11], vcc
	s_cbranch_execz .LBB521_41
; %bb.43:                               ;   in Loop: Header=BB521_42 Depth=3
	v_lshl_add_u32 v6, s49, 2, v53
	ds_read_b32 v7, v53
	ds_read_b32 v6, v6
	s_waitcnt lgkmcnt(0)
	v_add_f32_e32 v6, v7, v6
	ds_write_b32 v53, v6
	s_branch .LBB521_41
.LBB521_44:                             ;   in Loop: Header=BB521_7 Depth=2
	s_waitcnt lgkmcnt(0)
	s_barrier
	s_and_saveexec_b64 s[48:49], s[2:3]
	s_cbranch_execz .LBB521_5
; %bb.45:                               ;   in Loop: Header=BB521_7 Depth=2
	ds_read_b32 v38, v52
	v_cmp_ne_u64_e32 vcc, 0, v[12:13]
                                        ; implicit-def: $vgpr6_vgpr7
	s_and_saveexec_b64 s[10:11], vcc
	s_xor_b64 s[50:51], exec, s[10:11]
	s_cbranch_execz .LBB521_47
; %bb.46:                               ;   in Loop: Header=BB521_7 Depth=2
	v_cvt_f32_u32_e32 v6, s62
	s_sub_u32 s10, 0, s62
	s_subb_u32 s11, 0, 0
	v_mac_f32_e32 v6, 0, v51
	v_rcp_f32_e32 v6, v6
	v_mul_f32_e32 v6, 0x5f7ffffc, v6
	v_mul_f32_e32 v7, 0x2f800000, v6
	v_trunc_f32_e32 v7, v7
	v_mac_f32_e32 v6, 0xcf800000, v7
	v_cvt_u32_f32_e32 v7, v7
	v_cvt_u32_f32_e32 v6, v6
	v_mul_lo_u32 v8, s10, v7
	v_mul_hi_u32 v23, s10, v6
	v_mul_lo_u32 v9, s11, v6
	v_add_u32_e32 v8, v23, v8
	v_mul_lo_u32 v37, s10, v6
	v_add_u32_e32 v8, v8, v9
	v_mul_hi_u32 v23, v6, v37
	v_mul_lo_u32 v40, v6, v8
	v_mul_hi_u32 v9, v6, v8
	v_add_co_u32_e32 v23, vcc, v23, v40
	v_addc_co_u32_e32 v9, vcc, 0, v9, vcc
	v_mul_hi_u32 v41, v7, v37
	v_mul_lo_u32 v37, v7, v37
	v_add_co_u32_e32 v23, vcc, v23, v37
	v_mul_hi_u32 v40, v7, v8
	v_addc_co_u32_e32 v9, vcc, v9, v41, vcc
	v_addc_co_u32_e32 v23, vcc, 0, v40, vcc
	v_mul_lo_u32 v8, v7, v8
	v_add_co_u32_e32 v8, vcc, v9, v8
	v_addc_co_u32_e32 v9, vcc, 0, v23, vcc
	v_add_co_u32_e32 v6, vcc, v6, v8
	v_addc_co_u32_e32 v7, vcc, v7, v9, vcc
	v_mul_lo_u32 v8, s10, v7
	v_mul_hi_u32 v9, s10, v6
	v_add_u32_e32 v8, v9, v8
	v_mul_lo_u32 v9, s11, v6
	v_add_u32_e32 v8, v8, v9
	v_mul_lo_u32 v23, s10, v6
	v_mul_hi_u32 v37, v7, v23
	v_mul_lo_u32 v40, v7, v23
	v_mul_lo_u32 v42, v6, v8
	v_mul_hi_u32 v23, v6, v23
	v_mul_hi_u32 v41, v6, v8
	v_add_co_u32_e32 v23, vcc, v23, v42
	v_addc_co_u32_e32 v41, vcc, 0, v41, vcc
	v_add_co_u32_e32 v23, vcc, v23, v40
	v_mul_hi_u32 v9, v7, v8
	v_addc_co_u32_e32 v23, vcc, v41, v37, vcc
	v_addc_co_u32_e32 v9, vcc, 0, v9, vcc
	v_mul_lo_u32 v8, v7, v8
	v_add_co_u32_e32 v8, vcc, v23, v8
	v_addc_co_u32_e32 v9, vcc, 0, v9, vcc
	v_add_co_u32_e32 v8, vcc, v6, v8
	v_addc_co_u32_e32 v9, vcc, v7, v9, vcc
	v_mad_u64_u32 v[6:7], s[10:11], v54, v9, 0
	v_mul_hi_u32 v23, v54, v8
	v_add_co_u32_e32 v23, vcc, v23, v6
	v_addc_co_u32_e32 v37, vcc, 0, v7, vcc
	v_mad_u64_u32 v[6:7], s[10:11], v13, v9, 0
	v_mad_u64_u32 v[8:9], s[10:11], v13, v8, 0
	v_add_co_u32_e32 v8, vcc, v23, v8
	v_addc_co_u32_e32 v8, vcc, v37, v9, vcc
	v_addc_co_u32_e32 v7, vcc, 0, v7, vcc
	v_add_co_u32_e32 v23, vcc, v8, v6
	v_addc_co_u32_e32 v37, vcc, 0, v7, vcc
	v_mad_u64_u32 v[6:7], s[10:11], s62, v23, 0
	v_mov_b32_e32 v8, v7
	v_mad_u64_u32 v[8:9], s[10:11], s62, v37, v[8:9]
	v_sub_co_u32_e32 v6, vcc, v54, v6
	v_subb_co_u32_e32 v7, vcc, v13, v8, vcc
	v_subrev_co_u32_e32 v8, vcc, s62, v6
	v_subbrev_co_u32_e32 v9, vcc, 0, v7, vcc
	v_cmp_le_u32_e32 vcc, s62, v8
	v_cndmask_b32_e64 v8, 0, -1, vcc
	v_cmp_eq_u32_e32 vcc, 0, v9
	v_cndmask_b32_e32 v8, -1, v8, vcc
	v_add_co_u32_e32 v9, vcc, 2, v23
	v_addc_co_u32_e32 v40, vcc, 0, v37, vcc
	v_add_co_u32_e32 v41, vcc, 1, v23
	v_cmp_le_u32_e64 s[10:11], s62, v6
	v_addc_co_u32_e32 v42, vcc, 0, v37, vcc
	v_cndmask_b32_e64 v6, 0, -1, s[10:11]
	v_cmp_eq_u32_e64 s[10:11], 0, v7
	v_cmp_ne_u32_e32 vcc, 0, v8
	v_cndmask_b32_e64 v6, -1, v6, s[10:11]
	v_cndmask_b32_e32 v8, v42, v40, vcc
	v_cmp_ne_u32_e64 s[10:11], 0, v6
	v_cndmask_b32_e32 v6, v41, v9, vcc
	v_cndmask_b32_e64 v7, v37, v8, s[10:11]
	v_cndmask_b32_e64 v6, v23, v6, s[10:11]
.LBB521_47:                             ;   in Loop: Header=BB521_7 Depth=2
	s_andn2_saveexec_b64 s[10:11], s[50:51]
	s_cbranch_execz .LBB521_49
; %bb.48:                               ;   in Loop: Header=BB521_7 Depth=2
	v_cvt_f32_u32_e32 v6, s62
	s_sub_i32 s50, 0, s62
	v_rcp_iflag_f32_e32 v6, v6
	v_mul_f32_e32 v6, 0x4f7ffffe, v6
	v_cvt_u32_f32_e32 v6, v6
	v_mul_lo_u32 v7, s50, v6
	v_mul_hi_u32 v7, v6, v7
	v_add_u32_e32 v6, v6, v7
	v_mul_hi_u32 v6, v54, v6
	v_mul_lo_u32 v7, v6, s62
	v_sub_u32_e32 v7, v54, v7
	v_add_u32_e32 v8, 1, v6
	v_subrev_u32_e32 v9, s62, v7
	v_cmp_le_u32_e32 vcc, s62, v7
	v_cndmask_b32_e32 v7, v7, v9, vcc
	v_cndmask_b32_e32 v6, v6, v8, vcc
	v_add_u32_e32 v8, 1, v6
	v_cmp_le_u32_e32 vcc, s62, v7
	v_cndmask_b32_e32 v6, v6, v8, vcc
	v_mov_b32_e32 v7, v12
.LBB521_49:                             ;   in Loop: Header=BB521_7 Depth=2
	s_or_b64 exec, exec, s[10:11]
	v_add_co_u32_e32 v40, vcc, v22, v6
	v_addc_co_u32_e32 v41, vcc, 0, v7, vcc
	v_cmp_lt_u64_e32 vcc, 1, v[40:41]
	s_mov_b64 s[50:51], -1
	v_pk_mov_b32 v[6:7], v[14:15], v[14:15] op_sel:[0,1]
	v_pk_mov_b32 v[8:9], v[16:17], v[16:17] op_sel:[0,1]
	s_and_saveexec_b64 s[10:11], vcc
	s_cbranch_execz .LBB521_55
; %bb.50:                               ;   in Loop: Header=BB521_7 Depth=2
	v_and_b32_e32 v42, -2, v40
	v_mov_b32_e32 v43, v41
	v_pk_mov_b32 v[8:9], v[4:5], v[4:5] op_sel:[0,1]
	v_mov_b32_e32 v44, v34
	v_mov_b32_e32 v45, v35
	;; [unrolled: 1-line block ×3, first 2 shown]
	s_waitcnt lgkmcnt(0)
	v_mov_b32_e32 v23, v38
	s_mov_b64 s[50:51], 0
	v_pk_mov_b32 v[46:47], v[42:43], v[42:43] op_sel:[0,1]
	v_pk_mov_b32 v[6:7], v[2:3], v[2:3] op_sel:[0,1]
.LBB521_51:                             ;   Parent Loop BB521_3 Depth=1
                                        ;     Parent Loop BB521_7 Depth=2
                                        ; =>    This Inner Loop Header: Depth=3
	v_mul_lo_u32 v55, v8, s57
	v_mul_lo_u32 v56, v9, s56
	v_mad_u64_u32 v[48:49], s[52:53], v8, s56, v[44:45]
	v_add3_u32 v49, v56, v49, v55
	v_mul_lo_u32 v55, v6, s55
	v_mul_lo_u32 v58, v7, s23
	v_mad_u64_u32 v[56:57], s[52:53], v6, s23, v[34:35]
	v_add3_u32 v57, v58, v57, v55
	v_lshlrev_b64 v[58:59], 1, v[56:57]
	v_add_co_u32_e32 v58, vcc, s14, v58
	v_mov_b32_e32 v55, s15
	v_addc_co_u32_e32 v59, vcc, v55, v59, vcc
	v_lshlrev_b64 v[60:61], 1, v[48:49]
	v_add_co_u32_e32 v60, vcc, s14, v60
	v_addc_co_u32_e32 v61, vcc, v55, v61, vcc
	global_load_ushort v55, v[58:59], off
	s_nop 0
	global_load_ushort v58, v[60:61], off
	v_lshlrev_b64 v[56:57], 2, v[56:57]
	v_lshlrev_b64 v[48:49], 2, v[48:49]
	s_waitcnt vmcnt(0)
	v_lshlrev_b32_e32 v59, 16, v58
	v_lshlrev_b32_e32 v58, 16, v55
	v_pk_add_f32 v[58:59], v[58:59], v[36:37] neg_lo:[0,1] neg_hi:[0,1]
	v_mul_f32_e32 v55, 0x3fb8aa3b, v58
	v_fma_f32 v60, v58, s58, -v55
	v_rndne_f32_e32 v61, v55
	v_fmac_f32_e32 v60, 0x32a5705f, v58
	v_sub_f32_e32 v55, v55, v61
	v_add_f32_e32 v55, v55, v60
	v_exp_f32_e32 v55, v55
	v_cvt_i32_f32_e32 v60, v61
	v_cmp_ngt_f32_e32 vcc, s59, v58
	v_ldexp_f32 v55, v55, v60
	v_cndmask_b32_e32 v55, 0, v55, vcc
	v_cmp_nlt_f32_e32 vcc, s60, v58
	v_mul_f32_e32 v58, 0x3fb8aa3b, v59
	v_fma_f32 v60, v59, s58, -v58
	v_rndne_f32_e32 v61, v58
	v_fmac_f32_e32 v60, 0x32a5705f, v59
	v_sub_f32_e32 v58, v58, v61
	v_add_f32_e32 v58, v58, v60
	v_exp_f32_e32 v58, v58
	v_cvt_i32_f32_e32 v60, v61
	v_cndmask_b32_e32 v55, v50, v55, vcc
	v_cmp_ngt_f32_e32 vcc, s59, v59
	v_ldexp_f32 v58, v58, v60
	v_cndmask_b32_e32 v58, 0, v58, vcc
	v_cmp_nlt_f32_e32 vcc, s60, v59
	v_cndmask_b32_e32 v58, v50, v58, vcc
	v_div_scale_f32 v59, s[52:53], v23, v23, v58
	v_rcp_f32_e32 v60, v59
	v_fma_f32 v61, -v59, v60, 1.0
	v_fmac_f32_e32 v60, v61, v60
	v_div_scale_f32 v61, vcc, v58, v23, v58
	v_mul_f32_e32 v62, v61, v60
	v_fma_f32 v63, -v59, v62, v61
	v_fmac_f32_e32 v62, v63, v60
	v_fma_f32 v59, -v59, v62, v61
	v_div_fmas_f32 v59, v59, v60, v62
	v_div_fixup_f32 v58, v59, v23, v58
	v_div_scale_f32 v59, s[52:53], v38, v38, v55
	v_rcp_f32_e32 v60, v59
	v_fma_f32 v61, -v59, v60, 1.0
	v_fmac_f32_e32 v60, v61, v60
	v_div_scale_f32 v61, vcc, v55, v38, v55
	v_mul_f32_e32 v62, v61, v60
	v_fma_f32 v63, -v59, v62, v61
	v_fmac_f32_e32 v62, v63, v60
	v_fma_f32 v59, -v59, v62, v61
	v_div_fmas_f32 v59, v59, v60, v62
	v_div_fixup_f32 v55, v59, v38, v55
	v_add_co_u32_e32 v56, vcc, s12, v56
	v_mov_b32_e32 v59, s13
	v_addc_co_u32_e32 v57, vcc, v59, v57, vcc
	v_add_co_u32_e32 v48, vcc, s12, v48
	v_addc_co_u32_e32 v49, vcc, v59, v49, vcc
	global_store_dword v[56:57], v55, off
	global_store_dword v[48:49], v58, off
	v_add_co_u32_e32 v8, vcc, s65, v8
	v_mov_b32_e32 v48, s66
	v_addc_co_u32_e32 v9, vcc, v9, v48, vcc
	v_add_co_u32_e32 v6, vcc, s63, v6
	v_mov_b32_e32 v48, s64
	v_addc_co_u32_e32 v7, vcc, v7, v48, vcc
	v_add_co_u32_e32 v46, vcc, -2, v46
	v_addc_co_u32_e32 v47, vcc, -1, v47, vcc
	v_cmp_eq_u64_e32 vcc, 0, v[46:47]
	s_or_b64 s[50:51], vcc, s[50:51]
	s_andn2_b64 exec, exec, s[50:51]
	s_cbranch_execnz .LBB521_51
; %bb.52:                               ;   in Loop: Header=BB521_7 Depth=2
	s_or_b64 exec, exec, s[50:51]
	v_cmp_ne_u64_e32 vcc, v[40:41], v[42:43]
	s_mov_b64 s[50:51], 0
                                        ; implicit-def: $vgpr6_vgpr7
                                        ; implicit-def: $vgpr8_vgpr9
	s_and_saveexec_b64 s[52:53], vcc
	s_xor_b64 s[52:53], exec, s[52:53]
; %bb.53:                               ;   in Loop: Header=BB521_7 Depth=2
	v_mad_u64_u32 v[6:7], s[72:73], v42, s62, v[14:15]
	v_mov_b32_e32 v8, v7
	v_mad_u64_u32 v[8:9], s[72:73], v43, s62, v[8:9]
	v_mov_b32_e32 v7, v8
	v_mul_lo_u32 v23, s21, v6
	v_mul_lo_u32 v34, s20, v8
	v_mad_u64_u32 v[8:9], s[72:73], s20, v6, 0
	s_mov_b64 s[50:51], exec
	v_add3_u32 v9, v9, v34, v23
; %bb.54:                               ;   in Loop: Header=BB521_7 Depth=2
	s_or_b64 exec, exec, s[52:53]
	s_orn2_b64 s[50:51], s[50:51], exec
.LBB521_55:                             ;   in Loop: Header=BB521_7 Depth=2
	s_or_b64 exec, exec, s[10:11]
	s_and_b64 exec, exec, s[50:51]
	s_cbranch_execz .LBB521_5
; %bb.56:                               ;   in Loop: Header=BB521_7 Depth=2
	v_add_co_u32_e32 v34, vcc, v28, v8
	v_addc_co_u32_e32 v35, vcc, v29, v9, vcc
	v_lshlrev_b64 v[8:9], 1, v[34:35]
	v_mov_b32_e32 v23, s15
	v_add_co_u32_e32 v8, vcc, s14, v8
	v_addc_co_u32_e32 v9, vcc, v23, v9, vcc
	v_lshlrev_b64 v[34:35], 2, v[34:35]
	v_mov_b32_e32 v23, s13
	v_add_co_u32_e32 v34, vcc, s12, v34
	v_addc_co_u32_e32 v35, vcc, v23, v35, vcc
	s_mov_b64 s[50:51], 0
.LBB521_57:                             ;   Parent Loop BB521_3 Depth=1
                                        ;     Parent Loop BB521_7 Depth=2
                                        ; =>    This Inner Loop Header: Depth=3
	global_load_ushort v23, v[8:9], off
	v_mov_b32_e32 v37, s7
	v_add_co_u32_e64 v6, s[10:11], s62, v6
	v_mov_b32_e32 v40, s67
	v_add_co_u32_e32 v8, vcc, s68, v8
	v_addc_co_u32_e64 v7, s[10:11], v7, v37, s[10:11]
	v_addc_co_u32_e32 v9, vcc, v9, v40, vcc
	v_cmp_le_i64_e32 vcc, s[18:19], v[6:7]
	s_or_b64 s[50:51], vcc, s[50:51]
	v_mov_b32_e32 v41, s69
	s_waitcnt vmcnt(0)
	v_lshlrev_b32_e32 v23, 16, v23
	v_sub_f32_e32 v23, v23, v36
	v_mul_f32_e32 v37, 0x3fb8aa3b, v23
	v_fma_f32 v40, v23, s58, -v37
	v_rndne_f32_e32 v42, v37
	v_fmac_f32_e32 v40, 0x32a5705f, v23
	v_sub_f32_e32 v37, v37, v42
	v_add_f32_e32 v37, v37, v40
	v_cvt_i32_f32_e32 v42, v42
	v_exp_f32_e32 v37, v37
	v_cmp_ngt_f32_e32 vcc, s59, v23
	v_ldexp_f32 v37, v37, v42
	v_cndmask_b32_e32 v37, 0, v37, vcc
	v_cmp_nlt_f32_e32 vcc, s60, v23
	v_cndmask_b32_e32 v23, v50, v37, vcc
	s_waitcnt lgkmcnt(0)
	v_div_scale_f32 v37, s[10:11], v38, v38, v23
	v_rcp_f32_e32 v42, v37
	v_div_scale_f32 v40, vcc, v23, v38, v23
	v_fma_f32 v43, -v37, v42, 1.0
	v_fmac_f32_e32 v42, v43, v42
	v_mul_f32_e32 v43, v40, v42
	v_fma_f32 v44, -v37, v43, v40
	v_fmac_f32_e32 v43, v44, v42
	v_fma_f32 v37, -v37, v43, v40
	v_div_fmas_f32 v37, v37, v42, v43
	v_div_fixup_f32 v23, v37, v38, v23
	global_store_dword v[34:35], v23, off
	v_add_co_u32_e32 v34, vcc, s70, v34
	v_addc_co_u32_e32 v35, vcc, v35, v41, vcc
	s_andn2_b64 exec, exec, s[50:51]
	s_cbranch_execnz .LBB521_57
	s_branch .LBB521_5
.LBB521_58:
	s_endpgm
	.section	.rodata,"a",@progbits
	.p2align	6, 0x0
	.amdhsa_kernel _ZN2at6native12_GLOBAL__N_126cunn_SpatialSoftMaxForwardIN3c108BFloat16EfflNS1_22SoftMaxForwardEpilogueEEEvPT1_PKT_T2_SB_SB_
		.amdhsa_group_segment_fixed_size 0
		.amdhsa_private_segment_fixed_size 0
		.amdhsa_kernarg_size 296
		.amdhsa_user_sgpr_count 6
		.amdhsa_user_sgpr_private_segment_buffer 1
		.amdhsa_user_sgpr_dispatch_ptr 0
		.amdhsa_user_sgpr_queue_ptr 0
		.amdhsa_user_sgpr_kernarg_segment_ptr 1
		.amdhsa_user_sgpr_dispatch_id 0
		.amdhsa_user_sgpr_flat_scratch_init 0
		.amdhsa_user_sgpr_kernarg_preload_length 0
		.amdhsa_user_sgpr_kernarg_preload_offset 0
		.amdhsa_user_sgpr_private_segment_size 0
		.amdhsa_uses_dynamic_stack 0
		.amdhsa_system_sgpr_private_segment_wavefront_offset 0
		.amdhsa_system_sgpr_workgroup_id_x 1
		.amdhsa_system_sgpr_workgroup_id_y 1
		.amdhsa_system_sgpr_workgroup_id_z 0
		.amdhsa_system_sgpr_workgroup_info 0
		.amdhsa_system_vgpr_workitem_id 1
		.amdhsa_next_free_vgpr 64
		.amdhsa_next_free_sgpr 74
		.amdhsa_accum_offset 64
		.amdhsa_reserve_vcc 1
		.amdhsa_reserve_flat_scratch 0
		.amdhsa_float_round_mode_32 0
		.amdhsa_float_round_mode_16_64 0
		.amdhsa_float_denorm_mode_32 3
		.amdhsa_float_denorm_mode_16_64 3
		.amdhsa_dx10_clamp 1
		.amdhsa_ieee_mode 1
		.amdhsa_fp16_overflow 0
		.amdhsa_tg_split 0
		.amdhsa_exception_fp_ieee_invalid_op 0
		.amdhsa_exception_fp_denorm_src 0
		.amdhsa_exception_fp_ieee_div_zero 0
		.amdhsa_exception_fp_ieee_overflow 0
		.amdhsa_exception_fp_ieee_underflow 0
		.amdhsa_exception_fp_ieee_inexact 0
		.amdhsa_exception_int_div_zero 0
	.end_amdhsa_kernel
	.section	.text._ZN2at6native12_GLOBAL__N_126cunn_SpatialSoftMaxForwardIN3c108BFloat16EfflNS1_22SoftMaxForwardEpilogueEEEvPT1_PKT_T2_SB_SB_,"axG",@progbits,_ZN2at6native12_GLOBAL__N_126cunn_SpatialSoftMaxForwardIN3c108BFloat16EfflNS1_22SoftMaxForwardEpilogueEEEvPT1_PKT_T2_SB_SB_,comdat
.Lfunc_end521:
	.size	_ZN2at6native12_GLOBAL__N_126cunn_SpatialSoftMaxForwardIN3c108BFloat16EfflNS1_22SoftMaxForwardEpilogueEEEvPT1_PKT_T2_SB_SB_, .Lfunc_end521-_ZN2at6native12_GLOBAL__N_126cunn_SpatialSoftMaxForwardIN3c108BFloat16EfflNS1_22SoftMaxForwardEpilogueEEEvPT1_PKT_T2_SB_SB_
                                        ; -- End function
	.section	.AMDGPU.csdata,"",@progbits
; Kernel info:
; codeLenInByte = 4320
; NumSgprs: 78
; NumVgprs: 64
; NumAgprs: 0
; TotalNumVgprs: 64
; ScratchSize: 0
; MemoryBound: 0
; FloatMode: 240
; IeeeMode: 1
; LDSByteSize: 0 bytes/workgroup (compile time only)
; SGPRBlocks: 9
; VGPRBlocks: 7
; NumSGPRsForWavesPerEU: 78
; NumVGPRsForWavesPerEU: 64
; AccumOffset: 64
; Occupancy: 8
; WaveLimiterHint : 0
; COMPUTE_PGM_RSRC2:SCRATCH_EN: 0
; COMPUTE_PGM_RSRC2:USER_SGPR: 6
; COMPUTE_PGM_RSRC2:TRAP_HANDLER: 0
; COMPUTE_PGM_RSRC2:TGID_X_EN: 1
; COMPUTE_PGM_RSRC2:TGID_Y_EN: 1
; COMPUTE_PGM_RSRC2:TGID_Z_EN: 0
; COMPUTE_PGM_RSRC2:TIDIG_COMP_CNT: 1
; COMPUTE_PGM_RSRC3_GFX90A:ACCUM_OFFSET: 15
; COMPUTE_PGM_RSRC3_GFX90A:TG_SPLIT: 0
	.section	.text._ZN12_GLOBAL__N_121softmax_warp_backwardIdddLi0ELb0ELb0ELi64EEEvPT0_PKT_S5_iiiPKb,"axG",@progbits,_ZN12_GLOBAL__N_121softmax_warp_backwardIdddLi0ELb0ELb0ELi64EEEvPT0_PKT_S5_iiiPKb,comdat
	.globl	_ZN12_GLOBAL__N_121softmax_warp_backwardIdddLi0ELb0ELb0ELi64EEEvPT0_PKT_S5_iiiPKb ; -- Begin function _ZN12_GLOBAL__N_121softmax_warp_backwardIdddLi0ELb0ELb0ELi64EEEvPT0_PKT_S5_iiiPKb
	.p2align	8
	.type	_ZN12_GLOBAL__N_121softmax_warp_backwardIdddLi0ELb0ELb0ELi64EEEvPT0_PKT_S5_iiiPKb,@function
_ZN12_GLOBAL__N_121softmax_warp_backwardIdddLi0ELb0ELb0ELi64EEEvPT0_PKT_S5_iiiPKb: ; @_ZN12_GLOBAL__N_121softmax_warp_backwardIdddLi0ELb0ELb0ELi64EEEvPT0_PKT_S5_iiiPKb
; %bb.0:
	s_load_dword s2, s[4:5], 0x3c
	s_load_dwordx4 s[8:11], s[4:5], 0x18
	s_load_dwordx4 s[12:15], s[4:5], 0x0
	s_load_dwordx2 s[0:1], s[4:5], 0x10
	v_bfe_u32 v0, v0, 10, 10
	s_waitcnt lgkmcnt(0)
	s_lshr_b32 s2, s2, 16
	s_mul_i32 s6, s6, s2
	v_add_lshl_u32 v0, s6, v0, 1
	v_sub_u32_e32 v14, s8, v0
	v_mul_lo_u32 v0, v0, s9
	v_ashrrev_i32_e32 v1, 31, v0
	v_lshlrev_b64 v[0:1], 3, v[0:1]
	v_mov_b32_e32 v2, s15
	v_add_co_u32_e32 v10, vcc, s14, v0
	v_addc_co_u32_e32 v11, vcc, v2, v1, vcc
	v_mov_b32_e32 v2, s1
	v_add_co_u32_e32 v12, vcc, s0, v0
	v_addc_co_u32_e32 v13, vcc, v2, v1, vcc
	s_cmp_gt_i32 s10, 0
	s_cselect_b64 s[2:3], -1, 0
	v_cmp_lt_i32_e32 vcc, 0, v14
	v_pk_mov_b32 v[2:3], 0, 0
	s_and_b64 s[4:5], s[2:3], vcc
	v_pk_mov_b32 v[4:5], v[2:3], v[2:3] op_sel:[0,1]
	v_pk_mov_b32 v[6:7], v[2:3], v[2:3] op_sel:[0,1]
	s_and_saveexec_b64 s[0:1], s[4:5]
	s_cbranch_execz .LBB522_2
; %bb.1:
	global_load_dwordx2 v[4:5], v[10:11], off
	global_load_dwordx2 v[6:7], v[12:13], off
.LBB522_2:
	s_or_b64 exec, exec, s[0:1]
	v_cmp_lt_i32_e64 s[0:1], 1, v14
	s_and_b64 s[0:1], s[2:3], s[0:1]
	v_pk_mov_b32 v[8:9], v[2:3], v[2:3] op_sel:[0,1]
	s_and_saveexec_b64 s[4:5], s[0:1]
	s_cbranch_execz .LBB522_4
; %bb.3:
	s_mov_b32 s11, 0
	s_lshl_b64 s[6:7], s[10:11], 3
	v_mov_b32_e32 v9, s7
	v_add_co_u32_e64 v2, s[0:1], s6, v10
	v_addc_co_u32_e64 v3, s[0:1], v11, v9, s[0:1]
	v_add_co_u32_e64 v8, s[0:1], s6, v12
	v_addc_co_u32_e64 v9, s[0:1], v13, v9, s[0:1]
	global_load_dwordx2 v[2:3], v[2:3], off
	s_nop 0
	global_load_dwordx2 v[8:9], v[8:9], off
.LBB522_4:
	s_or_b64 exec, exec, s[4:5]
	s_and_saveexec_b64 s[0:1], vcc
	s_cbranch_execz .LBB522_10
; %bb.5:
	v_mov_b32_e32 v10, s13
	v_cndmask_b32_e64 v11, 0, 1, s[2:3]
	s_andn2_b64 vcc, exec, s[2:3]
	v_add_co_u32_e64 v0, s[2:3], s12, v0
	v_cmp_ne_u32_e64 s[0:1], 1, v11
	v_addc_co_u32_e64 v1, s[2:3], v10, v1, s[2:3]
	s_cbranch_vccnz .LBB522_7
; %bb.6:
	s_waitcnt vmcnt(1)
	v_add_f64 v[10:11], v[4:5], 0
	s_waitcnt vmcnt(0)
	v_fma_f64 v[4:5], -v[10:11], v[6:7], v[4:5]
	global_store_dwordx2 v[0:1], v[4:5], off
.LBB522_7:
	v_cmp_ne_u32_e32 vcc, 1, v14
	s_and_b64 exec, exec, vcc
	s_cbranch_execz .LBB522_10
; %bb.8:
	s_and_b64 vcc, exec, s[0:1]
	s_cbranch_vccnz .LBB522_10
; %bb.9:
	s_mov_b32 s11, 0
	s_waitcnt vmcnt(1)
	v_add_f64 v[4:5], v[2:3], 0
	s_lshl_b64 s[0:1], s[10:11], 3
	s_waitcnt vmcnt(0)
	v_fma_f64 v[2:3], -v[4:5], v[8:9], v[2:3]
	v_mov_b32_e32 v4, s1
	v_add_co_u32_e32 v0, vcc, s0, v0
	v_addc_co_u32_e32 v1, vcc, v1, v4, vcc
	global_store_dwordx2 v[0:1], v[2:3], off
.LBB522_10:
	s_endpgm
	.section	.rodata,"a",@progbits
	.p2align	6, 0x0
	.amdhsa_kernel _ZN12_GLOBAL__N_121softmax_warp_backwardIdddLi0ELb0ELb0ELi64EEEvPT0_PKT_S5_iiiPKb
		.amdhsa_group_segment_fixed_size 0
		.amdhsa_private_segment_fixed_size 0
		.amdhsa_kernarg_size 304
		.amdhsa_user_sgpr_count 6
		.amdhsa_user_sgpr_private_segment_buffer 1
		.amdhsa_user_sgpr_dispatch_ptr 0
		.amdhsa_user_sgpr_queue_ptr 0
		.amdhsa_user_sgpr_kernarg_segment_ptr 1
		.amdhsa_user_sgpr_dispatch_id 0
		.amdhsa_user_sgpr_flat_scratch_init 0
		.amdhsa_user_sgpr_kernarg_preload_length 0
		.amdhsa_user_sgpr_kernarg_preload_offset 0
		.amdhsa_user_sgpr_private_segment_size 0
		.amdhsa_uses_dynamic_stack 0
		.amdhsa_system_sgpr_private_segment_wavefront_offset 0
		.amdhsa_system_sgpr_workgroup_id_x 1
		.amdhsa_system_sgpr_workgroup_id_y 0
		.amdhsa_system_sgpr_workgroup_id_z 0
		.amdhsa_system_sgpr_workgroup_info 0
		.amdhsa_system_vgpr_workitem_id 1
		.amdhsa_next_free_vgpr 15
		.amdhsa_next_free_sgpr 16
		.amdhsa_accum_offset 16
		.amdhsa_reserve_vcc 1
		.amdhsa_reserve_flat_scratch 0
		.amdhsa_float_round_mode_32 0
		.amdhsa_float_round_mode_16_64 0
		.amdhsa_float_denorm_mode_32 3
		.amdhsa_float_denorm_mode_16_64 3
		.amdhsa_dx10_clamp 1
		.amdhsa_ieee_mode 1
		.amdhsa_fp16_overflow 0
		.amdhsa_tg_split 0
		.amdhsa_exception_fp_ieee_invalid_op 0
		.amdhsa_exception_fp_denorm_src 0
		.amdhsa_exception_fp_ieee_div_zero 0
		.amdhsa_exception_fp_ieee_overflow 0
		.amdhsa_exception_fp_ieee_underflow 0
		.amdhsa_exception_fp_ieee_inexact 0
		.amdhsa_exception_int_div_zero 0
	.end_amdhsa_kernel
	.section	.text._ZN12_GLOBAL__N_121softmax_warp_backwardIdddLi0ELb0ELb0ELi64EEEvPT0_PKT_S5_iiiPKb,"axG",@progbits,_ZN12_GLOBAL__N_121softmax_warp_backwardIdddLi0ELb0ELb0ELi64EEEvPT0_PKT_S5_iiiPKb,comdat
.Lfunc_end522:
	.size	_ZN12_GLOBAL__N_121softmax_warp_backwardIdddLi0ELb0ELb0ELi64EEEvPT0_PKT_S5_iiiPKb, .Lfunc_end522-_ZN12_GLOBAL__N_121softmax_warp_backwardIdddLi0ELb0ELb0ELi64EEEvPT0_PKT_S5_iiiPKb
                                        ; -- End function
	.section	.AMDGPU.csdata,"",@progbits
; Kernel info:
; codeLenInByte = 432
; NumSgprs: 20
; NumVgprs: 15
; NumAgprs: 0
; TotalNumVgprs: 15
; ScratchSize: 0
; MemoryBound: 0
; FloatMode: 240
; IeeeMode: 1
; LDSByteSize: 0 bytes/workgroup (compile time only)
; SGPRBlocks: 2
; VGPRBlocks: 1
; NumSGPRsForWavesPerEU: 20
; NumVGPRsForWavesPerEU: 15
; AccumOffset: 16
; Occupancy: 8
; WaveLimiterHint : 0
; COMPUTE_PGM_RSRC2:SCRATCH_EN: 0
; COMPUTE_PGM_RSRC2:USER_SGPR: 6
; COMPUTE_PGM_RSRC2:TRAP_HANDLER: 0
; COMPUTE_PGM_RSRC2:TGID_X_EN: 1
; COMPUTE_PGM_RSRC2:TGID_Y_EN: 0
; COMPUTE_PGM_RSRC2:TGID_Z_EN: 0
; COMPUTE_PGM_RSRC2:TIDIG_COMP_CNT: 1
; COMPUTE_PGM_RSRC3_GFX90A:ACCUM_OFFSET: 3
; COMPUTE_PGM_RSRC3_GFX90A:TG_SPLIT: 0
	.section	.text._ZN12_GLOBAL__N_121softmax_warp_backwardIdddLi0ELb0ELb0ELi32EEEvPT0_PKT_S5_iiiPKb,"axG",@progbits,_ZN12_GLOBAL__N_121softmax_warp_backwardIdddLi0ELb0ELb0ELi32EEEvPT0_PKT_S5_iiiPKb,comdat
	.globl	_ZN12_GLOBAL__N_121softmax_warp_backwardIdddLi0ELb0ELb0ELi32EEEvPT0_PKT_S5_iiiPKb ; -- Begin function _ZN12_GLOBAL__N_121softmax_warp_backwardIdddLi0ELb0ELb0ELi32EEEvPT0_PKT_S5_iiiPKb
	.p2align	8
	.type	_ZN12_GLOBAL__N_121softmax_warp_backwardIdddLi0ELb0ELb0ELi32EEEvPT0_PKT_S5_iiiPKb,@function
_ZN12_GLOBAL__N_121softmax_warp_backwardIdddLi0ELb0ELb0ELi32EEEvPT0_PKT_S5_iiiPKb: ; @_ZN12_GLOBAL__N_121softmax_warp_backwardIdddLi0ELb0ELb0ELi32EEEvPT0_PKT_S5_iiiPKb
; %bb.0:
	s_load_dword s2, s[4:5], 0x3c
	s_load_dwordx4 s[8:11], s[4:5], 0x18
	s_load_dwordx4 s[12:15], s[4:5], 0x0
	s_load_dwordx2 s[0:1], s[4:5], 0x10
	v_bfe_u32 v0, v0, 10, 10
	s_waitcnt lgkmcnt(0)
	s_lshr_b32 s2, s2, 16
	s_mul_i32 s6, s6, s2
	v_add_lshl_u32 v0, s6, v0, 1
	v_sub_u32_e32 v14, s8, v0
	v_mul_lo_u32 v0, v0, s9
	v_ashrrev_i32_e32 v1, 31, v0
	v_lshlrev_b64 v[0:1], 3, v[0:1]
	v_mov_b32_e32 v2, s15
	v_add_co_u32_e32 v10, vcc, s14, v0
	v_addc_co_u32_e32 v11, vcc, v2, v1, vcc
	v_mov_b32_e32 v2, s1
	v_add_co_u32_e32 v12, vcc, s0, v0
	v_addc_co_u32_e32 v13, vcc, v2, v1, vcc
	s_cmp_gt_i32 s10, 0
	s_cselect_b64 s[2:3], -1, 0
	v_cmp_lt_i32_e32 vcc, 0, v14
	v_pk_mov_b32 v[2:3], 0, 0
	s_and_b64 s[4:5], s[2:3], vcc
	v_pk_mov_b32 v[4:5], v[2:3], v[2:3] op_sel:[0,1]
	v_pk_mov_b32 v[6:7], v[2:3], v[2:3] op_sel:[0,1]
	s_and_saveexec_b64 s[0:1], s[4:5]
	s_cbranch_execz .LBB523_2
; %bb.1:
	global_load_dwordx2 v[4:5], v[10:11], off
	global_load_dwordx2 v[6:7], v[12:13], off
.LBB523_2:
	s_or_b64 exec, exec, s[0:1]
	v_cmp_lt_i32_e64 s[0:1], 1, v14
	s_and_b64 s[0:1], s[2:3], s[0:1]
	v_pk_mov_b32 v[8:9], v[2:3], v[2:3] op_sel:[0,1]
	s_and_saveexec_b64 s[4:5], s[0:1]
	s_cbranch_execz .LBB523_4
; %bb.3:
	s_mov_b32 s11, 0
	s_lshl_b64 s[6:7], s[10:11], 3
	v_mov_b32_e32 v9, s7
	v_add_co_u32_e64 v2, s[0:1], s6, v10
	v_addc_co_u32_e64 v3, s[0:1], v11, v9, s[0:1]
	v_add_co_u32_e64 v8, s[0:1], s6, v12
	v_addc_co_u32_e64 v9, s[0:1], v13, v9, s[0:1]
	global_load_dwordx2 v[2:3], v[2:3], off
	s_nop 0
	global_load_dwordx2 v[8:9], v[8:9], off
.LBB523_4:
	s_or_b64 exec, exec, s[4:5]
	s_and_saveexec_b64 s[0:1], vcc
	s_cbranch_execz .LBB523_10
; %bb.5:
	v_mov_b32_e32 v10, s13
	v_cndmask_b32_e64 v11, 0, 1, s[2:3]
	s_andn2_b64 vcc, exec, s[2:3]
	v_add_co_u32_e64 v0, s[2:3], s12, v0
	v_cmp_ne_u32_e64 s[0:1], 1, v11
	v_addc_co_u32_e64 v1, s[2:3], v10, v1, s[2:3]
	s_cbranch_vccnz .LBB523_7
; %bb.6:
	s_waitcnt vmcnt(1)
	v_add_f64 v[10:11], v[4:5], 0
	s_waitcnt vmcnt(0)
	v_fma_f64 v[4:5], -v[10:11], v[6:7], v[4:5]
	global_store_dwordx2 v[0:1], v[4:5], off
.LBB523_7:
	v_cmp_ne_u32_e32 vcc, 1, v14
	s_and_b64 exec, exec, vcc
	s_cbranch_execz .LBB523_10
; %bb.8:
	s_and_b64 vcc, exec, s[0:1]
	s_cbranch_vccnz .LBB523_10
; %bb.9:
	s_mov_b32 s11, 0
	s_waitcnt vmcnt(1)
	v_add_f64 v[4:5], v[2:3], 0
	s_lshl_b64 s[0:1], s[10:11], 3
	s_waitcnt vmcnt(0)
	v_fma_f64 v[2:3], -v[4:5], v[8:9], v[2:3]
	v_mov_b32_e32 v4, s1
	v_add_co_u32_e32 v0, vcc, s0, v0
	v_addc_co_u32_e32 v1, vcc, v1, v4, vcc
	global_store_dwordx2 v[0:1], v[2:3], off
.LBB523_10:
	s_endpgm
	.section	.rodata,"a",@progbits
	.p2align	6, 0x0
	.amdhsa_kernel _ZN12_GLOBAL__N_121softmax_warp_backwardIdddLi0ELb0ELb0ELi32EEEvPT0_PKT_S5_iiiPKb
		.amdhsa_group_segment_fixed_size 0
		.amdhsa_private_segment_fixed_size 0
		.amdhsa_kernarg_size 304
		.amdhsa_user_sgpr_count 6
		.amdhsa_user_sgpr_private_segment_buffer 1
		.amdhsa_user_sgpr_dispatch_ptr 0
		.amdhsa_user_sgpr_queue_ptr 0
		.amdhsa_user_sgpr_kernarg_segment_ptr 1
		.amdhsa_user_sgpr_dispatch_id 0
		.amdhsa_user_sgpr_flat_scratch_init 0
		.amdhsa_user_sgpr_kernarg_preload_length 0
		.amdhsa_user_sgpr_kernarg_preload_offset 0
		.amdhsa_user_sgpr_private_segment_size 0
		.amdhsa_uses_dynamic_stack 0
		.amdhsa_system_sgpr_private_segment_wavefront_offset 0
		.amdhsa_system_sgpr_workgroup_id_x 1
		.amdhsa_system_sgpr_workgroup_id_y 0
		.amdhsa_system_sgpr_workgroup_id_z 0
		.amdhsa_system_sgpr_workgroup_info 0
		.amdhsa_system_vgpr_workitem_id 1
		.amdhsa_next_free_vgpr 15
		.amdhsa_next_free_sgpr 16
		.amdhsa_accum_offset 16
		.amdhsa_reserve_vcc 1
		.amdhsa_reserve_flat_scratch 0
		.amdhsa_float_round_mode_32 0
		.amdhsa_float_round_mode_16_64 0
		.amdhsa_float_denorm_mode_32 3
		.amdhsa_float_denorm_mode_16_64 3
		.amdhsa_dx10_clamp 1
		.amdhsa_ieee_mode 1
		.amdhsa_fp16_overflow 0
		.amdhsa_tg_split 0
		.amdhsa_exception_fp_ieee_invalid_op 0
		.amdhsa_exception_fp_denorm_src 0
		.amdhsa_exception_fp_ieee_div_zero 0
		.amdhsa_exception_fp_ieee_overflow 0
		.amdhsa_exception_fp_ieee_underflow 0
		.amdhsa_exception_fp_ieee_inexact 0
		.amdhsa_exception_int_div_zero 0
	.end_amdhsa_kernel
	.section	.text._ZN12_GLOBAL__N_121softmax_warp_backwardIdddLi0ELb0ELb0ELi32EEEvPT0_PKT_S5_iiiPKb,"axG",@progbits,_ZN12_GLOBAL__N_121softmax_warp_backwardIdddLi0ELb0ELb0ELi32EEEvPT0_PKT_S5_iiiPKb,comdat
.Lfunc_end523:
	.size	_ZN12_GLOBAL__N_121softmax_warp_backwardIdddLi0ELb0ELb0ELi32EEEvPT0_PKT_S5_iiiPKb, .Lfunc_end523-_ZN12_GLOBAL__N_121softmax_warp_backwardIdddLi0ELb0ELb0ELi32EEEvPT0_PKT_S5_iiiPKb
                                        ; -- End function
	.section	.AMDGPU.csdata,"",@progbits
; Kernel info:
; codeLenInByte = 432
; NumSgprs: 20
; NumVgprs: 15
; NumAgprs: 0
; TotalNumVgprs: 15
; ScratchSize: 0
; MemoryBound: 0
; FloatMode: 240
; IeeeMode: 1
; LDSByteSize: 0 bytes/workgroup (compile time only)
; SGPRBlocks: 2
; VGPRBlocks: 1
; NumSGPRsForWavesPerEU: 20
; NumVGPRsForWavesPerEU: 15
; AccumOffset: 16
; Occupancy: 8
; WaveLimiterHint : 0
; COMPUTE_PGM_RSRC2:SCRATCH_EN: 0
; COMPUTE_PGM_RSRC2:USER_SGPR: 6
; COMPUTE_PGM_RSRC2:TRAP_HANDLER: 0
; COMPUTE_PGM_RSRC2:TGID_X_EN: 1
; COMPUTE_PGM_RSRC2:TGID_Y_EN: 0
; COMPUTE_PGM_RSRC2:TGID_Z_EN: 0
; COMPUTE_PGM_RSRC2:TIDIG_COMP_CNT: 1
; COMPUTE_PGM_RSRC3_GFX90A:ACCUM_OFFSET: 3
; COMPUTE_PGM_RSRC3_GFX90A:TG_SPLIT: 0
	.section	.text._ZN12_GLOBAL__N_121softmax_warp_backwardIdddLi1ELb0ELb0ELi64EEEvPT0_PKT_S5_iiiPKb,"axG",@progbits,_ZN12_GLOBAL__N_121softmax_warp_backwardIdddLi1ELb0ELb0ELi64EEEvPT0_PKT_S5_iiiPKb,comdat
	.globl	_ZN12_GLOBAL__N_121softmax_warp_backwardIdddLi1ELb0ELb0ELi64EEEvPT0_PKT_S5_iiiPKb ; -- Begin function _ZN12_GLOBAL__N_121softmax_warp_backwardIdddLi1ELb0ELb0ELi64EEEvPT0_PKT_S5_iiiPKb
	.p2align	8
	.type	_ZN12_GLOBAL__N_121softmax_warp_backwardIdddLi1ELb0ELb0ELi64EEEvPT0_PKT_S5_iiiPKb,@function
_ZN12_GLOBAL__N_121softmax_warp_backwardIdddLi1ELb0ELb0ELi64EEEvPT0_PKT_S5_iiiPKb: ; @_ZN12_GLOBAL__N_121softmax_warp_backwardIdddLi1ELb0ELb0ELi64EEEvPT0_PKT_S5_iiiPKb
; %bb.0:
	s_load_dword s2, s[4:5], 0x3c
	s_load_dwordx4 s[8:11], s[4:5], 0x18
	s_load_dwordx4 s[12:15], s[4:5], 0x0
	s_load_dwordx2 s[0:1], s[4:5], 0x10
	v_bfe_u32 v1, v0, 10, 10
	s_waitcnt lgkmcnt(0)
	s_lshr_b32 s2, s2, 16
	s_mul_i32 s6, s6, s2
	v_add_lshl_u32 v1, s6, v1, 1
	v_sub_u32_e32 v18, s8, v1
	v_mul_lo_u32 v1, v1, s9
	v_and_b32_e32 v4, 1, v0
	v_or_b32_e32 v0, v1, v4
	v_ashrrev_i32_e32 v1, 31, v0
	v_lshlrev_b64 v[2:3], 3, v[0:1]
	v_mov_b32_e32 v0, s15
	v_add_co_u32_e32 v10, vcc, s14, v2
	v_addc_co_u32_e32 v11, vcc, v0, v3, vcc
	v_mov_b32_e32 v0, s1
	v_add_co_u32_e32 v12, vcc, s0, v2
	v_addc_co_u32_e32 v13, vcc, v0, v3, vcc
	v_cmp_gt_i32_e32 vcc, s10, v4
	v_cmp_lt_i32_e64 s[0:1], 0, v18
	v_pk_mov_b32 v[0:1], 0, 0
	s_and_b64 s[4:5], vcc, s[0:1]
	v_pk_mov_b32 v[4:5], v[0:1], v[0:1] op_sel:[0,1]
	v_pk_mov_b32 v[6:7], v[0:1], v[0:1] op_sel:[0,1]
	s_and_saveexec_b64 s[2:3], s[4:5]
	s_cbranch_execz .LBB524_2
; %bb.1:
	global_load_dwordx2 v[4:5], v[10:11], off
	global_load_dwordx2 v[6:7], v[12:13], off
.LBB524_2:
	s_or_b64 exec, exec, s[2:3]
	v_cmp_lt_i32_e64 s[2:3], 1, v18
	s_and_b64 s[2:3], vcc, s[2:3]
	v_pk_mov_b32 v[8:9], v[0:1], v[0:1] op_sel:[0,1]
	s_and_saveexec_b64 s[4:5], s[2:3]
	s_cbranch_execz .LBB524_4
; %bb.3:
	s_mov_b32 s11, 0
	s_lshl_b64 s[6:7], s[10:11], 3
	v_mov_b32_e32 v9, s7
	v_add_co_u32_e64 v0, s[2:3], s6, v10
	v_addc_co_u32_e64 v1, s[2:3], v11, v9, s[2:3]
	v_add_co_u32_e64 v8, s[2:3], s6, v12
	v_addc_co_u32_e64 v9, s[2:3], v13, v9, s[2:3]
	global_load_dwordx2 v[0:1], v[0:1], off
	s_nop 0
	global_load_dwordx2 v[8:9], v[8:9], off
.LBB524_4:
	s_or_b64 exec, exec, s[4:5]
	v_mbcnt_lo_u32_b32 v12, -1, 0
	v_mbcnt_hi_u32_b32 v12, -1, v12
	v_and_b32_e32 v16, 0x7e, v12
	v_xor_b32_e32 v13, 1, v12
	v_add_u32_e32 v16, 2, v16
	v_cmp_lt_i32_e64 s[2:3], v13, v16
	v_cndmask_b32_e64 v12, v12, v13, s[2:3]
	s_waitcnt vmcnt(1)
	v_add_f64 v[14:15], v[4:5], 0
	v_add_f64 v[10:11], v[0:1], 0
	v_lshlrev_b32_e32 v13, 2, v12
	ds_bpermute_b32 v16, v13, v14
	ds_bpermute_b32 v17, v13, v15
	;; [unrolled: 1-line block ×4, first 2 shown]
	s_and_saveexec_b64 s[2:3], s[0:1]
	s_cbranch_execz .LBB524_10
; %bb.5:
	v_mov_b32_e32 v19, s13
	v_add_co_u32_e64 v2, s[0:1], s12, v2
	v_addc_co_u32_e64 v3, s[0:1], v19, v3, s[0:1]
	s_and_saveexec_b64 s[0:1], vcc
	s_cbranch_execz .LBB524_7
; %bb.6:
	s_waitcnt lgkmcnt(2)
	v_add_f64 v[14:15], v[14:15], v[16:17]
	s_waitcnt vmcnt(0)
	v_fma_f64 v[4:5], -v[14:15], v[6:7], v[4:5]
	global_store_dwordx2 v[2:3], v[4:5], off
.LBB524_7:
	s_or_b64 exec, exec, s[0:1]
	v_cmp_ne_u32_e64 s[0:1], 1, v18
	s_and_b64 exec, exec, s[0:1]
	s_cbranch_execz .LBB524_10
; %bb.8:
	s_and_b64 exec, exec, vcc
	s_cbranch_execz .LBB524_10
; %bb.9:
	s_mov_b32 s11, 0
	s_waitcnt lgkmcnt(0)
	v_add_f64 v[4:5], v[10:11], v[12:13]
	s_lshl_b64 s[0:1], s[10:11], 3
	s_waitcnt vmcnt(0)
	v_fma_f64 v[0:1], -v[4:5], v[8:9], v[0:1]
	v_mov_b32_e32 v4, s1
	v_add_co_u32_e32 v2, vcc, s0, v2
	v_addc_co_u32_e32 v3, vcc, v3, v4, vcc
	global_store_dwordx2 v[2:3], v[0:1], off
.LBB524_10:
	s_endpgm
	.section	.rodata,"a",@progbits
	.p2align	6, 0x0
	.amdhsa_kernel _ZN12_GLOBAL__N_121softmax_warp_backwardIdddLi1ELb0ELb0ELi64EEEvPT0_PKT_S5_iiiPKb
		.amdhsa_group_segment_fixed_size 0
		.amdhsa_private_segment_fixed_size 0
		.amdhsa_kernarg_size 304
		.amdhsa_user_sgpr_count 6
		.amdhsa_user_sgpr_private_segment_buffer 1
		.amdhsa_user_sgpr_dispatch_ptr 0
		.amdhsa_user_sgpr_queue_ptr 0
		.amdhsa_user_sgpr_kernarg_segment_ptr 1
		.amdhsa_user_sgpr_dispatch_id 0
		.amdhsa_user_sgpr_flat_scratch_init 0
		.amdhsa_user_sgpr_kernarg_preload_length 0
		.amdhsa_user_sgpr_kernarg_preload_offset 0
		.amdhsa_user_sgpr_private_segment_size 0
		.amdhsa_uses_dynamic_stack 0
		.amdhsa_system_sgpr_private_segment_wavefront_offset 0
		.amdhsa_system_sgpr_workgroup_id_x 1
		.amdhsa_system_sgpr_workgroup_id_y 0
		.amdhsa_system_sgpr_workgroup_id_z 0
		.amdhsa_system_sgpr_workgroup_info 0
		.amdhsa_system_vgpr_workitem_id 1
		.amdhsa_next_free_vgpr 20
		.amdhsa_next_free_sgpr 16
		.amdhsa_accum_offset 20
		.amdhsa_reserve_vcc 1
		.amdhsa_reserve_flat_scratch 0
		.amdhsa_float_round_mode_32 0
		.amdhsa_float_round_mode_16_64 0
		.amdhsa_float_denorm_mode_32 3
		.amdhsa_float_denorm_mode_16_64 3
		.amdhsa_dx10_clamp 1
		.amdhsa_ieee_mode 1
		.amdhsa_fp16_overflow 0
		.amdhsa_tg_split 0
		.amdhsa_exception_fp_ieee_invalid_op 0
		.amdhsa_exception_fp_denorm_src 0
		.amdhsa_exception_fp_ieee_div_zero 0
		.amdhsa_exception_fp_ieee_overflow 0
		.amdhsa_exception_fp_ieee_underflow 0
		.amdhsa_exception_fp_ieee_inexact 0
		.amdhsa_exception_int_div_zero 0
	.end_amdhsa_kernel
	.section	.text._ZN12_GLOBAL__N_121softmax_warp_backwardIdddLi1ELb0ELb0ELi64EEEvPT0_PKT_S5_iiiPKb,"axG",@progbits,_ZN12_GLOBAL__N_121softmax_warp_backwardIdddLi1ELb0ELb0ELi64EEEvPT0_PKT_S5_iiiPKb,comdat
.Lfunc_end524:
	.size	_ZN12_GLOBAL__N_121softmax_warp_backwardIdddLi1ELb0ELb0ELi64EEEvPT0_PKT_S5_iiiPKb, .Lfunc_end524-_ZN12_GLOBAL__N_121softmax_warp_backwardIdddLi1ELb0ELb0ELi64EEEvPT0_PKT_S5_iiiPKb
                                        ; -- End function
	.section	.AMDGPU.csdata,"",@progbits
; Kernel info:
; codeLenInByte = 536
; NumSgprs: 20
; NumVgprs: 20
; NumAgprs: 0
; TotalNumVgprs: 20
; ScratchSize: 0
; MemoryBound: 0
; FloatMode: 240
; IeeeMode: 1
; LDSByteSize: 0 bytes/workgroup (compile time only)
; SGPRBlocks: 2
; VGPRBlocks: 2
; NumSGPRsForWavesPerEU: 20
; NumVGPRsForWavesPerEU: 20
; AccumOffset: 20
; Occupancy: 8
; WaveLimiterHint : 0
; COMPUTE_PGM_RSRC2:SCRATCH_EN: 0
; COMPUTE_PGM_RSRC2:USER_SGPR: 6
; COMPUTE_PGM_RSRC2:TRAP_HANDLER: 0
; COMPUTE_PGM_RSRC2:TGID_X_EN: 1
; COMPUTE_PGM_RSRC2:TGID_Y_EN: 0
; COMPUTE_PGM_RSRC2:TGID_Z_EN: 0
; COMPUTE_PGM_RSRC2:TIDIG_COMP_CNT: 1
; COMPUTE_PGM_RSRC3_GFX90A:ACCUM_OFFSET: 4
; COMPUTE_PGM_RSRC3_GFX90A:TG_SPLIT: 0
	.section	.text._ZN12_GLOBAL__N_121softmax_warp_backwardIdddLi1ELb0ELb0ELi32EEEvPT0_PKT_S5_iiiPKb,"axG",@progbits,_ZN12_GLOBAL__N_121softmax_warp_backwardIdddLi1ELb0ELb0ELi32EEEvPT0_PKT_S5_iiiPKb,comdat
	.globl	_ZN12_GLOBAL__N_121softmax_warp_backwardIdddLi1ELb0ELb0ELi32EEEvPT0_PKT_S5_iiiPKb ; -- Begin function _ZN12_GLOBAL__N_121softmax_warp_backwardIdddLi1ELb0ELb0ELi32EEEvPT0_PKT_S5_iiiPKb
	.p2align	8
	.type	_ZN12_GLOBAL__N_121softmax_warp_backwardIdddLi1ELb0ELb0ELi32EEEvPT0_PKT_S5_iiiPKb,@function
_ZN12_GLOBAL__N_121softmax_warp_backwardIdddLi1ELb0ELb0ELi32EEEvPT0_PKT_S5_iiiPKb: ; @_ZN12_GLOBAL__N_121softmax_warp_backwardIdddLi1ELb0ELb0ELi32EEEvPT0_PKT_S5_iiiPKb
; %bb.0:
	s_load_dword s2, s[4:5], 0x3c
	s_load_dwordx4 s[8:11], s[4:5], 0x18
	s_load_dwordx4 s[12:15], s[4:5], 0x0
	s_load_dwordx2 s[0:1], s[4:5], 0x10
	v_bfe_u32 v1, v0, 10, 10
	s_waitcnt lgkmcnt(0)
	s_lshr_b32 s2, s2, 16
	s_mul_i32 s6, s6, s2
	v_add_lshl_u32 v1, s6, v1, 1
	v_sub_u32_e32 v18, s8, v1
	v_mul_lo_u32 v1, v1, s9
	v_and_b32_e32 v4, 1, v0
	v_or_b32_e32 v0, v1, v4
	v_ashrrev_i32_e32 v1, 31, v0
	v_lshlrev_b64 v[2:3], 3, v[0:1]
	v_mov_b32_e32 v0, s15
	v_add_co_u32_e32 v10, vcc, s14, v2
	v_addc_co_u32_e32 v11, vcc, v0, v3, vcc
	v_mov_b32_e32 v0, s1
	v_add_co_u32_e32 v12, vcc, s0, v2
	v_addc_co_u32_e32 v13, vcc, v0, v3, vcc
	v_cmp_gt_i32_e32 vcc, s10, v4
	v_cmp_lt_i32_e64 s[0:1], 0, v18
	v_pk_mov_b32 v[0:1], 0, 0
	s_and_b64 s[4:5], vcc, s[0:1]
	v_pk_mov_b32 v[4:5], v[0:1], v[0:1] op_sel:[0,1]
	v_pk_mov_b32 v[6:7], v[0:1], v[0:1] op_sel:[0,1]
	s_and_saveexec_b64 s[2:3], s[4:5]
	s_cbranch_execz .LBB525_2
; %bb.1:
	global_load_dwordx2 v[4:5], v[10:11], off
	global_load_dwordx2 v[6:7], v[12:13], off
.LBB525_2:
	s_or_b64 exec, exec, s[2:3]
	v_cmp_lt_i32_e64 s[2:3], 1, v18
	s_and_b64 s[2:3], vcc, s[2:3]
	v_pk_mov_b32 v[8:9], v[0:1], v[0:1] op_sel:[0,1]
	s_and_saveexec_b64 s[4:5], s[2:3]
	s_cbranch_execz .LBB525_4
; %bb.3:
	s_mov_b32 s11, 0
	s_lshl_b64 s[6:7], s[10:11], 3
	v_mov_b32_e32 v9, s7
	v_add_co_u32_e64 v0, s[2:3], s6, v10
	v_addc_co_u32_e64 v1, s[2:3], v11, v9, s[2:3]
	v_add_co_u32_e64 v8, s[2:3], s6, v12
	v_addc_co_u32_e64 v9, s[2:3], v13, v9, s[2:3]
	global_load_dwordx2 v[0:1], v[0:1], off
	s_nop 0
	global_load_dwordx2 v[8:9], v[8:9], off
.LBB525_4:
	s_or_b64 exec, exec, s[4:5]
	v_mbcnt_lo_u32_b32 v12, -1, 0
	v_mbcnt_hi_u32_b32 v12, -1, v12
	v_and_b32_e32 v16, 0x7e, v12
	v_xor_b32_e32 v13, 1, v12
	v_add_u32_e32 v16, 2, v16
	v_cmp_lt_i32_e64 s[2:3], v13, v16
	v_cndmask_b32_e64 v12, v12, v13, s[2:3]
	s_waitcnt vmcnt(1)
	v_add_f64 v[14:15], v[4:5], 0
	v_add_f64 v[10:11], v[0:1], 0
	v_lshlrev_b32_e32 v13, 2, v12
	ds_bpermute_b32 v16, v13, v14
	ds_bpermute_b32 v17, v13, v15
	;; [unrolled: 1-line block ×4, first 2 shown]
	s_and_saveexec_b64 s[2:3], s[0:1]
	s_cbranch_execz .LBB525_10
; %bb.5:
	v_mov_b32_e32 v19, s13
	v_add_co_u32_e64 v2, s[0:1], s12, v2
	v_addc_co_u32_e64 v3, s[0:1], v19, v3, s[0:1]
	s_and_saveexec_b64 s[0:1], vcc
	s_cbranch_execz .LBB525_7
; %bb.6:
	s_waitcnt lgkmcnt(2)
	v_add_f64 v[14:15], v[14:15], v[16:17]
	s_waitcnt vmcnt(0)
	v_fma_f64 v[4:5], -v[14:15], v[6:7], v[4:5]
	global_store_dwordx2 v[2:3], v[4:5], off
.LBB525_7:
	s_or_b64 exec, exec, s[0:1]
	v_cmp_ne_u32_e64 s[0:1], 1, v18
	s_and_b64 exec, exec, s[0:1]
	s_cbranch_execz .LBB525_10
; %bb.8:
	s_and_b64 exec, exec, vcc
	s_cbranch_execz .LBB525_10
; %bb.9:
	s_mov_b32 s11, 0
	s_waitcnt lgkmcnt(0)
	v_add_f64 v[4:5], v[10:11], v[12:13]
	s_lshl_b64 s[0:1], s[10:11], 3
	s_waitcnt vmcnt(0)
	v_fma_f64 v[0:1], -v[4:5], v[8:9], v[0:1]
	v_mov_b32_e32 v4, s1
	v_add_co_u32_e32 v2, vcc, s0, v2
	v_addc_co_u32_e32 v3, vcc, v3, v4, vcc
	global_store_dwordx2 v[2:3], v[0:1], off
.LBB525_10:
	s_endpgm
	.section	.rodata,"a",@progbits
	.p2align	6, 0x0
	.amdhsa_kernel _ZN12_GLOBAL__N_121softmax_warp_backwardIdddLi1ELb0ELb0ELi32EEEvPT0_PKT_S5_iiiPKb
		.amdhsa_group_segment_fixed_size 0
		.amdhsa_private_segment_fixed_size 0
		.amdhsa_kernarg_size 304
		.amdhsa_user_sgpr_count 6
		.amdhsa_user_sgpr_private_segment_buffer 1
		.amdhsa_user_sgpr_dispatch_ptr 0
		.amdhsa_user_sgpr_queue_ptr 0
		.amdhsa_user_sgpr_kernarg_segment_ptr 1
		.amdhsa_user_sgpr_dispatch_id 0
		.amdhsa_user_sgpr_flat_scratch_init 0
		.amdhsa_user_sgpr_kernarg_preload_length 0
		.amdhsa_user_sgpr_kernarg_preload_offset 0
		.amdhsa_user_sgpr_private_segment_size 0
		.amdhsa_uses_dynamic_stack 0
		.amdhsa_system_sgpr_private_segment_wavefront_offset 0
		.amdhsa_system_sgpr_workgroup_id_x 1
		.amdhsa_system_sgpr_workgroup_id_y 0
		.amdhsa_system_sgpr_workgroup_id_z 0
		.amdhsa_system_sgpr_workgroup_info 0
		.amdhsa_system_vgpr_workitem_id 1
		.amdhsa_next_free_vgpr 20
		.amdhsa_next_free_sgpr 16
		.amdhsa_accum_offset 20
		.amdhsa_reserve_vcc 1
		.amdhsa_reserve_flat_scratch 0
		.amdhsa_float_round_mode_32 0
		.amdhsa_float_round_mode_16_64 0
		.amdhsa_float_denorm_mode_32 3
		.amdhsa_float_denorm_mode_16_64 3
		.amdhsa_dx10_clamp 1
		.amdhsa_ieee_mode 1
		.amdhsa_fp16_overflow 0
		.amdhsa_tg_split 0
		.amdhsa_exception_fp_ieee_invalid_op 0
		.amdhsa_exception_fp_denorm_src 0
		.amdhsa_exception_fp_ieee_div_zero 0
		.amdhsa_exception_fp_ieee_overflow 0
		.amdhsa_exception_fp_ieee_underflow 0
		.amdhsa_exception_fp_ieee_inexact 0
		.amdhsa_exception_int_div_zero 0
	.end_amdhsa_kernel
	.section	.text._ZN12_GLOBAL__N_121softmax_warp_backwardIdddLi1ELb0ELb0ELi32EEEvPT0_PKT_S5_iiiPKb,"axG",@progbits,_ZN12_GLOBAL__N_121softmax_warp_backwardIdddLi1ELb0ELb0ELi32EEEvPT0_PKT_S5_iiiPKb,comdat
.Lfunc_end525:
	.size	_ZN12_GLOBAL__N_121softmax_warp_backwardIdddLi1ELb0ELb0ELi32EEEvPT0_PKT_S5_iiiPKb, .Lfunc_end525-_ZN12_GLOBAL__N_121softmax_warp_backwardIdddLi1ELb0ELb0ELi32EEEvPT0_PKT_S5_iiiPKb
                                        ; -- End function
	.section	.AMDGPU.csdata,"",@progbits
; Kernel info:
; codeLenInByte = 536
; NumSgprs: 20
; NumVgprs: 20
; NumAgprs: 0
; TotalNumVgprs: 20
; ScratchSize: 0
; MemoryBound: 0
; FloatMode: 240
; IeeeMode: 1
; LDSByteSize: 0 bytes/workgroup (compile time only)
; SGPRBlocks: 2
; VGPRBlocks: 2
; NumSGPRsForWavesPerEU: 20
; NumVGPRsForWavesPerEU: 20
; AccumOffset: 20
; Occupancy: 8
; WaveLimiterHint : 0
; COMPUTE_PGM_RSRC2:SCRATCH_EN: 0
; COMPUTE_PGM_RSRC2:USER_SGPR: 6
; COMPUTE_PGM_RSRC2:TRAP_HANDLER: 0
; COMPUTE_PGM_RSRC2:TGID_X_EN: 1
; COMPUTE_PGM_RSRC2:TGID_Y_EN: 0
; COMPUTE_PGM_RSRC2:TGID_Z_EN: 0
; COMPUTE_PGM_RSRC2:TIDIG_COMP_CNT: 1
; COMPUTE_PGM_RSRC3_GFX90A:ACCUM_OFFSET: 4
; COMPUTE_PGM_RSRC3_GFX90A:TG_SPLIT: 0
	.section	.text._ZN12_GLOBAL__N_121softmax_warp_backwardIdddLi2ELb0ELb0ELi64EEEvPT0_PKT_S5_iiiPKb,"axG",@progbits,_ZN12_GLOBAL__N_121softmax_warp_backwardIdddLi2ELb0ELb0ELi64EEEvPT0_PKT_S5_iiiPKb,comdat
	.globl	_ZN12_GLOBAL__N_121softmax_warp_backwardIdddLi2ELb0ELb0ELi64EEEvPT0_PKT_S5_iiiPKb ; -- Begin function _ZN12_GLOBAL__N_121softmax_warp_backwardIdddLi2ELb0ELb0ELi64EEEvPT0_PKT_S5_iiiPKb
	.p2align	8
	.type	_ZN12_GLOBAL__N_121softmax_warp_backwardIdddLi2ELb0ELb0ELi64EEEvPT0_PKT_S5_iiiPKb,@function
_ZN12_GLOBAL__N_121softmax_warp_backwardIdddLi2ELb0ELb0ELi64EEEvPT0_PKT_S5_iiiPKb: ; @_ZN12_GLOBAL__N_121softmax_warp_backwardIdddLi2ELb0ELb0ELi64EEEvPT0_PKT_S5_iiiPKb
; %bb.0:
	s_load_dword s2, s[4:5], 0x3c
	s_load_dwordx4 s[8:11], s[4:5], 0x18
	s_load_dwordx4 s[12:15], s[4:5], 0x0
	s_load_dwordx2 s[0:1], s[4:5], 0x10
	v_bfe_u32 v1, v0, 10, 10
	s_waitcnt lgkmcnt(0)
	s_lshr_b32 s2, s2, 16
	s_mul_i32 s6, s6, s2
	v_add_lshl_u32 v1, s6, v1, 1
	v_and_b32_e32 v0, 3, v0
	v_mad_u64_u32 v[2:3], s[2:3], v1, s9, v[0:1]
	v_ashrrev_i32_e32 v3, 31, v2
	v_lshlrev_b64 v[2:3], 3, v[2:3]
	v_sub_u32_e32 v18, s8, v1
	v_mov_b32_e32 v1, s15
	v_add_co_u32_e32 v10, vcc, s14, v2
	v_addc_co_u32_e32 v11, vcc, v1, v3, vcc
	v_mov_b32_e32 v1, s1
	v_add_co_u32_e32 v12, vcc, s0, v2
	v_addc_co_u32_e32 v13, vcc, v1, v3, vcc
	v_cmp_gt_i32_e32 vcc, s10, v0
	v_cmp_lt_i32_e64 s[0:1], 0, v18
	v_pk_mov_b32 v[0:1], 0, 0
	s_and_b64 s[4:5], vcc, s[0:1]
	v_pk_mov_b32 v[4:5], v[0:1], v[0:1] op_sel:[0,1]
	v_pk_mov_b32 v[6:7], v[0:1], v[0:1] op_sel:[0,1]
	s_and_saveexec_b64 s[2:3], s[4:5]
	s_cbranch_execz .LBB526_2
; %bb.1:
	global_load_dwordx2 v[4:5], v[10:11], off
	global_load_dwordx2 v[6:7], v[12:13], off
.LBB526_2:
	s_or_b64 exec, exec, s[2:3]
	v_cmp_lt_i32_e64 s[2:3], 1, v18
	s_and_b64 s[2:3], vcc, s[2:3]
	v_pk_mov_b32 v[8:9], v[0:1], v[0:1] op_sel:[0,1]
	s_and_saveexec_b64 s[4:5], s[2:3]
	s_cbranch_execz .LBB526_4
; %bb.3:
	s_mov_b32 s11, 0
	s_lshl_b64 s[6:7], s[10:11], 3
	v_mov_b32_e32 v9, s7
	v_add_co_u32_e64 v0, s[2:3], s6, v10
	v_addc_co_u32_e64 v1, s[2:3], v11, v9, s[2:3]
	v_add_co_u32_e64 v8, s[2:3], s6, v12
	v_addc_co_u32_e64 v9, s[2:3], v13, v9, s[2:3]
	global_load_dwordx2 v[0:1], v[0:1], off
	s_nop 0
	global_load_dwordx2 v[8:9], v[8:9], off
.LBB526_4:
	s_or_b64 exec, exec, s[4:5]
	v_mbcnt_lo_u32_b32 v14, -1, 0
	v_mbcnt_hi_u32_b32 v19, -1, v14
	v_and_b32_e32 v14, 0x7c, v19
	v_add_u32_e32 v20, 4, v14
	v_xor_b32_e32 v14, 2, v19
	v_cmp_lt_i32_e64 s[2:3], v14, v20
	v_cndmask_b32_e64 v14, v19, v14, s[2:3]
	s_waitcnt vmcnt(1)
	v_add_f64 v[10:11], v[4:5], 0
	v_add_f64 v[12:13], v[0:1], 0
	v_lshlrev_b32_e32 v17, 2, v14
	ds_bpermute_b32 v14, v17, v10
	ds_bpermute_b32 v15, v17, v11
	;; [unrolled: 1-line block ×4, first 2 shown]
	s_waitcnt lgkmcnt(2)
	v_add_f64 v[14:15], v[10:11], v[14:15]
	s_waitcnt lgkmcnt(0)
	v_add_f64 v[10:11], v[12:13], v[16:17]
	v_xor_b32_e32 v12, 1, v19
	v_cmp_lt_i32_e64 s[2:3], v12, v20
	v_cndmask_b32_e64 v12, v19, v12, s[2:3]
	v_lshlrev_b32_e32 v13, 2, v12
	ds_bpermute_b32 v16, v13, v14
	ds_bpermute_b32 v17, v13, v15
	;; [unrolled: 1-line block ×4, first 2 shown]
	s_and_saveexec_b64 s[2:3], s[0:1]
	s_cbranch_execz .LBB526_10
; %bb.5:
	v_mov_b32_e32 v19, s13
	v_add_co_u32_e64 v2, s[0:1], s12, v2
	v_addc_co_u32_e64 v3, s[0:1], v19, v3, s[0:1]
	s_and_saveexec_b64 s[0:1], vcc
	s_cbranch_execz .LBB526_7
; %bb.6:
	s_waitcnt lgkmcnt(2)
	v_add_f64 v[14:15], v[14:15], v[16:17]
	s_waitcnt vmcnt(0)
	v_fma_f64 v[4:5], -v[14:15], v[6:7], v[4:5]
	global_store_dwordx2 v[2:3], v[4:5], off
.LBB526_7:
	s_or_b64 exec, exec, s[0:1]
	v_cmp_ne_u32_e64 s[0:1], 1, v18
	s_and_b64 exec, exec, s[0:1]
	s_cbranch_execz .LBB526_10
; %bb.8:
	s_and_b64 exec, exec, vcc
	s_cbranch_execz .LBB526_10
; %bb.9:
	s_mov_b32 s11, 0
	s_waitcnt lgkmcnt(0)
	v_add_f64 v[4:5], v[10:11], v[12:13]
	s_lshl_b64 s[0:1], s[10:11], 3
	s_waitcnt vmcnt(0)
	v_fma_f64 v[0:1], -v[4:5], v[8:9], v[0:1]
	v_mov_b32_e32 v4, s1
	v_add_co_u32_e32 v2, vcc, s0, v2
	v_addc_co_u32_e32 v3, vcc, v3, v4, vcc
	global_store_dwordx2 v[2:3], v[0:1], off
.LBB526_10:
	s_endpgm
	.section	.rodata,"a",@progbits
	.p2align	6, 0x0
	.amdhsa_kernel _ZN12_GLOBAL__N_121softmax_warp_backwardIdddLi2ELb0ELb0ELi64EEEvPT0_PKT_S5_iiiPKb
		.amdhsa_group_segment_fixed_size 0
		.amdhsa_private_segment_fixed_size 0
		.amdhsa_kernarg_size 304
		.amdhsa_user_sgpr_count 6
		.amdhsa_user_sgpr_private_segment_buffer 1
		.amdhsa_user_sgpr_dispatch_ptr 0
		.amdhsa_user_sgpr_queue_ptr 0
		.amdhsa_user_sgpr_kernarg_segment_ptr 1
		.amdhsa_user_sgpr_dispatch_id 0
		.amdhsa_user_sgpr_flat_scratch_init 0
		.amdhsa_user_sgpr_kernarg_preload_length 0
		.amdhsa_user_sgpr_kernarg_preload_offset 0
		.amdhsa_user_sgpr_private_segment_size 0
		.amdhsa_uses_dynamic_stack 0
		.amdhsa_system_sgpr_private_segment_wavefront_offset 0
		.amdhsa_system_sgpr_workgroup_id_x 1
		.amdhsa_system_sgpr_workgroup_id_y 0
		.amdhsa_system_sgpr_workgroup_id_z 0
		.amdhsa_system_sgpr_workgroup_info 0
		.amdhsa_system_vgpr_workitem_id 1
		.amdhsa_next_free_vgpr 21
		.amdhsa_next_free_sgpr 16
		.amdhsa_accum_offset 24
		.amdhsa_reserve_vcc 1
		.amdhsa_reserve_flat_scratch 0
		.amdhsa_float_round_mode_32 0
		.amdhsa_float_round_mode_16_64 0
		.amdhsa_float_denorm_mode_32 3
		.amdhsa_float_denorm_mode_16_64 3
		.amdhsa_dx10_clamp 1
		.amdhsa_ieee_mode 1
		.amdhsa_fp16_overflow 0
		.amdhsa_tg_split 0
		.amdhsa_exception_fp_ieee_invalid_op 0
		.amdhsa_exception_fp_denorm_src 0
		.amdhsa_exception_fp_ieee_div_zero 0
		.amdhsa_exception_fp_ieee_overflow 0
		.amdhsa_exception_fp_ieee_underflow 0
		.amdhsa_exception_fp_ieee_inexact 0
		.amdhsa_exception_int_div_zero 0
	.end_amdhsa_kernel
	.section	.text._ZN12_GLOBAL__N_121softmax_warp_backwardIdddLi2ELb0ELb0ELi64EEEvPT0_PKT_S5_iiiPKb,"axG",@progbits,_ZN12_GLOBAL__N_121softmax_warp_backwardIdddLi2ELb0ELb0ELi64EEEvPT0_PKT_S5_iiiPKb,comdat
.Lfunc_end526:
	.size	_ZN12_GLOBAL__N_121softmax_warp_backwardIdddLi2ELb0ELb0ELi64EEEvPT0_PKT_S5_iiiPKb, .Lfunc_end526-_ZN12_GLOBAL__N_121softmax_warp_backwardIdddLi2ELb0ELb0ELi64EEEvPT0_PKT_S5_iiiPKb
                                        ; -- End function
	.section	.AMDGPU.csdata,"",@progbits
; Kernel info:
; codeLenInByte = 612
; NumSgprs: 20
; NumVgprs: 21
; NumAgprs: 0
; TotalNumVgprs: 21
; ScratchSize: 0
; MemoryBound: 0
; FloatMode: 240
; IeeeMode: 1
; LDSByteSize: 0 bytes/workgroup (compile time only)
; SGPRBlocks: 2
; VGPRBlocks: 2
; NumSGPRsForWavesPerEU: 20
; NumVGPRsForWavesPerEU: 21
; AccumOffset: 24
; Occupancy: 8
; WaveLimiterHint : 0
; COMPUTE_PGM_RSRC2:SCRATCH_EN: 0
; COMPUTE_PGM_RSRC2:USER_SGPR: 6
; COMPUTE_PGM_RSRC2:TRAP_HANDLER: 0
; COMPUTE_PGM_RSRC2:TGID_X_EN: 1
; COMPUTE_PGM_RSRC2:TGID_Y_EN: 0
; COMPUTE_PGM_RSRC2:TGID_Z_EN: 0
; COMPUTE_PGM_RSRC2:TIDIG_COMP_CNT: 1
; COMPUTE_PGM_RSRC3_GFX90A:ACCUM_OFFSET: 5
; COMPUTE_PGM_RSRC3_GFX90A:TG_SPLIT: 0
	.section	.text._ZN12_GLOBAL__N_121softmax_warp_backwardIdddLi2ELb0ELb0ELi32EEEvPT0_PKT_S5_iiiPKb,"axG",@progbits,_ZN12_GLOBAL__N_121softmax_warp_backwardIdddLi2ELb0ELb0ELi32EEEvPT0_PKT_S5_iiiPKb,comdat
	.globl	_ZN12_GLOBAL__N_121softmax_warp_backwardIdddLi2ELb0ELb0ELi32EEEvPT0_PKT_S5_iiiPKb ; -- Begin function _ZN12_GLOBAL__N_121softmax_warp_backwardIdddLi2ELb0ELb0ELi32EEEvPT0_PKT_S5_iiiPKb
	.p2align	8
	.type	_ZN12_GLOBAL__N_121softmax_warp_backwardIdddLi2ELb0ELb0ELi32EEEvPT0_PKT_S5_iiiPKb,@function
_ZN12_GLOBAL__N_121softmax_warp_backwardIdddLi2ELb0ELb0ELi32EEEvPT0_PKT_S5_iiiPKb: ; @_ZN12_GLOBAL__N_121softmax_warp_backwardIdddLi2ELb0ELb0ELi32EEEvPT0_PKT_S5_iiiPKb
; %bb.0:
	s_load_dword s2, s[4:5], 0x3c
	s_load_dwordx4 s[8:11], s[4:5], 0x18
	s_load_dwordx4 s[12:15], s[4:5], 0x0
	s_load_dwordx2 s[0:1], s[4:5], 0x10
	v_bfe_u32 v1, v0, 10, 10
	s_waitcnt lgkmcnt(0)
	s_lshr_b32 s2, s2, 16
	s_mul_i32 s6, s6, s2
	v_add_lshl_u32 v1, s6, v1, 1
	v_and_b32_e32 v0, 3, v0
	v_mad_u64_u32 v[2:3], s[2:3], v1, s9, v[0:1]
	v_ashrrev_i32_e32 v3, 31, v2
	v_lshlrev_b64 v[2:3], 3, v[2:3]
	v_sub_u32_e32 v18, s8, v1
	v_mov_b32_e32 v1, s15
	v_add_co_u32_e32 v10, vcc, s14, v2
	v_addc_co_u32_e32 v11, vcc, v1, v3, vcc
	v_mov_b32_e32 v1, s1
	v_add_co_u32_e32 v12, vcc, s0, v2
	v_addc_co_u32_e32 v13, vcc, v1, v3, vcc
	v_cmp_gt_i32_e32 vcc, s10, v0
	v_cmp_lt_i32_e64 s[0:1], 0, v18
	v_pk_mov_b32 v[0:1], 0, 0
	s_and_b64 s[4:5], vcc, s[0:1]
	v_pk_mov_b32 v[4:5], v[0:1], v[0:1] op_sel:[0,1]
	v_pk_mov_b32 v[6:7], v[0:1], v[0:1] op_sel:[0,1]
	s_and_saveexec_b64 s[2:3], s[4:5]
	s_cbranch_execz .LBB527_2
; %bb.1:
	global_load_dwordx2 v[4:5], v[10:11], off
	global_load_dwordx2 v[6:7], v[12:13], off
.LBB527_2:
	s_or_b64 exec, exec, s[2:3]
	v_cmp_lt_i32_e64 s[2:3], 1, v18
	s_and_b64 s[2:3], vcc, s[2:3]
	v_pk_mov_b32 v[8:9], v[0:1], v[0:1] op_sel:[0,1]
	s_and_saveexec_b64 s[4:5], s[2:3]
	s_cbranch_execz .LBB527_4
; %bb.3:
	s_mov_b32 s11, 0
	s_lshl_b64 s[6:7], s[10:11], 3
	v_mov_b32_e32 v9, s7
	v_add_co_u32_e64 v0, s[2:3], s6, v10
	v_addc_co_u32_e64 v1, s[2:3], v11, v9, s[2:3]
	v_add_co_u32_e64 v8, s[2:3], s6, v12
	v_addc_co_u32_e64 v9, s[2:3], v13, v9, s[2:3]
	global_load_dwordx2 v[0:1], v[0:1], off
	s_nop 0
	global_load_dwordx2 v[8:9], v[8:9], off
.LBB527_4:
	s_or_b64 exec, exec, s[4:5]
	v_mbcnt_lo_u32_b32 v14, -1, 0
	v_mbcnt_hi_u32_b32 v19, -1, v14
	v_and_b32_e32 v14, 0x7c, v19
	v_add_u32_e32 v20, 4, v14
	v_xor_b32_e32 v14, 2, v19
	v_cmp_lt_i32_e64 s[2:3], v14, v20
	v_cndmask_b32_e64 v14, v19, v14, s[2:3]
	s_waitcnt vmcnt(1)
	v_add_f64 v[10:11], v[4:5], 0
	v_add_f64 v[12:13], v[0:1], 0
	v_lshlrev_b32_e32 v17, 2, v14
	ds_bpermute_b32 v14, v17, v10
	ds_bpermute_b32 v15, v17, v11
	;; [unrolled: 1-line block ×4, first 2 shown]
	s_waitcnt lgkmcnt(2)
	v_add_f64 v[14:15], v[10:11], v[14:15]
	s_waitcnt lgkmcnt(0)
	v_add_f64 v[10:11], v[12:13], v[16:17]
	v_xor_b32_e32 v12, 1, v19
	v_cmp_lt_i32_e64 s[2:3], v12, v20
	v_cndmask_b32_e64 v12, v19, v12, s[2:3]
	v_lshlrev_b32_e32 v13, 2, v12
	ds_bpermute_b32 v16, v13, v14
	ds_bpermute_b32 v17, v13, v15
	;; [unrolled: 1-line block ×4, first 2 shown]
	s_and_saveexec_b64 s[2:3], s[0:1]
	s_cbranch_execz .LBB527_10
; %bb.5:
	v_mov_b32_e32 v19, s13
	v_add_co_u32_e64 v2, s[0:1], s12, v2
	v_addc_co_u32_e64 v3, s[0:1], v19, v3, s[0:1]
	s_and_saveexec_b64 s[0:1], vcc
	s_cbranch_execz .LBB527_7
; %bb.6:
	s_waitcnt lgkmcnt(2)
	v_add_f64 v[14:15], v[14:15], v[16:17]
	s_waitcnt vmcnt(0)
	v_fma_f64 v[4:5], -v[14:15], v[6:7], v[4:5]
	global_store_dwordx2 v[2:3], v[4:5], off
.LBB527_7:
	s_or_b64 exec, exec, s[0:1]
	v_cmp_ne_u32_e64 s[0:1], 1, v18
	s_and_b64 exec, exec, s[0:1]
	s_cbranch_execz .LBB527_10
; %bb.8:
	s_and_b64 exec, exec, vcc
	s_cbranch_execz .LBB527_10
; %bb.9:
	s_mov_b32 s11, 0
	s_waitcnt lgkmcnt(0)
	v_add_f64 v[4:5], v[10:11], v[12:13]
	s_lshl_b64 s[0:1], s[10:11], 3
	s_waitcnt vmcnt(0)
	v_fma_f64 v[0:1], -v[4:5], v[8:9], v[0:1]
	v_mov_b32_e32 v4, s1
	v_add_co_u32_e32 v2, vcc, s0, v2
	v_addc_co_u32_e32 v3, vcc, v3, v4, vcc
	global_store_dwordx2 v[2:3], v[0:1], off
.LBB527_10:
	s_endpgm
	.section	.rodata,"a",@progbits
	.p2align	6, 0x0
	.amdhsa_kernel _ZN12_GLOBAL__N_121softmax_warp_backwardIdddLi2ELb0ELb0ELi32EEEvPT0_PKT_S5_iiiPKb
		.amdhsa_group_segment_fixed_size 0
		.amdhsa_private_segment_fixed_size 0
		.amdhsa_kernarg_size 304
		.amdhsa_user_sgpr_count 6
		.amdhsa_user_sgpr_private_segment_buffer 1
		.amdhsa_user_sgpr_dispatch_ptr 0
		.amdhsa_user_sgpr_queue_ptr 0
		.amdhsa_user_sgpr_kernarg_segment_ptr 1
		.amdhsa_user_sgpr_dispatch_id 0
		.amdhsa_user_sgpr_flat_scratch_init 0
		.amdhsa_user_sgpr_kernarg_preload_length 0
		.amdhsa_user_sgpr_kernarg_preload_offset 0
		.amdhsa_user_sgpr_private_segment_size 0
		.amdhsa_uses_dynamic_stack 0
		.amdhsa_system_sgpr_private_segment_wavefront_offset 0
		.amdhsa_system_sgpr_workgroup_id_x 1
		.amdhsa_system_sgpr_workgroup_id_y 0
		.amdhsa_system_sgpr_workgroup_id_z 0
		.amdhsa_system_sgpr_workgroup_info 0
		.amdhsa_system_vgpr_workitem_id 1
		.amdhsa_next_free_vgpr 21
		.amdhsa_next_free_sgpr 16
		.amdhsa_accum_offset 24
		.amdhsa_reserve_vcc 1
		.amdhsa_reserve_flat_scratch 0
		.amdhsa_float_round_mode_32 0
		.amdhsa_float_round_mode_16_64 0
		.amdhsa_float_denorm_mode_32 3
		.amdhsa_float_denorm_mode_16_64 3
		.amdhsa_dx10_clamp 1
		.amdhsa_ieee_mode 1
		.amdhsa_fp16_overflow 0
		.amdhsa_tg_split 0
		.amdhsa_exception_fp_ieee_invalid_op 0
		.amdhsa_exception_fp_denorm_src 0
		.amdhsa_exception_fp_ieee_div_zero 0
		.amdhsa_exception_fp_ieee_overflow 0
		.amdhsa_exception_fp_ieee_underflow 0
		.amdhsa_exception_fp_ieee_inexact 0
		.amdhsa_exception_int_div_zero 0
	.end_amdhsa_kernel
	.section	.text._ZN12_GLOBAL__N_121softmax_warp_backwardIdddLi2ELb0ELb0ELi32EEEvPT0_PKT_S5_iiiPKb,"axG",@progbits,_ZN12_GLOBAL__N_121softmax_warp_backwardIdddLi2ELb0ELb0ELi32EEEvPT0_PKT_S5_iiiPKb,comdat
.Lfunc_end527:
	.size	_ZN12_GLOBAL__N_121softmax_warp_backwardIdddLi2ELb0ELb0ELi32EEEvPT0_PKT_S5_iiiPKb, .Lfunc_end527-_ZN12_GLOBAL__N_121softmax_warp_backwardIdddLi2ELb0ELb0ELi32EEEvPT0_PKT_S5_iiiPKb
                                        ; -- End function
	.section	.AMDGPU.csdata,"",@progbits
; Kernel info:
; codeLenInByte = 612
; NumSgprs: 20
; NumVgprs: 21
; NumAgprs: 0
; TotalNumVgprs: 21
; ScratchSize: 0
; MemoryBound: 0
; FloatMode: 240
; IeeeMode: 1
; LDSByteSize: 0 bytes/workgroup (compile time only)
; SGPRBlocks: 2
; VGPRBlocks: 2
; NumSGPRsForWavesPerEU: 20
; NumVGPRsForWavesPerEU: 21
; AccumOffset: 24
; Occupancy: 8
; WaveLimiterHint : 0
; COMPUTE_PGM_RSRC2:SCRATCH_EN: 0
; COMPUTE_PGM_RSRC2:USER_SGPR: 6
; COMPUTE_PGM_RSRC2:TRAP_HANDLER: 0
; COMPUTE_PGM_RSRC2:TGID_X_EN: 1
; COMPUTE_PGM_RSRC2:TGID_Y_EN: 0
; COMPUTE_PGM_RSRC2:TGID_Z_EN: 0
; COMPUTE_PGM_RSRC2:TIDIG_COMP_CNT: 1
; COMPUTE_PGM_RSRC3_GFX90A:ACCUM_OFFSET: 5
; COMPUTE_PGM_RSRC3_GFX90A:TG_SPLIT: 0
	.section	.text._ZN12_GLOBAL__N_121softmax_warp_backwardIdddLi3ELb0ELb0ELi64EEEvPT0_PKT_S5_iiiPKb,"axG",@progbits,_ZN12_GLOBAL__N_121softmax_warp_backwardIdddLi3ELb0ELb0ELi64EEEvPT0_PKT_S5_iiiPKb,comdat
	.globl	_ZN12_GLOBAL__N_121softmax_warp_backwardIdddLi3ELb0ELb0ELi64EEEvPT0_PKT_S5_iiiPKb ; -- Begin function _ZN12_GLOBAL__N_121softmax_warp_backwardIdddLi3ELb0ELb0ELi64EEEvPT0_PKT_S5_iiiPKb
	.p2align	8
	.type	_ZN12_GLOBAL__N_121softmax_warp_backwardIdddLi3ELb0ELb0ELi64EEEvPT0_PKT_S5_iiiPKb,@function
_ZN12_GLOBAL__N_121softmax_warp_backwardIdddLi3ELb0ELb0ELi64EEEvPT0_PKT_S5_iiiPKb: ; @_ZN12_GLOBAL__N_121softmax_warp_backwardIdddLi3ELb0ELb0ELi64EEEvPT0_PKT_S5_iiiPKb
; %bb.0:
	s_load_dword s2, s[4:5], 0x3c
	s_load_dwordx4 s[8:11], s[4:5], 0x18
	s_load_dwordx4 s[12:15], s[4:5], 0x0
	s_load_dwordx2 s[0:1], s[4:5], 0x10
	v_bfe_u32 v1, v0, 10, 10
	s_waitcnt lgkmcnt(0)
	s_lshr_b32 s2, s2, 16
	s_mul_i32 s6, s6, s2
	v_add_lshl_u32 v1, s6, v1, 1
	v_and_b32_e32 v0, 7, v0
	v_mad_u64_u32 v[2:3], s[2:3], v1, s9, v[0:1]
	v_ashrrev_i32_e32 v3, 31, v2
	v_lshlrev_b64 v[2:3], 3, v[2:3]
	v_sub_u32_e32 v18, s8, v1
	v_mov_b32_e32 v1, s15
	v_add_co_u32_e32 v10, vcc, s14, v2
	v_addc_co_u32_e32 v11, vcc, v1, v3, vcc
	v_mov_b32_e32 v1, s1
	v_add_co_u32_e32 v12, vcc, s0, v2
	v_addc_co_u32_e32 v13, vcc, v1, v3, vcc
	v_cmp_gt_i32_e32 vcc, s10, v0
	v_cmp_lt_i32_e64 s[0:1], 0, v18
	v_pk_mov_b32 v[0:1], 0, 0
	s_and_b64 s[4:5], vcc, s[0:1]
	v_pk_mov_b32 v[4:5], v[0:1], v[0:1] op_sel:[0,1]
	v_pk_mov_b32 v[6:7], v[0:1], v[0:1] op_sel:[0,1]
	s_and_saveexec_b64 s[2:3], s[4:5]
	s_cbranch_execz .LBB528_2
; %bb.1:
	global_load_dwordx2 v[4:5], v[10:11], off
	global_load_dwordx2 v[6:7], v[12:13], off
.LBB528_2:
	s_or_b64 exec, exec, s[2:3]
	v_cmp_lt_i32_e64 s[2:3], 1, v18
	s_and_b64 s[2:3], vcc, s[2:3]
	v_pk_mov_b32 v[8:9], v[0:1], v[0:1] op_sel:[0,1]
	s_and_saveexec_b64 s[4:5], s[2:3]
	s_cbranch_execz .LBB528_4
; %bb.3:
	s_mov_b32 s11, 0
	s_lshl_b64 s[6:7], s[10:11], 3
	v_mov_b32_e32 v9, s7
	v_add_co_u32_e64 v0, s[2:3], s6, v10
	v_addc_co_u32_e64 v1, s[2:3], v11, v9, s[2:3]
	v_add_co_u32_e64 v8, s[2:3], s6, v12
	v_addc_co_u32_e64 v9, s[2:3], v13, v9, s[2:3]
	global_load_dwordx2 v[0:1], v[0:1], off
	s_nop 0
	global_load_dwordx2 v[8:9], v[8:9], off
.LBB528_4:
	s_or_b64 exec, exec, s[4:5]
	v_mbcnt_lo_u32_b32 v14, -1, 0
	v_mbcnt_hi_u32_b32 v19, -1, v14
	v_and_b32_e32 v14, 0x78, v19
	v_add_u32_e32 v20, 8, v14
	v_xor_b32_e32 v14, 4, v19
	v_cmp_lt_i32_e64 s[2:3], v14, v20
	v_cndmask_b32_e64 v14, v19, v14, s[2:3]
	s_waitcnt vmcnt(1)
	v_add_f64 v[10:11], v[4:5], 0
	v_lshlrev_b32_e32 v17, 2, v14
	ds_bpermute_b32 v14, v17, v10
	ds_bpermute_b32 v15, v17, v11
	v_add_f64 v[12:13], v[0:1], 0
	ds_bpermute_b32 v16, v17, v12
	ds_bpermute_b32 v17, v17, v13
	s_waitcnt lgkmcnt(2)
	v_add_f64 v[10:11], v[10:11], v[14:15]
	v_xor_b32_e32 v14, 2, v19
	v_cmp_lt_i32_e64 s[2:3], v14, v20
	v_cndmask_b32_e64 v14, v19, v14, s[2:3]
	s_waitcnt lgkmcnt(0)
	v_add_f64 v[12:13], v[12:13], v[16:17]
	v_lshlrev_b32_e32 v17, 2, v14
	ds_bpermute_b32 v14, v17, v10
	ds_bpermute_b32 v15, v17, v11
	;; [unrolled: 1-line block ×4, first 2 shown]
	s_waitcnt lgkmcnt(2)
	v_add_f64 v[14:15], v[10:11], v[14:15]
	s_waitcnt lgkmcnt(0)
	v_add_f64 v[10:11], v[12:13], v[16:17]
	v_xor_b32_e32 v12, 1, v19
	v_cmp_lt_i32_e64 s[2:3], v12, v20
	v_cndmask_b32_e64 v12, v19, v12, s[2:3]
	v_lshlrev_b32_e32 v13, 2, v12
	ds_bpermute_b32 v16, v13, v14
	ds_bpermute_b32 v17, v13, v15
	;; [unrolled: 1-line block ×4, first 2 shown]
	s_and_saveexec_b64 s[2:3], s[0:1]
	s_cbranch_execz .LBB528_10
; %bb.5:
	v_mov_b32_e32 v19, s13
	v_add_co_u32_e64 v2, s[0:1], s12, v2
	v_addc_co_u32_e64 v3, s[0:1], v19, v3, s[0:1]
	s_and_saveexec_b64 s[0:1], vcc
	s_cbranch_execz .LBB528_7
; %bb.6:
	s_waitcnt lgkmcnt(2)
	v_add_f64 v[14:15], v[14:15], v[16:17]
	s_waitcnt vmcnt(0)
	v_fma_f64 v[4:5], -v[14:15], v[6:7], v[4:5]
	global_store_dwordx2 v[2:3], v[4:5], off
.LBB528_7:
	s_or_b64 exec, exec, s[0:1]
	v_cmp_ne_u32_e64 s[0:1], 1, v18
	s_and_b64 exec, exec, s[0:1]
	s_cbranch_execz .LBB528_10
; %bb.8:
	s_and_b64 exec, exec, vcc
	s_cbranch_execz .LBB528_10
; %bb.9:
	s_mov_b32 s11, 0
	s_waitcnt lgkmcnt(0)
	v_add_f64 v[4:5], v[10:11], v[12:13]
	s_lshl_b64 s[0:1], s[10:11], 3
	s_waitcnt vmcnt(0)
	v_fma_f64 v[0:1], -v[4:5], v[8:9], v[0:1]
	v_mov_b32_e32 v4, s1
	v_add_co_u32_e32 v2, vcc, s0, v2
	v_addc_co_u32_e32 v3, vcc, v3, v4, vcc
	global_store_dwordx2 v[2:3], v[0:1], off
.LBB528_10:
	s_endpgm
	.section	.rodata,"a",@progbits
	.p2align	6, 0x0
	.amdhsa_kernel _ZN12_GLOBAL__N_121softmax_warp_backwardIdddLi3ELb0ELb0ELi64EEEvPT0_PKT_S5_iiiPKb
		.amdhsa_group_segment_fixed_size 0
		.amdhsa_private_segment_fixed_size 0
		.amdhsa_kernarg_size 304
		.amdhsa_user_sgpr_count 6
		.amdhsa_user_sgpr_private_segment_buffer 1
		.amdhsa_user_sgpr_dispatch_ptr 0
		.amdhsa_user_sgpr_queue_ptr 0
		.amdhsa_user_sgpr_kernarg_segment_ptr 1
		.amdhsa_user_sgpr_dispatch_id 0
		.amdhsa_user_sgpr_flat_scratch_init 0
		.amdhsa_user_sgpr_kernarg_preload_length 0
		.amdhsa_user_sgpr_kernarg_preload_offset 0
		.amdhsa_user_sgpr_private_segment_size 0
		.amdhsa_uses_dynamic_stack 0
		.amdhsa_system_sgpr_private_segment_wavefront_offset 0
		.amdhsa_system_sgpr_workgroup_id_x 1
		.amdhsa_system_sgpr_workgroup_id_y 0
		.amdhsa_system_sgpr_workgroup_id_z 0
		.amdhsa_system_sgpr_workgroup_info 0
		.amdhsa_system_vgpr_workitem_id 1
		.amdhsa_next_free_vgpr 21
		.amdhsa_next_free_sgpr 16
		.amdhsa_accum_offset 24
		.amdhsa_reserve_vcc 1
		.amdhsa_reserve_flat_scratch 0
		.amdhsa_float_round_mode_32 0
		.amdhsa_float_round_mode_16_64 0
		.amdhsa_float_denorm_mode_32 3
		.amdhsa_float_denorm_mode_16_64 3
		.amdhsa_dx10_clamp 1
		.amdhsa_ieee_mode 1
		.amdhsa_fp16_overflow 0
		.amdhsa_tg_split 0
		.amdhsa_exception_fp_ieee_invalid_op 0
		.amdhsa_exception_fp_denorm_src 0
		.amdhsa_exception_fp_ieee_div_zero 0
		.amdhsa_exception_fp_ieee_overflow 0
		.amdhsa_exception_fp_ieee_underflow 0
		.amdhsa_exception_fp_ieee_inexact 0
		.amdhsa_exception_int_div_zero 0
	.end_amdhsa_kernel
	.section	.text._ZN12_GLOBAL__N_121softmax_warp_backwardIdddLi3ELb0ELb0ELi64EEEvPT0_PKT_S5_iiiPKb,"axG",@progbits,_ZN12_GLOBAL__N_121softmax_warp_backwardIdddLi3ELb0ELb0ELi64EEEvPT0_PKT_S5_iiiPKb,comdat
.Lfunc_end528:
	.size	_ZN12_GLOBAL__N_121softmax_warp_backwardIdddLi3ELb0ELb0ELi64EEEvPT0_PKT_S5_iiiPKb, .Lfunc_end528-_ZN12_GLOBAL__N_121softmax_warp_backwardIdddLi3ELb0ELb0ELi64EEEvPT0_PKT_S5_iiiPKb
                                        ; -- End function
	.section	.AMDGPU.csdata,"",@progbits
; Kernel info:
; codeLenInByte = 692
; NumSgprs: 20
; NumVgprs: 21
; NumAgprs: 0
; TotalNumVgprs: 21
; ScratchSize: 0
; MemoryBound: 0
; FloatMode: 240
; IeeeMode: 1
; LDSByteSize: 0 bytes/workgroup (compile time only)
; SGPRBlocks: 2
; VGPRBlocks: 2
; NumSGPRsForWavesPerEU: 20
; NumVGPRsForWavesPerEU: 21
; AccumOffset: 24
; Occupancy: 8
; WaveLimiterHint : 0
; COMPUTE_PGM_RSRC2:SCRATCH_EN: 0
; COMPUTE_PGM_RSRC2:USER_SGPR: 6
; COMPUTE_PGM_RSRC2:TRAP_HANDLER: 0
; COMPUTE_PGM_RSRC2:TGID_X_EN: 1
; COMPUTE_PGM_RSRC2:TGID_Y_EN: 0
; COMPUTE_PGM_RSRC2:TGID_Z_EN: 0
; COMPUTE_PGM_RSRC2:TIDIG_COMP_CNT: 1
; COMPUTE_PGM_RSRC3_GFX90A:ACCUM_OFFSET: 5
; COMPUTE_PGM_RSRC3_GFX90A:TG_SPLIT: 0
	.section	.text._ZN12_GLOBAL__N_121softmax_warp_backwardIdddLi3ELb0ELb0ELi32EEEvPT0_PKT_S5_iiiPKb,"axG",@progbits,_ZN12_GLOBAL__N_121softmax_warp_backwardIdddLi3ELb0ELb0ELi32EEEvPT0_PKT_S5_iiiPKb,comdat
	.globl	_ZN12_GLOBAL__N_121softmax_warp_backwardIdddLi3ELb0ELb0ELi32EEEvPT0_PKT_S5_iiiPKb ; -- Begin function _ZN12_GLOBAL__N_121softmax_warp_backwardIdddLi3ELb0ELb0ELi32EEEvPT0_PKT_S5_iiiPKb
	.p2align	8
	.type	_ZN12_GLOBAL__N_121softmax_warp_backwardIdddLi3ELb0ELb0ELi32EEEvPT0_PKT_S5_iiiPKb,@function
_ZN12_GLOBAL__N_121softmax_warp_backwardIdddLi3ELb0ELb0ELi32EEEvPT0_PKT_S5_iiiPKb: ; @_ZN12_GLOBAL__N_121softmax_warp_backwardIdddLi3ELb0ELb0ELi32EEEvPT0_PKT_S5_iiiPKb
; %bb.0:
	s_load_dword s2, s[4:5], 0x3c
	s_load_dwordx4 s[8:11], s[4:5], 0x18
	s_load_dwordx4 s[12:15], s[4:5], 0x0
	s_load_dwordx2 s[0:1], s[4:5], 0x10
	v_bfe_u32 v1, v0, 10, 10
	s_waitcnt lgkmcnt(0)
	s_lshr_b32 s2, s2, 16
	s_mul_i32 s6, s6, s2
	v_add_lshl_u32 v1, s6, v1, 1
	v_and_b32_e32 v0, 7, v0
	v_mad_u64_u32 v[2:3], s[2:3], v1, s9, v[0:1]
	v_ashrrev_i32_e32 v3, 31, v2
	v_lshlrev_b64 v[2:3], 3, v[2:3]
	v_sub_u32_e32 v18, s8, v1
	v_mov_b32_e32 v1, s15
	v_add_co_u32_e32 v10, vcc, s14, v2
	v_addc_co_u32_e32 v11, vcc, v1, v3, vcc
	v_mov_b32_e32 v1, s1
	v_add_co_u32_e32 v12, vcc, s0, v2
	v_addc_co_u32_e32 v13, vcc, v1, v3, vcc
	v_cmp_gt_i32_e32 vcc, s10, v0
	v_cmp_lt_i32_e64 s[0:1], 0, v18
	v_pk_mov_b32 v[0:1], 0, 0
	s_and_b64 s[4:5], vcc, s[0:1]
	v_pk_mov_b32 v[4:5], v[0:1], v[0:1] op_sel:[0,1]
	v_pk_mov_b32 v[6:7], v[0:1], v[0:1] op_sel:[0,1]
	s_and_saveexec_b64 s[2:3], s[4:5]
	s_cbranch_execz .LBB529_2
; %bb.1:
	global_load_dwordx2 v[4:5], v[10:11], off
	global_load_dwordx2 v[6:7], v[12:13], off
.LBB529_2:
	s_or_b64 exec, exec, s[2:3]
	v_cmp_lt_i32_e64 s[2:3], 1, v18
	s_and_b64 s[2:3], vcc, s[2:3]
	v_pk_mov_b32 v[8:9], v[0:1], v[0:1] op_sel:[0,1]
	s_and_saveexec_b64 s[4:5], s[2:3]
	s_cbranch_execz .LBB529_4
; %bb.3:
	s_mov_b32 s11, 0
	s_lshl_b64 s[6:7], s[10:11], 3
	v_mov_b32_e32 v9, s7
	v_add_co_u32_e64 v0, s[2:3], s6, v10
	v_addc_co_u32_e64 v1, s[2:3], v11, v9, s[2:3]
	v_add_co_u32_e64 v8, s[2:3], s6, v12
	v_addc_co_u32_e64 v9, s[2:3], v13, v9, s[2:3]
	global_load_dwordx2 v[0:1], v[0:1], off
	s_nop 0
	global_load_dwordx2 v[8:9], v[8:9], off
.LBB529_4:
	s_or_b64 exec, exec, s[4:5]
	v_mbcnt_lo_u32_b32 v14, -1, 0
	v_mbcnt_hi_u32_b32 v19, -1, v14
	v_and_b32_e32 v14, 0x78, v19
	v_add_u32_e32 v20, 8, v14
	v_xor_b32_e32 v14, 4, v19
	v_cmp_lt_i32_e64 s[2:3], v14, v20
	v_cndmask_b32_e64 v14, v19, v14, s[2:3]
	s_waitcnt vmcnt(1)
	v_add_f64 v[10:11], v[4:5], 0
	v_lshlrev_b32_e32 v17, 2, v14
	ds_bpermute_b32 v14, v17, v10
	ds_bpermute_b32 v15, v17, v11
	v_add_f64 v[12:13], v[0:1], 0
	ds_bpermute_b32 v16, v17, v12
	ds_bpermute_b32 v17, v17, v13
	s_waitcnt lgkmcnt(2)
	v_add_f64 v[10:11], v[10:11], v[14:15]
	v_xor_b32_e32 v14, 2, v19
	v_cmp_lt_i32_e64 s[2:3], v14, v20
	v_cndmask_b32_e64 v14, v19, v14, s[2:3]
	s_waitcnt lgkmcnt(0)
	v_add_f64 v[12:13], v[12:13], v[16:17]
	v_lshlrev_b32_e32 v17, 2, v14
	ds_bpermute_b32 v14, v17, v10
	ds_bpermute_b32 v15, v17, v11
	;; [unrolled: 1-line block ×4, first 2 shown]
	s_waitcnt lgkmcnt(2)
	v_add_f64 v[14:15], v[10:11], v[14:15]
	s_waitcnt lgkmcnt(0)
	v_add_f64 v[10:11], v[12:13], v[16:17]
	v_xor_b32_e32 v12, 1, v19
	v_cmp_lt_i32_e64 s[2:3], v12, v20
	v_cndmask_b32_e64 v12, v19, v12, s[2:3]
	v_lshlrev_b32_e32 v13, 2, v12
	ds_bpermute_b32 v16, v13, v14
	ds_bpermute_b32 v17, v13, v15
	;; [unrolled: 1-line block ×4, first 2 shown]
	s_and_saveexec_b64 s[2:3], s[0:1]
	s_cbranch_execz .LBB529_10
; %bb.5:
	v_mov_b32_e32 v19, s13
	v_add_co_u32_e64 v2, s[0:1], s12, v2
	v_addc_co_u32_e64 v3, s[0:1], v19, v3, s[0:1]
	s_and_saveexec_b64 s[0:1], vcc
	s_cbranch_execz .LBB529_7
; %bb.6:
	s_waitcnt lgkmcnt(2)
	v_add_f64 v[14:15], v[14:15], v[16:17]
	s_waitcnt vmcnt(0)
	v_fma_f64 v[4:5], -v[14:15], v[6:7], v[4:5]
	global_store_dwordx2 v[2:3], v[4:5], off
.LBB529_7:
	s_or_b64 exec, exec, s[0:1]
	v_cmp_ne_u32_e64 s[0:1], 1, v18
	s_and_b64 exec, exec, s[0:1]
	s_cbranch_execz .LBB529_10
; %bb.8:
	s_and_b64 exec, exec, vcc
	s_cbranch_execz .LBB529_10
; %bb.9:
	s_mov_b32 s11, 0
	s_waitcnt lgkmcnt(0)
	v_add_f64 v[4:5], v[10:11], v[12:13]
	s_lshl_b64 s[0:1], s[10:11], 3
	s_waitcnt vmcnt(0)
	v_fma_f64 v[0:1], -v[4:5], v[8:9], v[0:1]
	v_mov_b32_e32 v4, s1
	v_add_co_u32_e32 v2, vcc, s0, v2
	v_addc_co_u32_e32 v3, vcc, v3, v4, vcc
	global_store_dwordx2 v[2:3], v[0:1], off
.LBB529_10:
	s_endpgm
	.section	.rodata,"a",@progbits
	.p2align	6, 0x0
	.amdhsa_kernel _ZN12_GLOBAL__N_121softmax_warp_backwardIdddLi3ELb0ELb0ELi32EEEvPT0_PKT_S5_iiiPKb
		.amdhsa_group_segment_fixed_size 0
		.amdhsa_private_segment_fixed_size 0
		.amdhsa_kernarg_size 304
		.amdhsa_user_sgpr_count 6
		.amdhsa_user_sgpr_private_segment_buffer 1
		.amdhsa_user_sgpr_dispatch_ptr 0
		.amdhsa_user_sgpr_queue_ptr 0
		.amdhsa_user_sgpr_kernarg_segment_ptr 1
		.amdhsa_user_sgpr_dispatch_id 0
		.amdhsa_user_sgpr_flat_scratch_init 0
		.amdhsa_user_sgpr_kernarg_preload_length 0
		.amdhsa_user_sgpr_kernarg_preload_offset 0
		.amdhsa_user_sgpr_private_segment_size 0
		.amdhsa_uses_dynamic_stack 0
		.amdhsa_system_sgpr_private_segment_wavefront_offset 0
		.amdhsa_system_sgpr_workgroup_id_x 1
		.amdhsa_system_sgpr_workgroup_id_y 0
		.amdhsa_system_sgpr_workgroup_id_z 0
		.amdhsa_system_sgpr_workgroup_info 0
		.amdhsa_system_vgpr_workitem_id 1
		.amdhsa_next_free_vgpr 21
		.amdhsa_next_free_sgpr 16
		.amdhsa_accum_offset 24
		.amdhsa_reserve_vcc 1
		.amdhsa_reserve_flat_scratch 0
		.amdhsa_float_round_mode_32 0
		.amdhsa_float_round_mode_16_64 0
		.amdhsa_float_denorm_mode_32 3
		.amdhsa_float_denorm_mode_16_64 3
		.amdhsa_dx10_clamp 1
		.amdhsa_ieee_mode 1
		.amdhsa_fp16_overflow 0
		.amdhsa_tg_split 0
		.amdhsa_exception_fp_ieee_invalid_op 0
		.amdhsa_exception_fp_denorm_src 0
		.amdhsa_exception_fp_ieee_div_zero 0
		.amdhsa_exception_fp_ieee_overflow 0
		.amdhsa_exception_fp_ieee_underflow 0
		.amdhsa_exception_fp_ieee_inexact 0
		.amdhsa_exception_int_div_zero 0
	.end_amdhsa_kernel
	.section	.text._ZN12_GLOBAL__N_121softmax_warp_backwardIdddLi3ELb0ELb0ELi32EEEvPT0_PKT_S5_iiiPKb,"axG",@progbits,_ZN12_GLOBAL__N_121softmax_warp_backwardIdddLi3ELb0ELb0ELi32EEEvPT0_PKT_S5_iiiPKb,comdat
.Lfunc_end529:
	.size	_ZN12_GLOBAL__N_121softmax_warp_backwardIdddLi3ELb0ELb0ELi32EEEvPT0_PKT_S5_iiiPKb, .Lfunc_end529-_ZN12_GLOBAL__N_121softmax_warp_backwardIdddLi3ELb0ELb0ELi32EEEvPT0_PKT_S5_iiiPKb
                                        ; -- End function
	.section	.AMDGPU.csdata,"",@progbits
; Kernel info:
; codeLenInByte = 692
; NumSgprs: 20
; NumVgprs: 21
; NumAgprs: 0
; TotalNumVgprs: 21
; ScratchSize: 0
; MemoryBound: 0
; FloatMode: 240
; IeeeMode: 1
; LDSByteSize: 0 bytes/workgroup (compile time only)
; SGPRBlocks: 2
; VGPRBlocks: 2
; NumSGPRsForWavesPerEU: 20
; NumVGPRsForWavesPerEU: 21
; AccumOffset: 24
; Occupancy: 8
; WaveLimiterHint : 0
; COMPUTE_PGM_RSRC2:SCRATCH_EN: 0
; COMPUTE_PGM_RSRC2:USER_SGPR: 6
; COMPUTE_PGM_RSRC2:TRAP_HANDLER: 0
; COMPUTE_PGM_RSRC2:TGID_X_EN: 1
; COMPUTE_PGM_RSRC2:TGID_Y_EN: 0
; COMPUTE_PGM_RSRC2:TGID_Z_EN: 0
; COMPUTE_PGM_RSRC2:TIDIG_COMP_CNT: 1
; COMPUTE_PGM_RSRC3_GFX90A:ACCUM_OFFSET: 5
; COMPUTE_PGM_RSRC3_GFX90A:TG_SPLIT: 0
	.section	.text._ZN12_GLOBAL__N_121softmax_warp_backwardIdddLi4ELb0ELb0ELi64EEEvPT0_PKT_S5_iiiPKb,"axG",@progbits,_ZN12_GLOBAL__N_121softmax_warp_backwardIdddLi4ELb0ELb0ELi64EEEvPT0_PKT_S5_iiiPKb,comdat
	.globl	_ZN12_GLOBAL__N_121softmax_warp_backwardIdddLi4ELb0ELb0ELi64EEEvPT0_PKT_S5_iiiPKb ; -- Begin function _ZN12_GLOBAL__N_121softmax_warp_backwardIdddLi4ELb0ELb0ELi64EEEvPT0_PKT_S5_iiiPKb
	.p2align	8
	.type	_ZN12_GLOBAL__N_121softmax_warp_backwardIdddLi4ELb0ELb0ELi64EEEvPT0_PKT_S5_iiiPKb,@function
_ZN12_GLOBAL__N_121softmax_warp_backwardIdddLi4ELb0ELb0ELi64EEEvPT0_PKT_S5_iiiPKb: ; @_ZN12_GLOBAL__N_121softmax_warp_backwardIdddLi4ELb0ELb0ELi64EEEvPT0_PKT_S5_iiiPKb
; %bb.0:
	s_load_dword s2, s[4:5], 0x3c
	s_load_dwordx4 s[8:11], s[4:5], 0x18
	s_load_dwordx4 s[12:15], s[4:5], 0x0
	s_load_dwordx2 s[0:1], s[4:5], 0x10
	v_bfe_u32 v1, v0, 10, 10
	s_waitcnt lgkmcnt(0)
	s_lshr_b32 s2, s2, 16
	s_mul_i32 s6, s6, s2
	v_add_lshl_u32 v1, s6, v1, 1
	v_and_b32_e32 v0, 15, v0
	v_mad_u64_u32 v[2:3], s[2:3], v1, s9, v[0:1]
	v_ashrrev_i32_e32 v3, 31, v2
	v_lshlrev_b64 v[2:3], 3, v[2:3]
	v_sub_u32_e32 v18, s8, v1
	v_mov_b32_e32 v1, s15
	v_add_co_u32_e32 v10, vcc, s14, v2
	v_addc_co_u32_e32 v11, vcc, v1, v3, vcc
	v_mov_b32_e32 v1, s1
	v_add_co_u32_e32 v12, vcc, s0, v2
	v_addc_co_u32_e32 v13, vcc, v1, v3, vcc
	v_cmp_gt_i32_e32 vcc, s10, v0
	v_cmp_lt_i32_e64 s[0:1], 0, v18
	v_pk_mov_b32 v[0:1], 0, 0
	s_and_b64 s[4:5], vcc, s[0:1]
	v_pk_mov_b32 v[4:5], v[0:1], v[0:1] op_sel:[0,1]
	v_pk_mov_b32 v[6:7], v[0:1], v[0:1] op_sel:[0,1]
	s_and_saveexec_b64 s[2:3], s[4:5]
	s_cbranch_execz .LBB530_2
; %bb.1:
	global_load_dwordx2 v[4:5], v[10:11], off
	global_load_dwordx2 v[6:7], v[12:13], off
.LBB530_2:
	s_or_b64 exec, exec, s[2:3]
	v_cmp_lt_i32_e64 s[2:3], 1, v18
	s_and_b64 s[2:3], vcc, s[2:3]
	v_pk_mov_b32 v[8:9], v[0:1], v[0:1] op_sel:[0,1]
	s_and_saveexec_b64 s[4:5], s[2:3]
	s_cbranch_execz .LBB530_4
; %bb.3:
	s_mov_b32 s11, 0
	s_lshl_b64 s[6:7], s[10:11], 3
	v_mov_b32_e32 v9, s7
	v_add_co_u32_e64 v0, s[2:3], s6, v10
	v_addc_co_u32_e64 v1, s[2:3], v11, v9, s[2:3]
	v_add_co_u32_e64 v8, s[2:3], s6, v12
	v_addc_co_u32_e64 v9, s[2:3], v13, v9, s[2:3]
	global_load_dwordx2 v[0:1], v[0:1], off
	s_nop 0
	global_load_dwordx2 v[8:9], v[8:9], off
.LBB530_4:
	s_or_b64 exec, exec, s[4:5]
	v_mbcnt_lo_u32_b32 v14, -1, 0
	v_mbcnt_hi_u32_b32 v19, -1, v14
	v_and_b32_e32 v14, 0x70, v19
	v_add_u32_e32 v20, 16, v14
	v_xor_b32_e32 v14, 8, v19
	v_cmp_lt_i32_e64 s[2:3], v14, v20
	v_cndmask_b32_e64 v14, v19, v14, s[2:3]
	s_waitcnt vmcnt(1)
	v_add_f64 v[10:11], v[4:5], 0
	v_lshlrev_b32_e32 v17, 2, v14
	ds_bpermute_b32 v14, v17, v10
	ds_bpermute_b32 v15, v17, v11
	v_add_f64 v[12:13], v[0:1], 0
	ds_bpermute_b32 v16, v17, v12
	ds_bpermute_b32 v17, v17, v13
	s_waitcnt lgkmcnt(2)
	v_add_f64 v[10:11], v[10:11], v[14:15]
	v_xor_b32_e32 v14, 4, v19
	v_cmp_lt_i32_e64 s[2:3], v14, v20
	v_cndmask_b32_e64 v14, v19, v14, s[2:3]
	s_waitcnt lgkmcnt(0)
	v_add_f64 v[12:13], v[12:13], v[16:17]
	v_lshlrev_b32_e32 v17, 2, v14
	ds_bpermute_b32 v14, v17, v10
	ds_bpermute_b32 v15, v17, v11
	ds_bpermute_b32 v16, v17, v12
	ds_bpermute_b32 v17, v17, v13
	s_waitcnt lgkmcnt(2)
	v_add_f64 v[10:11], v[10:11], v[14:15]
	v_xor_b32_e32 v14, 2, v19
	v_cmp_lt_i32_e64 s[2:3], v14, v20
	v_cndmask_b32_e64 v14, v19, v14, s[2:3]
	s_waitcnt lgkmcnt(0)
	v_add_f64 v[12:13], v[12:13], v[16:17]
	v_lshlrev_b32_e32 v17, 2, v14
	ds_bpermute_b32 v14, v17, v10
	ds_bpermute_b32 v15, v17, v11
	;; [unrolled: 1-line block ×4, first 2 shown]
	s_waitcnt lgkmcnt(2)
	v_add_f64 v[14:15], v[10:11], v[14:15]
	s_waitcnt lgkmcnt(0)
	v_add_f64 v[10:11], v[12:13], v[16:17]
	v_xor_b32_e32 v12, 1, v19
	v_cmp_lt_i32_e64 s[2:3], v12, v20
	v_cndmask_b32_e64 v12, v19, v12, s[2:3]
	v_lshlrev_b32_e32 v13, 2, v12
	ds_bpermute_b32 v16, v13, v14
	ds_bpermute_b32 v17, v13, v15
	;; [unrolled: 1-line block ×4, first 2 shown]
	s_and_saveexec_b64 s[2:3], s[0:1]
	s_cbranch_execz .LBB530_10
; %bb.5:
	v_mov_b32_e32 v19, s13
	v_add_co_u32_e64 v2, s[0:1], s12, v2
	v_addc_co_u32_e64 v3, s[0:1], v19, v3, s[0:1]
	s_and_saveexec_b64 s[0:1], vcc
	s_cbranch_execz .LBB530_7
; %bb.6:
	s_waitcnt lgkmcnt(2)
	v_add_f64 v[14:15], v[14:15], v[16:17]
	s_waitcnt vmcnt(0)
	v_fma_f64 v[4:5], -v[14:15], v[6:7], v[4:5]
	global_store_dwordx2 v[2:3], v[4:5], off
.LBB530_7:
	s_or_b64 exec, exec, s[0:1]
	v_cmp_ne_u32_e64 s[0:1], 1, v18
	s_and_b64 exec, exec, s[0:1]
	s_cbranch_execz .LBB530_10
; %bb.8:
	s_and_b64 exec, exec, vcc
	s_cbranch_execz .LBB530_10
; %bb.9:
	s_mov_b32 s11, 0
	s_waitcnt lgkmcnt(0)
	v_add_f64 v[4:5], v[10:11], v[12:13]
	s_lshl_b64 s[0:1], s[10:11], 3
	s_waitcnt vmcnt(0)
	v_fma_f64 v[0:1], -v[4:5], v[8:9], v[0:1]
	v_mov_b32_e32 v4, s1
	v_add_co_u32_e32 v2, vcc, s0, v2
	v_addc_co_u32_e32 v3, vcc, v3, v4, vcc
	global_store_dwordx2 v[2:3], v[0:1], off
.LBB530_10:
	s_endpgm
	.section	.rodata,"a",@progbits
	.p2align	6, 0x0
	.amdhsa_kernel _ZN12_GLOBAL__N_121softmax_warp_backwardIdddLi4ELb0ELb0ELi64EEEvPT0_PKT_S5_iiiPKb
		.amdhsa_group_segment_fixed_size 0
		.amdhsa_private_segment_fixed_size 0
		.amdhsa_kernarg_size 304
		.amdhsa_user_sgpr_count 6
		.amdhsa_user_sgpr_private_segment_buffer 1
		.amdhsa_user_sgpr_dispatch_ptr 0
		.amdhsa_user_sgpr_queue_ptr 0
		.amdhsa_user_sgpr_kernarg_segment_ptr 1
		.amdhsa_user_sgpr_dispatch_id 0
		.amdhsa_user_sgpr_flat_scratch_init 0
		.amdhsa_user_sgpr_kernarg_preload_length 0
		.amdhsa_user_sgpr_kernarg_preload_offset 0
		.amdhsa_user_sgpr_private_segment_size 0
		.amdhsa_uses_dynamic_stack 0
		.amdhsa_system_sgpr_private_segment_wavefront_offset 0
		.amdhsa_system_sgpr_workgroup_id_x 1
		.amdhsa_system_sgpr_workgroup_id_y 0
		.amdhsa_system_sgpr_workgroup_id_z 0
		.amdhsa_system_sgpr_workgroup_info 0
		.amdhsa_system_vgpr_workitem_id 1
		.amdhsa_next_free_vgpr 21
		.amdhsa_next_free_sgpr 16
		.amdhsa_accum_offset 24
		.amdhsa_reserve_vcc 1
		.amdhsa_reserve_flat_scratch 0
		.amdhsa_float_round_mode_32 0
		.amdhsa_float_round_mode_16_64 0
		.amdhsa_float_denorm_mode_32 3
		.amdhsa_float_denorm_mode_16_64 3
		.amdhsa_dx10_clamp 1
		.amdhsa_ieee_mode 1
		.amdhsa_fp16_overflow 0
		.amdhsa_tg_split 0
		.amdhsa_exception_fp_ieee_invalid_op 0
		.amdhsa_exception_fp_denorm_src 0
		.amdhsa_exception_fp_ieee_div_zero 0
		.amdhsa_exception_fp_ieee_overflow 0
		.amdhsa_exception_fp_ieee_underflow 0
		.amdhsa_exception_fp_ieee_inexact 0
		.amdhsa_exception_int_div_zero 0
	.end_amdhsa_kernel
	.section	.text._ZN12_GLOBAL__N_121softmax_warp_backwardIdddLi4ELb0ELb0ELi64EEEvPT0_PKT_S5_iiiPKb,"axG",@progbits,_ZN12_GLOBAL__N_121softmax_warp_backwardIdddLi4ELb0ELb0ELi64EEEvPT0_PKT_S5_iiiPKb,comdat
.Lfunc_end530:
	.size	_ZN12_GLOBAL__N_121softmax_warp_backwardIdddLi4ELb0ELb0ELi64EEEvPT0_PKT_S5_iiiPKb, .Lfunc_end530-_ZN12_GLOBAL__N_121softmax_warp_backwardIdddLi4ELb0ELb0ELi64EEEvPT0_PKT_S5_iiiPKb
                                        ; -- End function
	.section	.AMDGPU.csdata,"",@progbits
; Kernel info:
; codeLenInByte = 772
; NumSgprs: 20
; NumVgprs: 21
; NumAgprs: 0
; TotalNumVgprs: 21
; ScratchSize: 0
; MemoryBound: 0
; FloatMode: 240
; IeeeMode: 1
; LDSByteSize: 0 bytes/workgroup (compile time only)
; SGPRBlocks: 2
; VGPRBlocks: 2
; NumSGPRsForWavesPerEU: 20
; NumVGPRsForWavesPerEU: 21
; AccumOffset: 24
; Occupancy: 8
; WaveLimiterHint : 0
; COMPUTE_PGM_RSRC2:SCRATCH_EN: 0
; COMPUTE_PGM_RSRC2:USER_SGPR: 6
; COMPUTE_PGM_RSRC2:TRAP_HANDLER: 0
; COMPUTE_PGM_RSRC2:TGID_X_EN: 1
; COMPUTE_PGM_RSRC2:TGID_Y_EN: 0
; COMPUTE_PGM_RSRC2:TGID_Z_EN: 0
; COMPUTE_PGM_RSRC2:TIDIG_COMP_CNT: 1
; COMPUTE_PGM_RSRC3_GFX90A:ACCUM_OFFSET: 5
; COMPUTE_PGM_RSRC3_GFX90A:TG_SPLIT: 0
	.section	.text._ZN12_GLOBAL__N_121softmax_warp_backwardIdddLi4ELb0ELb0ELi32EEEvPT0_PKT_S5_iiiPKb,"axG",@progbits,_ZN12_GLOBAL__N_121softmax_warp_backwardIdddLi4ELb0ELb0ELi32EEEvPT0_PKT_S5_iiiPKb,comdat
	.globl	_ZN12_GLOBAL__N_121softmax_warp_backwardIdddLi4ELb0ELb0ELi32EEEvPT0_PKT_S5_iiiPKb ; -- Begin function _ZN12_GLOBAL__N_121softmax_warp_backwardIdddLi4ELb0ELb0ELi32EEEvPT0_PKT_S5_iiiPKb
	.p2align	8
	.type	_ZN12_GLOBAL__N_121softmax_warp_backwardIdddLi4ELb0ELb0ELi32EEEvPT0_PKT_S5_iiiPKb,@function
_ZN12_GLOBAL__N_121softmax_warp_backwardIdddLi4ELb0ELb0ELi32EEEvPT0_PKT_S5_iiiPKb: ; @_ZN12_GLOBAL__N_121softmax_warp_backwardIdddLi4ELb0ELb0ELi32EEEvPT0_PKT_S5_iiiPKb
; %bb.0:
	s_load_dword s2, s[4:5], 0x3c
	s_load_dwordx4 s[8:11], s[4:5], 0x18
	s_load_dwordx4 s[12:15], s[4:5], 0x0
	s_load_dwordx2 s[0:1], s[4:5], 0x10
	v_bfe_u32 v1, v0, 10, 10
	s_waitcnt lgkmcnt(0)
	s_lshr_b32 s2, s2, 16
	s_mul_i32 s6, s6, s2
	v_add_lshl_u32 v1, s6, v1, 1
	v_and_b32_e32 v0, 15, v0
	v_mad_u64_u32 v[2:3], s[2:3], v1, s9, v[0:1]
	v_ashrrev_i32_e32 v3, 31, v2
	v_lshlrev_b64 v[2:3], 3, v[2:3]
	v_sub_u32_e32 v18, s8, v1
	v_mov_b32_e32 v1, s15
	v_add_co_u32_e32 v10, vcc, s14, v2
	v_addc_co_u32_e32 v11, vcc, v1, v3, vcc
	v_mov_b32_e32 v1, s1
	v_add_co_u32_e32 v12, vcc, s0, v2
	v_addc_co_u32_e32 v13, vcc, v1, v3, vcc
	v_cmp_gt_i32_e32 vcc, s10, v0
	v_cmp_lt_i32_e64 s[0:1], 0, v18
	v_pk_mov_b32 v[0:1], 0, 0
	s_and_b64 s[4:5], vcc, s[0:1]
	v_pk_mov_b32 v[4:5], v[0:1], v[0:1] op_sel:[0,1]
	v_pk_mov_b32 v[6:7], v[0:1], v[0:1] op_sel:[0,1]
	s_and_saveexec_b64 s[2:3], s[4:5]
	s_cbranch_execz .LBB531_2
; %bb.1:
	global_load_dwordx2 v[4:5], v[10:11], off
	global_load_dwordx2 v[6:7], v[12:13], off
.LBB531_2:
	s_or_b64 exec, exec, s[2:3]
	v_cmp_lt_i32_e64 s[2:3], 1, v18
	s_and_b64 s[2:3], vcc, s[2:3]
	v_pk_mov_b32 v[8:9], v[0:1], v[0:1] op_sel:[0,1]
	s_and_saveexec_b64 s[4:5], s[2:3]
	s_cbranch_execz .LBB531_4
; %bb.3:
	s_mov_b32 s11, 0
	s_lshl_b64 s[6:7], s[10:11], 3
	v_mov_b32_e32 v9, s7
	v_add_co_u32_e64 v0, s[2:3], s6, v10
	v_addc_co_u32_e64 v1, s[2:3], v11, v9, s[2:3]
	v_add_co_u32_e64 v8, s[2:3], s6, v12
	v_addc_co_u32_e64 v9, s[2:3], v13, v9, s[2:3]
	global_load_dwordx2 v[0:1], v[0:1], off
	s_nop 0
	global_load_dwordx2 v[8:9], v[8:9], off
.LBB531_4:
	s_or_b64 exec, exec, s[4:5]
	v_mbcnt_lo_u32_b32 v14, -1, 0
	v_mbcnt_hi_u32_b32 v19, -1, v14
	v_and_b32_e32 v14, 0x70, v19
	v_add_u32_e32 v20, 16, v14
	v_xor_b32_e32 v14, 8, v19
	v_cmp_lt_i32_e64 s[2:3], v14, v20
	v_cndmask_b32_e64 v14, v19, v14, s[2:3]
	s_waitcnt vmcnt(1)
	v_add_f64 v[10:11], v[4:5], 0
	v_lshlrev_b32_e32 v17, 2, v14
	ds_bpermute_b32 v14, v17, v10
	ds_bpermute_b32 v15, v17, v11
	v_add_f64 v[12:13], v[0:1], 0
	ds_bpermute_b32 v16, v17, v12
	ds_bpermute_b32 v17, v17, v13
	s_waitcnt lgkmcnt(2)
	v_add_f64 v[10:11], v[10:11], v[14:15]
	v_xor_b32_e32 v14, 4, v19
	v_cmp_lt_i32_e64 s[2:3], v14, v20
	v_cndmask_b32_e64 v14, v19, v14, s[2:3]
	s_waitcnt lgkmcnt(0)
	v_add_f64 v[12:13], v[12:13], v[16:17]
	v_lshlrev_b32_e32 v17, 2, v14
	ds_bpermute_b32 v14, v17, v10
	ds_bpermute_b32 v15, v17, v11
	;; [unrolled: 1-line block ×4, first 2 shown]
	s_waitcnt lgkmcnt(2)
	v_add_f64 v[10:11], v[10:11], v[14:15]
	v_xor_b32_e32 v14, 2, v19
	v_cmp_lt_i32_e64 s[2:3], v14, v20
	v_cndmask_b32_e64 v14, v19, v14, s[2:3]
	s_waitcnt lgkmcnt(0)
	v_add_f64 v[12:13], v[12:13], v[16:17]
	v_lshlrev_b32_e32 v17, 2, v14
	ds_bpermute_b32 v14, v17, v10
	ds_bpermute_b32 v15, v17, v11
	;; [unrolled: 1-line block ×4, first 2 shown]
	s_waitcnt lgkmcnt(2)
	v_add_f64 v[14:15], v[10:11], v[14:15]
	s_waitcnt lgkmcnt(0)
	v_add_f64 v[10:11], v[12:13], v[16:17]
	v_xor_b32_e32 v12, 1, v19
	v_cmp_lt_i32_e64 s[2:3], v12, v20
	v_cndmask_b32_e64 v12, v19, v12, s[2:3]
	v_lshlrev_b32_e32 v13, 2, v12
	ds_bpermute_b32 v16, v13, v14
	ds_bpermute_b32 v17, v13, v15
	;; [unrolled: 1-line block ×4, first 2 shown]
	s_and_saveexec_b64 s[2:3], s[0:1]
	s_cbranch_execz .LBB531_10
; %bb.5:
	v_mov_b32_e32 v19, s13
	v_add_co_u32_e64 v2, s[0:1], s12, v2
	v_addc_co_u32_e64 v3, s[0:1], v19, v3, s[0:1]
	s_and_saveexec_b64 s[0:1], vcc
	s_cbranch_execz .LBB531_7
; %bb.6:
	s_waitcnt lgkmcnt(2)
	v_add_f64 v[14:15], v[14:15], v[16:17]
	s_waitcnt vmcnt(0)
	v_fma_f64 v[4:5], -v[14:15], v[6:7], v[4:5]
	global_store_dwordx2 v[2:3], v[4:5], off
.LBB531_7:
	s_or_b64 exec, exec, s[0:1]
	v_cmp_ne_u32_e64 s[0:1], 1, v18
	s_and_b64 exec, exec, s[0:1]
	s_cbranch_execz .LBB531_10
; %bb.8:
	s_and_b64 exec, exec, vcc
	s_cbranch_execz .LBB531_10
; %bb.9:
	s_mov_b32 s11, 0
	s_waitcnt lgkmcnt(0)
	v_add_f64 v[4:5], v[10:11], v[12:13]
	s_lshl_b64 s[0:1], s[10:11], 3
	s_waitcnt vmcnt(0)
	v_fma_f64 v[0:1], -v[4:5], v[8:9], v[0:1]
	v_mov_b32_e32 v4, s1
	v_add_co_u32_e32 v2, vcc, s0, v2
	v_addc_co_u32_e32 v3, vcc, v3, v4, vcc
	global_store_dwordx2 v[2:3], v[0:1], off
.LBB531_10:
	s_endpgm
	.section	.rodata,"a",@progbits
	.p2align	6, 0x0
	.amdhsa_kernel _ZN12_GLOBAL__N_121softmax_warp_backwardIdddLi4ELb0ELb0ELi32EEEvPT0_PKT_S5_iiiPKb
		.amdhsa_group_segment_fixed_size 0
		.amdhsa_private_segment_fixed_size 0
		.amdhsa_kernarg_size 304
		.amdhsa_user_sgpr_count 6
		.amdhsa_user_sgpr_private_segment_buffer 1
		.amdhsa_user_sgpr_dispatch_ptr 0
		.amdhsa_user_sgpr_queue_ptr 0
		.amdhsa_user_sgpr_kernarg_segment_ptr 1
		.amdhsa_user_sgpr_dispatch_id 0
		.amdhsa_user_sgpr_flat_scratch_init 0
		.amdhsa_user_sgpr_kernarg_preload_length 0
		.amdhsa_user_sgpr_kernarg_preload_offset 0
		.amdhsa_user_sgpr_private_segment_size 0
		.amdhsa_uses_dynamic_stack 0
		.amdhsa_system_sgpr_private_segment_wavefront_offset 0
		.amdhsa_system_sgpr_workgroup_id_x 1
		.amdhsa_system_sgpr_workgroup_id_y 0
		.amdhsa_system_sgpr_workgroup_id_z 0
		.amdhsa_system_sgpr_workgroup_info 0
		.amdhsa_system_vgpr_workitem_id 1
		.amdhsa_next_free_vgpr 21
		.amdhsa_next_free_sgpr 16
		.amdhsa_accum_offset 24
		.amdhsa_reserve_vcc 1
		.amdhsa_reserve_flat_scratch 0
		.amdhsa_float_round_mode_32 0
		.amdhsa_float_round_mode_16_64 0
		.amdhsa_float_denorm_mode_32 3
		.amdhsa_float_denorm_mode_16_64 3
		.amdhsa_dx10_clamp 1
		.amdhsa_ieee_mode 1
		.amdhsa_fp16_overflow 0
		.amdhsa_tg_split 0
		.amdhsa_exception_fp_ieee_invalid_op 0
		.amdhsa_exception_fp_denorm_src 0
		.amdhsa_exception_fp_ieee_div_zero 0
		.amdhsa_exception_fp_ieee_overflow 0
		.amdhsa_exception_fp_ieee_underflow 0
		.amdhsa_exception_fp_ieee_inexact 0
		.amdhsa_exception_int_div_zero 0
	.end_amdhsa_kernel
	.section	.text._ZN12_GLOBAL__N_121softmax_warp_backwardIdddLi4ELb0ELb0ELi32EEEvPT0_PKT_S5_iiiPKb,"axG",@progbits,_ZN12_GLOBAL__N_121softmax_warp_backwardIdddLi4ELb0ELb0ELi32EEEvPT0_PKT_S5_iiiPKb,comdat
.Lfunc_end531:
	.size	_ZN12_GLOBAL__N_121softmax_warp_backwardIdddLi4ELb0ELb0ELi32EEEvPT0_PKT_S5_iiiPKb, .Lfunc_end531-_ZN12_GLOBAL__N_121softmax_warp_backwardIdddLi4ELb0ELb0ELi32EEEvPT0_PKT_S5_iiiPKb
                                        ; -- End function
	.section	.AMDGPU.csdata,"",@progbits
; Kernel info:
; codeLenInByte = 772
; NumSgprs: 20
; NumVgprs: 21
; NumAgprs: 0
; TotalNumVgprs: 21
; ScratchSize: 0
; MemoryBound: 0
; FloatMode: 240
; IeeeMode: 1
; LDSByteSize: 0 bytes/workgroup (compile time only)
; SGPRBlocks: 2
; VGPRBlocks: 2
; NumSGPRsForWavesPerEU: 20
; NumVGPRsForWavesPerEU: 21
; AccumOffset: 24
; Occupancy: 8
; WaveLimiterHint : 0
; COMPUTE_PGM_RSRC2:SCRATCH_EN: 0
; COMPUTE_PGM_RSRC2:USER_SGPR: 6
; COMPUTE_PGM_RSRC2:TRAP_HANDLER: 0
; COMPUTE_PGM_RSRC2:TGID_X_EN: 1
; COMPUTE_PGM_RSRC2:TGID_Y_EN: 0
; COMPUTE_PGM_RSRC2:TGID_Z_EN: 0
; COMPUTE_PGM_RSRC2:TIDIG_COMP_CNT: 1
; COMPUTE_PGM_RSRC3_GFX90A:ACCUM_OFFSET: 5
; COMPUTE_PGM_RSRC3_GFX90A:TG_SPLIT: 0
	.section	.text._ZN12_GLOBAL__N_121softmax_warp_backwardIdddLi5ELb0ELb0ELi64EEEvPT0_PKT_S5_iiiPKb,"axG",@progbits,_ZN12_GLOBAL__N_121softmax_warp_backwardIdddLi5ELb0ELb0ELi64EEEvPT0_PKT_S5_iiiPKb,comdat
	.globl	_ZN12_GLOBAL__N_121softmax_warp_backwardIdddLi5ELb0ELb0ELi64EEEvPT0_PKT_S5_iiiPKb ; -- Begin function _ZN12_GLOBAL__N_121softmax_warp_backwardIdddLi5ELb0ELb0ELi64EEEvPT0_PKT_S5_iiiPKb
	.p2align	8
	.type	_ZN12_GLOBAL__N_121softmax_warp_backwardIdddLi5ELb0ELb0ELi64EEEvPT0_PKT_S5_iiiPKb,@function
_ZN12_GLOBAL__N_121softmax_warp_backwardIdddLi5ELb0ELb0ELi64EEEvPT0_PKT_S5_iiiPKb: ; @_ZN12_GLOBAL__N_121softmax_warp_backwardIdddLi5ELb0ELb0ELi64EEEvPT0_PKT_S5_iiiPKb
; %bb.0:
	s_load_dword s2, s[4:5], 0x3c
	s_load_dwordx4 s[8:11], s[4:5], 0x18
	s_load_dwordx4 s[12:15], s[4:5], 0x0
	s_load_dwordx2 s[0:1], s[4:5], 0x10
	v_bfe_u32 v1, v0, 10, 10
	s_waitcnt lgkmcnt(0)
	s_lshr_b32 s2, s2, 16
	s_mul_i32 s6, s6, s2
	v_add_lshl_u32 v1, s6, v1, 1
	v_and_b32_e32 v0, 31, v0
	v_mad_u64_u32 v[2:3], s[2:3], v1, s9, v[0:1]
	v_ashrrev_i32_e32 v3, 31, v2
	v_lshlrev_b64 v[2:3], 3, v[2:3]
	v_sub_u32_e32 v18, s8, v1
	v_mov_b32_e32 v1, s15
	v_add_co_u32_e32 v10, vcc, s14, v2
	v_addc_co_u32_e32 v11, vcc, v1, v3, vcc
	v_mov_b32_e32 v1, s1
	v_add_co_u32_e32 v12, vcc, s0, v2
	v_addc_co_u32_e32 v13, vcc, v1, v3, vcc
	v_cmp_gt_i32_e32 vcc, s10, v0
	v_cmp_lt_i32_e64 s[0:1], 0, v18
	v_pk_mov_b32 v[0:1], 0, 0
	s_and_b64 s[4:5], vcc, s[0:1]
	v_pk_mov_b32 v[4:5], v[0:1], v[0:1] op_sel:[0,1]
	v_pk_mov_b32 v[6:7], v[0:1], v[0:1] op_sel:[0,1]
	s_and_saveexec_b64 s[2:3], s[4:5]
	s_cbranch_execz .LBB532_2
; %bb.1:
	global_load_dwordx2 v[4:5], v[10:11], off
	global_load_dwordx2 v[6:7], v[12:13], off
.LBB532_2:
	s_or_b64 exec, exec, s[2:3]
	v_cmp_lt_i32_e64 s[2:3], 1, v18
	s_and_b64 s[2:3], vcc, s[2:3]
	v_pk_mov_b32 v[8:9], v[0:1], v[0:1] op_sel:[0,1]
	s_and_saveexec_b64 s[4:5], s[2:3]
	s_cbranch_execz .LBB532_4
; %bb.3:
	s_mov_b32 s11, 0
	s_lshl_b64 s[6:7], s[10:11], 3
	v_mov_b32_e32 v9, s7
	v_add_co_u32_e64 v0, s[2:3], s6, v10
	v_addc_co_u32_e64 v1, s[2:3], v11, v9, s[2:3]
	v_add_co_u32_e64 v8, s[2:3], s6, v12
	v_addc_co_u32_e64 v9, s[2:3], v13, v9, s[2:3]
	global_load_dwordx2 v[0:1], v[0:1], off
	s_nop 0
	global_load_dwordx2 v[8:9], v[8:9], off
.LBB532_4:
	s_or_b64 exec, exec, s[4:5]
	v_mbcnt_lo_u32_b32 v14, -1, 0
	v_mbcnt_hi_u32_b32 v19, -1, v14
	v_and_b32_e32 v14, 0x60, v19
	v_add_u32_e32 v20, 32, v14
	v_xor_b32_e32 v14, 16, v19
	v_cmp_lt_i32_e64 s[2:3], v14, v20
	v_cndmask_b32_e64 v14, v19, v14, s[2:3]
	s_waitcnt vmcnt(1)
	v_add_f64 v[10:11], v[4:5], 0
	v_lshlrev_b32_e32 v17, 2, v14
	ds_bpermute_b32 v14, v17, v10
	ds_bpermute_b32 v15, v17, v11
	v_add_f64 v[12:13], v[0:1], 0
	ds_bpermute_b32 v16, v17, v12
	ds_bpermute_b32 v17, v17, v13
	s_waitcnt lgkmcnt(2)
	v_add_f64 v[10:11], v[10:11], v[14:15]
	v_xor_b32_e32 v14, 8, v19
	v_cmp_lt_i32_e64 s[2:3], v14, v20
	v_cndmask_b32_e64 v14, v19, v14, s[2:3]
	s_waitcnt lgkmcnt(0)
	v_add_f64 v[12:13], v[12:13], v[16:17]
	v_lshlrev_b32_e32 v17, 2, v14
	ds_bpermute_b32 v14, v17, v10
	ds_bpermute_b32 v15, v17, v11
	ds_bpermute_b32 v16, v17, v12
	ds_bpermute_b32 v17, v17, v13
	s_waitcnt lgkmcnt(2)
	v_add_f64 v[10:11], v[10:11], v[14:15]
	v_xor_b32_e32 v14, 4, v19
	v_cmp_lt_i32_e64 s[2:3], v14, v20
	v_cndmask_b32_e64 v14, v19, v14, s[2:3]
	s_waitcnt lgkmcnt(0)
	v_add_f64 v[12:13], v[12:13], v[16:17]
	v_lshlrev_b32_e32 v17, 2, v14
	ds_bpermute_b32 v14, v17, v10
	ds_bpermute_b32 v15, v17, v11
	;; [unrolled: 12-line block ×3, first 2 shown]
	ds_bpermute_b32 v16, v17, v12
	ds_bpermute_b32 v17, v17, v13
	s_waitcnt lgkmcnt(2)
	v_add_f64 v[14:15], v[10:11], v[14:15]
	s_waitcnt lgkmcnt(0)
	v_add_f64 v[10:11], v[12:13], v[16:17]
	v_xor_b32_e32 v12, 1, v19
	v_cmp_lt_i32_e64 s[2:3], v12, v20
	v_cndmask_b32_e64 v12, v19, v12, s[2:3]
	v_lshlrev_b32_e32 v13, 2, v12
	ds_bpermute_b32 v16, v13, v14
	ds_bpermute_b32 v17, v13, v15
	;; [unrolled: 1-line block ×4, first 2 shown]
	s_and_saveexec_b64 s[2:3], s[0:1]
	s_cbranch_execz .LBB532_10
; %bb.5:
	v_mov_b32_e32 v19, s13
	v_add_co_u32_e64 v2, s[0:1], s12, v2
	v_addc_co_u32_e64 v3, s[0:1], v19, v3, s[0:1]
	s_and_saveexec_b64 s[0:1], vcc
	s_cbranch_execz .LBB532_7
; %bb.6:
	s_waitcnt lgkmcnt(2)
	v_add_f64 v[14:15], v[14:15], v[16:17]
	s_waitcnt vmcnt(0)
	v_fma_f64 v[4:5], -v[14:15], v[6:7], v[4:5]
	global_store_dwordx2 v[2:3], v[4:5], off
.LBB532_7:
	s_or_b64 exec, exec, s[0:1]
	v_cmp_ne_u32_e64 s[0:1], 1, v18
	s_and_b64 exec, exec, s[0:1]
	s_cbranch_execz .LBB532_10
; %bb.8:
	s_and_b64 exec, exec, vcc
	s_cbranch_execz .LBB532_10
; %bb.9:
	s_mov_b32 s11, 0
	s_waitcnt lgkmcnt(0)
	v_add_f64 v[4:5], v[10:11], v[12:13]
	s_lshl_b64 s[0:1], s[10:11], 3
	s_waitcnt vmcnt(0)
	v_fma_f64 v[0:1], -v[4:5], v[8:9], v[0:1]
	v_mov_b32_e32 v4, s1
	v_add_co_u32_e32 v2, vcc, s0, v2
	v_addc_co_u32_e32 v3, vcc, v3, v4, vcc
	global_store_dwordx2 v[2:3], v[0:1], off
.LBB532_10:
	s_endpgm
	.section	.rodata,"a",@progbits
	.p2align	6, 0x0
	.amdhsa_kernel _ZN12_GLOBAL__N_121softmax_warp_backwardIdddLi5ELb0ELb0ELi64EEEvPT0_PKT_S5_iiiPKb
		.amdhsa_group_segment_fixed_size 0
		.amdhsa_private_segment_fixed_size 0
		.amdhsa_kernarg_size 304
		.amdhsa_user_sgpr_count 6
		.amdhsa_user_sgpr_private_segment_buffer 1
		.amdhsa_user_sgpr_dispatch_ptr 0
		.amdhsa_user_sgpr_queue_ptr 0
		.amdhsa_user_sgpr_kernarg_segment_ptr 1
		.amdhsa_user_sgpr_dispatch_id 0
		.amdhsa_user_sgpr_flat_scratch_init 0
		.amdhsa_user_sgpr_kernarg_preload_length 0
		.amdhsa_user_sgpr_kernarg_preload_offset 0
		.amdhsa_user_sgpr_private_segment_size 0
		.amdhsa_uses_dynamic_stack 0
		.amdhsa_system_sgpr_private_segment_wavefront_offset 0
		.amdhsa_system_sgpr_workgroup_id_x 1
		.amdhsa_system_sgpr_workgroup_id_y 0
		.amdhsa_system_sgpr_workgroup_id_z 0
		.amdhsa_system_sgpr_workgroup_info 0
		.amdhsa_system_vgpr_workitem_id 1
		.amdhsa_next_free_vgpr 21
		.amdhsa_next_free_sgpr 16
		.amdhsa_accum_offset 24
		.amdhsa_reserve_vcc 1
		.amdhsa_reserve_flat_scratch 0
		.amdhsa_float_round_mode_32 0
		.amdhsa_float_round_mode_16_64 0
		.amdhsa_float_denorm_mode_32 3
		.amdhsa_float_denorm_mode_16_64 3
		.amdhsa_dx10_clamp 1
		.amdhsa_ieee_mode 1
		.amdhsa_fp16_overflow 0
		.amdhsa_tg_split 0
		.amdhsa_exception_fp_ieee_invalid_op 0
		.amdhsa_exception_fp_denorm_src 0
		.amdhsa_exception_fp_ieee_div_zero 0
		.amdhsa_exception_fp_ieee_overflow 0
		.amdhsa_exception_fp_ieee_underflow 0
		.amdhsa_exception_fp_ieee_inexact 0
		.amdhsa_exception_int_div_zero 0
	.end_amdhsa_kernel
	.section	.text._ZN12_GLOBAL__N_121softmax_warp_backwardIdddLi5ELb0ELb0ELi64EEEvPT0_PKT_S5_iiiPKb,"axG",@progbits,_ZN12_GLOBAL__N_121softmax_warp_backwardIdddLi5ELb0ELb0ELi64EEEvPT0_PKT_S5_iiiPKb,comdat
.Lfunc_end532:
	.size	_ZN12_GLOBAL__N_121softmax_warp_backwardIdddLi5ELb0ELb0ELi64EEEvPT0_PKT_S5_iiiPKb, .Lfunc_end532-_ZN12_GLOBAL__N_121softmax_warp_backwardIdddLi5ELb0ELb0ELi64EEEvPT0_PKT_S5_iiiPKb
                                        ; -- End function
	.section	.AMDGPU.csdata,"",@progbits
; Kernel info:
; codeLenInByte = 852
; NumSgprs: 20
; NumVgprs: 21
; NumAgprs: 0
; TotalNumVgprs: 21
; ScratchSize: 0
; MemoryBound: 0
; FloatMode: 240
; IeeeMode: 1
; LDSByteSize: 0 bytes/workgroup (compile time only)
; SGPRBlocks: 2
; VGPRBlocks: 2
; NumSGPRsForWavesPerEU: 20
; NumVGPRsForWavesPerEU: 21
; AccumOffset: 24
; Occupancy: 8
; WaveLimiterHint : 0
; COMPUTE_PGM_RSRC2:SCRATCH_EN: 0
; COMPUTE_PGM_RSRC2:USER_SGPR: 6
; COMPUTE_PGM_RSRC2:TRAP_HANDLER: 0
; COMPUTE_PGM_RSRC2:TGID_X_EN: 1
; COMPUTE_PGM_RSRC2:TGID_Y_EN: 0
; COMPUTE_PGM_RSRC2:TGID_Z_EN: 0
; COMPUTE_PGM_RSRC2:TIDIG_COMP_CNT: 1
; COMPUTE_PGM_RSRC3_GFX90A:ACCUM_OFFSET: 5
; COMPUTE_PGM_RSRC3_GFX90A:TG_SPLIT: 0
	.section	.text._ZN12_GLOBAL__N_121softmax_warp_backwardIdddLi5ELb0ELb0ELi32EEEvPT0_PKT_S5_iiiPKb,"axG",@progbits,_ZN12_GLOBAL__N_121softmax_warp_backwardIdddLi5ELb0ELb0ELi32EEEvPT0_PKT_S5_iiiPKb,comdat
	.globl	_ZN12_GLOBAL__N_121softmax_warp_backwardIdddLi5ELb0ELb0ELi32EEEvPT0_PKT_S5_iiiPKb ; -- Begin function _ZN12_GLOBAL__N_121softmax_warp_backwardIdddLi5ELb0ELb0ELi32EEEvPT0_PKT_S5_iiiPKb
	.p2align	8
	.type	_ZN12_GLOBAL__N_121softmax_warp_backwardIdddLi5ELb0ELb0ELi32EEEvPT0_PKT_S5_iiiPKb,@function
_ZN12_GLOBAL__N_121softmax_warp_backwardIdddLi5ELb0ELb0ELi32EEEvPT0_PKT_S5_iiiPKb: ; @_ZN12_GLOBAL__N_121softmax_warp_backwardIdddLi5ELb0ELb0ELi32EEEvPT0_PKT_S5_iiiPKb
; %bb.0:
	s_load_dword s2, s[4:5], 0x3c
	s_load_dwordx4 s[8:11], s[4:5], 0x18
	s_load_dwordx4 s[12:15], s[4:5], 0x0
	s_load_dwordx2 s[0:1], s[4:5], 0x10
	v_bfe_u32 v1, v0, 10, 10
	s_waitcnt lgkmcnt(0)
	s_lshr_b32 s2, s2, 16
	s_mul_i32 s6, s6, s2
	v_add_lshl_u32 v1, s6, v1, 1
	v_and_b32_e32 v0, 31, v0
	v_mad_u64_u32 v[2:3], s[2:3], v1, s9, v[0:1]
	v_ashrrev_i32_e32 v3, 31, v2
	v_lshlrev_b64 v[2:3], 3, v[2:3]
	v_sub_u32_e32 v18, s8, v1
	v_mov_b32_e32 v1, s15
	v_add_co_u32_e32 v10, vcc, s14, v2
	v_addc_co_u32_e32 v11, vcc, v1, v3, vcc
	v_mov_b32_e32 v1, s1
	v_add_co_u32_e32 v12, vcc, s0, v2
	v_addc_co_u32_e32 v13, vcc, v1, v3, vcc
	v_cmp_gt_i32_e32 vcc, s10, v0
	v_cmp_lt_i32_e64 s[0:1], 0, v18
	v_pk_mov_b32 v[0:1], 0, 0
	s_and_b64 s[4:5], vcc, s[0:1]
	v_pk_mov_b32 v[4:5], v[0:1], v[0:1] op_sel:[0,1]
	v_pk_mov_b32 v[6:7], v[0:1], v[0:1] op_sel:[0,1]
	s_and_saveexec_b64 s[2:3], s[4:5]
	s_cbranch_execz .LBB533_2
; %bb.1:
	global_load_dwordx2 v[4:5], v[10:11], off
	global_load_dwordx2 v[6:7], v[12:13], off
.LBB533_2:
	s_or_b64 exec, exec, s[2:3]
	v_cmp_lt_i32_e64 s[2:3], 1, v18
	s_and_b64 s[2:3], vcc, s[2:3]
	v_pk_mov_b32 v[8:9], v[0:1], v[0:1] op_sel:[0,1]
	s_and_saveexec_b64 s[4:5], s[2:3]
	s_cbranch_execz .LBB533_4
; %bb.3:
	s_mov_b32 s11, 0
	s_lshl_b64 s[6:7], s[10:11], 3
	v_mov_b32_e32 v9, s7
	v_add_co_u32_e64 v0, s[2:3], s6, v10
	v_addc_co_u32_e64 v1, s[2:3], v11, v9, s[2:3]
	v_add_co_u32_e64 v8, s[2:3], s6, v12
	v_addc_co_u32_e64 v9, s[2:3], v13, v9, s[2:3]
	global_load_dwordx2 v[0:1], v[0:1], off
	s_nop 0
	global_load_dwordx2 v[8:9], v[8:9], off
.LBB533_4:
	s_or_b64 exec, exec, s[4:5]
	v_mbcnt_lo_u32_b32 v14, -1, 0
	v_mbcnt_hi_u32_b32 v19, -1, v14
	v_and_b32_e32 v14, 0x60, v19
	v_add_u32_e32 v20, 32, v14
	v_xor_b32_e32 v14, 16, v19
	v_cmp_lt_i32_e64 s[2:3], v14, v20
	v_cndmask_b32_e64 v14, v19, v14, s[2:3]
	s_waitcnt vmcnt(1)
	v_add_f64 v[10:11], v[4:5], 0
	v_lshlrev_b32_e32 v17, 2, v14
	ds_bpermute_b32 v14, v17, v10
	ds_bpermute_b32 v15, v17, v11
	v_add_f64 v[12:13], v[0:1], 0
	ds_bpermute_b32 v16, v17, v12
	ds_bpermute_b32 v17, v17, v13
	s_waitcnt lgkmcnt(2)
	v_add_f64 v[10:11], v[10:11], v[14:15]
	v_xor_b32_e32 v14, 8, v19
	v_cmp_lt_i32_e64 s[2:3], v14, v20
	v_cndmask_b32_e64 v14, v19, v14, s[2:3]
	s_waitcnt lgkmcnt(0)
	v_add_f64 v[12:13], v[12:13], v[16:17]
	v_lshlrev_b32_e32 v17, 2, v14
	ds_bpermute_b32 v14, v17, v10
	ds_bpermute_b32 v15, v17, v11
	ds_bpermute_b32 v16, v17, v12
	ds_bpermute_b32 v17, v17, v13
	s_waitcnt lgkmcnt(2)
	v_add_f64 v[10:11], v[10:11], v[14:15]
	v_xor_b32_e32 v14, 4, v19
	v_cmp_lt_i32_e64 s[2:3], v14, v20
	v_cndmask_b32_e64 v14, v19, v14, s[2:3]
	s_waitcnt lgkmcnt(0)
	v_add_f64 v[12:13], v[12:13], v[16:17]
	v_lshlrev_b32_e32 v17, 2, v14
	ds_bpermute_b32 v14, v17, v10
	ds_bpermute_b32 v15, v17, v11
	;; [unrolled: 12-line block ×3, first 2 shown]
	ds_bpermute_b32 v16, v17, v12
	ds_bpermute_b32 v17, v17, v13
	s_waitcnt lgkmcnt(2)
	v_add_f64 v[14:15], v[10:11], v[14:15]
	s_waitcnt lgkmcnt(0)
	v_add_f64 v[10:11], v[12:13], v[16:17]
	v_xor_b32_e32 v12, 1, v19
	v_cmp_lt_i32_e64 s[2:3], v12, v20
	v_cndmask_b32_e64 v12, v19, v12, s[2:3]
	v_lshlrev_b32_e32 v13, 2, v12
	ds_bpermute_b32 v16, v13, v14
	ds_bpermute_b32 v17, v13, v15
	ds_bpermute_b32 v12, v13, v10
	ds_bpermute_b32 v13, v13, v11
	s_and_saveexec_b64 s[2:3], s[0:1]
	s_cbranch_execz .LBB533_10
; %bb.5:
	v_mov_b32_e32 v19, s13
	v_add_co_u32_e64 v2, s[0:1], s12, v2
	v_addc_co_u32_e64 v3, s[0:1], v19, v3, s[0:1]
	s_and_saveexec_b64 s[0:1], vcc
	s_cbranch_execz .LBB533_7
; %bb.6:
	s_waitcnt lgkmcnt(2)
	v_add_f64 v[14:15], v[14:15], v[16:17]
	s_waitcnt vmcnt(0)
	v_fma_f64 v[4:5], -v[14:15], v[6:7], v[4:5]
	global_store_dwordx2 v[2:3], v[4:5], off
.LBB533_7:
	s_or_b64 exec, exec, s[0:1]
	v_cmp_ne_u32_e64 s[0:1], 1, v18
	s_and_b64 exec, exec, s[0:1]
	s_cbranch_execz .LBB533_10
; %bb.8:
	s_and_b64 exec, exec, vcc
	s_cbranch_execz .LBB533_10
; %bb.9:
	s_mov_b32 s11, 0
	s_waitcnt lgkmcnt(0)
	v_add_f64 v[4:5], v[10:11], v[12:13]
	s_lshl_b64 s[0:1], s[10:11], 3
	s_waitcnt vmcnt(0)
	v_fma_f64 v[0:1], -v[4:5], v[8:9], v[0:1]
	v_mov_b32_e32 v4, s1
	v_add_co_u32_e32 v2, vcc, s0, v2
	v_addc_co_u32_e32 v3, vcc, v3, v4, vcc
	global_store_dwordx2 v[2:3], v[0:1], off
.LBB533_10:
	s_endpgm
	.section	.rodata,"a",@progbits
	.p2align	6, 0x0
	.amdhsa_kernel _ZN12_GLOBAL__N_121softmax_warp_backwardIdddLi5ELb0ELb0ELi32EEEvPT0_PKT_S5_iiiPKb
		.amdhsa_group_segment_fixed_size 0
		.amdhsa_private_segment_fixed_size 0
		.amdhsa_kernarg_size 304
		.amdhsa_user_sgpr_count 6
		.amdhsa_user_sgpr_private_segment_buffer 1
		.amdhsa_user_sgpr_dispatch_ptr 0
		.amdhsa_user_sgpr_queue_ptr 0
		.amdhsa_user_sgpr_kernarg_segment_ptr 1
		.amdhsa_user_sgpr_dispatch_id 0
		.amdhsa_user_sgpr_flat_scratch_init 0
		.amdhsa_user_sgpr_kernarg_preload_length 0
		.amdhsa_user_sgpr_kernarg_preload_offset 0
		.amdhsa_user_sgpr_private_segment_size 0
		.amdhsa_uses_dynamic_stack 0
		.amdhsa_system_sgpr_private_segment_wavefront_offset 0
		.amdhsa_system_sgpr_workgroup_id_x 1
		.amdhsa_system_sgpr_workgroup_id_y 0
		.amdhsa_system_sgpr_workgroup_id_z 0
		.amdhsa_system_sgpr_workgroup_info 0
		.amdhsa_system_vgpr_workitem_id 1
		.amdhsa_next_free_vgpr 21
		.amdhsa_next_free_sgpr 16
		.amdhsa_accum_offset 24
		.amdhsa_reserve_vcc 1
		.amdhsa_reserve_flat_scratch 0
		.amdhsa_float_round_mode_32 0
		.amdhsa_float_round_mode_16_64 0
		.amdhsa_float_denorm_mode_32 3
		.amdhsa_float_denorm_mode_16_64 3
		.amdhsa_dx10_clamp 1
		.amdhsa_ieee_mode 1
		.amdhsa_fp16_overflow 0
		.amdhsa_tg_split 0
		.amdhsa_exception_fp_ieee_invalid_op 0
		.amdhsa_exception_fp_denorm_src 0
		.amdhsa_exception_fp_ieee_div_zero 0
		.amdhsa_exception_fp_ieee_overflow 0
		.amdhsa_exception_fp_ieee_underflow 0
		.amdhsa_exception_fp_ieee_inexact 0
		.amdhsa_exception_int_div_zero 0
	.end_amdhsa_kernel
	.section	.text._ZN12_GLOBAL__N_121softmax_warp_backwardIdddLi5ELb0ELb0ELi32EEEvPT0_PKT_S5_iiiPKb,"axG",@progbits,_ZN12_GLOBAL__N_121softmax_warp_backwardIdddLi5ELb0ELb0ELi32EEEvPT0_PKT_S5_iiiPKb,comdat
.Lfunc_end533:
	.size	_ZN12_GLOBAL__N_121softmax_warp_backwardIdddLi5ELb0ELb0ELi32EEEvPT0_PKT_S5_iiiPKb, .Lfunc_end533-_ZN12_GLOBAL__N_121softmax_warp_backwardIdddLi5ELb0ELb0ELi32EEEvPT0_PKT_S5_iiiPKb
                                        ; -- End function
	.section	.AMDGPU.csdata,"",@progbits
; Kernel info:
; codeLenInByte = 852
; NumSgprs: 20
; NumVgprs: 21
; NumAgprs: 0
; TotalNumVgprs: 21
; ScratchSize: 0
; MemoryBound: 0
; FloatMode: 240
; IeeeMode: 1
; LDSByteSize: 0 bytes/workgroup (compile time only)
; SGPRBlocks: 2
; VGPRBlocks: 2
; NumSGPRsForWavesPerEU: 20
; NumVGPRsForWavesPerEU: 21
; AccumOffset: 24
; Occupancy: 8
; WaveLimiterHint : 0
; COMPUTE_PGM_RSRC2:SCRATCH_EN: 0
; COMPUTE_PGM_RSRC2:USER_SGPR: 6
; COMPUTE_PGM_RSRC2:TRAP_HANDLER: 0
; COMPUTE_PGM_RSRC2:TGID_X_EN: 1
; COMPUTE_PGM_RSRC2:TGID_Y_EN: 0
; COMPUTE_PGM_RSRC2:TGID_Z_EN: 0
; COMPUTE_PGM_RSRC2:TIDIG_COMP_CNT: 1
; COMPUTE_PGM_RSRC3_GFX90A:ACCUM_OFFSET: 5
; COMPUTE_PGM_RSRC3_GFX90A:TG_SPLIT: 0
	.section	.text._ZN12_GLOBAL__N_121softmax_warp_backwardIdddLi6ELb0ELb0ELi64EEEvPT0_PKT_S5_iiiPKb,"axG",@progbits,_ZN12_GLOBAL__N_121softmax_warp_backwardIdddLi6ELb0ELb0ELi64EEEvPT0_PKT_S5_iiiPKb,comdat
	.globl	_ZN12_GLOBAL__N_121softmax_warp_backwardIdddLi6ELb0ELb0ELi64EEEvPT0_PKT_S5_iiiPKb ; -- Begin function _ZN12_GLOBAL__N_121softmax_warp_backwardIdddLi6ELb0ELb0ELi64EEEvPT0_PKT_S5_iiiPKb
	.p2align	8
	.type	_ZN12_GLOBAL__N_121softmax_warp_backwardIdddLi6ELb0ELb0ELi64EEEvPT0_PKT_S5_iiiPKb,@function
_ZN12_GLOBAL__N_121softmax_warp_backwardIdddLi6ELb0ELb0ELi64EEEvPT0_PKT_S5_iiiPKb: ; @_ZN12_GLOBAL__N_121softmax_warp_backwardIdddLi6ELb0ELb0ELi64EEEvPT0_PKT_S5_iiiPKb
; %bb.0:
	s_load_dword s2, s[4:5], 0x3c
	s_load_dwordx4 s[8:11], s[4:5], 0x18
	s_load_dwordx4 s[12:15], s[4:5], 0x0
	s_load_dwordx2 s[0:1], s[4:5], 0x10
	v_bfe_u32 v1, v0, 10, 10
	s_waitcnt lgkmcnt(0)
	s_lshr_b32 s2, s2, 16
	s_mul_i32 s6, s6, s2
	v_add_lshl_u32 v1, s6, v1, 1
	v_and_b32_e32 v0, 63, v0
	v_mad_u64_u32 v[2:3], s[2:3], v1, s9, v[0:1]
	v_ashrrev_i32_e32 v3, 31, v2
	v_lshlrev_b64 v[2:3], 3, v[2:3]
	v_sub_u32_e32 v18, s8, v1
	v_mov_b32_e32 v1, s15
	v_add_co_u32_e32 v10, vcc, s14, v2
	v_addc_co_u32_e32 v11, vcc, v1, v3, vcc
	v_mov_b32_e32 v1, s1
	v_add_co_u32_e32 v12, vcc, s0, v2
	v_addc_co_u32_e32 v13, vcc, v1, v3, vcc
	v_cmp_gt_i32_e32 vcc, s10, v0
	v_cmp_lt_i32_e64 s[0:1], 0, v18
	v_pk_mov_b32 v[0:1], 0, 0
	s_and_b64 s[4:5], vcc, s[0:1]
	v_pk_mov_b32 v[4:5], v[0:1], v[0:1] op_sel:[0,1]
	v_pk_mov_b32 v[6:7], v[0:1], v[0:1] op_sel:[0,1]
	s_and_saveexec_b64 s[2:3], s[4:5]
	s_cbranch_execz .LBB534_2
; %bb.1:
	global_load_dwordx2 v[4:5], v[10:11], off
	global_load_dwordx2 v[6:7], v[12:13], off
.LBB534_2:
	s_or_b64 exec, exec, s[2:3]
	v_cmp_lt_i32_e64 s[2:3], 1, v18
	s_and_b64 s[2:3], vcc, s[2:3]
	v_pk_mov_b32 v[8:9], v[0:1], v[0:1] op_sel:[0,1]
	s_and_saveexec_b64 s[4:5], s[2:3]
	s_cbranch_execz .LBB534_4
; %bb.3:
	s_mov_b32 s11, 0
	s_lshl_b64 s[6:7], s[10:11], 3
	v_mov_b32_e32 v9, s7
	v_add_co_u32_e64 v0, s[2:3], s6, v10
	v_addc_co_u32_e64 v1, s[2:3], v11, v9, s[2:3]
	v_add_co_u32_e64 v8, s[2:3], s6, v12
	v_addc_co_u32_e64 v9, s[2:3], v13, v9, s[2:3]
	global_load_dwordx2 v[0:1], v[0:1], off
	s_nop 0
	global_load_dwordx2 v[8:9], v[8:9], off
.LBB534_4:
	s_or_b64 exec, exec, s[4:5]
	v_mbcnt_lo_u32_b32 v14, -1, 0
	v_mbcnt_hi_u32_b32 v19, -1, v14
	v_and_b32_e32 v14, 64, v19
	v_add_u32_e32 v20, 64, v14
	v_xor_b32_e32 v14, 32, v19
	v_cmp_lt_i32_e64 s[2:3], v14, v20
	v_cndmask_b32_e64 v14, v19, v14, s[2:3]
	s_waitcnt vmcnt(1)
	v_add_f64 v[10:11], v[4:5], 0
	v_lshlrev_b32_e32 v17, 2, v14
	ds_bpermute_b32 v14, v17, v10
	ds_bpermute_b32 v15, v17, v11
	v_add_f64 v[12:13], v[0:1], 0
	ds_bpermute_b32 v16, v17, v12
	ds_bpermute_b32 v17, v17, v13
	s_waitcnt lgkmcnt(2)
	v_add_f64 v[10:11], v[10:11], v[14:15]
	v_xor_b32_e32 v14, 16, v19
	v_cmp_lt_i32_e64 s[2:3], v14, v20
	v_cndmask_b32_e64 v14, v19, v14, s[2:3]
	s_waitcnt lgkmcnt(0)
	v_add_f64 v[12:13], v[12:13], v[16:17]
	v_lshlrev_b32_e32 v17, 2, v14
	ds_bpermute_b32 v14, v17, v10
	ds_bpermute_b32 v15, v17, v11
	ds_bpermute_b32 v16, v17, v12
	ds_bpermute_b32 v17, v17, v13
	s_waitcnt lgkmcnt(2)
	v_add_f64 v[10:11], v[10:11], v[14:15]
	v_xor_b32_e32 v14, 8, v19
	v_cmp_lt_i32_e64 s[2:3], v14, v20
	v_cndmask_b32_e64 v14, v19, v14, s[2:3]
	s_waitcnt lgkmcnt(0)
	v_add_f64 v[12:13], v[12:13], v[16:17]
	v_lshlrev_b32_e32 v17, 2, v14
	ds_bpermute_b32 v14, v17, v10
	ds_bpermute_b32 v15, v17, v11
	;; [unrolled: 12-line block ×4, first 2 shown]
	ds_bpermute_b32 v16, v17, v12
	ds_bpermute_b32 v17, v17, v13
	s_waitcnt lgkmcnt(2)
	v_add_f64 v[14:15], v[10:11], v[14:15]
	s_waitcnt lgkmcnt(0)
	v_add_f64 v[10:11], v[12:13], v[16:17]
	v_xor_b32_e32 v12, 1, v19
	v_cmp_lt_i32_e64 s[2:3], v12, v20
	v_cndmask_b32_e64 v12, v19, v12, s[2:3]
	v_lshlrev_b32_e32 v13, 2, v12
	ds_bpermute_b32 v16, v13, v14
	ds_bpermute_b32 v17, v13, v15
	;; [unrolled: 1-line block ×4, first 2 shown]
	s_and_saveexec_b64 s[2:3], s[0:1]
	s_cbranch_execz .LBB534_10
; %bb.5:
	v_mov_b32_e32 v19, s13
	v_add_co_u32_e64 v2, s[0:1], s12, v2
	v_addc_co_u32_e64 v3, s[0:1], v19, v3, s[0:1]
	s_and_saveexec_b64 s[0:1], vcc
	s_cbranch_execz .LBB534_7
; %bb.6:
	s_waitcnt lgkmcnt(2)
	v_add_f64 v[14:15], v[14:15], v[16:17]
	s_waitcnt vmcnt(0)
	v_fma_f64 v[4:5], -v[14:15], v[6:7], v[4:5]
	global_store_dwordx2 v[2:3], v[4:5], off
.LBB534_7:
	s_or_b64 exec, exec, s[0:1]
	v_cmp_ne_u32_e64 s[0:1], 1, v18
	s_and_b64 exec, exec, s[0:1]
	s_cbranch_execz .LBB534_10
; %bb.8:
	s_and_b64 exec, exec, vcc
	s_cbranch_execz .LBB534_10
; %bb.9:
	s_mov_b32 s11, 0
	s_waitcnt lgkmcnt(0)
	v_add_f64 v[4:5], v[10:11], v[12:13]
	s_lshl_b64 s[0:1], s[10:11], 3
	s_waitcnt vmcnt(0)
	v_fma_f64 v[0:1], -v[4:5], v[8:9], v[0:1]
	v_mov_b32_e32 v4, s1
	v_add_co_u32_e32 v2, vcc, s0, v2
	v_addc_co_u32_e32 v3, vcc, v3, v4, vcc
	global_store_dwordx2 v[2:3], v[0:1], off
.LBB534_10:
	s_endpgm
	.section	.rodata,"a",@progbits
	.p2align	6, 0x0
	.amdhsa_kernel _ZN12_GLOBAL__N_121softmax_warp_backwardIdddLi6ELb0ELb0ELi64EEEvPT0_PKT_S5_iiiPKb
		.amdhsa_group_segment_fixed_size 0
		.amdhsa_private_segment_fixed_size 0
		.amdhsa_kernarg_size 304
		.amdhsa_user_sgpr_count 6
		.amdhsa_user_sgpr_private_segment_buffer 1
		.amdhsa_user_sgpr_dispatch_ptr 0
		.amdhsa_user_sgpr_queue_ptr 0
		.amdhsa_user_sgpr_kernarg_segment_ptr 1
		.amdhsa_user_sgpr_dispatch_id 0
		.amdhsa_user_sgpr_flat_scratch_init 0
		.amdhsa_user_sgpr_kernarg_preload_length 0
		.amdhsa_user_sgpr_kernarg_preload_offset 0
		.amdhsa_user_sgpr_private_segment_size 0
		.amdhsa_uses_dynamic_stack 0
		.amdhsa_system_sgpr_private_segment_wavefront_offset 0
		.amdhsa_system_sgpr_workgroup_id_x 1
		.amdhsa_system_sgpr_workgroup_id_y 0
		.amdhsa_system_sgpr_workgroup_id_z 0
		.amdhsa_system_sgpr_workgroup_info 0
		.amdhsa_system_vgpr_workitem_id 1
		.amdhsa_next_free_vgpr 21
		.amdhsa_next_free_sgpr 16
		.amdhsa_accum_offset 24
		.amdhsa_reserve_vcc 1
		.amdhsa_reserve_flat_scratch 0
		.amdhsa_float_round_mode_32 0
		.amdhsa_float_round_mode_16_64 0
		.amdhsa_float_denorm_mode_32 3
		.amdhsa_float_denorm_mode_16_64 3
		.amdhsa_dx10_clamp 1
		.amdhsa_ieee_mode 1
		.amdhsa_fp16_overflow 0
		.amdhsa_tg_split 0
		.amdhsa_exception_fp_ieee_invalid_op 0
		.amdhsa_exception_fp_denorm_src 0
		.amdhsa_exception_fp_ieee_div_zero 0
		.amdhsa_exception_fp_ieee_overflow 0
		.amdhsa_exception_fp_ieee_underflow 0
		.amdhsa_exception_fp_ieee_inexact 0
		.amdhsa_exception_int_div_zero 0
	.end_amdhsa_kernel
	.section	.text._ZN12_GLOBAL__N_121softmax_warp_backwardIdddLi6ELb0ELb0ELi64EEEvPT0_PKT_S5_iiiPKb,"axG",@progbits,_ZN12_GLOBAL__N_121softmax_warp_backwardIdddLi6ELb0ELb0ELi64EEEvPT0_PKT_S5_iiiPKb,comdat
.Lfunc_end534:
	.size	_ZN12_GLOBAL__N_121softmax_warp_backwardIdddLi6ELb0ELb0ELi64EEEvPT0_PKT_S5_iiiPKb, .Lfunc_end534-_ZN12_GLOBAL__N_121softmax_warp_backwardIdddLi6ELb0ELb0ELi64EEEvPT0_PKT_S5_iiiPKb
                                        ; -- End function
	.section	.AMDGPU.csdata,"",@progbits
; Kernel info:
; codeLenInByte = 928
; NumSgprs: 20
; NumVgprs: 21
; NumAgprs: 0
; TotalNumVgprs: 21
; ScratchSize: 0
; MemoryBound: 0
; FloatMode: 240
; IeeeMode: 1
; LDSByteSize: 0 bytes/workgroup (compile time only)
; SGPRBlocks: 2
; VGPRBlocks: 2
; NumSGPRsForWavesPerEU: 20
; NumVGPRsForWavesPerEU: 21
; AccumOffset: 24
; Occupancy: 8
; WaveLimiterHint : 0
; COMPUTE_PGM_RSRC2:SCRATCH_EN: 0
; COMPUTE_PGM_RSRC2:USER_SGPR: 6
; COMPUTE_PGM_RSRC2:TRAP_HANDLER: 0
; COMPUTE_PGM_RSRC2:TGID_X_EN: 1
; COMPUTE_PGM_RSRC2:TGID_Y_EN: 0
; COMPUTE_PGM_RSRC2:TGID_Z_EN: 0
; COMPUTE_PGM_RSRC2:TIDIG_COMP_CNT: 1
; COMPUTE_PGM_RSRC3_GFX90A:ACCUM_OFFSET: 5
; COMPUTE_PGM_RSRC3_GFX90A:TG_SPLIT: 0
	.section	.text._ZN12_GLOBAL__N_121softmax_warp_backwardIdddLi6ELb0ELb0ELi32EEEvPT0_PKT_S5_iiiPKb,"axG",@progbits,_ZN12_GLOBAL__N_121softmax_warp_backwardIdddLi6ELb0ELb0ELi32EEEvPT0_PKT_S5_iiiPKb,comdat
	.globl	_ZN12_GLOBAL__N_121softmax_warp_backwardIdddLi6ELb0ELb0ELi32EEEvPT0_PKT_S5_iiiPKb ; -- Begin function _ZN12_GLOBAL__N_121softmax_warp_backwardIdddLi6ELb0ELb0ELi32EEEvPT0_PKT_S5_iiiPKb
	.p2align	8
	.type	_ZN12_GLOBAL__N_121softmax_warp_backwardIdddLi6ELb0ELb0ELi32EEEvPT0_PKT_S5_iiiPKb,@function
_ZN12_GLOBAL__N_121softmax_warp_backwardIdddLi6ELb0ELb0ELi32EEEvPT0_PKT_S5_iiiPKb: ; @_ZN12_GLOBAL__N_121softmax_warp_backwardIdddLi6ELb0ELb0ELi32EEEvPT0_PKT_S5_iiiPKb
; %bb.0:
	s_load_dword s2, s[4:5], 0x3c
	s_load_dwordx4 s[8:11], s[4:5], 0x18
	s_load_dwordx4 s[12:15], s[4:5], 0x0
	s_load_dwordx2 s[0:1], s[4:5], 0x10
	v_bfe_u32 v1, v0, 10, 10
	s_waitcnt lgkmcnt(0)
	s_lshr_b32 s2, s2, 16
	s_mul_i32 s6, s6, s2
	v_add_lshl_u32 v1, s6, v1, 1
	v_and_b32_e32 v4, 31, v0
	v_sub_u32_e32 v26, s8, v1
	v_mad_u64_u32 v[0:1], s[2:3], v1, s9, v[4:5]
	v_ashrrev_i32_e32 v1, 31, v0
	v_lshlrev_b64 v[2:3], 3, v[0:1]
	v_mov_b32_e32 v0, s15
	v_add_co_u32_e32 v18, vcc, s14, v2
	v_addc_co_u32_e32 v19, vcc, v0, v3, vcc
	v_mov_b32_e32 v0, s1
	v_add_co_u32_e32 v20, vcc, s0, v2
	v_addc_co_u32_e32 v21, vcc, v0, v3, vcc
	v_cmp_lt_i32_e64 s[2:3], 0, v26
	v_cmp_gt_i32_e64 s[0:1], s10, v4
	v_pk_mov_b32 v[0:1], 0, 0
	s_and_b64 s[6:7], s[2:3], s[0:1]
	v_pk_mov_b32 v[6:7], v[0:1], v[0:1] op_sel:[0,1]
	v_pk_mov_b32 v[8:9], v[0:1], v[0:1] op_sel:[0,1]
	s_and_saveexec_b64 s[4:5], s[6:7]
	s_cbranch_execz .LBB535_2
; %bb.1:
	global_load_dwordx2 v[6:7], v[18:19], off
	global_load_dwordx2 v[8:9], v[20:21], off
.LBB535_2:
	s_or_b64 exec, exec, s[4:5]
	v_or_b32_e32 v4, 32, v4
	v_cmp_gt_i32_e32 vcc, s10, v4
	s_and_b64 s[6:7], s[2:3], vcc
	v_pk_mov_b32 v[10:11], v[0:1], v[0:1] op_sel:[0,1]
	s_and_saveexec_b64 s[4:5], s[6:7]
	s_cbranch_execz .LBB535_4
; %bb.3:
	global_load_dwordx2 v[0:1], v[18:19], off offset:256
	global_load_dwordx2 v[10:11], v[20:21], off offset:256
.LBB535_4:
	s_or_b64 exec, exec, s[4:5]
	v_cmp_lt_i32_e64 s[4:5], 1, v26
	v_pk_mov_b32 v[4:5], 0, 0
	s_and_b64 s[6:7], s[4:5], s[0:1]
	v_pk_mov_b32 v[12:13], v[4:5], v[4:5] op_sel:[0,1]
	v_pk_mov_b32 v[14:15], v[4:5], v[4:5] op_sel:[0,1]
	s_and_saveexec_b64 s[8:9], s[6:7]
	s_cbranch_execz .LBB535_6
; %bb.5:
	s_mov_b32 s11, 0
	s_lshl_b64 s[14:15], s[10:11], 3
	v_mov_b32_e32 v15, s15
	v_add_co_u32_e64 v12, s[6:7], s14, v18
	v_addc_co_u32_e64 v13, s[6:7], v19, v15, s[6:7]
	v_add_co_u32_e64 v14, s[6:7], s14, v20
	v_addc_co_u32_e64 v15, s[6:7], v21, v15, s[6:7]
	global_load_dwordx2 v[12:13], v[12:13], off
	s_nop 0
	global_load_dwordx2 v[14:15], v[14:15], off
.LBB535_6:
	s_or_b64 exec, exec, s[8:9]
	s_and_b64 s[4:5], s[4:5], vcc
	v_pk_mov_b32 v[16:17], v[4:5], v[4:5] op_sel:[0,1]
	s_and_saveexec_b64 s[6:7], s[4:5]
	s_cbranch_execz .LBB535_8
; %bb.7:
	s_mov_b32 s11, 0
	s_lshl_b64 s[8:9], s[10:11], 3
	v_mov_b32_e32 v17, s9
	v_add_co_u32_e64 v4, s[4:5], s8, v18
	v_addc_co_u32_e64 v5, s[4:5], v19, v17, s[4:5]
	v_add_co_u32_e64 v16, s[4:5], s8, v20
	v_addc_co_u32_e64 v17, s[4:5], v21, v17, s[4:5]
	global_load_dwordx2 v[4:5], v[4:5], off offset:256
	s_nop 0
	global_load_dwordx2 v[16:17], v[16:17], off offset:256
.LBB535_8:
	s_or_b64 exec, exec, s[6:7]
	v_mbcnt_lo_u32_b32 v22, -1, 0
	v_mbcnt_hi_u32_b32 v27, -1, v22
	v_and_b32_e32 v22, 0x60, v27
	v_add_u32_e32 v28, 32, v22
	v_xor_b32_e32 v22, 16, v27
	v_cmp_lt_i32_e64 s[4:5], v22, v28
	s_waitcnt vmcnt(1)
	v_add_f64 v[18:19], v[6:7], 0
	v_cndmask_b32_e64 v22, v27, v22, s[4:5]
	v_add_f64 v[18:19], v[18:19], v[0:1]
	v_lshlrev_b32_e32 v25, 2, v22
	ds_bpermute_b32 v22, v25, v18
	ds_bpermute_b32 v23, v25, v19
	v_add_f64 v[20:21], v[12:13], 0
	v_add_f64 v[20:21], v[20:21], v[4:5]
	ds_bpermute_b32 v24, v25, v20
	ds_bpermute_b32 v25, v25, v21
	s_waitcnt lgkmcnt(2)
	v_add_f64 v[18:19], v[18:19], v[22:23]
	v_xor_b32_e32 v22, 8, v27
	v_cmp_lt_i32_e64 s[4:5], v22, v28
	v_cndmask_b32_e64 v22, v27, v22, s[4:5]
	s_waitcnt lgkmcnt(0)
	v_add_f64 v[20:21], v[20:21], v[24:25]
	v_lshlrev_b32_e32 v25, 2, v22
	ds_bpermute_b32 v22, v25, v18
	ds_bpermute_b32 v23, v25, v19
	ds_bpermute_b32 v24, v25, v20
	ds_bpermute_b32 v25, v25, v21
	s_waitcnt lgkmcnt(2)
	v_add_f64 v[18:19], v[18:19], v[22:23]
	v_xor_b32_e32 v22, 4, v27
	v_cmp_lt_i32_e64 s[4:5], v22, v28
	v_cndmask_b32_e64 v22, v27, v22, s[4:5]
	s_waitcnt lgkmcnt(0)
	v_add_f64 v[20:21], v[20:21], v[24:25]
	v_lshlrev_b32_e32 v25, 2, v22
	ds_bpermute_b32 v22, v25, v18
	ds_bpermute_b32 v23, v25, v19
	;; [unrolled: 12-line block ×3, first 2 shown]
	ds_bpermute_b32 v24, v25, v20
	ds_bpermute_b32 v25, v25, v21
	s_waitcnt lgkmcnt(2)
	v_add_f64 v[22:23], v[18:19], v[22:23]
	s_waitcnt lgkmcnt(0)
	v_add_f64 v[18:19], v[20:21], v[24:25]
	v_xor_b32_e32 v20, 1, v27
	v_cmp_lt_i32_e64 s[4:5], v20, v28
	v_cndmask_b32_e64 v20, v27, v20, s[4:5]
	v_lshlrev_b32_e32 v21, 2, v20
	ds_bpermute_b32 v24, v21, v22
	ds_bpermute_b32 v25, v21, v23
	;; [unrolled: 1-line block ×4, first 2 shown]
	s_and_saveexec_b64 s[4:5], s[2:3]
	s_cbranch_execz .LBB535_12
; %bb.9:
	v_mov_b32_e32 v27, s13
	v_add_co_u32_e64 v2, s[2:3], s12, v2
	v_addc_co_u32_e64 v3, s[2:3], v27, v3, s[2:3]
	s_waitcnt lgkmcnt(2)
	v_add_f64 v[22:23], v[22:23], v[24:25]
	s_and_saveexec_b64 s[2:3], s[0:1]
	s_cbranch_execnz .LBB535_13
; %bb.10:
	s_or_b64 exec, exec, s[2:3]
	s_and_saveexec_b64 s[2:3], vcc
	s_cbranch_execnz .LBB535_14
.LBB535_11:
	s_or_b64 exec, exec, s[2:3]
	v_cmp_ne_u32_e64 s[2:3], 1, v26
	s_and_b64 exec, exec, s[2:3]
	s_cbranch_execnz .LBB535_15
.LBB535_12:
	s_endpgm
.LBB535_13:
	s_waitcnt vmcnt(0)
	v_fma_f64 v[6:7], -v[22:23], v[8:9], v[6:7]
	global_store_dwordx2 v[2:3], v[6:7], off
	s_or_b64 exec, exec, s[2:3]
	s_and_saveexec_b64 s[2:3], vcc
	s_cbranch_execz .LBB535_11
.LBB535_14:
	s_waitcnt vmcnt(0)
	v_fma_f64 v[0:1], -v[22:23], v[10:11], v[0:1]
	global_store_dwordx2 v[2:3], v[0:1], off offset:256
	s_or_b64 exec, exec, s[2:3]
	v_cmp_ne_u32_e64 s[2:3], 1, v26
	s_and_b64 exec, exec, s[2:3]
	s_cbranch_execz .LBB535_12
.LBB535_15:
	s_waitcnt lgkmcnt(0)
	v_add_f64 v[0:1], v[18:19], v[20:21]
	s_and_saveexec_b64 s[2:3], s[0:1]
	s_cbranch_execz .LBB535_17
; %bb.16:
	s_mov_b32 s11, 0
	s_lshl_b64 s[0:1], s[10:11], 3
	s_waitcnt vmcnt(0)
	v_mov_b32_e32 v9, s1
	v_add_co_u32_e64 v8, s[0:1], s0, v2
	v_fma_f64 v[6:7], -v[0:1], v[14:15], v[12:13]
	v_addc_co_u32_e64 v9, s[0:1], v3, v9, s[0:1]
	global_store_dwordx2 v[8:9], v[6:7], off
.LBB535_17:
	s_or_b64 exec, exec, s[2:3]
	s_and_b64 exec, exec, vcc
	s_cbranch_execz .LBB535_12
; %bb.18:
	s_ashr_i32 s11, s10, 31
	s_lshl_b64 s[0:1], s[10:11], 3
	s_waitcnt vmcnt(0)
	v_fma_f64 v[0:1], -v[0:1], v[16:17], v[4:5]
	v_mov_b32_e32 v4, s1
	v_add_co_u32_e32 v2, vcc, s0, v2
	v_addc_co_u32_e32 v3, vcc, v3, v4, vcc
	global_store_dwordx2 v[2:3], v[0:1], off offset:256
	s_endpgm
	.section	.rodata,"a",@progbits
	.p2align	6, 0x0
	.amdhsa_kernel _ZN12_GLOBAL__N_121softmax_warp_backwardIdddLi6ELb0ELb0ELi32EEEvPT0_PKT_S5_iiiPKb
		.amdhsa_group_segment_fixed_size 0
		.amdhsa_private_segment_fixed_size 0
		.amdhsa_kernarg_size 304
		.amdhsa_user_sgpr_count 6
		.amdhsa_user_sgpr_private_segment_buffer 1
		.amdhsa_user_sgpr_dispatch_ptr 0
		.amdhsa_user_sgpr_queue_ptr 0
		.amdhsa_user_sgpr_kernarg_segment_ptr 1
		.amdhsa_user_sgpr_dispatch_id 0
		.amdhsa_user_sgpr_flat_scratch_init 0
		.amdhsa_user_sgpr_kernarg_preload_length 0
		.amdhsa_user_sgpr_kernarg_preload_offset 0
		.amdhsa_user_sgpr_private_segment_size 0
		.amdhsa_uses_dynamic_stack 0
		.amdhsa_system_sgpr_private_segment_wavefront_offset 0
		.amdhsa_system_sgpr_workgroup_id_x 1
		.amdhsa_system_sgpr_workgroup_id_y 0
		.amdhsa_system_sgpr_workgroup_id_z 0
		.amdhsa_system_sgpr_workgroup_info 0
		.amdhsa_system_vgpr_workitem_id 1
		.amdhsa_next_free_vgpr 29
		.amdhsa_next_free_sgpr 16
		.amdhsa_accum_offset 32
		.amdhsa_reserve_vcc 1
		.amdhsa_reserve_flat_scratch 0
		.amdhsa_float_round_mode_32 0
		.amdhsa_float_round_mode_16_64 0
		.amdhsa_float_denorm_mode_32 3
		.amdhsa_float_denorm_mode_16_64 3
		.amdhsa_dx10_clamp 1
		.amdhsa_ieee_mode 1
		.amdhsa_fp16_overflow 0
		.amdhsa_tg_split 0
		.amdhsa_exception_fp_ieee_invalid_op 0
		.amdhsa_exception_fp_denorm_src 0
		.amdhsa_exception_fp_ieee_div_zero 0
		.amdhsa_exception_fp_ieee_overflow 0
		.amdhsa_exception_fp_ieee_underflow 0
		.amdhsa_exception_fp_ieee_inexact 0
		.amdhsa_exception_int_div_zero 0
	.end_amdhsa_kernel
	.section	.text._ZN12_GLOBAL__N_121softmax_warp_backwardIdddLi6ELb0ELb0ELi32EEEvPT0_PKT_S5_iiiPKb,"axG",@progbits,_ZN12_GLOBAL__N_121softmax_warp_backwardIdddLi6ELb0ELb0ELi32EEEvPT0_PKT_S5_iiiPKb,comdat
.Lfunc_end535:
	.size	_ZN12_GLOBAL__N_121softmax_warp_backwardIdddLi6ELb0ELb0ELi32EEEvPT0_PKT_S5_iiiPKb, .Lfunc_end535-_ZN12_GLOBAL__N_121softmax_warp_backwardIdddLi6ELb0ELb0ELi32EEEvPT0_PKT_S5_iiiPKb
                                        ; -- End function
	.section	.AMDGPU.csdata,"",@progbits
; Kernel info:
; codeLenInByte = 1152
; NumSgprs: 20
; NumVgprs: 29
; NumAgprs: 0
; TotalNumVgprs: 29
; ScratchSize: 0
; MemoryBound: 0
; FloatMode: 240
; IeeeMode: 1
; LDSByteSize: 0 bytes/workgroup (compile time only)
; SGPRBlocks: 2
; VGPRBlocks: 3
; NumSGPRsForWavesPerEU: 20
; NumVGPRsForWavesPerEU: 29
; AccumOffset: 32
; Occupancy: 8
; WaveLimiterHint : 0
; COMPUTE_PGM_RSRC2:SCRATCH_EN: 0
; COMPUTE_PGM_RSRC2:USER_SGPR: 6
; COMPUTE_PGM_RSRC2:TRAP_HANDLER: 0
; COMPUTE_PGM_RSRC2:TGID_X_EN: 1
; COMPUTE_PGM_RSRC2:TGID_Y_EN: 0
; COMPUTE_PGM_RSRC2:TGID_Z_EN: 0
; COMPUTE_PGM_RSRC2:TIDIG_COMP_CNT: 1
; COMPUTE_PGM_RSRC3_GFX90A:ACCUM_OFFSET: 7
; COMPUTE_PGM_RSRC3_GFX90A:TG_SPLIT: 0
	.section	.text._ZN12_GLOBAL__N_121softmax_warp_backwardIdddLi7ELb0ELb0ELi64EEEvPT0_PKT_S5_iiiPKb,"axG",@progbits,_ZN12_GLOBAL__N_121softmax_warp_backwardIdddLi7ELb0ELb0ELi64EEEvPT0_PKT_S5_iiiPKb,comdat
	.globl	_ZN12_GLOBAL__N_121softmax_warp_backwardIdddLi7ELb0ELb0ELi64EEEvPT0_PKT_S5_iiiPKb ; -- Begin function _ZN12_GLOBAL__N_121softmax_warp_backwardIdddLi7ELb0ELb0ELi64EEEvPT0_PKT_S5_iiiPKb
	.p2align	8
	.type	_ZN12_GLOBAL__N_121softmax_warp_backwardIdddLi7ELb0ELb0ELi64EEEvPT0_PKT_S5_iiiPKb,@function
_ZN12_GLOBAL__N_121softmax_warp_backwardIdddLi7ELb0ELb0ELi64EEEvPT0_PKT_S5_iiiPKb: ; @_ZN12_GLOBAL__N_121softmax_warp_backwardIdddLi7ELb0ELb0ELi64EEEvPT0_PKT_S5_iiiPKb
; %bb.0:
	s_load_dword s2, s[4:5], 0x3c
	s_load_dwordx4 s[8:11], s[4:5], 0x18
	s_load_dwordx4 s[12:15], s[4:5], 0x0
	s_load_dwordx2 s[0:1], s[4:5], 0x10
	v_bfe_u32 v1, v0, 10, 10
	s_waitcnt lgkmcnt(0)
	s_lshr_b32 s2, s2, 16
	s_mul_i32 s6, s6, s2
	v_add_lshl_u32 v1, s6, v1, 1
	v_and_b32_e32 v4, 63, v0
	v_sub_u32_e32 v26, s8, v1
	v_mad_u64_u32 v[0:1], s[2:3], v1, s9, v[4:5]
	v_ashrrev_i32_e32 v1, 31, v0
	v_lshlrev_b64 v[2:3], 3, v[0:1]
	v_mov_b32_e32 v0, s15
	v_add_co_u32_e32 v18, vcc, s14, v2
	v_addc_co_u32_e32 v19, vcc, v0, v3, vcc
	v_mov_b32_e32 v0, s1
	v_add_co_u32_e32 v20, vcc, s0, v2
	v_addc_co_u32_e32 v21, vcc, v0, v3, vcc
	v_cmp_lt_i32_e64 s[2:3], 0, v26
	v_cmp_gt_i32_e64 s[0:1], s10, v4
	v_pk_mov_b32 v[0:1], 0, 0
	s_and_b64 s[6:7], s[2:3], s[0:1]
	v_pk_mov_b32 v[6:7], v[0:1], v[0:1] op_sel:[0,1]
	v_pk_mov_b32 v[8:9], v[0:1], v[0:1] op_sel:[0,1]
	s_and_saveexec_b64 s[4:5], s[6:7]
	s_cbranch_execz .LBB536_2
; %bb.1:
	global_load_dwordx2 v[6:7], v[18:19], off
	global_load_dwordx2 v[8:9], v[20:21], off
.LBB536_2:
	s_or_b64 exec, exec, s[4:5]
	v_or_b32_e32 v4, 64, v4
	v_cmp_gt_i32_e32 vcc, s10, v4
	s_and_b64 s[6:7], s[2:3], vcc
	v_pk_mov_b32 v[10:11], v[0:1], v[0:1] op_sel:[0,1]
	s_and_saveexec_b64 s[4:5], s[6:7]
	s_cbranch_execz .LBB536_4
; %bb.3:
	global_load_dwordx2 v[0:1], v[18:19], off offset:512
	global_load_dwordx2 v[10:11], v[20:21], off offset:512
.LBB536_4:
	s_or_b64 exec, exec, s[4:5]
	v_cmp_lt_i32_e64 s[4:5], 1, v26
	v_pk_mov_b32 v[4:5], 0, 0
	s_and_b64 s[6:7], s[4:5], s[0:1]
	v_pk_mov_b32 v[12:13], v[4:5], v[4:5] op_sel:[0,1]
	v_pk_mov_b32 v[14:15], v[4:5], v[4:5] op_sel:[0,1]
	s_and_saveexec_b64 s[8:9], s[6:7]
	s_cbranch_execz .LBB536_6
; %bb.5:
	s_mov_b32 s11, 0
	s_lshl_b64 s[14:15], s[10:11], 3
	v_mov_b32_e32 v15, s15
	v_add_co_u32_e64 v12, s[6:7], s14, v18
	v_addc_co_u32_e64 v13, s[6:7], v19, v15, s[6:7]
	v_add_co_u32_e64 v14, s[6:7], s14, v20
	v_addc_co_u32_e64 v15, s[6:7], v21, v15, s[6:7]
	global_load_dwordx2 v[12:13], v[12:13], off
	s_nop 0
	global_load_dwordx2 v[14:15], v[14:15], off
.LBB536_6:
	s_or_b64 exec, exec, s[8:9]
	s_and_b64 s[4:5], s[4:5], vcc
	v_pk_mov_b32 v[16:17], v[4:5], v[4:5] op_sel:[0,1]
	s_and_saveexec_b64 s[6:7], s[4:5]
	s_cbranch_execz .LBB536_8
; %bb.7:
	s_mov_b32 s11, 0
	s_lshl_b64 s[8:9], s[10:11], 3
	v_mov_b32_e32 v17, s9
	v_add_co_u32_e64 v4, s[4:5], s8, v18
	v_addc_co_u32_e64 v5, s[4:5], v19, v17, s[4:5]
	v_add_co_u32_e64 v16, s[4:5], s8, v20
	v_addc_co_u32_e64 v17, s[4:5], v21, v17, s[4:5]
	global_load_dwordx2 v[4:5], v[4:5], off offset:512
	s_nop 0
	global_load_dwordx2 v[16:17], v[16:17], off offset:512
.LBB536_8:
	s_or_b64 exec, exec, s[6:7]
	v_mbcnt_lo_u32_b32 v22, -1, 0
	v_mbcnt_hi_u32_b32 v27, -1, v22
	v_and_b32_e32 v22, 64, v27
	v_add_u32_e32 v28, 64, v22
	v_xor_b32_e32 v22, 32, v27
	v_cmp_lt_i32_e64 s[4:5], v22, v28
	s_waitcnt vmcnt(1)
	v_add_f64 v[18:19], v[6:7], 0
	v_cndmask_b32_e64 v22, v27, v22, s[4:5]
	v_add_f64 v[18:19], v[18:19], v[0:1]
	v_lshlrev_b32_e32 v25, 2, v22
	ds_bpermute_b32 v22, v25, v18
	ds_bpermute_b32 v23, v25, v19
	v_add_f64 v[20:21], v[12:13], 0
	v_add_f64 v[20:21], v[20:21], v[4:5]
	ds_bpermute_b32 v24, v25, v20
	ds_bpermute_b32 v25, v25, v21
	s_waitcnt lgkmcnt(2)
	v_add_f64 v[18:19], v[18:19], v[22:23]
	v_xor_b32_e32 v22, 16, v27
	v_cmp_lt_i32_e64 s[4:5], v22, v28
	v_cndmask_b32_e64 v22, v27, v22, s[4:5]
	s_waitcnt lgkmcnt(0)
	v_add_f64 v[20:21], v[20:21], v[24:25]
	v_lshlrev_b32_e32 v25, 2, v22
	ds_bpermute_b32 v22, v25, v18
	ds_bpermute_b32 v23, v25, v19
	ds_bpermute_b32 v24, v25, v20
	ds_bpermute_b32 v25, v25, v21
	s_waitcnt lgkmcnt(2)
	v_add_f64 v[18:19], v[18:19], v[22:23]
	v_xor_b32_e32 v22, 8, v27
	v_cmp_lt_i32_e64 s[4:5], v22, v28
	v_cndmask_b32_e64 v22, v27, v22, s[4:5]
	s_waitcnt lgkmcnt(0)
	v_add_f64 v[20:21], v[20:21], v[24:25]
	v_lshlrev_b32_e32 v25, 2, v22
	ds_bpermute_b32 v22, v25, v18
	ds_bpermute_b32 v23, v25, v19
	ds_bpermute_b32 v24, v25, v20
	ds_bpermute_b32 v25, v25, v21
	s_waitcnt lgkmcnt(2)
	v_add_f64 v[18:19], v[18:19], v[22:23]
	v_xor_b32_e32 v22, 4, v27
	v_cmp_lt_i32_e64 s[4:5], v22, v28
	v_cndmask_b32_e64 v22, v27, v22, s[4:5]
	s_waitcnt lgkmcnt(0)
	v_add_f64 v[20:21], v[20:21], v[24:25]
	v_lshlrev_b32_e32 v25, 2, v22
	ds_bpermute_b32 v22, v25, v18
	ds_bpermute_b32 v23, v25, v19
	ds_bpermute_b32 v24, v25, v20
	ds_bpermute_b32 v25, v25, v21
	s_waitcnt lgkmcnt(2)
	v_add_f64 v[18:19], v[18:19], v[22:23]
	v_xor_b32_e32 v22, 2, v27
	v_cmp_lt_i32_e64 s[4:5], v22, v28
	v_cndmask_b32_e64 v22, v27, v22, s[4:5]
	s_waitcnt lgkmcnt(0)
	v_add_f64 v[20:21], v[20:21], v[24:25]
	v_lshlrev_b32_e32 v25, 2, v22
	ds_bpermute_b32 v22, v25, v18
	ds_bpermute_b32 v23, v25, v19
	ds_bpermute_b32 v24, v25, v20
	ds_bpermute_b32 v25, v25, v21
	s_waitcnt lgkmcnt(2)
	v_add_f64 v[22:23], v[18:19], v[22:23]
	s_waitcnt lgkmcnt(0)
	v_add_f64 v[18:19], v[20:21], v[24:25]
	v_xor_b32_e32 v20, 1, v27
	v_cmp_lt_i32_e64 s[4:5], v20, v28
	v_cndmask_b32_e64 v20, v27, v20, s[4:5]
	v_lshlrev_b32_e32 v21, 2, v20
	ds_bpermute_b32 v24, v21, v22
	ds_bpermute_b32 v25, v21, v23
	;; [unrolled: 1-line block ×4, first 2 shown]
	s_and_saveexec_b64 s[4:5], s[2:3]
	s_cbranch_execz .LBB536_12
; %bb.9:
	v_mov_b32_e32 v27, s13
	v_add_co_u32_e64 v2, s[2:3], s12, v2
	v_addc_co_u32_e64 v3, s[2:3], v27, v3, s[2:3]
	s_waitcnt lgkmcnt(2)
	v_add_f64 v[22:23], v[22:23], v[24:25]
	s_and_saveexec_b64 s[2:3], s[0:1]
	s_cbranch_execnz .LBB536_13
; %bb.10:
	s_or_b64 exec, exec, s[2:3]
	s_and_saveexec_b64 s[2:3], vcc
	s_cbranch_execnz .LBB536_14
.LBB536_11:
	s_or_b64 exec, exec, s[2:3]
	v_cmp_ne_u32_e64 s[2:3], 1, v26
	s_and_b64 exec, exec, s[2:3]
	s_cbranch_execnz .LBB536_15
.LBB536_12:
	s_endpgm
.LBB536_13:
	s_waitcnt vmcnt(0)
	v_fma_f64 v[6:7], -v[22:23], v[8:9], v[6:7]
	global_store_dwordx2 v[2:3], v[6:7], off
	s_or_b64 exec, exec, s[2:3]
	s_and_saveexec_b64 s[2:3], vcc
	s_cbranch_execz .LBB536_11
.LBB536_14:
	s_waitcnt vmcnt(0)
	v_fma_f64 v[0:1], -v[22:23], v[10:11], v[0:1]
	global_store_dwordx2 v[2:3], v[0:1], off offset:512
	s_or_b64 exec, exec, s[2:3]
	v_cmp_ne_u32_e64 s[2:3], 1, v26
	s_and_b64 exec, exec, s[2:3]
	s_cbranch_execz .LBB536_12
.LBB536_15:
	s_waitcnt lgkmcnt(0)
	v_add_f64 v[0:1], v[18:19], v[20:21]
	s_and_saveexec_b64 s[2:3], s[0:1]
	s_cbranch_execz .LBB536_17
; %bb.16:
	s_mov_b32 s11, 0
	s_lshl_b64 s[0:1], s[10:11], 3
	s_waitcnt vmcnt(0)
	v_mov_b32_e32 v9, s1
	v_add_co_u32_e64 v8, s[0:1], s0, v2
	v_fma_f64 v[6:7], -v[0:1], v[14:15], v[12:13]
	v_addc_co_u32_e64 v9, s[0:1], v3, v9, s[0:1]
	global_store_dwordx2 v[8:9], v[6:7], off
.LBB536_17:
	s_or_b64 exec, exec, s[2:3]
	s_and_b64 exec, exec, vcc
	s_cbranch_execz .LBB536_12
; %bb.18:
	s_ashr_i32 s11, s10, 31
	s_lshl_b64 s[0:1], s[10:11], 3
	s_waitcnt vmcnt(0)
	v_fma_f64 v[0:1], -v[0:1], v[16:17], v[4:5]
	v_mov_b32_e32 v4, s1
	v_add_co_u32_e32 v2, vcc, s0, v2
	v_addc_co_u32_e32 v3, vcc, v3, v4, vcc
	global_store_dwordx2 v[2:3], v[0:1], off offset:512
	s_endpgm
	.section	.rodata,"a",@progbits
	.p2align	6, 0x0
	.amdhsa_kernel _ZN12_GLOBAL__N_121softmax_warp_backwardIdddLi7ELb0ELb0ELi64EEEvPT0_PKT_S5_iiiPKb
		.amdhsa_group_segment_fixed_size 0
		.amdhsa_private_segment_fixed_size 0
		.amdhsa_kernarg_size 304
		.amdhsa_user_sgpr_count 6
		.amdhsa_user_sgpr_private_segment_buffer 1
		.amdhsa_user_sgpr_dispatch_ptr 0
		.amdhsa_user_sgpr_queue_ptr 0
		.amdhsa_user_sgpr_kernarg_segment_ptr 1
		.amdhsa_user_sgpr_dispatch_id 0
		.amdhsa_user_sgpr_flat_scratch_init 0
		.amdhsa_user_sgpr_kernarg_preload_length 0
		.amdhsa_user_sgpr_kernarg_preload_offset 0
		.amdhsa_user_sgpr_private_segment_size 0
		.amdhsa_uses_dynamic_stack 0
		.amdhsa_system_sgpr_private_segment_wavefront_offset 0
		.amdhsa_system_sgpr_workgroup_id_x 1
		.amdhsa_system_sgpr_workgroup_id_y 0
		.amdhsa_system_sgpr_workgroup_id_z 0
		.amdhsa_system_sgpr_workgroup_info 0
		.amdhsa_system_vgpr_workitem_id 1
		.amdhsa_next_free_vgpr 29
		.amdhsa_next_free_sgpr 16
		.amdhsa_accum_offset 32
		.amdhsa_reserve_vcc 1
		.amdhsa_reserve_flat_scratch 0
		.amdhsa_float_round_mode_32 0
		.amdhsa_float_round_mode_16_64 0
		.amdhsa_float_denorm_mode_32 3
		.amdhsa_float_denorm_mode_16_64 3
		.amdhsa_dx10_clamp 1
		.amdhsa_ieee_mode 1
		.amdhsa_fp16_overflow 0
		.amdhsa_tg_split 0
		.amdhsa_exception_fp_ieee_invalid_op 0
		.amdhsa_exception_fp_denorm_src 0
		.amdhsa_exception_fp_ieee_div_zero 0
		.amdhsa_exception_fp_ieee_overflow 0
		.amdhsa_exception_fp_ieee_underflow 0
		.amdhsa_exception_fp_ieee_inexact 0
		.amdhsa_exception_int_div_zero 0
	.end_amdhsa_kernel
	.section	.text._ZN12_GLOBAL__N_121softmax_warp_backwardIdddLi7ELb0ELb0ELi64EEEvPT0_PKT_S5_iiiPKb,"axG",@progbits,_ZN12_GLOBAL__N_121softmax_warp_backwardIdddLi7ELb0ELb0ELi64EEEvPT0_PKT_S5_iiiPKb,comdat
.Lfunc_end536:
	.size	_ZN12_GLOBAL__N_121softmax_warp_backwardIdddLi7ELb0ELb0ELi64EEEvPT0_PKT_S5_iiiPKb, .Lfunc_end536-_ZN12_GLOBAL__N_121softmax_warp_backwardIdddLi7ELb0ELb0ELi64EEEvPT0_PKT_S5_iiiPKb
                                        ; -- End function
	.section	.AMDGPU.csdata,"",@progbits
; Kernel info:
; codeLenInByte = 1228
; NumSgprs: 20
; NumVgprs: 29
; NumAgprs: 0
; TotalNumVgprs: 29
; ScratchSize: 0
; MemoryBound: 0
; FloatMode: 240
; IeeeMode: 1
; LDSByteSize: 0 bytes/workgroup (compile time only)
; SGPRBlocks: 2
; VGPRBlocks: 3
; NumSGPRsForWavesPerEU: 20
; NumVGPRsForWavesPerEU: 29
; AccumOffset: 32
; Occupancy: 8
; WaveLimiterHint : 0
; COMPUTE_PGM_RSRC2:SCRATCH_EN: 0
; COMPUTE_PGM_RSRC2:USER_SGPR: 6
; COMPUTE_PGM_RSRC2:TRAP_HANDLER: 0
; COMPUTE_PGM_RSRC2:TGID_X_EN: 1
; COMPUTE_PGM_RSRC2:TGID_Y_EN: 0
; COMPUTE_PGM_RSRC2:TGID_Z_EN: 0
; COMPUTE_PGM_RSRC2:TIDIG_COMP_CNT: 1
; COMPUTE_PGM_RSRC3_GFX90A:ACCUM_OFFSET: 7
; COMPUTE_PGM_RSRC3_GFX90A:TG_SPLIT: 0
	.section	.text._ZN12_GLOBAL__N_121softmax_warp_backwardIdddLi7ELb0ELb0ELi32EEEvPT0_PKT_S5_iiiPKb,"axG",@progbits,_ZN12_GLOBAL__N_121softmax_warp_backwardIdddLi7ELb0ELb0ELi32EEEvPT0_PKT_S5_iiiPKb,comdat
	.globl	_ZN12_GLOBAL__N_121softmax_warp_backwardIdddLi7ELb0ELb0ELi32EEEvPT0_PKT_S5_iiiPKb ; -- Begin function _ZN12_GLOBAL__N_121softmax_warp_backwardIdddLi7ELb0ELb0ELi32EEEvPT0_PKT_S5_iiiPKb
	.p2align	8
	.type	_ZN12_GLOBAL__N_121softmax_warp_backwardIdddLi7ELb0ELb0ELi32EEEvPT0_PKT_S5_iiiPKb,@function
_ZN12_GLOBAL__N_121softmax_warp_backwardIdddLi7ELb0ELb0ELi32EEEvPT0_PKT_S5_iiiPKb: ; @_ZN12_GLOBAL__N_121softmax_warp_backwardIdddLi7ELb0ELb0ELi32EEEvPT0_PKT_S5_iiiPKb
; %bb.0:
	s_load_dword s2, s[4:5], 0x3c
	s_load_dwordx4 s[12:15], s[4:5], 0x18
	s_load_dwordx4 s[16:19], s[4:5], 0x0
	s_load_dwordx2 s[0:1], s[4:5], 0x10
	v_bfe_u32 v1, v0, 10, 10
	s_waitcnt lgkmcnt(0)
	s_lshr_b32 s2, s2, 16
	s_mul_i32 s6, s6, s2
	v_add_lshl_u32 v1, s6, v1, 1
	v_and_b32_e32 v12, 31, v0
	v_sub_u32_e32 v42, s12, v1
	v_mad_u64_u32 v[0:1], s[2:3], v1, s13, v[12:13]
	v_ashrrev_i32_e32 v1, 31, v0
	v_lshlrev_b64 v[2:3], 3, v[0:1]
	v_mov_b32_e32 v0, s19
	v_add_co_u32_e32 v34, vcc, s18, v2
	v_addc_co_u32_e32 v35, vcc, v0, v3, vcc
	v_mov_b32_e32 v0, s1
	v_add_co_u32_e32 v36, vcc, s0, v2
	v_addc_co_u32_e32 v37, vcc, v0, v3, vcc
	v_cmp_lt_i32_e64 s[6:7], 0, v42
	v_cmp_gt_i32_e32 vcc, s14, v12
	v_pk_mov_b32 v[0:1], 0, 0
	s_and_b64 s[2:3], s[6:7], vcc
	v_pk_mov_b32 v[4:5], v[0:1], v[0:1] op_sel:[0,1]
	v_pk_mov_b32 v[6:7], v[0:1], v[0:1] op_sel:[0,1]
	s_and_saveexec_b64 s[0:1], s[2:3]
	s_cbranch_execz .LBB537_2
; %bb.1:
	global_load_dwordx2 v[4:5], v[34:35], off
	global_load_dwordx2 v[6:7], v[36:37], off
.LBB537_2:
	s_or_b64 exec, exec, s[0:1]
	v_or_b32_e32 v8, 32, v12
	v_cmp_gt_i32_e64 s[0:1], s14, v8
	s_and_b64 s[4:5], s[6:7], s[0:1]
	v_pk_mov_b32 v[10:11], v[0:1], v[0:1] op_sel:[0,1]
	s_and_saveexec_b64 s[2:3], s[4:5]
	s_cbranch_execz .LBB537_4
; %bb.3:
	global_load_dwordx2 v[0:1], v[34:35], off offset:256
	global_load_dwordx2 v[10:11], v[36:37], off offset:256
.LBB537_4:
	s_or_b64 exec, exec, s[2:3]
	v_or_b32_e32 v8, 64, v12
	v_cmp_gt_i32_e64 s[2:3], s14, v8
	v_pk_mov_b32 v[8:9], 0, 0
	s_and_b64 s[8:9], s[6:7], s[2:3]
	v_pk_mov_b32 v[14:15], v[8:9], v[8:9] op_sel:[0,1]
	v_pk_mov_b32 v[16:17], v[8:9], v[8:9] op_sel:[0,1]
	s_and_saveexec_b64 s[4:5], s[8:9]
	s_cbranch_execz .LBB537_6
; %bb.5:
	global_load_dwordx2 v[14:15], v[34:35], off offset:512
	global_load_dwordx2 v[16:17], v[36:37], off offset:512
.LBB537_6:
	s_or_b64 exec, exec, s[4:5]
	v_or_b32_e32 v12, 0x60, v12
	v_cmp_gt_i32_e64 s[4:5], s14, v12
	s_and_b64 s[10:11], s[6:7], s[4:5]
	v_pk_mov_b32 v[20:21], v[8:9], v[8:9] op_sel:[0,1]
	s_and_saveexec_b64 s[8:9], s[10:11]
	s_cbranch_execz .LBB537_8
; %bb.7:
	global_load_dwordx2 v[8:9], v[34:35], off offset:768
	global_load_dwordx2 v[20:21], v[36:37], off offset:768
.LBB537_8:
	s_or_b64 exec, exec, s[8:9]
	v_cmp_lt_i32_e64 s[8:9], 1, v42
	v_pk_mov_b32 v[12:13], 0, 0
	s_and_b64 s[10:11], s[8:9], vcc
	v_pk_mov_b32 v[18:19], v[12:13], v[12:13] op_sel:[0,1]
	v_pk_mov_b32 v[22:23], v[12:13], v[12:13] op_sel:[0,1]
	s_and_saveexec_b64 s[12:13], s[10:11]
	s_cbranch_execz .LBB537_10
; %bb.9:
	s_mov_b32 s15, 0
	s_lshl_b64 s[18:19], s[14:15], 3
	v_mov_b32_e32 v23, s19
	v_add_co_u32_e64 v18, s[10:11], s18, v34
	v_addc_co_u32_e64 v19, s[10:11], v35, v23, s[10:11]
	v_add_co_u32_e64 v22, s[10:11], s18, v36
	v_addc_co_u32_e64 v23, s[10:11], v37, v23, s[10:11]
	global_load_dwordx2 v[18:19], v[18:19], off
	s_nop 0
	global_load_dwordx2 v[22:23], v[22:23], off
.LBB537_10:
	s_or_b64 exec, exec, s[12:13]
	s_and_b64 s[10:11], s[8:9], s[0:1]
	v_pk_mov_b32 v[24:25], v[12:13], v[12:13] op_sel:[0,1]
	s_and_saveexec_b64 s[12:13], s[10:11]
	s_cbranch_execz .LBB537_12
; %bb.11:
	s_mov_b32 s15, 0
	s_lshl_b64 s[18:19], s[14:15], 3
	v_mov_b32_e32 v25, s19
	v_add_co_u32_e64 v12, s[10:11], s18, v34
	v_addc_co_u32_e64 v13, s[10:11], v35, v25, s[10:11]
	v_add_co_u32_e64 v24, s[10:11], s18, v36
	v_addc_co_u32_e64 v25, s[10:11], v37, v25, s[10:11]
	global_load_dwordx2 v[12:13], v[12:13], off offset:256
	s_nop 0
	global_load_dwordx2 v[24:25], v[24:25], off offset:256
.LBB537_12:
	s_or_b64 exec, exec, s[12:13]
	v_pk_mov_b32 v[26:27], 0, 0
	s_and_b64 s[10:11], s[8:9], s[2:3]
	v_pk_mov_b32 v[28:29], v[26:27], v[26:27] op_sel:[0,1]
	v_pk_mov_b32 v[30:31], v[26:27], v[26:27] op_sel:[0,1]
	s_and_saveexec_b64 s[12:13], s[10:11]
	s_cbranch_execz .LBB537_14
; %bb.13:
	s_mov_b32 s15, 0
	s_lshl_b64 s[18:19], s[14:15], 3
	v_mov_b32_e32 v31, s19
	v_add_co_u32_e64 v28, s[10:11], s18, v34
	v_addc_co_u32_e64 v29, s[10:11], v35, v31, s[10:11]
	v_add_co_u32_e64 v30, s[10:11], s18, v36
	v_addc_co_u32_e64 v31, s[10:11], v37, v31, s[10:11]
	global_load_dwordx2 v[28:29], v[28:29], off offset:512
	s_nop 0
	global_load_dwordx2 v[30:31], v[30:31], off offset:512
.LBB537_14:
	s_or_b64 exec, exec, s[12:13]
	s_and_b64 s[8:9], s[8:9], s[4:5]
	v_pk_mov_b32 v[32:33], v[26:27], v[26:27] op_sel:[0,1]
	s_and_saveexec_b64 s[10:11], s[8:9]
	s_cbranch_execz .LBB537_16
; %bb.15:
	s_mov_b32 s15, 0
	s_lshl_b64 s[12:13], s[14:15], 3
	v_mov_b32_e32 v33, s13
	v_add_co_u32_e64 v26, s[8:9], s12, v34
	v_addc_co_u32_e64 v27, s[8:9], v35, v33, s[8:9]
	v_add_co_u32_e64 v32, s[8:9], s12, v36
	v_addc_co_u32_e64 v33, s[8:9], v37, v33, s[8:9]
	global_load_dwordx2 v[26:27], v[26:27], off offset:768
	s_nop 0
	global_load_dwordx2 v[32:33], v[32:33], off offset:768
.LBB537_16:
	s_or_b64 exec, exec, s[10:11]
	v_mbcnt_lo_u32_b32 v38, -1, 0
	v_mbcnt_hi_u32_b32 v43, -1, v38
	v_and_b32_e32 v38, 0x60, v43
	s_waitcnt vmcnt(1)
	v_add_f64 v[34:35], v[4:5], 0
	v_add_u32_e32 v44, 32, v38
	v_xor_b32_e32 v38, 16, v43
	v_add_f64 v[34:35], v[34:35], v[0:1]
	v_cmp_lt_i32_e64 s[8:9], v38, v44
	v_add_f64 v[34:35], v[34:35], v[14:15]
	v_cndmask_b32_e64 v38, v43, v38, s[8:9]
	v_add_f64 v[34:35], v[34:35], v[8:9]
	v_add_f64 v[36:37], v[18:19], 0
	v_lshlrev_b32_e32 v41, 2, v38
	v_add_f64 v[36:37], v[36:37], v[12:13]
	ds_bpermute_b32 v38, v41, v34
	ds_bpermute_b32 v39, v41, v35
	v_add_f64 v[36:37], v[36:37], v[28:29]
	v_add_f64 v[36:37], v[36:37], v[26:27]
	ds_bpermute_b32 v40, v41, v36
	ds_bpermute_b32 v41, v41, v37
	s_waitcnt lgkmcnt(2)
	v_add_f64 v[34:35], v[34:35], v[38:39]
	v_xor_b32_e32 v38, 8, v43
	v_cmp_lt_i32_e64 s[8:9], v38, v44
	v_cndmask_b32_e64 v38, v43, v38, s[8:9]
	s_waitcnt lgkmcnt(0)
	v_add_f64 v[36:37], v[36:37], v[40:41]
	v_lshlrev_b32_e32 v41, 2, v38
	ds_bpermute_b32 v38, v41, v34
	ds_bpermute_b32 v39, v41, v35
	ds_bpermute_b32 v40, v41, v36
	ds_bpermute_b32 v41, v41, v37
	s_waitcnt lgkmcnt(2)
	v_add_f64 v[34:35], v[34:35], v[38:39]
	v_xor_b32_e32 v38, 4, v43
	v_cmp_lt_i32_e64 s[8:9], v38, v44
	v_cndmask_b32_e64 v38, v43, v38, s[8:9]
	s_waitcnt lgkmcnt(0)
	v_add_f64 v[36:37], v[36:37], v[40:41]
	v_lshlrev_b32_e32 v41, 2, v38
	ds_bpermute_b32 v38, v41, v34
	ds_bpermute_b32 v39, v41, v35
	;; [unrolled: 12-line block ×3, first 2 shown]
	ds_bpermute_b32 v40, v41, v36
	ds_bpermute_b32 v41, v41, v37
	s_waitcnt lgkmcnt(2)
	v_add_f64 v[38:39], v[34:35], v[38:39]
	s_waitcnt lgkmcnt(0)
	v_add_f64 v[34:35], v[36:37], v[40:41]
	v_xor_b32_e32 v36, 1, v43
	v_cmp_lt_i32_e64 s[8:9], v36, v44
	v_cndmask_b32_e64 v36, v43, v36, s[8:9]
	v_lshlrev_b32_e32 v37, 2, v36
	ds_bpermute_b32 v40, v37, v38
	ds_bpermute_b32 v41, v37, v39
	;; [unrolled: 1-line block ×4, first 2 shown]
	s_and_saveexec_b64 s[8:9], s[6:7]
	s_cbranch_execz .LBB537_22
; %bb.17:
	v_mov_b32_e32 v43, s17
	v_add_co_u32_e64 v2, s[6:7], s16, v2
	v_addc_co_u32_e64 v3, s[6:7], v43, v3, s[6:7]
	s_waitcnt lgkmcnt(2)
	v_add_f64 v[38:39], v[38:39], v[40:41]
	s_and_saveexec_b64 s[6:7], vcc
	s_cbranch_execnz .LBB537_23
; %bb.18:
	s_or_b64 exec, exec, s[6:7]
	s_and_saveexec_b64 s[6:7], s[0:1]
	s_cbranch_execnz .LBB537_24
.LBB537_19:
	s_or_b64 exec, exec, s[6:7]
	s_and_saveexec_b64 s[6:7], s[2:3]
	s_cbranch_execnz .LBB537_25
.LBB537_20:
	s_or_b64 exec, exec, s[6:7]
	s_and_saveexec_b64 s[6:7], s[4:5]
	s_cbranch_execnz .LBB537_26
.LBB537_21:
	s_or_b64 exec, exec, s[6:7]
	v_cmp_ne_u32_e64 s[6:7], 1, v42
	s_and_b64 exec, exec, s[6:7]
	s_cbranch_execnz .LBB537_27
.LBB537_22:
	s_endpgm
.LBB537_23:
	s_waitcnt vmcnt(0)
	v_fma_f64 v[4:5], -v[38:39], v[6:7], v[4:5]
	global_store_dwordx2 v[2:3], v[4:5], off
	s_or_b64 exec, exec, s[6:7]
	s_and_saveexec_b64 s[6:7], s[0:1]
	s_cbranch_execz .LBB537_19
.LBB537_24:
	s_waitcnt vmcnt(0)
	v_fma_f64 v[0:1], -v[38:39], v[10:11], v[0:1]
	global_store_dwordx2 v[2:3], v[0:1], off offset:256
	s_or_b64 exec, exec, s[6:7]
	s_and_saveexec_b64 s[6:7], s[2:3]
	s_cbranch_execz .LBB537_20
.LBB537_25:
	s_waitcnt vmcnt(0)
	v_fma_f64 v[0:1], -v[38:39], v[16:17], v[14:15]
	global_store_dwordx2 v[2:3], v[0:1], off offset:512
	s_or_b64 exec, exec, s[6:7]
	s_and_saveexec_b64 s[6:7], s[4:5]
	s_cbranch_execz .LBB537_21
.LBB537_26:
	s_waitcnt vmcnt(0)
	v_fma_f64 v[0:1], -v[38:39], v[20:21], v[8:9]
	global_store_dwordx2 v[2:3], v[0:1], off offset:768
	s_or_b64 exec, exec, s[6:7]
	v_cmp_ne_u32_e64 s[6:7], 1, v42
	s_and_b64 exec, exec, s[6:7]
	s_cbranch_execz .LBB537_22
.LBB537_27:
	s_ashr_i32 s15, s14, 31
	s_lshl_b64 s[6:7], s[14:15], 3
	v_mov_b32_e32 v4, s7
	v_add_co_u32_e64 v2, s[6:7], s6, v2
	s_waitcnt lgkmcnt(0)
	v_add_f64 v[0:1], v[34:35], v[36:37]
	v_addc_co_u32_e64 v3, s[6:7], v3, v4, s[6:7]
	s_and_saveexec_b64 s[6:7], vcc
	s_cbranch_execnz .LBB537_31
; %bb.28:
	s_or_b64 exec, exec, s[6:7]
	s_and_saveexec_b64 s[6:7], s[0:1]
	s_cbranch_execnz .LBB537_32
.LBB537_29:
	s_or_b64 exec, exec, s[6:7]
	s_and_saveexec_b64 s[0:1], s[2:3]
	s_cbranch_execnz .LBB537_33
.LBB537_30:
	s_or_b64 exec, exec, s[0:1]
	s_and_b64 exec, exec, s[4:5]
	s_cbranch_execz .LBB537_22
	s_branch .LBB537_34
.LBB537_31:
	s_waitcnt vmcnt(0)
	v_fma_f64 v[4:5], -v[0:1], v[22:23], v[18:19]
	global_store_dwordx2 v[2:3], v[4:5], off
	s_or_b64 exec, exec, s[6:7]
	s_and_saveexec_b64 s[6:7], s[0:1]
	s_cbranch_execz .LBB537_29
.LBB537_32:
	s_waitcnt vmcnt(0)
	v_fma_f64 v[4:5], -v[0:1], v[24:25], v[12:13]
	global_store_dwordx2 v[2:3], v[4:5], off offset:256
	s_or_b64 exec, exec, s[6:7]
	s_and_saveexec_b64 s[0:1], s[2:3]
	s_cbranch_execz .LBB537_30
.LBB537_33:
	s_waitcnt vmcnt(0)
	v_fma_f64 v[4:5], -v[0:1], v[30:31], v[28:29]
	global_store_dwordx2 v[2:3], v[4:5], off offset:512
	s_or_b64 exec, exec, s[0:1]
	s_and_b64 exec, exec, s[4:5]
	s_cbranch_execz .LBB537_22
.LBB537_34:
	s_waitcnt vmcnt(0)
	v_fma_f64 v[0:1], -v[0:1], v[32:33], v[26:27]
	global_store_dwordx2 v[2:3], v[0:1], off offset:768
	s_endpgm
	.section	.rodata,"a",@progbits
	.p2align	6, 0x0
	.amdhsa_kernel _ZN12_GLOBAL__N_121softmax_warp_backwardIdddLi7ELb0ELb0ELi32EEEvPT0_PKT_S5_iiiPKb
		.amdhsa_group_segment_fixed_size 0
		.amdhsa_private_segment_fixed_size 0
		.amdhsa_kernarg_size 304
		.amdhsa_user_sgpr_count 6
		.amdhsa_user_sgpr_private_segment_buffer 1
		.amdhsa_user_sgpr_dispatch_ptr 0
		.amdhsa_user_sgpr_queue_ptr 0
		.amdhsa_user_sgpr_kernarg_segment_ptr 1
		.amdhsa_user_sgpr_dispatch_id 0
		.amdhsa_user_sgpr_flat_scratch_init 0
		.amdhsa_user_sgpr_kernarg_preload_length 0
		.amdhsa_user_sgpr_kernarg_preload_offset 0
		.amdhsa_user_sgpr_private_segment_size 0
		.amdhsa_uses_dynamic_stack 0
		.amdhsa_system_sgpr_private_segment_wavefront_offset 0
		.amdhsa_system_sgpr_workgroup_id_x 1
		.amdhsa_system_sgpr_workgroup_id_y 0
		.amdhsa_system_sgpr_workgroup_id_z 0
		.amdhsa_system_sgpr_workgroup_info 0
		.amdhsa_system_vgpr_workitem_id 1
		.amdhsa_next_free_vgpr 45
		.amdhsa_next_free_sgpr 20
		.amdhsa_accum_offset 48
		.amdhsa_reserve_vcc 1
		.amdhsa_reserve_flat_scratch 0
		.amdhsa_float_round_mode_32 0
		.amdhsa_float_round_mode_16_64 0
		.amdhsa_float_denorm_mode_32 3
		.amdhsa_float_denorm_mode_16_64 3
		.amdhsa_dx10_clamp 1
		.amdhsa_ieee_mode 1
		.amdhsa_fp16_overflow 0
		.amdhsa_tg_split 0
		.amdhsa_exception_fp_ieee_invalid_op 0
		.amdhsa_exception_fp_denorm_src 0
		.amdhsa_exception_fp_ieee_div_zero 0
		.amdhsa_exception_fp_ieee_overflow 0
		.amdhsa_exception_fp_ieee_underflow 0
		.amdhsa_exception_fp_ieee_inexact 0
		.amdhsa_exception_int_div_zero 0
	.end_amdhsa_kernel
	.section	.text._ZN12_GLOBAL__N_121softmax_warp_backwardIdddLi7ELb0ELb0ELi32EEEvPT0_PKT_S5_iiiPKb,"axG",@progbits,_ZN12_GLOBAL__N_121softmax_warp_backwardIdddLi7ELb0ELb0ELi32EEEvPT0_PKT_S5_iiiPKb,comdat
.Lfunc_end537:
	.size	_ZN12_GLOBAL__N_121softmax_warp_backwardIdddLi7ELb0ELb0ELi32EEEvPT0_PKT_S5_iiiPKb, .Lfunc_end537-_ZN12_GLOBAL__N_121softmax_warp_backwardIdddLi7ELb0ELb0ELi32EEEvPT0_PKT_S5_iiiPKb
                                        ; -- End function
	.section	.AMDGPU.csdata,"",@progbits
; Kernel info:
; codeLenInByte = 1672
; NumSgprs: 24
; NumVgprs: 45
; NumAgprs: 0
; TotalNumVgprs: 45
; ScratchSize: 0
; MemoryBound: 0
; FloatMode: 240
; IeeeMode: 1
; LDSByteSize: 0 bytes/workgroup (compile time only)
; SGPRBlocks: 2
; VGPRBlocks: 5
; NumSGPRsForWavesPerEU: 24
; NumVGPRsForWavesPerEU: 45
; AccumOffset: 48
; Occupancy: 8
; WaveLimiterHint : 0
; COMPUTE_PGM_RSRC2:SCRATCH_EN: 0
; COMPUTE_PGM_RSRC2:USER_SGPR: 6
; COMPUTE_PGM_RSRC2:TRAP_HANDLER: 0
; COMPUTE_PGM_RSRC2:TGID_X_EN: 1
; COMPUTE_PGM_RSRC2:TGID_Y_EN: 0
; COMPUTE_PGM_RSRC2:TGID_Z_EN: 0
; COMPUTE_PGM_RSRC2:TIDIG_COMP_CNT: 1
; COMPUTE_PGM_RSRC3_GFX90A:ACCUM_OFFSET: 11
; COMPUTE_PGM_RSRC3_GFX90A:TG_SPLIT: 0
	.section	.text._ZN12_GLOBAL__N_121softmax_warp_backwardIdddLi8ELb0ELb0ELi64EEEvPT0_PKT_S5_iiiPKb,"axG",@progbits,_ZN12_GLOBAL__N_121softmax_warp_backwardIdddLi8ELb0ELb0ELi64EEEvPT0_PKT_S5_iiiPKb,comdat
	.globl	_ZN12_GLOBAL__N_121softmax_warp_backwardIdddLi8ELb0ELb0ELi64EEEvPT0_PKT_S5_iiiPKb ; -- Begin function _ZN12_GLOBAL__N_121softmax_warp_backwardIdddLi8ELb0ELb0ELi64EEEvPT0_PKT_S5_iiiPKb
	.p2align	8
	.type	_ZN12_GLOBAL__N_121softmax_warp_backwardIdddLi8ELb0ELb0ELi64EEEvPT0_PKT_S5_iiiPKb,@function
_ZN12_GLOBAL__N_121softmax_warp_backwardIdddLi8ELb0ELb0ELi64EEEvPT0_PKT_S5_iiiPKb: ; @_ZN12_GLOBAL__N_121softmax_warp_backwardIdddLi8ELb0ELb0ELi64EEEvPT0_PKT_S5_iiiPKb
; %bb.0:
	s_load_dword s2, s[4:5], 0x3c
	s_load_dwordx4 s[12:15], s[4:5], 0x18
	s_load_dwordx4 s[8:11], s[4:5], 0x0
	s_load_dwordx2 s[0:1], s[4:5], 0x10
	v_bfe_u32 v1, v0, 10, 10
	s_waitcnt lgkmcnt(0)
	s_lshr_b32 s2, s2, 16
	s_mul_i32 s6, s6, s2
	v_add_u32_e32 v1, s6, v1
	v_and_b32_e32 v16, 63, v0
	v_sub_u32_e32 v22, s12, v1
	v_mad_u64_u32 v[0:1], s[2:3], v1, s13, v[16:17]
	v_ashrrev_i32_e32 v1, 31, v0
	v_lshlrev_b64 v[2:3], 3, v[0:1]
	v_mov_b32_e32 v0, s11
	v_add_co_u32_e32 v18, vcc, s10, v2
	v_addc_co_u32_e32 v19, vcc, v0, v3, vcc
	v_mov_b32_e32 v0, s1
	v_add_co_u32_e32 v20, vcc, s0, v2
	v_addc_co_u32_e32 v21, vcc, v0, v3, vcc
	v_cmp_lt_i32_e64 s[6:7], 0, v22
	v_cmp_gt_i32_e32 vcc, s14, v16
	v_pk_mov_b32 v[0:1], 0, 0
	s_and_b64 s[2:3], s[6:7], vcc
	v_pk_mov_b32 v[4:5], v[0:1], v[0:1] op_sel:[0,1]
	v_pk_mov_b32 v[6:7], v[0:1], v[0:1] op_sel:[0,1]
	s_and_saveexec_b64 s[0:1], s[2:3]
	s_cbranch_execz .LBB538_2
; %bb.1:
	global_load_dwordx2 v[4:5], v[18:19], off
	global_load_dwordx2 v[6:7], v[20:21], off
.LBB538_2:
	s_or_b64 exec, exec, s[0:1]
	v_or_b32_e32 v8, 64, v16
	v_cmp_gt_i32_e64 s[0:1], s14, v8
	s_and_b64 s[4:5], s[6:7], s[0:1]
	v_pk_mov_b32 v[10:11], v[0:1], v[0:1] op_sel:[0,1]
	s_and_saveexec_b64 s[2:3], s[4:5]
	s_cbranch_execz .LBB538_4
; %bb.3:
	global_load_dwordx2 v[0:1], v[18:19], off offset:512
	global_load_dwordx2 v[10:11], v[20:21], off offset:512
.LBB538_4:
	s_or_b64 exec, exec, s[2:3]
	v_or_b32_e32 v8, 0x80, v16
	v_cmp_gt_i32_e64 s[2:3], s14, v8
	v_pk_mov_b32 v[8:9], 0, 0
	s_and_b64 s[10:11], s[6:7], s[2:3]
	v_pk_mov_b32 v[12:13], v[8:9], v[8:9] op_sel:[0,1]
	v_pk_mov_b32 v[14:15], v[8:9], v[8:9] op_sel:[0,1]
	s_and_saveexec_b64 s[4:5], s[10:11]
	s_cbranch_execz .LBB538_6
; %bb.5:
	global_load_dwordx2 v[12:13], v[18:19], off offset:1024
	global_load_dwordx2 v[14:15], v[20:21], off offset:1024
.LBB538_6:
	s_or_b64 exec, exec, s[4:5]
	v_or_b32_e32 v16, 0xc0, v16
	v_cmp_gt_i32_e64 s[4:5], s14, v16
	s_and_b64 s[10:11], s[6:7], s[4:5]
	v_pk_mov_b32 v[16:17], v[8:9], v[8:9] op_sel:[0,1]
	s_and_saveexec_b64 s[6:7], s[10:11]
	s_cbranch_execz .LBB538_8
; %bb.7:
	global_load_dwordx2 v[8:9], v[18:19], off offset:1536
	global_load_dwordx2 v[16:17], v[20:21], off offset:1536
.LBB538_8:
	s_or_b64 exec, exec, s[6:7]
	v_mbcnt_lo_u32_b32 v20, -1, 0
	v_mbcnt_hi_u32_b32 v23, -1, v20
	v_and_b32_e32 v20, 64, v23
	s_waitcnt vmcnt(1)
	v_add_f64 v[18:19], v[4:5], 0
	v_add_u32_e32 v24, 64, v20
	v_xor_b32_e32 v20, 32, v23
	v_add_f64 v[18:19], v[18:19], v[0:1]
	v_cmp_lt_i32_e64 s[6:7], v20, v24
	v_add_f64 v[18:19], v[18:19], v[12:13]
	v_cndmask_b32_e64 v20, v23, v20, s[6:7]
	v_add_f64 v[18:19], v[18:19], v[8:9]
	v_lshlrev_b32_e32 v21, 2, v20
	ds_bpermute_b32 v20, v21, v18
	ds_bpermute_b32 v21, v21, v19
	s_waitcnt lgkmcnt(0)
	v_add_f64 v[18:19], v[18:19], v[20:21]
	v_xor_b32_e32 v20, 16, v23
	v_cmp_lt_i32_e64 s[6:7], v20, v24
	v_cndmask_b32_e64 v20, v23, v20, s[6:7]
	v_lshlrev_b32_e32 v21, 2, v20
	ds_bpermute_b32 v20, v21, v18
	ds_bpermute_b32 v21, v21, v19
	s_waitcnt lgkmcnt(0)
	v_add_f64 v[18:19], v[18:19], v[20:21]
	v_xor_b32_e32 v20, 8, v23
	v_cmp_lt_i32_e64 s[6:7], v20, v24
	v_cndmask_b32_e64 v20, v23, v20, s[6:7]
	;; [unrolled: 8-line block ×5, first 2 shown]
	v_lshlrev_b32_e32 v21, 2, v20
	ds_bpermute_b32 v20, v21, v18
	ds_bpermute_b32 v21, v21, v19
	v_cmp_lt_i32_e64 s[6:7], 0, v22
	s_and_saveexec_b64 s[10:11], s[6:7]
	s_cbranch_execz .LBB538_14
; %bb.9:
	v_mov_b32_e32 v22, s9
	v_add_co_u32_e64 v2, s[6:7], s8, v2
	v_addc_co_u32_e64 v3, s[6:7], v22, v3, s[6:7]
	s_waitcnt lgkmcnt(0)
	v_add_f64 v[18:19], v[18:19], v[20:21]
	s_and_saveexec_b64 s[6:7], vcc
	s_cbranch_execnz .LBB538_15
; %bb.10:
	s_or_b64 exec, exec, s[6:7]
	s_and_saveexec_b64 s[6:7], s[0:1]
	s_cbranch_execnz .LBB538_16
.LBB538_11:
	s_or_b64 exec, exec, s[6:7]
	s_and_saveexec_b64 s[0:1], s[2:3]
	s_cbranch_execnz .LBB538_17
.LBB538_12:
	s_or_b64 exec, exec, s[0:1]
	s_and_b64 exec, exec, s[4:5]
	s_cbranch_execz .LBB538_14
.LBB538_13:
	s_waitcnt vmcnt(0)
	v_fma_f64 v[0:1], -v[18:19], v[16:17], v[8:9]
	global_store_dwordx2 v[2:3], v[0:1], off offset:1536
.LBB538_14:
	s_endpgm
.LBB538_15:
	s_waitcnt vmcnt(0)
	v_fma_f64 v[4:5], -v[18:19], v[6:7], v[4:5]
	global_store_dwordx2 v[2:3], v[4:5], off
	s_or_b64 exec, exec, s[6:7]
	s_and_saveexec_b64 s[6:7], s[0:1]
	s_cbranch_execz .LBB538_11
.LBB538_16:
	s_waitcnt vmcnt(0)
	v_fma_f64 v[0:1], -v[18:19], v[10:11], v[0:1]
	global_store_dwordx2 v[2:3], v[0:1], off offset:512
	s_or_b64 exec, exec, s[6:7]
	s_and_saveexec_b64 s[0:1], s[2:3]
	s_cbranch_execz .LBB538_12
.LBB538_17:
	s_waitcnt vmcnt(0)
	v_fma_f64 v[0:1], -v[18:19], v[14:15], v[12:13]
	global_store_dwordx2 v[2:3], v[0:1], off offset:1024
	s_or_b64 exec, exec, s[0:1]
	s_and_b64 exec, exec, s[4:5]
	s_cbranch_execnz .LBB538_13
	s_branch .LBB538_14
	.section	.rodata,"a",@progbits
	.p2align	6, 0x0
	.amdhsa_kernel _ZN12_GLOBAL__N_121softmax_warp_backwardIdddLi8ELb0ELb0ELi64EEEvPT0_PKT_S5_iiiPKb
		.amdhsa_group_segment_fixed_size 0
		.amdhsa_private_segment_fixed_size 0
		.amdhsa_kernarg_size 304
		.amdhsa_user_sgpr_count 6
		.amdhsa_user_sgpr_private_segment_buffer 1
		.amdhsa_user_sgpr_dispatch_ptr 0
		.amdhsa_user_sgpr_queue_ptr 0
		.amdhsa_user_sgpr_kernarg_segment_ptr 1
		.amdhsa_user_sgpr_dispatch_id 0
		.amdhsa_user_sgpr_flat_scratch_init 0
		.amdhsa_user_sgpr_kernarg_preload_length 0
		.amdhsa_user_sgpr_kernarg_preload_offset 0
		.amdhsa_user_sgpr_private_segment_size 0
		.amdhsa_uses_dynamic_stack 0
		.amdhsa_system_sgpr_private_segment_wavefront_offset 0
		.amdhsa_system_sgpr_workgroup_id_x 1
		.amdhsa_system_sgpr_workgroup_id_y 0
		.amdhsa_system_sgpr_workgroup_id_z 0
		.amdhsa_system_sgpr_workgroup_info 0
		.amdhsa_system_vgpr_workitem_id 1
		.amdhsa_next_free_vgpr 25
		.amdhsa_next_free_sgpr 16
		.amdhsa_accum_offset 28
		.amdhsa_reserve_vcc 1
		.amdhsa_reserve_flat_scratch 0
		.amdhsa_float_round_mode_32 0
		.amdhsa_float_round_mode_16_64 0
		.amdhsa_float_denorm_mode_32 3
		.amdhsa_float_denorm_mode_16_64 3
		.amdhsa_dx10_clamp 1
		.amdhsa_ieee_mode 1
		.amdhsa_fp16_overflow 0
		.amdhsa_tg_split 0
		.amdhsa_exception_fp_ieee_invalid_op 0
		.amdhsa_exception_fp_denorm_src 0
		.amdhsa_exception_fp_ieee_div_zero 0
		.amdhsa_exception_fp_ieee_overflow 0
		.amdhsa_exception_fp_ieee_underflow 0
		.amdhsa_exception_fp_ieee_inexact 0
		.amdhsa_exception_int_div_zero 0
	.end_amdhsa_kernel
	.section	.text._ZN12_GLOBAL__N_121softmax_warp_backwardIdddLi8ELb0ELb0ELi64EEEvPT0_PKT_S5_iiiPKb,"axG",@progbits,_ZN12_GLOBAL__N_121softmax_warp_backwardIdddLi8ELb0ELb0ELi64EEEvPT0_PKT_S5_iiiPKb,comdat
.Lfunc_end538:
	.size	_ZN12_GLOBAL__N_121softmax_warp_backwardIdddLi8ELb0ELb0ELi64EEEvPT0_PKT_S5_iiiPKb, .Lfunc_end538-_ZN12_GLOBAL__N_121softmax_warp_backwardIdddLi8ELb0ELb0ELi64EEEvPT0_PKT_S5_iiiPKb
                                        ; -- End function
	.section	.AMDGPU.csdata,"",@progbits
; Kernel info:
; codeLenInByte = 932
; NumSgprs: 20
; NumVgprs: 25
; NumAgprs: 0
; TotalNumVgprs: 25
; ScratchSize: 0
; MemoryBound: 0
; FloatMode: 240
; IeeeMode: 1
; LDSByteSize: 0 bytes/workgroup (compile time only)
; SGPRBlocks: 2
; VGPRBlocks: 3
; NumSGPRsForWavesPerEU: 20
; NumVGPRsForWavesPerEU: 25
; AccumOffset: 28
; Occupancy: 8
; WaveLimiterHint : 0
; COMPUTE_PGM_RSRC2:SCRATCH_EN: 0
; COMPUTE_PGM_RSRC2:USER_SGPR: 6
; COMPUTE_PGM_RSRC2:TRAP_HANDLER: 0
; COMPUTE_PGM_RSRC2:TGID_X_EN: 1
; COMPUTE_PGM_RSRC2:TGID_Y_EN: 0
; COMPUTE_PGM_RSRC2:TGID_Z_EN: 0
; COMPUTE_PGM_RSRC2:TIDIG_COMP_CNT: 1
; COMPUTE_PGM_RSRC3_GFX90A:ACCUM_OFFSET: 6
; COMPUTE_PGM_RSRC3_GFX90A:TG_SPLIT: 0
	.section	.text._ZN12_GLOBAL__N_121softmax_warp_backwardIdddLi8ELb0ELb0ELi32EEEvPT0_PKT_S5_iiiPKb,"axG",@progbits,_ZN12_GLOBAL__N_121softmax_warp_backwardIdddLi8ELb0ELb0ELi32EEEvPT0_PKT_S5_iiiPKb,comdat
	.globl	_ZN12_GLOBAL__N_121softmax_warp_backwardIdddLi8ELb0ELb0ELi32EEEvPT0_PKT_S5_iiiPKb ; -- Begin function _ZN12_GLOBAL__N_121softmax_warp_backwardIdddLi8ELb0ELb0ELi32EEEvPT0_PKT_S5_iiiPKb
	.p2align	8
	.type	_ZN12_GLOBAL__N_121softmax_warp_backwardIdddLi8ELb0ELb0ELi32EEEvPT0_PKT_S5_iiiPKb,@function
_ZN12_GLOBAL__N_121softmax_warp_backwardIdddLi8ELb0ELb0ELi32EEEvPT0_PKT_S5_iiiPKb: ; @_ZN12_GLOBAL__N_121softmax_warp_backwardIdddLi8ELb0ELb0ELi32EEEvPT0_PKT_S5_iiiPKb
; %bb.0:
	s_load_dword s2, s[4:5], 0x3c
	s_load_dwordx4 s[20:23], s[4:5], 0x18
	s_load_dwordx4 s[16:19], s[4:5], 0x0
	s_load_dwordx2 s[0:1], s[4:5], 0x10
	v_bfe_u32 v1, v0, 10, 10
	s_waitcnt lgkmcnt(0)
	s_lshr_b32 s2, s2, 16
	s_mul_i32 s6, s6, s2
	v_add_u32_e32 v1, s6, v1
	v_and_b32_e32 v32, 31, v0
	v_sub_u32_e32 v38, s20, v1
	v_mad_u64_u32 v[0:1], s[2:3], v1, s21, v[32:33]
	v_ashrrev_i32_e32 v1, 31, v0
	v_lshlrev_b64 v[2:3], 3, v[0:1]
	v_mov_b32_e32 v0, s19
	v_add_co_u32_e32 v34, vcc, s18, v2
	v_addc_co_u32_e32 v35, vcc, v0, v3, vcc
	v_mov_b32_e32 v0, s1
	v_add_co_u32_e32 v36, vcc, s0, v2
	v_addc_co_u32_e32 v37, vcc, v0, v3, vcc
	v_cmp_lt_i32_e64 s[14:15], 0, v38
	v_cmp_gt_i32_e32 vcc, s22, v32
	v_pk_mov_b32 v[0:1], 0, 0
	s_and_b64 s[2:3], s[14:15], vcc
	v_pk_mov_b32 v[4:5], v[0:1], v[0:1] op_sel:[0,1]
	v_pk_mov_b32 v[6:7], v[0:1], v[0:1] op_sel:[0,1]
	s_and_saveexec_b64 s[0:1], s[2:3]
	s_cbranch_execz .LBB539_2
; %bb.1:
	global_load_dwordx2 v[4:5], v[34:35], off
	global_load_dwordx2 v[6:7], v[36:37], off
.LBB539_2:
	s_or_b64 exec, exec, s[0:1]
	v_or_b32_e32 v8, 32, v32
	v_cmp_gt_i32_e64 s[0:1], s22, v8
	s_and_b64 s[4:5], s[14:15], s[0:1]
	v_pk_mov_b32 v[10:11], v[0:1], v[0:1] op_sel:[0,1]
	s_and_saveexec_b64 s[2:3], s[4:5]
	s_cbranch_execz .LBB539_4
; %bb.3:
	global_load_dwordx2 v[0:1], v[34:35], off offset:256
	global_load_dwordx2 v[10:11], v[36:37], off offset:256
.LBB539_4:
	s_or_b64 exec, exec, s[2:3]
	v_or_b32_e32 v8, 64, v32
	v_cmp_gt_i32_e64 s[2:3], s22, v8
	v_pk_mov_b32 v[8:9], 0, 0
	s_and_b64 s[6:7], s[14:15], s[2:3]
	v_pk_mov_b32 v[12:13], v[8:9], v[8:9] op_sel:[0,1]
	v_pk_mov_b32 v[14:15], v[8:9], v[8:9] op_sel:[0,1]
	s_and_saveexec_b64 s[4:5], s[6:7]
	s_cbranch_execz .LBB539_6
; %bb.5:
	global_load_dwordx2 v[12:13], v[34:35], off offset:512
	global_load_dwordx2 v[14:15], v[36:37], off offset:512
.LBB539_6:
	s_or_b64 exec, exec, s[4:5]
	v_or_b32_e32 v16, 0x60, v32
	v_cmp_gt_i32_e64 s[4:5], s22, v16
	s_and_b64 s[8:9], s[14:15], s[4:5]
	v_pk_mov_b32 v[18:19], v[8:9], v[8:9] op_sel:[0,1]
	s_and_saveexec_b64 s[6:7], s[8:9]
	s_cbranch_execz .LBB539_8
; %bb.7:
	global_load_dwordx2 v[8:9], v[34:35], off offset:768
	global_load_dwordx2 v[18:19], v[36:37], off offset:768
.LBB539_8:
	s_or_b64 exec, exec, s[6:7]
	v_or_b32_e32 v16, 0x80, v32
	v_cmp_gt_i32_e64 s[6:7], s22, v16
	v_pk_mov_b32 v[16:17], 0, 0
	s_and_b64 s[10:11], s[14:15], s[6:7]
	v_pk_mov_b32 v[20:21], v[16:17], v[16:17] op_sel:[0,1]
	v_pk_mov_b32 v[22:23], v[16:17], v[16:17] op_sel:[0,1]
	s_and_saveexec_b64 s[8:9], s[10:11]
	s_cbranch_execz .LBB539_10
; %bb.9:
	global_load_dwordx2 v[20:21], v[34:35], off offset:1024
	global_load_dwordx2 v[22:23], v[36:37], off offset:1024
.LBB539_10:
	s_or_b64 exec, exec, s[8:9]
	v_or_b32_e32 v24, 0xa0, v32
	v_cmp_gt_i32_e64 s[8:9], s22, v24
	s_and_b64 s[12:13], s[14:15], s[8:9]
	v_pk_mov_b32 v[26:27], v[16:17], v[16:17] op_sel:[0,1]
	s_and_saveexec_b64 s[10:11], s[12:13]
	s_cbranch_execz .LBB539_12
; %bb.11:
	global_load_dwordx2 v[16:17], v[34:35], off offset:1280
	global_load_dwordx2 v[26:27], v[36:37], off offset:1280
.LBB539_12:
	s_or_b64 exec, exec, s[10:11]
	v_or_b32_e32 v24, 0xc0, v32
	v_cmp_gt_i32_e64 s[10:11], s22, v24
	v_pk_mov_b32 v[24:25], 0, 0
	s_and_b64 s[18:19], s[14:15], s[10:11]
	v_pk_mov_b32 v[28:29], v[24:25], v[24:25] op_sel:[0,1]
	v_pk_mov_b32 v[30:31], v[24:25], v[24:25] op_sel:[0,1]
	s_and_saveexec_b64 s[12:13], s[18:19]
	s_cbranch_execz .LBB539_14
; %bb.13:
	global_load_dwordx2 v[28:29], v[34:35], off offset:1536
	global_load_dwordx2 v[30:31], v[36:37], off offset:1536
.LBB539_14:
	s_or_b64 exec, exec, s[12:13]
	v_or_b32_e32 v32, 0xe0, v32
	v_cmp_gt_i32_e64 s[12:13], s22, v32
	s_and_b64 s[18:19], s[14:15], s[12:13]
	v_pk_mov_b32 v[32:33], v[24:25], v[24:25] op_sel:[0,1]
	s_and_saveexec_b64 s[14:15], s[18:19]
	s_cbranch_execz .LBB539_16
; %bb.15:
	global_load_dwordx2 v[24:25], v[34:35], off offset:1792
	global_load_dwordx2 v[32:33], v[36:37], off offset:1792
.LBB539_16:
	s_or_b64 exec, exec, s[14:15]
	s_waitcnt vmcnt(1)
	v_add_f64 v[34:35], v[4:5], 0
	v_add_f64 v[34:35], v[34:35], v[0:1]
	v_mbcnt_lo_u32_b32 v36, -1, 0
	v_add_f64 v[34:35], v[34:35], v[12:13]
	v_mbcnt_hi_u32_b32 v39, -1, v36
	v_add_f64 v[34:35], v[34:35], v[8:9]
	v_and_b32_e32 v36, 0x60, v39
	v_add_f64 v[34:35], v[34:35], v[20:21]
	v_add_u32_e32 v40, 32, v36
	v_xor_b32_e32 v36, 16, v39
	v_add_f64 v[34:35], v[34:35], v[16:17]
	v_cmp_lt_i32_e64 s[14:15], v36, v40
	v_add_f64 v[34:35], v[34:35], v[28:29]
	v_cndmask_b32_e64 v36, v39, v36, s[14:15]
	v_add_f64 v[34:35], v[34:35], v[24:25]
	v_lshlrev_b32_e32 v37, 2, v36
	ds_bpermute_b32 v36, v37, v34
	ds_bpermute_b32 v37, v37, v35
	s_waitcnt lgkmcnt(0)
	v_add_f64 v[34:35], v[34:35], v[36:37]
	v_xor_b32_e32 v36, 8, v39
	v_cmp_lt_i32_e64 s[14:15], v36, v40
	v_cndmask_b32_e64 v36, v39, v36, s[14:15]
	v_lshlrev_b32_e32 v37, 2, v36
	ds_bpermute_b32 v36, v37, v34
	ds_bpermute_b32 v37, v37, v35
	s_waitcnt lgkmcnt(0)
	v_add_f64 v[34:35], v[34:35], v[36:37]
	v_xor_b32_e32 v36, 4, v39
	v_cmp_lt_i32_e64 s[14:15], v36, v40
	v_cndmask_b32_e64 v36, v39, v36, s[14:15]
	;; [unrolled: 8-line block ×4, first 2 shown]
	v_lshlrev_b32_e32 v37, 2, v36
	ds_bpermute_b32 v36, v37, v34
	ds_bpermute_b32 v37, v37, v35
	v_cmp_lt_i32_e64 s[14:15], 0, v38
	s_and_saveexec_b64 s[18:19], s[14:15]
	s_cbranch_execz .LBB539_26
; %bb.17:
	v_mov_b32_e32 v38, s17
	v_add_co_u32_e64 v2, s[14:15], s16, v2
	v_addc_co_u32_e64 v3, s[14:15], v38, v3, s[14:15]
	s_waitcnt lgkmcnt(0)
	v_add_f64 v[34:35], v[34:35], v[36:37]
	s_and_saveexec_b64 s[14:15], vcc
	s_cbranch_execnz .LBB539_27
; %bb.18:
	s_or_b64 exec, exec, s[14:15]
	s_and_saveexec_b64 s[14:15], s[0:1]
	s_cbranch_execnz .LBB539_28
.LBB539_19:
	s_or_b64 exec, exec, s[14:15]
	s_and_saveexec_b64 s[0:1], s[2:3]
	s_cbranch_execnz .LBB539_29
.LBB539_20:
	s_or_b64 exec, exec, s[0:1]
	s_and_saveexec_b64 s[0:1], s[4:5]
	s_cbranch_execnz .LBB539_30
.LBB539_21:
	s_or_b64 exec, exec, s[0:1]
	s_and_saveexec_b64 s[0:1], s[6:7]
	s_cbranch_execnz .LBB539_31
.LBB539_22:
	s_or_b64 exec, exec, s[0:1]
	s_and_saveexec_b64 s[0:1], s[8:9]
	s_cbranch_execnz .LBB539_32
.LBB539_23:
	s_or_b64 exec, exec, s[0:1]
	s_and_saveexec_b64 s[0:1], s[10:11]
	s_cbranch_execnz .LBB539_33
.LBB539_24:
	s_or_b64 exec, exec, s[0:1]
	s_and_b64 exec, exec, s[12:13]
	s_cbranch_execz .LBB539_26
.LBB539_25:
	s_waitcnt vmcnt(0)
	v_fma_f64 v[0:1], -v[34:35], v[32:33], v[24:25]
	global_store_dwordx2 v[2:3], v[0:1], off offset:1792
.LBB539_26:
	s_endpgm
.LBB539_27:
	s_waitcnt vmcnt(0)
	v_fma_f64 v[4:5], -v[34:35], v[6:7], v[4:5]
	global_store_dwordx2 v[2:3], v[4:5], off
	s_or_b64 exec, exec, s[14:15]
	s_and_saveexec_b64 s[14:15], s[0:1]
	s_cbranch_execz .LBB539_19
.LBB539_28:
	s_waitcnt vmcnt(0)
	v_fma_f64 v[0:1], -v[34:35], v[10:11], v[0:1]
	global_store_dwordx2 v[2:3], v[0:1], off offset:256
	s_or_b64 exec, exec, s[14:15]
	s_and_saveexec_b64 s[0:1], s[2:3]
	s_cbranch_execz .LBB539_20
.LBB539_29:
	s_waitcnt vmcnt(0)
	v_fma_f64 v[0:1], -v[34:35], v[14:15], v[12:13]
	global_store_dwordx2 v[2:3], v[0:1], off offset:512
	s_or_b64 exec, exec, s[0:1]
	s_and_saveexec_b64 s[0:1], s[4:5]
	s_cbranch_execz .LBB539_21
.LBB539_30:
	s_waitcnt vmcnt(0)
	v_fma_f64 v[0:1], -v[34:35], v[18:19], v[8:9]
	global_store_dwordx2 v[2:3], v[0:1], off offset:768
	s_or_b64 exec, exec, s[0:1]
	s_and_saveexec_b64 s[0:1], s[6:7]
	s_cbranch_execz .LBB539_22
.LBB539_31:
	s_waitcnt vmcnt(0)
	v_fma_f64 v[0:1], -v[34:35], v[22:23], v[20:21]
	global_store_dwordx2 v[2:3], v[0:1], off offset:1024
	s_or_b64 exec, exec, s[0:1]
	s_and_saveexec_b64 s[0:1], s[8:9]
	s_cbranch_execz .LBB539_23
.LBB539_32:
	s_waitcnt vmcnt(0)
	v_fma_f64 v[0:1], -v[34:35], v[26:27], v[16:17]
	global_store_dwordx2 v[2:3], v[0:1], off offset:1280
	s_or_b64 exec, exec, s[0:1]
	s_and_saveexec_b64 s[0:1], s[10:11]
	s_cbranch_execz .LBB539_24
.LBB539_33:
	s_waitcnt vmcnt(0)
	v_fma_f64 v[0:1], -v[34:35], v[30:31], v[28:29]
	global_store_dwordx2 v[2:3], v[0:1], off offset:1536
	s_or_b64 exec, exec, s[0:1]
	s_and_b64 exec, exec, s[12:13]
	s_cbranch_execnz .LBB539_25
	s_branch .LBB539_26
	.section	.rodata,"a",@progbits
	.p2align	6, 0x0
	.amdhsa_kernel _ZN12_GLOBAL__N_121softmax_warp_backwardIdddLi8ELb0ELb0ELi32EEEvPT0_PKT_S5_iiiPKb
		.amdhsa_group_segment_fixed_size 0
		.amdhsa_private_segment_fixed_size 0
		.amdhsa_kernarg_size 304
		.amdhsa_user_sgpr_count 6
		.amdhsa_user_sgpr_private_segment_buffer 1
		.amdhsa_user_sgpr_dispatch_ptr 0
		.amdhsa_user_sgpr_queue_ptr 0
		.amdhsa_user_sgpr_kernarg_segment_ptr 1
		.amdhsa_user_sgpr_dispatch_id 0
		.amdhsa_user_sgpr_flat_scratch_init 0
		.amdhsa_user_sgpr_kernarg_preload_length 0
		.amdhsa_user_sgpr_kernarg_preload_offset 0
		.amdhsa_user_sgpr_private_segment_size 0
		.amdhsa_uses_dynamic_stack 0
		.amdhsa_system_sgpr_private_segment_wavefront_offset 0
		.amdhsa_system_sgpr_workgroup_id_x 1
		.amdhsa_system_sgpr_workgroup_id_y 0
		.amdhsa_system_sgpr_workgroup_id_z 0
		.amdhsa_system_sgpr_workgroup_info 0
		.amdhsa_system_vgpr_workitem_id 1
		.amdhsa_next_free_vgpr 41
		.amdhsa_next_free_sgpr 24
		.amdhsa_accum_offset 44
		.amdhsa_reserve_vcc 1
		.amdhsa_reserve_flat_scratch 0
		.amdhsa_float_round_mode_32 0
		.amdhsa_float_round_mode_16_64 0
		.amdhsa_float_denorm_mode_32 3
		.amdhsa_float_denorm_mode_16_64 3
		.amdhsa_dx10_clamp 1
		.amdhsa_ieee_mode 1
		.amdhsa_fp16_overflow 0
		.amdhsa_tg_split 0
		.amdhsa_exception_fp_ieee_invalid_op 0
		.amdhsa_exception_fp_denorm_src 0
		.amdhsa_exception_fp_ieee_div_zero 0
		.amdhsa_exception_fp_ieee_overflow 0
		.amdhsa_exception_fp_ieee_underflow 0
		.amdhsa_exception_fp_ieee_inexact 0
		.amdhsa_exception_int_div_zero 0
	.end_amdhsa_kernel
	.section	.text._ZN12_GLOBAL__N_121softmax_warp_backwardIdddLi8ELb0ELb0ELi32EEEvPT0_PKT_S5_iiiPKb,"axG",@progbits,_ZN12_GLOBAL__N_121softmax_warp_backwardIdddLi8ELb0ELb0ELi32EEEvPT0_PKT_S5_iiiPKb,comdat
.Lfunc_end539:
	.size	_ZN12_GLOBAL__N_121softmax_warp_backwardIdddLi8ELb0ELb0ELi32EEEvPT0_PKT_S5_iiiPKb, .Lfunc_end539-_ZN12_GLOBAL__N_121softmax_warp_backwardIdddLi8ELb0ELb0ELi32EEEvPT0_PKT_S5_iiiPKb
                                        ; -- End function
	.section	.AMDGPU.csdata,"",@progbits
; Kernel info:
; codeLenInByte = 1344
; NumSgprs: 28
; NumVgprs: 41
; NumAgprs: 0
; TotalNumVgprs: 41
; ScratchSize: 0
; MemoryBound: 0
; FloatMode: 240
; IeeeMode: 1
; LDSByteSize: 0 bytes/workgroup (compile time only)
; SGPRBlocks: 3
; VGPRBlocks: 5
; NumSGPRsForWavesPerEU: 28
; NumVGPRsForWavesPerEU: 41
; AccumOffset: 44
; Occupancy: 8
; WaveLimiterHint : 0
; COMPUTE_PGM_RSRC2:SCRATCH_EN: 0
; COMPUTE_PGM_RSRC2:USER_SGPR: 6
; COMPUTE_PGM_RSRC2:TRAP_HANDLER: 0
; COMPUTE_PGM_RSRC2:TGID_X_EN: 1
; COMPUTE_PGM_RSRC2:TGID_Y_EN: 0
; COMPUTE_PGM_RSRC2:TGID_Z_EN: 0
; COMPUTE_PGM_RSRC2:TIDIG_COMP_CNT: 1
; COMPUTE_PGM_RSRC3_GFX90A:ACCUM_OFFSET: 10
; COMPUTE_PGM_RSRC3_GFX90A:TG_SPLIT: 0
	.section	.text._ZN12_GLOBAL__N_121softmax_warp_backwardIdddLi9ELb0ELb0ELi64EEEvPT0_PKT_S5_iiiPKb,"axG",@progbits,_ZN12_GLOBAL__N_121softmax_warp_backwardIdddLi9ELb0ELb0ELi64EEEvPT0_PKT_S5_iiiPKb,comdat
	.globl	_ZN12_GLOBAL__N_121softmax_warp_backwardIdddLi9ELb0ELb0ELi64EEEvPT0_PKT_S5_iiiPKb ; -- Begin function _ZN12_GLOBAL__N_121softmax_warp_backwardIdddLi9ELb0ELb0ELi64EEEvPT0_PKT_S5_iiiPKb
	.p2align	8
	.type	_ZN12_GLOBAL__N_121softmax_warp_backwardIdddLi9ELb0ELb0ELi64EEEvPT0_PKT_S5_iiiPKb,@function
_ZN12_GLOBAL__N_121softmax_warp_backwardIdddLi9ELb0ELb0ELi64EEEvPT0_PKT_S5_iiiPKb: ; @_ZN12_GLOBAL__N_121softmax_warp_backwardIdddLi9ELb0ELb0ELi64EEEvPT0_PKT_S5_iiiPKb
; %bb.0:
	s_load_dword s2, s[4:5], 0x3c
	s_load_dwordx4 s[20:23], s[4:5], 0x18
	s_load_dwordx4 s[16:19], s[4:5], 0x0
	s_load_dwordx2 s[0:1], s[4:5], 0x10
	v_bfe_u32 v1, v0, 10, 10
	s_waitcnt lgkmcnt(0)
	s_lshr_b32 s2, s2, 16
	s_mul_i32 s6, s6, s2
	v_add_u32_e32 v1, s6, v1
	v_and_b32_e32 v32, 63, v0
	v_sub_u32_e32 v38, s20, v1
	v_mad_u64_u32 v[0:1], s[2:3], v1, s21, v[32:33]
	v_ashrrev_i32_e32 v1, 31, v0
	v_lshlrev_b64 v[2:3], 3, v[0:1]
	v_mov_b32_e32 v0, s19
	v_add_co_u32_e32 v34, vcc, s18, v2
	v_addc_co_u32_e32 v35, vcc, v0, v3, vcc
	v_mov_b32_e32 v0, s1
	v_add_co_u32_e32 v36, vcc, s0, v2
	v_addc_co_u32_e32 v37, vcc, v0, v3, vcc
	v_cmp_lt_i32_e64 s[14:15], 0, v38
	v_cmp_gt_i32_e32 vcc, s22, v32
	v_pk_mov_b32 v[0:1], 0, 0
	s_and_b64 s[2:3], s[14:15], vcc
	v_pk_mov_b32 v[4:5], v[0:1], v[0:1] op_sel:[0,1]
	v_pk_mov_b32 v[6:7], v[0:1], v[0:1] op_sel:[0,1]
	s_and_saveexec_b64 s[0:1], s[2:3]
	s_cbranch_execz .LBB540_2
; %bb.1:
	global_load_dwordx2 v[4:5], v[34:35], off
	global_load_dwordx2 v[6:7], v[36:37], off
.LBB540_2:
	s_or_b64 exec, exec, s[0:1]
	v_or_b32_e32 v8, 64, v32
	v_cmp_gt_i32_e64 s[0:1], s22, v8
	s_and_b64 s[4:5], s[14:15], s[0:1]
	v_pk_mov_b32 v[10:11], v[0:1], v[0:1] op_sel:[0,1]
	s_and_saveexec_b64 s[2:3], s[4:5]
	s_cbranch_execz .LBB540_4
; %bb.3:
	global_load_dwordx2 v[0:1], v[34:35], off offset:512
	global_load_dwordx2 v[10:11], v[36:37], off offset:512
.LBB540_4:
	s_or_b64 exec, exec, s[2:3]
	v_or_b32_e32 v8, 0x80, v32
	v_cmp_gt_i32_e64 s[2:3], s22, v8
	v_pk_mov_b32 v[8:9], 0, 0
	s_and_b64 s[6:7], s[14:15], s[2:3]
	v_pk_mov_b32 v[12:13], v[8:9], v[8:9] op_sel:[0,1]
	v_pk_mov_b32 v[14:15], v[8:9], v[8:9] op_sel:[0,1]
	s_and_saveexec_b64 s[4:5], s[6:7]
	s_cbranch_execz .LBB540_6
; %bb.5:
	global_load_dwordx2 v[12:13], v[34:35], off offset:1024
	global_load_dwordx2 v[14:15], v[36:37], off offset:1024
.LBB540_6:
	s_or_b64 exec, exec, s[4:5]
	v_or_b32_e32 v16, 0xc0, v32
	v_cmp_gt_i32_e64 s[4:5], s22, v16
	s_and_b64 s[8:9], s[14:15], s[4:5]
	v_pk_mov_b32 v[18:19], v[8:9], v[8:9] op_sel:[0,1]
	s_and_saveexec_b64 s[6:7], s[8:9]
	s_cbranch_execz .LBB540_8
; %bb.7:
	global_load_dwordx2 v[8:9], v[34:35], off offset:1536
	global_load_dwordx2 v[18:19], v[36:37], off offset:1536
.LBB540_8:
	s_or_b64 exec, exec, s[6:7]
	v_or_b32_e32 v16, 0x100, v32
	v_cmp_gt_i32_e64 s[6:7], s22, v16
	v_pk_mov_b32 v[16:17], 0, 0
	s_and_b64 s[10:11], s[14:15], s[6:7]
	v_pk_mov_b32 v[20:21], v[16:17], v[16:17] op_sel:[0,1]
	v_pk_mov_b32 v[22:23], v[16:17], v[16:17] op_sel:[0,1]
	s_and_saveexec_b64 s[8:9], s[10:11]
	s_cbranch_execz .LBB540_10
; %bb.9:
	global_load_dwordx2 v[20:21], v[34:35], off offset:2048
	global_load_dwordx2 v[22:23], v[36:37], off offset:2048
.LBB540_10:
	;; [unrolled: 24-line block ×3, first 2 shown]
	s_or_b64 exec, exec, s[12:13]
	v_or_b32_e32 v32, 0x1c0, v32
	v_cmp_gt_i32_e64 s[12:13], s22, v32
	s_and_b64 s[18:19], s[14:15], s[12:13]
	v_pk_mov_b32 v[32:33], v[24:25], v[24:25] op_sel:[0,1]
	s_and_saveexec_b64 s[14:15], s[18:19]
	s_cbranch_execz .LBB540_16
; %bb.15:
	global_load_dwordx2 v[24:25], v[34:35], off offset:3584
	global_load_dwordx2 v[32:33], v[36:37], off offset:3584
.LBB540_16:
	s_or_b64 exec, exec, s[14:15]
	s_waitcnt vmcnt(1)
	v_add_f64 v[34:35], v[4:5], 0
	v_add_f64 v[34:35], v[34:35], v[0:1]
	v_mbcnt_lo_u32_b32 v36, -1, 0
	v_add_f64 v[34:35], v[34:35], v[12:13]
	v_mbcnt_hi_u32_b32 v39, -1, v36
	v_add_f64 v[34:35], v[34:35], v[8:9]
	v_and_b32_e32 v36, 64, v39
	v_add_f64 v[34:35], v[34:35], v[20:21]
	v_add_u32_e32 v40, 64, v36
	v_xor_b32_e32 v36, 32, v39
	v_add_f64 v[34:35], v[34:35], v[16:17]
	v_cmp_lt_i32_e64 s[14:15], v36, v40
	v_add_f64 v[34:35], v[34:35], v[28:29]
	v_cndmask_b32_e64 v36, v39, v36, s[14:15]
	v_add_f64 v[34:35], v[34:35], v[24:25]
	v_lshlrev_b32_e32 v37, 2, v36
	ds_bpermute_b32 v36, v37, v34
	ds_bpermute_b32 v37, v37, v35
	s_waitcnt lgkmcnt(0)
	v_add_f64 v[34:35], v[34:35], v[36:37]
	v_xor_b32_e32 v36, 16, v39
	v_cmp_lt_i32_e64 s[14:15], v36, v40
	v_cndmask_b32_e64 v36, v39, v36, s[14:15]
	v_lshlrev_b32_e32 v37, 2, v36
	ds_bpermute_b32 v36, v37, v34
	ds_bpermute_b32 v37, v37, v35
	s_waitcnt lgkmcnt(0)
	v_add_f64 v[34:35], v[34:35], v[36:37]
	v_xor_b32_e32 v36, 8, v39
	v_cmp_lt_i32_e64 s[14:15], v36, v40
	v_cndmask_b32_e64 v36, v39, v36, s[14:15]
	;; [unrolled: 8-line block ×5, first 2 shown]
	v_lshlrev_b32_e32 v37, 2, v36
	ds_bpermute_b32 v36, v37, v34
	ds_bpermute_b32 v37, v37, v35
	v_cmp_lt_i32_e64 s[14:15], 0, v38
	s_and_saveexec_b64 s[18:19], s[14:15]
	s_cbranch_execz .LBB540_26
; %bb.17:
	v_mov_b32_e32 v38, s17
	v_add_co_u32_e64 v2, s[14:15], s16, v2
	v_addc_co_u32_e64 v3, s[14:15], v38, v3, s[14:15]
	s_waitcnt lgkmcnt(0)
	v_add_f64 v[34:35], v[34:35], v[36:37]
	s_and_saveexec_b64 s[14:15], vcc
	s_cbranch_execnz .LBB540_27
; %bb.18:
	s_or_b64 exec, exec, s[14:15]
	s_and_saveexec_b64 s[14:15], s[0:1]
	s_cbranch_execnz .LBB540_28
.LBB540_19:
	s_or_b64 exec, exec, s[14:15]
	s_and_saveexec_b64 s[0:1], s[2:3]
	s_cbranch_execnz .LBB540_29
.LBB540_20:
	s_or_b64 exec, exec, s[0:1]
	s_and_saveexec_b64 s[0:1], s[4:5]
	s_cbranch_execnz .LBB540_30
.LBB540_21:
	s_or_b64 exec, exec, s[0:1]
	s_and_saveexec_b64 s[0:1], s[6:7]
	s_cbranch_execnz .LBB540_31
.LBB540_22:
	s_or_b64 exec, exec, s[0:1]
	s_and_saveexec_b64 s[0:1], s[8:9]
	s_cbranch_execnz .LBB540_32
.LBB540_23:
	s_or_b64 exec, exec, s[0:1]
	s_and_saveexec_b64 s[0:1], s[10:11]
	s_cbranch_execnz .LBB540_33
.LBB540_24:
	s_or_b64 exec, exec, s[0:1]
	s_and_b64 exec, exec, s[12:13]
	s_cbranch_execz .LBB540_26
.LBB540_25:
	s_waitcnt vmcnt(0)
	v_fma_f64 v[0:1], -v[34:35], v[32:33], v[24:25]
	global_store_dwordx2 v[2:3], v[0:1], off offset:3584
.LBB540_26:
	s_endpgm
.LBB540_27:
	s_waitcnt vmcnt(0)
	v_fma_f64 v[4:5], -v[34:35], v[6:7], v[4:5]
	global_store_dwordx2 v[2:3], v[4:5], off
	s_or_b64 exec, exec, s[14:15]
	s_and_saveexec_b64 s[14:15], s[0:1]
	s_cbranch_execz .LBB540_19
.LBB540_28:
	s_waitcnt vmcnt(0)
	v_fma_f64 v[0:1], -v[34:35], v[10:11], v[0:1]
	global_store_dwordx2 v[2:3], v[0:1], off offset:512
	s_or_b64 exec, exec, s[14:15]
	s_and_saveexec_b64 s[0:1], s[2:3]
	s_cbranch_execz .LBB540_20
.LBB540_29:
	s_waitcnt vmcnt(0)
	v_fma_f64 v[0:1], -v[34:35], v[14:15], v[12:13]
	global_store_dwordx2 v[2:3], v[0:1], off offset:1024
	s_or_b64 exec, exec, s[0:1]
	s_and_saveexec_b64 s[0:1], s[4:5]
	s_cbranch_execz .LBB540_21
.LBB540_30:
	s_waitcnt vmcnt(0)
	v_fma_f64 v[0:1], -v[34:35], v[18:19], v[8:9]
	global_store_dwordx2 v[2:3], v[0:1], off offset:1536
	s_or_b64 exec, exec, s[0:1]
	s_and_saveexec_b64 s[0:1], s[6:7]
	s_cbranch_execz .LBB540_22
.LBB540_31:
	s_waitcnt vmcnt(0)
	v_fma_f64 v[0:1], -v[34:35], v[22:23], v[20:21]
	global_store_dwordx2 v[2:3], v[0:1], off offset:2048
	s_or_b64 exec, exec, s[0:1]
	s_and_saveexec_b64 s[0:1], s[8:9]
	s_cbranch_execz .LBB540_23
.LBB540_32:
	s_waitcnt vmcnt(0)
	v_fma_f64 v[0:1], -v[34:35], v[26:27], v[16:17]
	global_store_dwordx2 v[2:3], v[0:1], off offset:2560
	s_or_b64 exec, exec, s[0:1]
	s_and_saveexec_b64 s[0:1], s[10:11]
	s_cbranch_execz .LBB540_24
.LBB540_33:
	s_waitcnt vmcnt(0)
	v_fma_f64 v[0:1], -v[34:35], v[30:31], v[28:29]
	global_store_dwordx2 v[2:3], v[0:1], off offset:3072
	s_or_b64 exec, exec, s[0:1]
	s_and_b64 exec, exec, s[12:13]
	s_cbranch_execnz .LBB540_25
	s_branch .LBB540_26
	.section	.rodata,"a",@progbits
	.p2align	6, 0x0
	.amdhsa_kernel _ZN12_GLOBAL__N_121softmax_warp_backwardIdddLi9ELb0ELb0ELi64EEEvPT0_PKT_S5_iiiPKb
		.amdhsa_group_segment_fixed_size 0
		.amdhsa_private_segment_fixed_size 0
		.amdhsa_kernarg_size 304
		.amdhsa_user_sgpr_count 6
		.amdhsa_user_sgpr_private_segment_buffer 1
		.amdhsa_user_sgpr_dispatch_ptr 0
		.amdhsa_user_sgpr_queue_ptr 0
		.amdhsa_user_sgpr_kernarg_segment_ptr 1
		.amdhsa_user_sgpr_dispatch_id 0
		.amdhsa_user_sgpr_flat_scratch_init 0
		.amdhsa_user_sgpr_kernarg_preload_length 0
		.amdhsa_user_sgpr_kernarg_preload_offset 0
		.amdhsa_user_sgpr_private_segment_size 0
		.amdhsa_uses_dynamic_stack 0
		.amdhsa_system_sgpr_private_segment_wavefront_offset 0
		.amdhsa_system_sgpr_workgroup_id_x 1
		.amdhsa_system_sgpr_workgroup_id_y 0
		.amdhsa_system_sgpr_workgroup_id_z 0
		.amdhsa_system_sgpr_workgroup_info 0
		.amdhsa_system_vgpr_workitem_id 1
		.amdhsa_next_free_vgpr 41
		.amdhsa_next_free_sgpr 24
		.amdhsa_accum_offset 44
		.amdhsa_reserve_vcc 1
		.amdhsa_reserve_flat_scratch 0
		.amdhsa_float_round_mode_32 0
		.amdhsa_float_round_mode_16_64 0
		.amdhsa_float_denorm_mode_32 3
		.amdhsa_float_denorm_mode_16_64 3
		.amdhsa_dx10_clamp 1
		.amdhsa_ieee_mode 1
		.amdhsa_fp16_overflow 0
		.amdhsa_tg_split 0
		.amdhsa_exception_fp_ieee_invalid_op 0
		.amdhsa_exception_fp_denorm_src 0
		.amdhsa_exception_fp_ieee_div_zero 0
		.amdhsa_exception_fp_ieee_overflow 0
		.amdhsa_exception_fp_ieee_underflow 0
		.amdhsa_exception_fp_ieee_inexact 0
		.amdhsa_exception_int_div_zero 0
	.end_amdhsa_kernel
	.section	.text._ZN12_GLOBAL__N_121softmax_warp_backwardIdddLi9ELb0ELb0ELi64EEEvPT0_PKT_S5_iiiPKb,"axG",@progbits,_ZN12_GLOBAL__N_121softmax_warp_backwardIdddLi9ELb0ELb0ELi64EEEvPT0_PKT_S5_iiiPKb,comdat
.Lfunc_end540:
	.size	_ZN12_GLOBAL__N_121softmax_warp_backwardIdddLi9ELb0ELb0ELi64EEEvPT0_PKT_S5_iiiPKb, .Lfunc_end540-_ZN12_GLOBAL__N_121softmax_warp_backwardIdddLi9ELb0ELb0ELi64EEEvPT0_PKT_S5_iiiPKb
                                        ; -- End function
	.section	.AMDGPU.csdata,"",@progbits
; Kernel info:
; codeLenInByte = 1396
; NumSgprs: 28
; NumVgprs: 41
; NumAgprs: 0
; TotalNumVgprs: 41
; ScratchSize: 0
; MemoryBound: 0
; FloatMode: 240
; IeeeMode: 1
; LDSByteSize: 0 bytes/workgroup (compile time only)
; SGPRBlocks: 3
; VGPRBlocks: 5
; NumSGPRsForWavesPerEU: 28
; NumVGPRsForWavesPerEU: 41
; AccumOffset: 44
; Occupancy: 8
; WaveLimiterHint : 0
; COMPUTE_PGM_RSRC2:SCRATCH_EN: 0
; COMPUTE_PGM_RSRC2:USER_SGPR: 6
; COMPUTE_PGM_RSRC2:TRAP_HANDLER: 0
; COMPUTE_PGM_RSRC2:TGID_X_EN: 1
; COMPUTE_PGM_RSRC2:TGID_Y_EN: 0
; COMPUTE_PGM_RSRC2:TGID_Z_EN: 0
; COMPUTE_PGM_RSRC2:TIDIG_COMP_CNT: 1
; COMPUTE_PGM_RSRC3_GFX90A:ACCUM_OFFSET: 10
; COMPUTE_PGM_RSRC3_GFX90A:TG_SPLIT: 0
	.section	.text._ZN12_GLOBAL__N_121softmax_warp_backwardIdddLi9ELb0ELb0ELi32EEEvPT0_PKT_S5_iiiPKb,"axG",@progbits,_ZN12_GLOBAL__N_121softmax_warp_backwardIdddLi9ELb0ELb0ELi32EEEvPT0_PKT_S5_iiiPKb,comdat
	.globl	_ZN12_GLOBAL__N_121softmax_warp_backwardIdddLi9ELb0ELb0ELi32EEEvPT0_PKT_S5_iiiPKb ; -- Begin function _ZN12_GLOBAL__N_121softmax_warp_backwardIdddLi9ELb0ELb0ELi32EEEvPT0_PKT_S5_iiiPKb
	.p2align	8
	.type	_ZN12_GLOBAL__N_121softmax_warp_backwardIdddLi9ELb0ELb0ELi32EEEvPT0_PKT_S5_iiiPKb,@function
_ZN12_GLOBAL__N_121softmax_warp_backwardIdddLi9ELb0ELb0ELi32EEEvPT0_PKT_S5_iiiPKb: ; @_ZN12_GLOBAL__N_121softmax_warp_backwardIdddLi9ELb0ELb0ELi32EEEvPT0_PKT_S5_iiiPKb
; %bb.0:
	s_load_dword s2, s[4:5], 0x3c
	s_load_dwordx4 s[28:31], s[4:5], 0x18
	s_load_dwordx4 s[36:39], s[4:5], 0x0
	s_load_dwordx2 s[0:1], s[4:5], 0x10
	v_bfe_u32 v1, v0, 10, 10
	s_waitcnt lgkmcnt(0)
	s_lshr_b32 s2, s2, 16
	s_mul_i32 s6, s6, s2
	v_add_u32_e32 v1, s6, v1
	v_and_b32_e32 v42, 31, v0
	v_sub_u32_e32 v70, s28, v1
	v_mad_u64_u32 v[0:1], s[2:3], v1, s29, v[42:43]
	v_ashrrev_i32_e32 v1, 31, v0
	v_lshlrev_b64 v[2:3], 3, v[0:1]
	v_mov_b32_e32 v0, s39
	v_add_co_u32_e32 v38, vcc, s38, v2
	v_addc_co_u32_e32 v39, vcc, v0, v3, vcc
	v_mov_b32_e32 v0, s1
	v_add_co_u32_e32 v44, vcc, s0, v2
	v_addc_co_u32_e32 v45, vcc, v0, v3, vcc
	v_cmp_lt_i32_e64 s[20:21], 0, v70
	v_cmp_gt_i32_e32 vcc, s30, v42
	v_pk_mov_b32 v[0:1], 0, 0
	s_and_b64 s[2:3], s[20:21], vcc
	v_pk_mov_b32 v[4:5], v[0:1], v[0:1] op_sel:[0,1]
	v_pk_mov_b32 v[6:7], v[0:1], v[0:1] op_sel:[0,1]
	s_and_saveexec_b64 s[0:1], s[2:3]
	s_cbranch_execz .LBB541_2
; %bb.1:
	global_load_dwordx2 v[4:5], v[38:39], off
	global_load_dwordx2 v[6:7], v[44:45], off
.LBB541_2:
	s_or_b64 exec, exec, s[0:1]
	v_or_b32_e32 v8, 32, v42
	v_cmp_gt_i32_e64 s[0:1], s30, v8
	s_and_b64 s[4:5], s[20:21], s[0:1]
	v_pk_mov_b32 v[10:11], v[0:1], v[0:1] op_sel:[0,1]
	s_and_saveexec_b64 s[2:3], s[4:5]
	s_cbranch_execz .LBB541_4
; %bb.3:
	global_load_dwordx2 v[0:1], v[38:39], off offset:256
	global_load_dwordx2 v[10:11], v[44:45], off offset:256
.LBB541_4:
	s_or_b64 exec, exec, s[2:3]
	v_or_b32_e32 v8, 64, v42
	v_cmp_gt_i32_e64 s[2:3], s30, v8
	v_pk_mov_b32 v[8:9], 0, 0
	s_and_b64 s[6:7], s[20:21], s[2:3]
	v_pk_mov_b32 v[12:13], v[8:9], v[8:9] op_sel:[0,1]
	v_pk_mov_b32 v[14:15], v[8:9], v[8:9] op_sel:[0,1]
	s_and_saveexec_b64 s[4:5], s[6:7]
	s_cbranch_execz .LBB541_6
; %bb.5:
	global_load_dwordx2 v[12:13], v[38:39], off offset:512
	global_load_dwordx2 v[14:15], v[44:45], off offset:512
.LBB541_6:
	s_or_b64 exec, exec, s[4:5]
	v_or_b32_e32 v16, 0x60, v42
	v_cmp_gt_i32_e64 s[4:5], s30, v16
	s_and_b64 s[8:9], s[20:21], s[4:5]
	v_pk_mov_b32 v[18:19], v[8:9], v[8:9] op_sel:[0,1]
	s_and_saveexec_b64 s[6:7], s[8:9]
	s_cbranch_execz .LBB541_8
; %bb.7:
	global_load_dwordx2 v[8:9], v[38:39], off offset:768
	global_load_dwordx2 v[18:19], v[44:45], off offset:768
.LBB541_8:
	s_or_b64 exec, exec, s[6:7]
	v_or_b32_e32 v16, 0x80, v42
	v_cmp_gt_i32_e64 s[6:7], s30, v16
	v_pk_mov_b32 v[16:17], 0, 0
	s_and_b64 s[10:11], s[20:21], s[6:7]
	v_pk_mov_b32 v[20:21], v[16:17], v[16:17] op_sel:[0,1]
	v_pk_mov_b32 v[22:23], v[16:17], v[16:17] op_sel:[0,1]
	s_and_saveexec_b64 s[8:9], s[10:11]
	s_cbranch_execz .LBB541_10
; %bb.9:
	global_load_dwordx2 v[20:21], v[38:39], off offset:1024
	global_load_dwordx2 v[22:23], v[44:45], off offset:1024
.LBB541_10:
	;; [unrolled: 24-line block ×7, first 2 shown]
	s_or_b64 exec, exec, s[34:35]
	v_or_b32_e32 v42, 0x1e0, v42
	v_cmp_gt_i32_e64 s[30:31], s30, v42
	s_and_b64 s[34:35], s[20:21], s[30:31]
	v_pk_mov_b32 v[42:43], v[62:63], v[62:63] op_sel:[0,1]
	s_and_saveexec_b64 s[20:21], s[34:35]
	s_cbranch_execz .LBB541_32
; %bb.31:
	global_load_dwordx2 v[62:63], v[38:39], off offset:3840
	global_load_dwordx2 v[42:43], v[44:45], off offset:3840
.LBB541_32:
	s_or_b64 exec, exec, s[20:21]
	s_waitcnt vmcnt(1)
	v_add_f64 v[38:39], v[4:5], 0
	v_add_f64 v[38:39], v[38:39], v[0:1]
	;; [unrolled: 1-line block ×10, first 2 shown]
	v_mbcnt_lo_u32_b32 v44, -1, 0
	v_add_f64 v[38:39], v[38:39], v[50:51]
	v_mbcnt_hi_u32_b32 v71, -1, v44
	v_add_f64 v[38:39], v[38:39], v[46:47]
	v_and_b32_e32 v44, 0x60, v71
	v_add_f64 v[38:39], v[38:39], v[58:59]
	v_add_u32_e32 v72, 32, v44
	v_xor_b32_e32 v44, 16, v71
	v_add_f64 v[38:39], v[38:39], v[54:55]
	v_cmp_lt_i32_e64 s[20:21], v44, v72
	v_add_f64 v[38:39], v[38:39], v[66:67]
	v_cndmask_b32_e64 v44, v71, v44, s[20:21]
	v_add_f64 v[38:39], v[38:39], v[62:63]
	v_lshlrev_b32_e32 v45, 2, v44
	ds_bpermute_b32 v44, v45, v38
	ds_bpermute_b32 v45, v45, v39
	s_waitcnt lgkmcnt(0)
	v_add_f64 v[38:39], v[38:39], v[44:45]
	v_xor_b32_e32 v44, 8, v71
	v_cmp_lt_i32_e64 s[20:21], v44, v72
	v_cndmask_b32_e64 v44, v71, v44, s[20:21]
	v_lshlrev_b32_e32 v45, 2, v44
	ds_bpermute_b32 v44, v45, v38
	ds_bpermute_b32 v45, v45, v39
	s_waitcnt lgkmcnt(0)
	v_add_f64 v[38:39], v[38:39], v[44:45]
	v_xor_b32_e32 v44, 4, v71
	v_cmp_lt_i32_e64 s[20:21], v44, v72
	v_cndmask_b32_e64 v44, v71, v44, s[20:21]
	;; [unrolled: 8-line block ×4, first 2 shown]
	v_lshlrev_b32_e32 v45, 2, v44
	ds_bpermute_b32 v44, v45, v38
	ds_bpermute_b32 v45, v45, v39
	v_cmp_lt_i32_e64 s[20:21], 0, v70
	s_and_saveexec_b64 s[34:35], s[20:21]
	s_cbranch_execz .LBB541_50
; %bb.33:
	v_mov_b32_e32 v70, s37
	v_add_co_u32_e64 v2, s[20:21], s36, v2
	v_addc_co_u32_e64 v3, s[20:21], v70, v3, s[20:21]
	s_waitcnt lgkmcnt(0)
	v_add_f64 v[38:39], v[38:39], v[44:45]
	s_and_saveexec_b64 s[20:21], vcc
	s_cbranch_execnz .LBB541_51
; %bb.34:
	s_or_b64 exec, exec, s[20:21]
	s_and_saveexec_b64 s[20:21], s[0:1]
	s_cbranch_execnz .LBB541_52
.LBB541_35:
	s_or_b64 exec, exec, s[20:21]
	s_and_saveexec_b64 s[0:1], s[2:3]
	s_cbranch_execnz .LBB541_53
.LBB541_36:
	s_or_b64 exec, exec, s[0:1]
	s_and_saveexec_b64 s[0:1], s[4:5]
	s_cbranch_execnz .LBB541_54
.LBB541_37:
	s_or_b64 exec, exec, s[0:1]
	s_and_saveexec_b64 s[0:1], s[6:7]
	s_cbranch_execnz .LBB541_55
.LBB541_38:
	s_or_b64 exec, exec, s[0:1]
	s_and_saveexec_b64 s[0:1], s[8:9]
	s_cbranch_execnz .LBB541_56
.LBB541_39:
	s_or_b64 exec, exec, s[0:1]
	s_and_saveexec_b64 s[0:1], s[10:11]
	s_cbranch_execnz .LBB541_57
.LBB541_40:
	s_or_b64 exec, exec, s[0:1]
	s_and_saveexec_b64 s[0:1], s[12:13]
	s_cbranch_execnz .LBB541_58
.LBB541_41:
	s_or_b64 exec, exec, s[0:1]
	s_and_saveexec_b64 s[0:1], s[14:15]
	s_cbranch_execnz .LBB541_59
.LBB541_42:
	s_or_b64 exec, exec, s[0:1]
	s_and_saveexec_b64 s[0:1], s[16:17]
	s_cbranch_execnz .LBB541_60
.LBB541_43:
	s_or_b64 exec, exec, s[0:1]
	s_and_saveexec_b64 s[0:1], s[18:19]
	s_cbranch_execnz .LBB541_61
.LBB541_44:
	s_or_b64 exec, exec, s[0:1]
	s_and_saveexec_b64 s[0:1], s[22:23]
	s_cbranch_execnz .LBB541_62
.LBB541_45:
	s_or_b64 exec, exec, s[0:1]
	s_and_saveexec_b64 s[0:1], s[24:25]
	s_cbranch_execnz .LBB541_63
.LBB541_46:
	s_or_b64 exec, exec, s[0:1]
	s_and_saveexec_b64 s[0:1], s[26:27]
	s_cbranch_execnz .LBB541_64
.LBB541_47:
	s_or_b64 exec, exec, s[0:1]
	s_and_saveexec_b64 s[0:1], s[28:29]
	s_cbranch_execnz .LBB541_65
.LBB541_48:
	s_or_b64 exec, exec, s[0:1]
	s_and_b64 exec, exec, s[30:31]
	s_cbranch_execz .LBB541_50
.LBB541_49:
	s_waitcnt vmcnt(0)
	v_fma_f64 v[0:1], -v[38:39], v[42:43], v[62:63]
	global_store_dwordx2 v[2:3], v[0:1], off offset:3840
.LBB541_50:
	s_endpgm
.LBB541_51:
	s_waitcnt vmcnt(0)
	v_fma_f64 v[4:5], -v[38:39], v[6:7], v[4:5]
	global_store_dwordx2 v[2:3], v[4:5], off
	s_or_b64 exec, exec, s[20:21]
	s_and_saveexec_b64 s[20:21], s[0:1]
	s_cbranch_execz .LBB541_35
.LBB541_52:
	s_waitcnt vmcnt(0)
	v_fma_f64 v[0:1], -v[38:39], v[10:11], v[0:1]
	global_store_dwordx2 v[2:3], v[0:1], off offset:256
	s_or_b64 exec, exec, s[20:21]
	s_and_saveexec_b64 s[0:1], s[2:3]
	s_cbranch_execz .LBB541_36
.LBB541_53:
	s_waitcnt vmcnt(0)
	v_fma_f64 v[0:1], -v[38:39], v[14:15], v[12:13]
	global_store_dwordx2 v[2:3], v[0:1], off offset:512
	s_or_b64 exec, exec, s[0:1]
	s_and_saveexec_b64 s[0:1], s[4:5]
	s_cbranch_execz .LBB541_37
.LBB541_54:
	s_waitcnt vmcnt(0)
	v_fma_f64 v[0:1], -v[38:39], v[18:19], v[8:9]
	global_store_dwordx2 v[2:3], v[0:1], off offset:768
	s_or_b64 exec, exec, s[0:1]
	s_and_saveexec_b64 s[0:1], s[6:7]
	s_cbranch_execz .LBB541_38
.LBB541_55:
	s_waitcnt vmcnt(0)
	v_fma_f64 v[0:1], -v[38:39], v[22:23], v[20:21]
	global_store_dwordx2 v[2:3], v[0:1], off offset:1024
	s_or_b64 exec, exec, s[0:1]
	s_and_saveexec_b64 s[0:1], s[8:9]
	s_cbranch_execz .LBB541_39
.LBB541_56:
	s_waitcnt vmcnt(0)
	v_fma_f64 v[0:1], -v[38:39], v[26:27], v[16:17]
	global_store_dwordx2 v[2:3], v[0:1], off offset:1280
	s_or_b64 exec, exec, s[0:1]
	s_and_saveexec_b64 s[0:1], s[10:11]
	s_cbranch_execz .LBB541_40
.LBB541_57:
	s_waitcnt vmcnt(0)
	v_fma_f64 v[0:1], -v[38:39], v[30:31], v[28:29]
	global_store_dwordx2 v[2:3], v[0:1], off offset:1536
	s_or_b64 exec, exec, s[0:1]
	s_and_saveexec_b64 s[0:1], s[12:13]
	s_cbranch_execz .LBB541_41
.LBB541_58:
	s_waitcnt vmcnt(0)
	v_fma_f64 v[0:1], -v[38:39], v[34:35], v[24:25]
	global_store_dwordx2 v[2:3], v[0:1], off offset:1792
	s_or_b64 exec, exec, s[0:1]
	s_and_saveexec_b64 s[0:1], s[14:15]
	s_cbranch_execz .LBB541_42
.LBB541_59:
	s_waitcnt vmcnt(0)
	v_fma_f64 v[0:1], -v[38:39], v[40:41], v[36:37]
	global_store_dwordx2 v[2:3], v[0:1], off offset:2048
	s_or_b64 exec, exec, s[0:1]
	s_and_saveexec_b64 s[0:1], s[16:17]
	s_cbranch_execz .LBB541_43
.LBB541_60:
	s_waitcnt vmcnt(0)
	v_fma_f64 v[0:1], -v[38:39], v[48:49], v[32:33]
	global_store_dwordx2 v[2:3], v[0:1], off offset:2304
	s_or_b64 exec, exec, s[0:1]
	s_and_saveexec_b64 s[0:1], s[18:19]
	s_cbranch_execz .LBB541_44
.LBB541_61:
	s_waitcnt vmcnt(0)
	v_fma_f64 v[0:1], -v[38:39], v[52:53], v[50:51]
	global_store_dwordx2 v[2:3], v[0:1], off offset:2560
	s_or_b64 exec, exec, s[0:1]
	s_and_saveexec_b64 s[0:1], s[22:23]
	s_cbranch_execz .LBB541_45
.LBB541_62:
	s_waitcnt vmcnt(0)
	v_fma_f64 v[0:1], -v[38:39], v[56:57], v[46:47]
	global_store_dwordx2 v[2:3], v[0:1], off offset:2816
	s_or_b64 exec, exec, s[0:1]
	s_and_saveexec_b64 s[0:1], s[24:25]
	s_cbranch_execz .LBB541_46
.LBB541_63:
	s_waitcnt vmcnt(0)
	v_fma_f64 v[0:1], -v[38:39], v[60:61], v[58:59]
	global_store_dwordx2 v[2:3], v[0:1], off offset:3072
	s_or_b64 exec, exec, s[0:1]
	s_and_saveexec_b64 s[0:1], s[26:27]
	s_cbranch_execz .LBB541_47
.LBB541_64:
	s_waitcnt vmcnt(0)
	v_fma_f64 v[0:1], -v[38:39], v[64:65], v[54:55]
	global_store_dwordx2 v[2:3], v[0:1], off offset:3328
	s_or_b64 exec, exec, s[0:1]
	s_and_saveexec_b64 s[0:1], s[28:29]
	s_cbranch_execz .LBB541_48
.LBB541_65:
	s_waitcnt vmcnt(0)
	v_fma_f64 v[0:1], -v[38:39], v[68:69], v[66:67]
	global_store_dwordx2 v[2:3], v[0:1], off offset:3584
	s_or_b64 exec, exec, s[0:1]
	s_and_b64 exec, exec, s[30:31]
	s_cbranch_execnz .LBB541_49
	s_branch .LBB541_50
	.section	.rodata,"a",@progbits
	.p2align	6, 0x0
	.amdhsa_kernel _ZN12_GLOBAL__N_121softmax_warp_backwardIdddLi9ELb0ELb0ELi32EEEvPT0_PKT_S5_iiiPKb
		.amdhsa_group_segment_fixed_size 0
		.amdhsa_private_segment_fixed_size 0
		.amdhsa_kernarg_size 304
		.amdhsa_user_sgpr_count 6
		.amdhsa_user_sgpr_private_segment_buffer 1
		.amdhsa_user_sgpr_dispatch_ptr 0
		.amdhsa_user_sgpr_queue_ptr 0
		.amdhsa_user_sgpr_kernarg_segment_ptr 1
		.amdhsa_user_sgpr_dispatch_id 0
		.amdhsa_user_sgpr_flat_scratch_init 0
		.amdhsa_user_sgpr_kernarg_preload_length 0
		.amdhsa_user_sgpr_kernarg_preload_offset 0
		.amdhsa_user_sgpr_private_segment_size 0
		.amdhsa_uses_dynamic_stack 0
		.amdhsa_system_sgpr_private_segment_wavefront_offset 0
		.amdhsa_system_sgpr_workgroup_id_x 1
		.amdhsa_system_sgpr_workgroup_id_y 0
		.amdhsa_system_sgpr_workgroup_id_z 0
		.amdhsa_system_sgpr_workgroup_info 0
		.amdhsa_system_vgpr_workitem_id 1
		.amdhsa_next_free_vgpr 73
		.amdhsa_next_free_sgpr 40
		.amdhsa_accum_offset 76
		.amdhsa_reserve_vcc 1
		.amdhsa_reserve_flat_scratch 0
		.amdhsa_float_round_mode_32 0
		.amdhsa_float_round_mode_16_64 0
		.amdhsa_float_denorm_mode_32 3
		.amdhsa_float_denorm_mode_16_64 3
		.amdhsa_dx10_clamp 1
		.amdhsa_ieee_mode 1
		.amdhsa_fp16_overflow 0
		.amdhsa_tg_split 0
		.amdhsa_exception_fp_ieee_invalid_op 0
		.amdhsa_exception_fp_denorm_src 0
		.amdhsa_exception_fp_ieee_div_zero 0
		.amdhsa_exception_fp_ieee_overflow 0
		.amdhsa_exception_fp_ieee_underflow 0
		.amdhsa_exception_fp_ieee_inexact 0
		.amdhsa_exception_int_div_zero 0
	.end_amdhsa_kernel
	.section	.text._ZN12_GLOBAL__N_121softmax_warp_backwardIdddLi9ELb0ELb0ELi32EEEvPT0_PKT_S5_iiiPKb,"axG",@progbits,_ZN12_GLOBAL__N_121softmax_warp_backwardIdddLi9ELb0ELb0ELi32EEEvPT0_PKT_S5_iiiPKb,comdat
.Lfunc_end541:
	.size	_ZN12_GLOBAL__N_121softmax_warp_backwardIdddLi9ELb0ELb0ELi32EEEvPT0_PKT_S5_iiiPKb, .Lfunc_end541-_ZN12_GLOBAL__N_121softmax_warp_backwardIdddLi9ELb0ELb0ELi32EEEvPT0_PKT_S5_iiiPKb
                                        ; -- End function
	.section	.AMDGPU.csdata,"",@progbits
; Kernel info:
; codeLenInByte = 2272
; NumSgprs: 44
; NumVgprs: 73
; NumAgprs: 0
; TotalNumVgprs: 73
; ScratchSize: 0
; MemoryBound: 0
; FloatMode: 240
; IeeeMode: 1
; LDSByteSize: 0 bytes/workgroup (compile time only)
; SGPRBlocks: 5
; VGPRBlocks: 9
; NumSGPRsForWavesPerEU: 44
; NumVGPRsForWavesPerEU: 73
; AccumOffset: 76
; Occupancy: 6
; WaveLimiterHint : 0
; COMPUTE_PGM_RSRC2:SCRATCH_EN: 0
; COMPUTE_PGM_RSRC2:USER_SGPR: 6
; COMPUTE_PGM_RSRC2:TRAP_HANDLER: 0
; COMPUTE_PGM_RSRC2:TGID_X_EN: 1
; COMPUTE_PGM_RSRC2:TGID_Y_EN: 0
; COMPUTE_PGM_RSRC2:TGID_Z_EN: 0
; COMPUTE_PGM_RSRC2:TIDIG_COMP_CNT: 1
; COMPUTE_PGM_RSRC3_GFX90A:ACCUM_OFFSET: 18
; COMPUTE_PGM_RSRC3_GFX90A:TG_SPLIT: 0
	.section	.text._ZN12_GLOBAL__N_121softmax_warp_backwardIdddLi10ELb0ELb0ELi64EEEvPT0_PKT_S5_iiiPKb,"axG",@progbits,_ZN12_GLOBAL__N_121softmax_warp_backwardIdddLi10ELb0ELb0ELi64EEEvPT0_PKT_S5_iiiPKb,comdat
	.globl	_ZN12_GLOBAL__N_121softmax_warp_backwardIdddLi10ELb0ELb0ELi64EEEvPT0_PKT_S5_iiiPKb ; -- Begin function _ZN12_GLOBAL__N_121softmax_warp_backwardIdddLi10ELb0ELb0ELi64EEEvPT0_PKT_S5_iiiPKb
	.p2align	8
	.type	_ZN12_GLOBAL__N_121softmax_warp_backwardIdddLi10ELb0ELb0ELi64EEEvPT0_PKT_S5_iiiPKb,@function
_ZN12_GLOBAL__N_121softmax_warp_backwardIdddLi10ELb0ELb0ELi64EEEvPT0_PKT_S5_iiiPKb: ; @_ZN12_GLOBAL__N_121softmax_warp_backwardIdddLi10ELb0ELb0ELi64EEEvPT0_PKT_S5_iiiPKb
; %bb.0:
	s_load_dword s2, s[4:5], 0x3c
	s_load_dwordx4 s[40:43], s[4:5], 0x18
	s_load_dwordx4 s[36:39], s[4:5], 0x0
	s_load_dwordx2 s[0:1], s[4:5], 0x10
	v_bfe_u32 v1, v0, 10, 10
	s_waitcnt lgkmcnt(0)
	s_lshr_b32 s2, s2, 16
	s_mul_i32 s6, s6, s2
	v_and_b32_e32 v68, 0x3ff, v0
	v_add_u32_e32 v1, s6, v1
	v_and_b32_e32 v54, 63, v68
	v_sub_u32_e32 v70, s40, v1
	v_mad_u64_u32 v[0:1], s[2:3], v1, s41, v[54:55]
	v_ashrrev_i32_e32 v1, 31, v0
	v_lshlrev_b64 v[2:3], 3, v[0:1]
	v_mov_b32_e32 v0, s39
	v_add_co_u32_e32 v44, vcc, s38, v2
	v_addc_co_u32_e32 v45, vcc, v0, v3, vcc
	v_mov_b32_e32 v0, s1
	v_add_co_u32_e32 v42, vcc, s0, v2
	v_addc_co_u32_e32 v43, vcc, v0, v3, vcc
	v_cmp_lt_i32_e64 s[22:23], 0, v70
	v_cmp_gt_i32_e64 s[0:1], s42, v54
	v_pk_mov_b32 v[0:1], 0, 0
	s_and_b64 s[4:5], s[22:23], s[0:1]
	v_pk_mov_b32 v[4:5], v[0:1], v[0:1] op_sel:[0,1]
	v_pk_mov_b32 v[6:7], v[0:1], v[0:1] op_sel:[0,1]
	s_and_saveexec_b64 s[2:3], s[4:5]
	s_cbranch_execz .LBB542_2
; %bb.1:
	global_load_dwordx2 v[4:5], v[44:45], off
	global_load_dwordx2 v[6:7], v[42:43], off
.LBB542_2:
	s_or_b64 exec, exec, s[2:3]
	v_or_b32_e32 v8, 64, v54
	v_cmp_gt_i32_e64 s[2:3], s42, v8
	s_and_b64 s[6:7], s[22:23], s[2:3]
	v_pk_mov_b32 v[10:11], v[0:1], v[0:1] op_sel:[0,1]
	s_and_saveexec_b64 s[4:5], s[6:7]
	s_cbranch_execz .LBB542_4
; %bb.3:
	global_load_dwordx2 v[0:1], v[44:45], off offset:512
	global_load_dwordx2 v[10:11], v[42:43], off offset:512
.LBB542_4:
	s_or_b64 exec, exec, s[4:5]
	v_or_b32_e32 v8, 0x80, v54
	v_cmp_gt_i32_e64 s[4:5], s42, v8
	v_pk_mov_b32 v[8:9], 0, 0
	s_and_b64 s[8:9], s[22:23], s[4:5]
	v_pk_mov_b32 v[12:13], v[8:9], v[8:9] op_sel:[0,1]
	v_pk_mov_b32 v[14:15], v[8:9], v[8:9] op_sel:[0,1]
	s_and_saveexec_b64 s[6:7], s[8:9]
	s_cbranch_execz .LBB542_6
; %bb.5:
	global_load_dwordx2 v[12:13], v[44:45], off offset:1024
	global_load_dwordx2 v[14:15], v[42:43], off offset:1024
.LBB542_6:
	s_or_b64 exec, exec, s[6:7]
	v_or_b32_e32 v16, 0xc0, v54
	v_cmp_gt_i32_e64 s[6:7], s42, v16
	s_and_b64 s[10:11], s[22:23], s[6:7]
	v_pk_mov_b32 v[18:19], v[8:9], v[8:9] op_sel:[0,1]
	s_and_saveexec_b64 s[8:9], s[10:11]
	s_cbranch_execz .LBB542_8
; %bb.7:
	global_load_dwordx2 v[8:9], v[44:45], off offset:1536
	global_load_dwordx2 v[18:19], v[42:43], off offset:1536
.LBB542_8:
	s_or_b64 exec, exec, s[8:9]
	v_or_b32_e32 v16, 0x100, v54
	v_cmp_gt_i32_e64 s[8:9], s42, v16
	v_pk_mov_b32 v[16:17], 0, 0
	s_and_b64 s[12:13], s[22:23], s[8:9]
	v_pk_mov_b32 v[20:21], v[16:17], v[16:17] op_sel:[0,1]
	v_pk_mov_b32 v[22:23], v[16:17], v[16:17] op_sel:[0,1]
	s_and_saveexec_b64 s[10:11], s[12:13]
	s_cbranch_execz .LBB542_10
; %bb.9:
	global_load_dwordx2 v[20:21], v[44:45], off offset:2048
	global_load_dwordx2 v[22:23], v[42:43], off offset:2048
.LBB542_10:
	;; [unrolled: 24-line block ×3, first 2 shown]
	s_or_b64 exec, exec, s[14:15]
	v_or_b32_e32 v32, 0x1c0, v54
	v_cmp_gt_i32_e64 s[14:15], s42, v32
	s_and_b64 s[18:19], s[22:23], s[14:15]
	v_pk_mov_b32 v[34:35], v[24:25], v[24:25] op_sel:[0,1]
	s_and_saveexec_b64 s[16:17], s[18:19]
	s_cbranch_execz .LBB542_16
; %bb.15:
	global_load_dwordx2 v[24:25], v[44:45], off offset:3584
	global_load_dwordx2 v[34:35], v[42:43], off offset:3584
.LBB542_16:
	s_or_b64 exec, exec, s[16:17]
	v_or_b32_e32 v32, 0x200, v54
	v_cmp_gt_i32_e64 s[16:17], s42, v32
	v_pk_mov_b32 v[32:33], 0, 0
	s_and_b64 s[20:21], s[22:23], s[16:17]
	v_pk_mov_b32 v[36:37], v[32:33], v[32:33] op_sel:[0,1]
	v_pk_mov_b32 v[38:39], v[32:33], v[32:33] op_sel:[0,1]
	s_and_saveexec_b64 s[18:19], s[20:21]
	s_cbranch_execz .LBB542_18
; %bb.17:
	v_add_co_u32_e32 v36, vcc, 0x1000, v44
	v_addc_co_u32_e32 v37, vcc, 0, v45, vcc
	v_add_co_u32_e32 v38, vcc, 0x1000, v42
	v_addc_co_u32_e32 v39, vcc, 0, v43, vcc
	global_load_dwordx2 v[36:37], v[36:37], off
	s_nop 0
	global_load_dwordx2 v[38:39], v[38:39], off
.LBB542_18:
	s_or_b64 exec, exec, s[18:19]
	v_or_b32_e32 v40, 0x240, v54
	v_cmp_gt_i32_e64 s[18:19], s42, v40
	s_and_b64 s[24:25], s[22:23], s[18:19]
	v_pk_mov_b32 v[46:47], v[32:33], v[32:33] op_sel:[0,1]
	s_and_saveexec_b64 s[20:21], s[24:25]
	s_cbranch_execz .LBB542_20
; %bb.19:
	v_add_co_u32_e32 v32, vcc, 0x1000, v44
	v_addc_co_u32_e32 v33, vcc, 0, v45, vcc
	v_add_co_u32_e32 v40, vcc, 0x1000, v42
	v_addc_co_u32_e32 v41, vcc, 0, v43, vcc
	global_load_dwordx2 v[32:33], v[32:33], off offset:512
	s_nop 0
	global_load_dwordx2 v[46:47], v[40:41], off offset:512
.LBB542_20:
	s_or_b64 exec, exec, s[20:21]
	v_or_b32_e32 v40, 0x280, v54
	v_cmp_gt_i32_e64 s[20:21], s42, v40
	v_pk_mov_b32 v[40:41], 0, 0
	s_and_b64 s[26:27], s[22:23], s[20:21]
	v_pk_mov_b32 v[48:49], v[40:41], v[40:41] op_sel:[0,1]
	v_pk_mov_b32 v[50:51], v[40:41], v[40:41] op_sel:[0,1]
	s_and_saveexec_b64 s[24:25], s[26:27]
	s_cbranch_execz .LBB542_22
; %bb.21:
	v_add_co_u32_e32 v48, vcc, 0x1000, v44
	v_addc_co_u32_e32 v49, vcc, 0, v45, vcc
	v_add_co_u32_e32 v50, vcc, 0x1000, v42
	v_addc_co_u32_e32 v51, vcc, 0, v43, vcc
	global_load_dwordx2 v[48:49], v[48:49], off offset:1024
	s_nop 0
	global_load_dwordx2 v[50:51], v[50:51], off offset:1024
.LBB542_22:
	s_or_b64 exec, exec, s[24:25]
	v_or_b32_e32 v52, 0x2c0, v54
	v_cmp_gt_i32_e64 s[24:25], s42, v52
	s_and_b64 s[28:29], s[22:23], s[24:25]
	v_pk_mov_b32 v[56:57], v[40:41], v[40:41] op_sel:[0,1]
	s_and_saveexec_b64 s[26:27], s[28:29]
	s_cbranch_execz .LBB542_24
; %bb.23:
	v_add_co_u32_e32 v40, vcc, 0x1000, v44
	v_addc_co_u32_e32 v41, vcc, 0, v45, vcc
	v_add_co_u32_e32 v52, vcc, 0x1000, v42
	v_addc_co_u32_e32 v53, vcc, 0, v43, vcc
	global_load_dwordx2 v[40:41], v[40:41], off offset:1536
	s_nop 0
	global_load_dwordx2 v[56:57], v[52:53], off offset:1536
.LBB542_24:
	s_or_b64 exec, exec, s[26:27]
	v_or_b32_e32 v52, 0x300, v54
	v_cmp_gt_i32_e64 s[26:27], s42, v52
	v_pk_mov_b32 v[52:53], 0, 0
	s_and_b64 s[30:31], s[22:23], s[26:27]
	v_pk_mov_b32 v[58:59], v[52:53], v[52:53] op_sel:[0,1]
	v_pk_mov_b32 v[60:61], v[52:53], v[52:53] op_sel:[0,1]
	s_and_saveexec_b64 s[28:29], s[30:31]
	s_cbranch_execz .LBB542_26
; %bb.25:
	v_add_co_u32_e32 v58, vcc, 0x1000, v44
	v_addc_co_u32_e32 v59, vcc, 0, v45, vcc
	v_add_co_u32_e32 v60, vcc, 0x1000, v42
	v_addc_co_u32_e32 v61, vcc, 0, v43, vcc
	global_load_dwordx2 v[58:59], v[58:59], off offset:2048
	s_nop 0
	global_load_dwordx2 v[60:61], v[60:61], off offset:2048
.LBB542_26:
	;; [unrolled: 34-line block ×3, first 2 shown]
	s_or_b64 exec, exec, s[34:35]
	v_or_b32_e32 v68, 0x3c0, v68
	v_cmp_gt_i32_e64 s[34:35], s42, v68
	s_and_b64 s[38:39], s[22:23], s[34:35]
	v_pk_mov_b32 v[68:69], v[54:55], v[54:55] op_sel:[0,1]
	s_and_saveexec_b64 s[22:23], s[38:39]
	s_cbranch_execz .LBB542_32
; %bb.31:
	v_add_co_u32_e32 v44, vcc, 0x1000, v44
	v_addc_co_u32_e32 v45, vcc, 0, v45, vcc
	v_add_co_u32_e32 v42, vcc, 0x1000, v42
	v_addc_co_u32_e32 v43, vcc, 0, v43, vcc
	global_load_dwordx2 v[54:55], v[44:45], off offset:3584
	global_load_dwordx2 v[68:69], v[42:43], off offset:3584
.LBB542_32:
	s_or_b64 exec, exec, s[22:23]
	s_waitcnt vmcnt(1)
	v_add_f64 v[42:43], v[4:5], 0
	v_add_f64 v[42:43], v[42:43], v[0:1]
	;; [unrolled: 1-line block ×10, first 2 shown]
	v_mbcnt_lo_u32_b32 v44, -1, 0
	v_add_f64 v[42:43], v[42:43], v[48:49]
	v_mbcnt_hi_u32_b32 v71, -1, v44
	v_add_f64 v[42:43], v[42:43], v[40:41]
	v_and_b32_e32 v44, 64, v71
	v_add_f64 v[42:43], v[42:43], v[58:59]
	v_add_u32_e32 v72, 64, v44
	v_xor_b32_e32 v44, 32, v71
	v_add_f64 v[42:43], v[42:43], v[52:53]
	v_cmp_lt_i32_e32 vcc, v44, v72
	v_add_f64 v[42:43], v[42:43], v[64:65]
	v_cndmask_b32_e32 v44, v71, v44, vcc
	v_add_f64 v[42:43], v[42:43], v[54:55]
	v_lshlrev_b32_e32 v45, 2, v44
	ds_bpermute_b32 v44, v45, v42
	ds_bpermute_b32 v45, v45, v43
	s_waitcnt lgkmcnt(0)
	v_add_f64 v[42:43], v[42:43], v[44:45]
	v_xor_b32_e32 v44, 16, v71
	v_cmp_lt_i32_e32 vcc, v44, v72
	v_cndmask_b32_e32 v44, v71, v44, vcc
	v_lshlrev_b32_e32 v45, 2, v44
	ds_bpermute_b32 v44, v45, v42
	ds_bpermute_b32 v45, v45, v43
	s_waitcnt lgkmcnt(0)
	v_add_f64 v[42:43], v[42:43], v[44:45]
	v_xor_b32_e32 v44, 8, v71
	v_cmp_lt_i32_e32 vcc, v44, v72
	v_cndmask_b32_e32 v44, v71, v44, vcc
	;; [unrolled: 8-line block ×5, first 2 shown]
	v_lshlrev_b32_e32 v45, 2, v44
	ds_bpermute_b32 v44, v45, v42
	ds_bpermute_b32 v45, v45, v43
	v_cmp_lt_i32_e32 vcc, 0, v70
	s_and_saveexec_b64 s[22:23], vcc
	s_cbranch_execz .LBB542_50
; %bb.33:
	v_mov_b32_e32 v70, s37
	v_add_co_u32_e32 v2, vcc, s36, v2
	v_addc_co_u32_e32 v3, vcc, v70, v3, vcc
	s_waitcnt lgkmcnt(0)
	v_add_f64 v[42:43], v[42:43], v[44:45]
	s_and_saveexec_b64 s[22:23], s[0:1]
	s_cbranch_execnz .LBB542_51
; %bb.34:
	s_or_b64 exec, exec, s[22:23]
	s_and_saveexec_b64 s[0:1], s[2:3]
	s_cbranch_execnz .LBB542_52
.LBB542_35:
	s_or_b64 exec, exec, s[0:1]
	s_and_saveexec_b64 s[0:1], s[4:5]
	s_cbranch_execnz .LBB542_53
.LBB542_36:
	s_or_b64 exec, exec, s[0:1]
	s_and_saveexec_b64 s[0:1], s[6:7]
	s_cbranch_execnz .LBB542_54
.LBB542_37:
	s_or_b64 exec, exec, s[0:1]
	s_and_saveexec_b64 s[0:1], s[8:9]
	s_cbranch_execnz .LBB542_55
.LBB542_38:
	s_or_b64 exec, exec, s[0:1]
	s_and_saveexec_b64 s[0:1], s[10:11]
	s_cbranch_execnz .LBB542_56
.LBB542_39:
	s_or_b64 exec, exec, s[0:1]
	s_and_saveexec_b64 s[0:1], s[12:13]
	s_cbranch_execnz .LBB542_57
.LBB542_40:
	s_or_b64 exec, exec, s[0:1]
	s_and_saveexec_b64 s[0:1], s[14:15]
	s_cbranch_execnz .LBB542_58
.LBB542_41:
	s_or_b64 exec, exec, s[0:1]
	s_and_saveexec_b64 s[0:1], s[16:17]
	s_cbranch_execnz .LBB542_59
.LBB542_42:
	s_or_b64 exec, exec, s[0:1]
	s_and_saveexec_b64 s[0:1], s[18:19]
	s_cbranch_execnz .LBB542_60
.LBB542_43:
	s_or_b64 exec, exec, s[0:1]
	s_and_saveexec_b64 s[0:1], s[20:21]
	s_cbranch_execnz .LBB542_61
.LBB542_44:
	s_or_b64 exec, exec, s[0:1]
	s_and_saveexec_b64 s[0:1], s[24:25]
	s_cbranch_execnz .LBB542_62
.LBB542_45:
	s_or_b64 exec, exec, s[0:1]
	s_and_saveexec_b64 s[0:1], s[26:27]
	s_cbranch_execnz .LBB542_63
.LBB542_46:
	s_or_b64 exec, exec, s[0:1]
	s_and_saveexec_b64 s[0:1], s[28:29]
	s_cbranch_execnz .LBB542_64
.LBB542_47:
	s_or_b64 exec, exec, s[0:1]
	s_and_saveexec_b64 s[0:1], s[30:31]
	s_cbranch_execnz .LBB542_65
.LBB542_48:
	s_or_b64 exec, exec, s[0:1]
	s_and_b64 exec, exec, s[34:35]
	s_cbranch_execz .LBB542_50
.LBB542_49:
	v_add_co_u32_e32 v2, vcc, 0x1000, v2
	s_waitcnt vmcnt(0)
	v_fma_f64 v[0:1], -v[42:43], v[68:69], v[54:55]
	v_addc_co_u32_e32 v3, vcc, 0, v3, vcc
	global_store_dwordx2 v[2:3], v[0:1], off offset:3584
.LBB542_50:
	s_endpgm
.LBB542_51:
	s_waitcnt vmcnt(0)
	v_fma_f64 v[4:5], -v[42:43], v[6:7], v[4:5]
	global_store_dwordx2 v[2:3], v[4:5], off
	s_or_b64 exec, exec, s[22:23]
	s_and_saveexec_b64 s[0:1], s[2:3]
	s_cbranch_execz .LBB542_35
.LBB542_52:
	s_waitcnt vmcnt(0)
	v_fma_f64 v[0:1], -v[42:43], v[10:11], v[0:1]
	global_store_dwordx2 v[2:3], v[0:1], off offset:512
	s_or_b64 exec, exec, s[0:1]
	s_and_saveexec_b64 s[0:1], s[4:5]
	s_cbranch_execz .LBB542_36
.LBB542_53:
	s_waitcnt vmcnt(0)
	v_fma_f64 v[0:1], -v[42:43], v[14:15], v[12:13]
	global_store_dwordx2 v[2:3], v[0:1], off offset:1024
	s_or_b64 exec, exec, s[0:1]
	s_and_saveexec_b64 s[0:1], s[6:7]
	s_cbranch_execz .LBB542_37
.LBB542_54:
	s_waitcnt vmcnt(0)
	v_fma_f64 v[0:1], -v[42:43], v[18:19], v[8:9]
	global_store_dwordx2 v[2:3], v[0:1], off offset:1536
	s_or_b64 exec, exec, s[0:1]
	s_and_saveexec_b64 s[0:1], s[8:9]
	s_cbranch_execz .LBB542_38
.LBB542_55:
	s_waitcnt vmcnt(0)
	v_fma_f64 v[0:1], -v[42:43], v[22:23], v[20:21]
	global_store_dwordx2 v[2:3], v[0:1], off offset:2048
	s_or_b64 exec, exec, s[0:1]
	s_and_saveexec_b64 s[0:1], s[10:11]
	s_cbranch_execz .LBB542_39
.LBB542_56:
	s_waitcnt vmcnt(0)
	v_fma_f64 v[0:1], -v[42:43], v[26:27], v[16:17]
	global_store_dwordx2 v[2:3], v[0:1], off offset:2560
	s_or_b64 exec, exec, s[0:1]
	s_and_saveexec_b64 s[0:1], s[12:13]
	s_cbranch_execz .LBB542_40
.LBB542_57:
	s_waitcnt vmcnt(0)
	v_fma_f64 v[0:1], -v[42:43], v[30:31], v[28:29]
	global_store_dwordx2 v[2:3], v[0:1], off offset:3072
	s_or_b64 exec, exec, s[0:1]
	s_and_saveexec_b64 s[0:1], s[14:15]
	s_cbranch_execz .LBB542_41
.LBB542_58:
	s_waitcnt vmcnt(0)
	v_fma_f64 v[0:1], -v[42:43], v[34:35], v[24:25]
	global_store_dwordx2 v[2:3], v[0:1], off offset:3584
	s_or_b64 exec, exec, s[0:1]
	s_and_saveexec_b64 s[0:1], s[16:17]
	s_cbranch_execz .LBB542_42
.LBB542_59:
	v_add_co_u32_e32 v4, vcc, 0x1000, v2
	s_waitcnt vmcnt(0)
	v_fma_f64 v[0:1], -v[42:43], v[38:39], v[36:37]
	v_addc_co_u32_e32 v5, vcc, 0, v3, vcc
	global_store_dwordx2 v[4:5], v[0:1], off
	s_or_b64 exec, exec, s[0:1]
	s_and_saveexec_b64 s[0:1], s[18:19]
	s_cbranch_execz .LBB542_43
.LBB542_60:
	v_add_co_u32_e32 v4, vcc, 0x1000, v2
	s_waitcnt vmcnt(0)
	v_fma_f64 v[0:1], -v[42:43], v[46:47], v[32:33]
	v_addc_co_u32_e32 v5, vcc, 0, v3, vcc
	global_store_dwordx2 v[4:5], v[0:1], off offset:512
	s_or_b64 exec, exec, s[0:1]
	s_and_saveexec_b64 s[0:1], s[20:21]
	s_cbranch_execz .LBB542_44
.LBB542_61:
	v_add_co_u32_e32 v4, vcc, 0x1000, v2
	s_waitcnt vmcnt(0)
	v_fma_f64 v[0:1], -v[42:43], v[50:51], v[48:49]
	v_addc_co_u32_e32 v5, vcc, 0, v3, vcc
	global_store_dwordx2 v[4:5], v[0:1], off offset:1024
	s_or_b64 exec, exec, s[0:1]
	s_and_saveexec_b64 s[0:1], s[24:25]
	s_cbranch_execz .LBB542_45
.LBB542_62:
	v_add_co_u32_e32 v4, vcc, 0x1000, v2
	s_waitcnt vmcnt(0)
	v_fma_f64 v[0:1], -v[42:43], v[56:57], v[40:41]
	v_addc_co_u32_e32 v5, vcc, 0, v3, vcc
	global_store_dwordx2 v[4:5], v[0:1], off offset:1536
	s_or_b64 exec, exec, s[0:1]
	s_and_saveexec_b64 s[0:1], s[26:27]
	s_cbranch_execz .LBB542_46
.LBB542_63:
	v_add_co_u32_e32 v4, vcc, 0x1000, v2
	s_waitcnt vmcnt(0)
	v_fma_f64 v[0:1], -v[42:43], v[60:61], v[58:59]
	v_addc_co_u32_e32 v5, vcc, 0, v3, vcc
	global_store_dwordx2 v[4:5], v[0:1], off offset:2048
	s_or_b64 exec, exec, s[0:1]
	s_and_saveexec_b64 s[0:1], s[28:29]
	s_cbranch_execz .LBB542_47
.LBB542_64:
	v_add_co_u32_e32 v4, vcc, 0x1000, v2
	s_waitcnt vmcnt(0)
	v_fma_f64 v[0:1], -v[42:43], v[62:63], v[52:53]
	v_addc_co_u32_e32 v5, vcc, 0, v3, vcc
	global_store_dwordx2 v[4:5], v[0:1], off offset:2560
	s_or_b64 exec, exec, s[0:1]
	s_and_saveexec_b64 s[0:1], s[30:31]
	s_cbranch_execz .LBB542_48
.LBB542_65:
	v_add_co_u32_e32 v4, vcc, 0x1000, v2
	s_waitcnt vmcnt(0)
	v_fma_f64 v[0:1], -v[42:43], v[66:67], v[64:65]
	v_addc_co_u32_e32 v5, vcc, 0, v3, vcc
	global_store_dwordx2 v[4:5], v[0:1], off offset:3072
	s_or_b64 exec, exec, s[0:1]
	s_and_b64 exec, exec, s[34:35]
	s_cbranch_execnz .LBB542_49
	s_branch .LBB542_50
	.section	.rodata,"a",@progbits
	.p2align	6, 0x0
	.amdhsa_kernel _ZN12_GLOBAL__N_121softmax_warp_backwardIdddLi10ELb0ELb0ELi64EEEvPT0_PKT_S5_iiiPKb
		.amdhsa_group_segment_fixed_size 0
		.amdhsa_private_segment_fixed_size 0
		.amdhsa_kernarg_size 304
		.amdhsa_user_sgpr_count 6
		.amdhsa_user_sgpr_private_segment_buffer 1
		.amdhsa_user_sgpr_dispatch_ptr 0
		.amdhsa_user_sgpr_queue_ptr 0
		.amdhsa_user_sgpr_kernarg_segment_ptr 1
		.amdhsa_user_sgpr_dispatch_id 0
		.amdhsa_user_sgpr_flat_scratch_init 0
		.amdhsa_user_sgpr_kernarg_preload_length 0
		.amdhsa_user_sgpr_kernarg_preload_offset 0
		.amdhsa_user_sgpr_private_segment_size 0
		.amdhsa_uses_dynamic_stack 0
		.amdhsa_system_sgpr_private_segment_wavefront_offset 0
		.amdhsa_system_sgpr_workgroup_id_x 1
		.amdhsa_system_sgpr_workgroup_id_y 0
		.amdhsa_system_sgpr_workgroup_id_z 0
		.amdhsa_system_sgpr_workgroup_info 0
		.amdhsa_system_vgpr_workitem_id 1
		.amdhsa_next_free_vgpr 73
		.amdhsa_next_free_sgpr 44
		.amdhsa_accum_offset 76
		.amdhsa_reserve_vcc 1
		.amdhsa_reserve_flat_scratch 0
		.amdhsa_float_round_mode_32 0
		.amdhsa_float_round_mode_16_64 0
		.amdhsa_float_denorm_mode_32 3
		.amdhsa_float_denorm_mode_16_64 3
		.amdhsa_dx10_clamp 1
		.amdhsa_ieee_mode 1
		.amdhsa_fp16_overflow 0
		.amdhsa_tg_split 0
		.amdhsa_exception_fp_ieee_invalid_op 0
		.amdhsa_exception_fp_denorm_src 0
		.amdhsa_exception_fp_ieee_div_zero 0
		.amdhsa_exception_fp_ieee_overflow 0
		.amdhsa_exception_fp_ieee_underflow 0
		.amdhsa_exception_fp_ieee_inexact 0
		.amdhsa_exception_int_div_zero 0
	.end_amdhsa_kernel
	.section	.text._ZN12_GLOBAL__N_121softmax_warp_backwardIdddLi10ELb0ELb0ELi64EEEvPT0_PKT_S5_iiiPKb,"axG",@progbits,_ZN12_GLOBAL__N_121softmax_warp_backwardIdddLi10ELb0ELb0ELi64EEEvPT0_PKT_S5_iiiPKb,comdat
.Lfunc_end542:
	.size	_ZN12_GLOBAL__N_121softmax_warp_backwardIdddLi10ELb0ELb0ELi64EEEvPT0_PKT_S5_iiiPKb, .Lfunc_end542-_ZN12_GLOBAL__N_121softmax_warp_backwardIdddLi10ELb0ELb0ELi64EEEvPT0_PKT_S5_iiiPKb
                                        ; -- End function
	.section	.AMDGPU.csdata,"",@progbits
; Kernel info:
; codeLenInByte = 2592
; NumSgprs: 48
; NumVgprs: 73
; NumAgprs: 0
; TotalNumVgprs: 73
; ScratchSize: 0
; MemoryBound: 0
; FloatMode: 240
; IeeeMode: 1
; LDSByteSize: 0 bytes/workgroup (compile time only)
; SGPRBlocks: 5
; VGPRBlocks: 9
; NumSGPRsForWavesPerEU: 48
; NumVGPRsForWavesPerEU: 73
; AccumOffset: 76
; Occupancy: 6
; WaveLimiterHint : 0
; COMPUTE_PGM_RSRC2:SCRATCH_EN: 0
; COMPUTE_PGM_RSRC2:USER_SGPR: 6
; COMPUTE_PGM_RSRC2:TRAP_HANDLER: 0
; COMPUTE_PGM_RSRC2:TGID_X_EN: 1
; COMPUTE_PGM_RSRC2:TGID_Y_EN: 0
; COMPUTE_PGM_RSRC2:TGID_Z_EN: 0
; COMPUTE_PGM_RSRC2:TIDIG_COMP_CNT: 1
; COMPUTE_PGM_RSRC3_GFX90A:ACCUM_OFFSET: 18
; COMPUTE_PGM_RSRC3_GFX90A:TG_SPLIT: 0
	.section	.text._ZN12_GLOBAL__N_121softmax_warp_backwardIdddLi10ELb0ELb0ELi32EEEvPT0_PKT_S5_iiiPKb,"axG",@progbits,_ZN12_GLOBAL__N_121softmax_warp_backwardIdddLi10ELb0ELb0ELi32EEEvPT0_PKT_S5_iiiPKb,comdat
	.globl	_ZN12_GLOBAL__N_121softmax_warp_backwardIdddLi10ELb0ELb0ELi32EEEvPT0_PKT_S5_iiiPKb ; -- Begin function _ZN12_GLOBAL__N_121softmax_warp_backwardIdddLi10ELb0ELb0ELi32EEEvPT0_PKT_S5_iiiPKb
	.p2align	8
	.type	_ZN12_GLOBAL__N_121softmax_warp_backwardIdddLi10ELb0ELb0ELi32EEEvPT0_PKT_S5_iiiPKb,@function
_ZN12_GLOBAL__N_121softmax_warp_backwardIdddLi10ELb0ELb0ELi32EEEvPT0_PKT_S5_iiiPKb: ; @_ZN12_GLOBAL__N_121softmax_warp_backwardIdddLi10ELb0ELb0ELi32EEEvPT0_PKT_S5_iiiPKb
; %bb.0:
	s_mov_b64 s[78:79], s[2:3]
	s_mov_b64 s[76:77], s[0:1]
	s_load_dword s2, s[4:5], 0x3c
	s_load_dwordx4 s[64:67], s[4:5], 0x18
	s_load_dwordx4 s[68:71], s[4:5], 0x0
	s_load_dwordx2 s[0:1], s[4:5], 0x10
	s_add_u32 s76, s76, s7
	s_addc_u32 s77, s77, 0
	s_waitcnt lgkmcnt(0)
	s_lshr_b32 s2, s2, 16
	s_mul_i32 s6, s6, s2
	v_bfe_u32 v1, v0, 10, 10
	v_and_b32_e32 v14, 0x3ff, v0
	v_add_u32_e32 v1, s6, v1
	v_and_b32_e32 v70, 31, v14
	v_sub_u32_e32 v4, s64, v1
	v_mad_u64_u32 v[0:1], s[2:3], v1, s65, v[70:71]
	v_ashrrev_i32_e32 v1, 31, v0
	v_lshlrev_b64 v[2:3], 3, v[0:1]
	v_mov_b32_e32 v0, s71
	v_add_co_u32_e32 v52, vcc, s70, v2
	v_addc_co_u32_e32 v53, vcc, v0, v3, vcc
	v_mov_b32_e32 v0, s1
	v_add_co_u32_e32 v48, vcc, s0, v2
	v_addc_co_u32_e32 v49, vcc, v0, v3, vcc
	v_cmp_lt_i32_e64 s[28:29], 0, v4
	v_cmp_gt_i32_e64 s[0:1], s66, v70
	v_pk_mov_b32 v[0:1], 0, 0
	buffer_store_dword v4, off, s[76:79], 0 ; 4-byte Folded Spill
	s_and_b64 s[4:5], s[28:29], s[0:1]
	v_pk_mov_b32 v[4:5], v[0:1], v[0:1] op_sel:[0,1]
	buffer_store_dword v0, off, s[76:79], 0 offset:4 ; 4-byte Folded Spill
	s_nop 0
	buffer_store_dword v1, off, s[76:79], 0 offset:8 ; 4-byte Folded Spill
	s_and_saveexec_b64 s[2:3], s[4:5]
	s_cbranch_execz .LBB543_2
; %bb.1:
	global_load_dwordx2 v[4:5], v[52:53], off
	global_load_dwordx2 v[6:7], v[48:49], off
	s_waitcnt vmcnt(0)
	buffer_store_dword v6, off, s[76:79], 0 offset:4 ; 4-byte Folded Spill
	s_nop 0
	buffer_store_dword v7, off, s[76:79], 0 offset:8 ; 4-byte Folded Spill
.LBB543_2:
	s_or_b64 exec, exec, s[2:3]
	v_or_b32_e32 v6, 32, v70
	v_cmp_gt_i32_e64 s[2:3], s66, v6
	s_and_b64 s[6:7], s[28:29], s[2:3]
	buffer_store_dword v0, off, s[76:79], 0 offset:12 ; 4-byte Folded Spill
	s_nop 0
	buffer_store_dword v1, off, s[76:79], 0 offset:16 ; 4-byte Folded Spill
	s_and_saveexec_b64 s[4:5], s[6:7]
	s_cbranch_execz .LBB543_4
; %bb.3:
	global_load_dwordx2 v[0:1], v[52:53], off offset:256
	global_load_dwordx2 v[6:7], v[48:49], off offset:256
	s_waitcnt vmcnt(0)
	buffer_store_dword v6, off, s[76:79], 0 offset:12 ; 4-byte Folded Spill
	s_nop 0
	buffer_store_dword v7, off, s[76:79], 0 offset:16 ; 4-byte Folded Spill
.LBB543_4:
	s_or_b64 exec, exec, s[4:5]
	v_or_b32_e32 v6, 64, v70
	v_cmp_gt_i32_e64 s[4:5], s66, v6
	v_pk_mov_b32 v[8:9], 0, 0
	s_and_b64 s[8:9], s[28:29], s[4:5]
	v_pk_mov_b32 v[12:13], v[8:9], v[8:9] op_sel:[0,1]
	buffer_store_dword v8, off, s[76:79], 0 offset:20 ; 4-byte Folded Spill
	s_nop 0
	buffer_store_dword v9, off, s[76:79], 0 offset:24 ; 4-byte Folded Spill
	s_and_saveexec_b64 s[6:7], s[8:9]
	s_cbranch_execz .LBB543_6
; %bb.5:
	global_load_dwordx2 v[12:13], v[52:53], off offset:512
	global_load_dwordx2 v[6:7], v[48:49], off offset:512
	s_waitcnt vmcnt(0)
	buffer_store_dword v6, off, s[76:79], 0 offset:20 ; 4-byte Folded Spill
	s_nop 0
	buffer_store_dword v7, off, s[76:79], 0 offset:24 ; 4-byte Folded Spill
.LBB543_6:
	s_or_b64 exec, exec, s[6:7]
	v_or_b32_e32 v6, 0x60, v70
	v_cmp_gt_i32_e64 s[6:7], s66, v6
	s_and_b64 s[10:11], s[28:29], s[6:7]
	buffer_store_dword v8, off, s[76:79], 0 offset:28 ; 4-byte Folded Spill
	s_nop 0
	buffer_store_dword v9, off, s[76:79], 0 offset:32 ; 4-byte Folded Spill
	s_and_saveexec_b64 s[8:9], s[10:11]
	s_cbranch_execz .LBB543_8
; %bb.7:
	global_load_dwordx2 v[8:9], v[52:53], off offset:768
	global_load_dwordx2 v[6:7], v[48:49], off offset:768
	s_waitcnt vmcnt(0)
	buffer_store_dword v6, off, s[76:79], 0 offset:28 ; 4-byte Folded Spill
	s_nop 0
	buffer_store_dword v7, off, s[76:79], 0 offset:32 ; 4-byte Folded Spill
.LBB543_8:
	s_or_b64 exec, exec, s[8:9]
	v_or_b32_e32 v6, 0x80, v70
	v_cmp_gt_i32_e64 s[8:9], s66, v6
	v_pk_mov_b32 v[16:17], 0, 0
	s_and_b64 s[12:13], s[28:29], s[8:9]
	v_pk_mov_b32 v[20:21], v[16:17], v[16:17] op_sel:[0,1]
	v_pk_mov_b32 v[22:23], v[16:17], v[16:17] op_sel:[0,1]
	s_and_saveexec_b64 s[10:11], s[12:13]
	s_cbranch_execz .LBB543_10
; %bb.9:
	global_load_dwordx2 v[20:21], v[52:53], off offset:1024
	global_load_dwordx2 v[22:23], v[48:49], off offset:1024
.LBB543_10:
	s_or_b64 exec, exec, s[10:11]
	v_or_b32_e32 v6, 0xa0, v70
	v_cmp_gt_i32_e64 s[10:11], s66, v6
	s_and_b64 s[14:15], s[28:29], s[10:11]
	v_pk_mov_b32 v[26:27], v[16:17], v[16:17] op_sel:[0,1]
	s_and_saveexec_b64 s[12:13], s[14:15]
	s_cbranch_execz .LBB543_12
; %bb.11:
	global_load_dwordx2 v[16:17], v[52:53], off offset:1280
	global_load_dwordx2 v[26:27], v[48:49], off offset:1280
.LBB543_12:
	s_or_b64 exec, exec, s[12:13]
	v_or_b32_e32 v6, 0xc0, v70
	v_cmp_gt_i32_e64 s[12:13], s66, v6
	v_pk_mov_b32 v[24:25], 0, 0
	s_and_b64 s[16:17], s[28:29], s[12:13]
	v_pk_mov_b32 v[28:29], v[24:25], v[24:25] op_sel:[0,1]
	v_pk_mov_b32 v[30:31], v[24:25], v[24:25] op_sel:[0,1]
	s_and_saveexec_b64 s[14:15], s[16:17]
	s_cbranch_execz .LBB543_14
; %bb.13:
	global_load_dwordx2 v[28:29], v[52:53], off offset:1536
	global_load_dwordx2 v[30:31], v[48:49], off offset:1536
.LBB543_14:
	s_or_b64 exec, exec, s[14:15]
	v_or_b32_e32 v6, 0xe0, v70
	v_cmp_gt_i32_e64 s[14:15], s66, v6
	s_and_b64 s[18:19], s[28:29], s[14:15]
	v_pk_mov_b32 v[34:35], v[24:25], v[24:25] op_sel:[0,1]
	s_and_saveexec_b64 s[16:17], s[18:19]
	s_cbranch_execz .LBB543_16
; %bb.15:
	global_load_dwordx2 v[24:25], v[52:53], off offset:1792
	global_load_dwordx2 v[34:35], v[48:49], off offset:1792
.LBB543_16:
	s_or_b64 exec, exec, s[16:17]
	v_or_b32_e32 v6, 0x100, v70
	v_cmp_gt_i32_e64 s[16:17], s66, v6
	v_pk_mov_b32 v[32:33], 0, 0
	s_and_b64 s[20:21], s[28:29], s[16:17]
	v_pk_mov_b32 v[36:37], v[32:33], v[32:33] op_sel:[0,1]
	v_pk_mov_b32 v[38:39], v[32:33], v[32:33] op_sel:[0,1]
	s_and_saveexec_b64 s[18:19], s[20:21]
	s_cbranch_execz .LBB543_18
; %bb.17:
	global_load_dwordx2 v[36:37], v[52:53], off offset:2048
	global_load_dwordx2 v[38:39], v[48:49], off offset:2048
.LBB543_18:
	s_or_b64 exec, exec, s[18:19]
	v_or_b32_e32 v6, 0x120, v70
	v_cmp_gt_i32_e64 s[18:19], s66, v6
	s_and_b64 s[22:23], s[28:29], s[18:19]
	v_pk_mov_b32 v[42:43], v[32:33], v[32:33] op_sel:[0,1]
	s_and_saveexec_b64 s[20:21], s[22:23]
	s_cbranch_execz .LBB543_20
; %bb.19:
	global_load_dwordx2 v[32:33], v[52:53], off offset:2304
	global_load_dwordx2 v[42:43], v[48:49], off offset:2304
.LBB543_20:
	s_or_b64 exec, exec, s[20:21]
	v_or_b32_e32 v6, 0x140, v70
	v_cmp_gt_i32_e64 s[20:21], s66, v6
	v_pk_mov_b32 v[40:41], 0, 0
	s_and_b64 s[24:25], s[28:29], s[20:21]
	v_pk_mov_b32 v[44:45], v[40:41], v[40:41] op_sel:[0,1]
	v_pk_mov_b32 v[46:47], v[40:41], v[40:41] op_sel:[0,1]
	s_and_saveexec_b64 s[22:23], s[24:25]
	s_cbranch_execz .LBB543_22
; %bb.21:
	global_load_dwordx2 v[44:45], v[52:53], off offset:2560
	global_load_dwordx2 v[46:47], v[48:49], off offset:2560
.LBB543_22:
	s_or_b64 exec, exec, s[22:23]
	v_or_b32_e32 v6, 0x160, v70
	v_cmp_gt_i32_e64 s[22:23], s66, v6
	s_and_b64 s[26:27], s[28:29], s[22:23]
	v_pk_mov_b32 v[54:55], v[40:41], v[40:41] op_sel:[0,1]
	s_and_saveexec_b64 s[24:25], s[26:27]
	s_cbranch_execz .LBB543_24
; %bb.23:
	global_load_dwordx2 v[40:41], v[52:53], off offset:2816
	global_load_dwordx2 v[54:55], v[48:49], off offset:2816
.LBB543_24:
	s_or_b64 exec, exec, s[24:25]
	v_or_b32_e32 v6, 0x180, v70
	v_cmp_gt_i32_e64 s[24:25], s66, v6
	v_pk_mov_b32 v[50:51], 0, 0
	s_and_b64 s[30:31], s[28:29], s[24:25]
	v_pk_mov_b32 v[56:57], v[50:51], v[50:51] op_sel:[0,1]
	v_pk_mov_b32 v[58:59], v[50:51], v[50:51] op_sel:[0,1]
	s_and_saveexec_b64 s[26:27], s[30:31]
	s_cbranch_execz .LBB543_26
; %bb.25:
	global_load_dwordx2 v[56:57], v[52:53], off offset:3072
	global_load_dwordx2 v[58:59], v[48:49], off offset:3072
.LBB543_26:
	s_or_b64 exec, exec, s[26:27]
	v_or_b32_e32 v6, 0x1a0, v70
	v_cmp_gt_i32_e64 s[26:27], s66, v6
	s_and_b64 s[34:35], s[28:29], s[26:27]
	v_pk_mov_b32 v[62:63], v[50:51], v[50:51] op_sel:[0,1]
	s_and_saveexec_b64 s[30:31], s[34:35]
	s_cbranch_execz .LBB543_28
; %bb.27:
	global_load_dwordx2 v[50:51], v[52:53], off offset:3328
	global_load_dwordx2 v[62:63], v[48:49], off offset:3328
.LBB543_28:
	s_or_b64 exec, exec, s[30:31]
	v_or_b32_e32 v6, 0x1c0, v70
	v_cmp_gt_i32_e64 s[30:31], s66, v6
	v_pk_mov_b32 v[60:61], 0, 0
	s_and_b64 s[36:37], s[28:29], s[30:31]
	v_pk_mov_b32 v[64:65], v[60:61], v[60:61] op_sel:[0,1]
	v_pk_mov_b32 v[66:67], v[60:61], v[60:61] op_sel:[0,1]
	s_and_saveexec_b64 s[34:35], s[36:37]
	s_cbranch_execz .LBB543_30
; %bb.29:
	global_load_dwordx2 v[64:65], v[52:53], off offset:3584
	global_load_dwordx2 v[66:67], v[48:49], off offset:3584
.LBB543_30:
	s_or_b64 exec, exec, s[34:35]
	v_or_b32_e32 v6, 0x1e0, v70
	v_cmp_gt_i32_e64 s[34:35], s66, v6
	s_and_b64 s[38:39], s[28:29], s[34:35]
	v_pk_mov_b32 v[72:73], v[60:61], v[60:61] op_sel:[0,1]
	s_and_saveexec_b64 s[36:37], s[38:39]
	s_cbranch_execz .LBB543_32
; %bb.31:
	global_load_dwordx2 v[60:61], v[52:53], off offset:3840
	global_load_dwordx2 v[72:73], v[48:49], off offset:3840
.LBB543_32:
	s_or_b64 exec, exec, s[36:37]
	v_or_b32_e32 v6, 0x200, v70
	v_cmp_gt_i32_e64 s[36:37], s66, v6
	v_pk_mov_b32 v[68:69], 0, 0
	s_and_b64 s[40:41], s[28:29], s[36:37]
	v_pk_mov_b32 v[74:75], v[68:69], v[68:69] op_sel:[0,1]
	v_pk_mov_b32 v[76:77], v[68:69], v[68:69] op_sel:[0,1]
	s_and_saveexec_b64 s[38:39], s[40:41]
	s_cbranch_execz .LBB543_34
; %bb.33:
	v_add_co_u32_e32 v6, vcc, 0x1000, v52
	v_addc_co_u32_e32 v7, vcc, 0, v53, vcc
	global_load_dwordx2 v[74:75], v[6:7], off
	v_add_co_u32_e32 v6, vcc, 0x1000, v48
	v_addc_co_u32_e32 v7, vcc, 0, v49, vcc
	global_load_dwordx2 v[76:77], v[6:7], off
.LBB543_34:
	s_or_b64 exec, exec, s[38:39]
	v_or_b32_e32 v6, 0x220, v70
	v_cmp_gt_i32_e64 s[38:39], s66, v6
	s_and_b64 s[42:43], s[28:29], s[38:39]
	v_pk_mov_b32 v[80:81], v[68:69], v[68:69] op_sel:[0,1]
	s_and_saveexec_b64 s[40:41], s[42:43]
	s_cbranch_execz .LBB543_36
; %bb.35:
	v_add_co_u32_e32 v6, vcc, 0x1000, v52
	v_addc_co_u32_e32 v7, vcc, 0, v53, vcc
	global_load_dwordx2 v[68:69], v[6:7], off offset:256
	v_add_co_u32_e32 v6, vcc, 0x1000, v48
	v_addc_co_u32_e32 v7, vcc, 0, v49, vcc
	global_load_dwordx2 v[80:81], v[6:7], off offset:256
.LBB543_36:
	s_or_b64 exec, exec, s[40:41]
	v_or_b32_e32 v6, 0x240, v70
	v_cmp_gt_i32_e64 s[40:41], s66, v6
	v_pk_mov_b32 v[78:79], 0, 0
	s_and_b64 s[44:45], s[28:29], s[40:41]
	v_pk_mov_b32 v[82:83], v[78:79], v[78:79] op_sel:[0,1]
	v_pk_mov_b32 v[84:85], v[78:79], v[78:79] op_sel:[0,1]
	s_and_saveexec_b64 s[42:43], s[44:45]
	s_cbranch_execz .LBB543_38
; %bb.37:
	v_add_co_u32_e32 v6, vcc, 0x1000, v52
	v_addc_co_u32_e32 v7, vcc, 0, v53, vcc
	global_load_dwordx2 v[82:83], v[6:7], off offset:512
	v_add_co_u32_e32 v6, vcc, 0x1000, v48
	v_addc_co_u32_e32 v7, vcc, 0, v49, vcc
	global_load_dwordx2 v[84:85], v[6:7], off offset:512
.LBB543_38:
	s_or_b64 exec, exec, s[42:43]
	v_or_b32_e32 v6, 0x260, v70
	v_cmp_gt_i32_e64 s[42:43], s66, v6
	s_and_b64 s[46:47], s[28:29], s[42:43]
	v_pk_mov_b32 v[88:89], v[78:79], v[78:79] op_sel:[0,1]
	s_and_saveexec_b64 s[44:45], s[46:47]
	s_cbranch_execz .LBB543_40
; %bb.39:
	v_add_co_u32_e32 v6, vcc, 0x1000, v52
	v_addc_co_u32_e32 v7, vcc, 0, v53, vcc
	global_load_dwordx2 v[78:79], v[6:7], off offset:768
	v_add_co_u32_e32 v6, vcc, 0x1000, v48
	v_addc_co_u32_e32 v7, vcc, 0, v49, vcc
	global_load_dwordx2 v[88:89], v[6:7], off offset:768
.LBB543_40:
	s_or_b64 exec, exec, s[44:45]
	v_or_b32_e32 v6, 0x280, v70
	v_cmp_gt_i32_e64 s[44:45], s66, v6
	v_pk_mov_b32 v[86:87], 0, 0
	s_and_b64 s[48:49], s[28:29], s[44:45]
	v_pk_mov_b32 v[90:91], v[86:87], v[86:87] op_sel:[0,1]
	v_pk_mov_b32 v[92:93], v[86:87], v[86:87] op_sel:[0,1]
	s_and_saveexec_b64 s[46:47], s[48:49]
	s_cbranch_execz .LBB543_42
; %bb.41:
	v_add_co_u32_e32 v6, vcc, 0x1000, v52
	v_addc_co_u32_e32 v7, vcc, 0, v53, vcc
	global_load_dwordx2 v[90:91], v[6:7], off offset:1024
	v_add_co_u32_e32 v6, vcc, 0x1000, v48
	v_addc_co_u32_e32 v7, vcc, 0, v49, vcc
	global_load_dwordx2 v[92:93], v[6:7], off offset:1024
.LBB543_42:
	;; [unrolled: 32-line block ×6, first 2 shown]
	s_or_b64 exec, exec, s[62:63]
	v_or_b32_e32 v6, 0x3a0, v70
	v_cmp_gt_i32_e64 s[62:63], s66, v6
	s_and_b64 s[70:71], s[28:29], s[62:63]
	v_pk_mov_b32 v[126:127], v[118:119], v[118:119] op_sel:[0,1]
	s_and_saveexec_b64 s[64:65], s[70:71]
	s_cbranch_execz .LBB543_60
; %bb.59:
	v_add_co_u32_e32 v6, vcc, 0x1000, v52
	v_addc_co_u32_e32 v7, vcc, 0, v53, vcc
	global_load_dwordx2 v[118:119], v[6:7], off offset:3328
	v_add_co_u32_e32 v6, vcc, 0x1000, v48
	v_addc_co_u32_e32 v7, vcc, 0, v49, vcc
	global_load_dwordx2 v[126:127], v[6:7], off offset:3328
.LBB543_60:
	s_or_b64 exec, exec, s[64:65]
	v_or_b32_e32 v6, 0x3c0, v70
	v_cmp_gt_i32_e64 s[64:65], s66, v6
	v_pk_mov_b32 v[70:71], 0, 0
	s_and_b64 s[72:73], s[28:29], s[64:65]
	v_pk_mov_b32 v[6:7], v[70:71], v[70:71] op_sel:[0,1]
	v_pk_mov_b32 v[10:11], v[70:71], v[70:71] op_sel:[0,1]
	s_and_saveexec_b64 s[70:71], s[72:73]
	s_cbranch_execz .LBB543_62
; %bb.61:
	v_add_co_u32_e32 v6, vcc, 0x1000, v52
	v_addc_co_u32_e32 v7, vcc, 0, v53, vcc
	v_add_co_u32_e32 v10, vcc, 0x1000, v48
	v_addc_co_u32_e32 v11, vcc, 0, v49, vcc
	global_load_dwordx2 v[6:7], v[6:7], off offset:3584
	s_nop 0
	global_load_dwordx2 v[10:11], v[10:11], off offset:3584
.LBB543_62:
	s_or_b64 exec, exec, s[70:71]
	v_or_b32_e32 v14, 0x3e0, v14
	v_cmp_gt_i32_e64 s[66:67], s66, v14
	s_and_b64 s[70:71], s[28:29], s[66:67]
	v_pk_mov_b32 v[14:15], v[70:71], v[70:71] op_sel:[0,1]
	s_and_saveexec_b64 s[28:29], s[70:71]
	s_cbranch_execz .LBB543_64
; %bb.63:
	v_add_co_u32_e32 v14, vcc, 0x1000, v52
	v_addc_co_u32_e32 v15, vcc, 0, v53, vcc
	global_load_dwordx2 v[70:71], v[14:15], off offset:3840
	v_add_co_u32_e32 v14, vcc, 0x1000, v48
	v_addc_co_u32_e32 v15, vcc, 0, v49, vcc
	global_load_dwordx2 v[14:15], v[14:15], off offset:3840
.LBB543_64:
	s_or_b64 exec, exec, s[28:29]
	v_add_f64 v[48:49], v[4:5], 0
	v_add_f64 v[48:49], v[48:49], v[0:1]
	;; [unrolled: 1-line block ×4, first 2 shown]
	s_waitcnt vmcnt(1)
	v_add_f64 v[48:49], v[48:49], v[20:21]
	v_add_f64 v[48:49], v[48:49], v[16:17]
	;; [unrolled: 1-line block ×22, first 2 shown]
	v_mbcnt_lo_u32_b32 v52, -1, 0
	v_add_f64 v[48:49], v[48:49], v[114:115]
	v_mbcnt_hi_u32_b32 v18, -1, v52
	v_add_f64 v[48:49], v[48:49], v[110:111]
	v_and_b32_e32 v19, 0x60, v18
	v_add_f64 v[48:49], v[48:49], v[122:123]
	v_add_u32_e32 v19, 32, v19
	v_xor_b32_e32 v52, 16, v18
	v_add_f64 v[48:49], v[48:49], v[118:119]
	v_cmp_lt_i32_e32 vcc, v52, v19
	v_add_f64 v[48:49], v[48:49], v[6:7]
	v_cndmask_b32_e32 v52, v18, v52, vcc
	v_add_f64 v[48:49], v[48:49], v[70:71]
	v_lshlrev_b32_e32 v53, 2, v52
	ds_bpermute_b32 v52, v53, v48
	ds_bpermute_b32 v53, v53, v49
	s_waitcnt lgkmcnt(0)
	v_add_f64 v[48:49], v[48:49], v[52:53]
	v_xor_b32_e32 v52, 8, v18
	v_cmp_lt_i32_e32 vcc, v52, v19
	v_cndmask_b32_e32 v52, v18, v52, vcc
	v_lshlrev_b32_e32 v53, 2, v52
	ds_bpermute_b32 v52, v53, v48
	ds_bpermute_b32 v53, v53, v49
	s_waitcnt lgkmcnt(0)
	v_add_f64 v[48:49], v[48:49], v[52:53]
	v_xor_b32_e32 v52, 4, v18
	v_cmp_lt_i32_e32 vcc, v52, v19
	v_cndmask_b32_e32 v52, v18, v52, vcc
	;; [unrolled: 8-line block ×4, first 2 shown]
	v_lshlrev_b32_e32 v18, 2, v18
	ds_bpermute_b32 v52, v18, v48
	ds_bpermute_b32 v53, v18, v49
	buffer_load_dword v18, off, s[76:79], 0 ; 4-byte Folded Reload
	s_waitcnt vmcnt(0)
	v_cmp_lt_i32_e32 vcc, 0, v18
	s_and_saveexec_b64 s[28:29], vcc
	s_cbranch_execz .LBB543_98
; %bb.65:
	v_mov_b32_e32 v18, s69
	v_add_co_u32_e32 v2, vcc, s68, v2
	v_addc_co_u32_e32 v3, vcc, v18, v3, vcc
	s_waitcnt lgkmcnt(0)
	v_add_f64 v[48:49], v[48:49], v[52:53]
	s_and_saveexec_b64 s[28:29], s[0:1]
	s_cbranch_execnz .LBB543_99
; %bb.66:
	s_or_b64 exec, exec, s[28:29]
	s_and_saveexec_b64 s[0:1], s[2:3]
	s_cbranch_execnz .LBB543_100
.LBB543_67:
	s_or_b64 exec, exec, s[0:1]
	s_and_saveexec_b64 s[0:1], s[4:5]
	s_cbranch_execnz .LBB543_101
.LBB543_68:
	s_or_b64 exec, exec, s[0:1]
	s_and_saveexec_b64 s[0:1], s[6:7]
	s_cbranch_execnz .LBB543_102
.LBB543_69:
	s_or_b64 exec, exec, s[0:1]
	s_and_saveexec_b64 s[0:1], s[8:9]
	s_cbranch_execnz .LBB543_103
.LBB543_70:
	s_or_b64 exec, exec, s[0:1]
	s_and_saveexec_b64 s[0:1], s[10:11]
	s_cbranch_execnz .LBB543_104
.LBB543_71:
	s_or_b64 exec, exec, s[0:1]
	s_and_saveexec_b64 s[0:1], s[12:13]
	s_cbranch_execnz .LBB543_105
.LBB543_72:
	s_or_b64 exec, exec, s[0:1]
	s_and_saveexec_b64 s[0:1], s[14:15]
	s_cbranch_execnz .LBB543_106
.LBB543_73:
	s_or_b64 exec, exec, s[0:1]
	s_and_saveexec_b64 s[0:1], s[16:17]
	s_cbranch_execnz .LBB543_107
.LBB543_74:
	s_or_b64 exec, exec, s[0:1]
	s_and_saveexec_b64 s[0:1], s[18:19]
	s_cbranch_execnz .LBB543_108
.LBB543_75:
	s_or_b64 exec, exec, s[0:1]
	s_and_saveexec_b64 s[0:1], s[20:21]
	s_cbranch_execnz .LBB543_109
.LBB543_76:
	s_or_b64 exec, exec, s[0:1]
	s_and_saveexec_b64 s[0:1], s[22:23]
	s_cbranch_execnz .LBB543_110
.LBB543_77:
	s_or_b64 exec, exec, s[0:1]
	s_and_saveexec_b64 s[0:1], s[24:25]
	s_cbranch_execnz .LBB543_111
.LBB543_78:
	s_or_b64 exec, exec, s[0:1]
	s_and_saveexec_b64 s[0:1], s[26:27]
	s_cbranch_execnz .LBB543_112
.LBB543_79:
	s_or_b64 exec, exec, s[0:1]
	s_and_saveexec_b64 s[0:1], s[30:31]
	s_cbranch_execnz .LBB543_113
.LBB543_80:
	s_or_b64 exec, exec, s[0:1]
	s_and_saveexec_b64 s[0:1], s[34:35]
	s_cbranch_execnz .LBB543_114
.LBB543_81:
	s_or_b64 exec, exec, s[0:1]
	s_and_saveexec_b64 s[0:1], s[36:37]
	s_cbranch_execnz .LBB543_115
.LBB543_82:
	s_or_b64 exec, exec, s[0:1]
	s_and_saveexec_b64 s[0:1], s[38:39]
	s_cbranch_execnz .LBB543_116
.LBB543_83:
	s_or_b64 exec, exec, s[0:1]
	s_and_saveexec_b64 s[0:1], s[40:41]
	s_cbranch_execnz .LBB543_117
.LBB543_84:
	s_or_b64 exec, exec, s[0:1]
	s_and_saveexec_b64 s[0:1], s[42:43]
	s_cbranch_execnz .LBB543_118
.LBB543_85:
	s_or_b64 exec, exec, s[0:1]
	s_and_saveexec_b64 s[0:1], s[44:45]
	s_cbranch_execnz .LBB543_119
.LBB543_86:
	s_or_b64 exec, exec, s[0:1]
	s_and_saveexec_b64 s[0:1], s[46:47]
	s_cbranch_execnz .LBB543_120
.LBB543_87:
	s_or_b64 exec, exec, s[0:1]
	s_and_saveexec_b64 s[0:1], s[48:49]
	s_cbranch_execnz .LBB543_121
.LBB543_88:
	s_or_b64 exec, exec, s[0:1]
	s_and_saveexec_b64 s[0:1], s[50:51]
	s_cbranch_execnz .LBB543_122
.LBB543_89:
	s_or_b64 exec, exec, s[0:1]
	s_and_saveexec_b64 s[0:1], s[52:53]
	s_cbranch_execnz .LBB543_123
.LBB543_90:
	s_or_b64 exec, exec, s[0:1]
	s_and_saveexec_b64 s[0:1], s[54:55]
	s_cbranch_execnz .LBB543_124
.LBB543_91:
	s_or_b64 exec, exec, s[0:1]
	s_and_saveexec_b64 s[0:1], s[56:57]
	s_cbranch_execnz .LBB543_125
.LBB543_92:
	s_or_b64 exec, exec, s[0:1]
	s_and_saveexec_b64 s[0:1], s[58:59]
	s_cbranch_execnz .LBB543_126
.LBB543_93:
	s_or_b64 exec, exec, s[0:1]
	s_and_saveexec_b64 s[0:1], s[60:61]
	s_cbranch_execnz .LBB543_127
.LBB543_94:
	s_or_b64 exec, exec, s[0:1]
	s_and_saveexec_b64 s[0:1], s[62:63]
	s_cbranch_execnz .LBB543_128
.LBB543_95:
	s_or_b64 exec, exec, s[0:1]
	s_and_saveexec_b64 s[0:1], s[64:65]
	s_cbranch_execnz .LBB543_129
.LBB543_96:
	s_or_b64 exec, exec, s[0:1]
	s_and_b64 exec, exec, s[66:67]
	s_cbranch_execz .LBB543_98
.LBB543_97:
	v_add_co_u32_e32 v2, vcc, 0x1000, v2
	v_fma_f64 v[0:1], -v[48:49], v[14:15], v[70:71]
	v_addc_co_u32_e32 v3, vcc, 0, v3, vcc
	global_store_dwordx2 v[2:3], v[0:1], off offset:3840
.LBB543_98:
	s_endpgm
.LBB543_99:
	buffer_load_dword v18, off, s[76:79], 0 offset:4 ; 4-byte Folded Reload
	buffer_load_dword v19, off, s[76:79], 0 offset:8 ; 4-byte Folded Reload
	s_waitcnt vmcnt(0)
	v_fma_f64 v[4:5], -v[48:49], v[18:19], v[4:5]
	global_store_dwordx2 v[2:3], v[4:5], off
	s_or_b64 exec, exec, s[28:29]
	s_and_saveexec_b64 s[0:1], s[2:3]
	s_cbranch_execz .LBB543_67
.LBB543_100:
	buffer_load_dword v4, off, s[76:79], 0 offset:12 ; 4-byte Folded Reload
	buffer_load_dword v5, off, s[76:79], 0 offset:16 ; 4-byte Folded Reload
	s_waitcnt vmcnt(0)
	v_fma_f64 v[0:1], -v[48:49], v[4:5], v[0:1]
	global_store_dwordx2 v[2:3], v[0:1], off offset:256
	s_or_b64 exec, exec, s[0:1]
	s_and_saveexec_b64 s[0:1], s[4:5]
	s_cbranch_execz .LBB543_68
.LBB543_101:
	buffer_load_dword v0, off, s[76:79], 0 offset:20 ; 4-byte Folded Reload
	buffer_load_dword v1, off, s[76:79], 0 offset:24 ; 4-byte Folded Reload
	s_waitcnt vmcnt(0)
	v_fma_f64 v[0:1], -v[48:49], v[0:1], v[12:13]
	global_store_dwordx2 v[2:3], v[0:1], off offset:512
	s_or_b64 exec, exec, s[0:1]
	s_and_saveexec_b64 s[0:1], s[6:7]
	s_cbranch_execz .LBB543_69
.LBB543_102:
	buffer_load_dword v0, off, s[76:79], 0 offset:28 ; 4-byte Folded Reload
	buffer_load_dword v1, off, s[76:79], 0 offset:32 ; 4-byte Folded Reload
	s_waitcnt vmcnt(0)
	v_fma_f64 v[0:1], -v[48:49], v[0:1], v[8:9]
	global_store_dwordx2 v[2:3], v[0:1], off offset:768
	s_or_b64 exec, exec, s[0:1]
	s_and_saveexec_b64 s[0:1], s[8:9]
	s_cbranch_execz .LBB543_70
.LBB543_103:
	v_fma_f64 v[0:1], -v[48:49], v[22:23], v[20:21]
	global_store_dwordx2 v[2:3], v[0:1], off offset:1024
	s_or_b64 exec, exec, s[0:1]
	s_and_saveexec_b64 s[0:1], s[10:11]
	s_cbranch_execz .LBB543_71
.LBB543_104:
	v_fma_f64 v[0:1], -v[48:49], v[26:27], v[16:17]
	global_store_dwordx2 v[2:3], v[0:1], off offset:1280
	s_or_b64 exec, exec, s[0:1]
	s_and_saveexec_b64 s[0:1], s[12:13]
	s_cbranch_execz .LBB543_72
.LBB543_105:
	v_fma_f64 v[0:1], -v[48:49], v[30:31], v[28:29]
	global_store_dwordx2 v[2:3], v[0:1], off offset:1536
	s_or_b64 exec, exec, s[0:1]
	s_and_saveexec_b64 s[0:1], s[14:15]
	s_cbranch_execz .LBB543_73
.LBB543_106:
	v_fma_f64 v[0:1], -v[48:49], v[34:35], v[24:25]
	global_store_dwordx2 v[2:3], v[0:1], off offset:1792
	s_or_b64 exec, exec, s[0:1]
	s_and_saveexec_b64 s[0:1], s[16:17]
	s_cbranch_execz .LBB543_74
.LBB543_107:
	v_fma_f64 v[0:1], -v[48:49], v[38:39], v[36:37]
	global_store_dwordx2 v[2:3], v[0:1], off offset:2048
	s_or_b64 exec, exec, s[0:1]
	s_and_saveexec_b64 s[0:1], s[18:19]
	s_cbranch_execz .LBB543_75
.LBB543_108:
	v_fma_f64 v[0:1], -v[48:49], v[42:43], v[32:33]
	global_store_dwordx2 v[2:3], v[0:1], off offset:2304
	s_or_b64 exec, exec, s[0:1]
	s_and_saveexec_b64 s[0:1], s[20:21]
	s_cbranch_execz .LBB543_76
.LBB543_109:
	v_fma_f64 v[0:1], -v[48:49], v[46:47], v[44:45]
	global_store_dwordx2 v[2:3], v[0:1], off offset:2560
	s_or_b64 exec, exec, s[0:1]
	s_and_saveexec_b64 s[0:1], s[22:23]
	s_cbranch_execz .LBB543_77
.LBB543_110:
	v_fma_f64 v[0:1], -v[48:49], v[54:55], v[40:41]
	global_store_dwordx2 v[2:3], v[0:1], off offset:2816
	s_or_b64 exec, exec, s[0:1]
	s_and_saveexec_b64 s[0:1], s[24:25]
	s_cbranch_execz .LBB543_78
.LBB543_111:
	v_fma_f64 v[0:1], -v[48:49], v[58:59], v[56:57]
	global_store_dwordx2 v[2:3], v[0:1], off offset:3072
	s_or_b64 exec, exec, s[0:1]
	s_and_saveexec_b64 s[0:1], s[26:27]
	s_cbranch_execz .LBB543_79
.LBB543_112:
	v_fma_f64 v[0:1], -v[48:49], v[62:63], v[50:51]
	global_store_dwordx2 v[2:3], v[0:1], off offset:3328
	s_or_b64 exec, exec, s[0:1]
	s_and_saveexec_b64 s[0:1], s[30:31]
	s_cbranch_execz .LBB543_80
.LBB543_113:
	v_fma_f64 v[0:1], -v[48:49], v[66:67], v[64:65]
	global_store_dwordx2 v[2:3], v[0:1], off offset:3584
	s_or_b64 exec, exec, s[0:1]
	s_and_saveexec_b64 s[0:1], s[34:35]
	s_cbranch_execz .LBB543_81
.LBB543_114:
	v_fma_f64 v[0:1], -v[48:49], v[72:73], v[60:61]
	global_store_dwordx2 v[2:3], v[0:1], off offset:3840
	s_or_b64 exec, exec, s[0:1]
	s_and_saveexec_b64 s[0:1], s[36:37]
	s_cbranch_execz .LBB543_82
.LBB543_115:
	v_add_co_u32_e32 v4, vcc, 0x1000, v2
	v_fma_f64 v[0:1], -v[48:49], v[76:77], v[74:75]
	v_addc_co_u32_e32 v5, vcc, 0, v3, vcc
	global_store_dwordx2 v[4:5], v[0:1], off
	s_or_b64 exec, exec, s[0:1]
	s_and_saveexec_b64 s[0:1], s[38:39]
	s_cbranch_execz .LBB543_83
.LBB543_116:
	v_add_co_u32_e32 v4, vcc, 0x1000, v2
	v_fma_f64 v[0:1], -v[48:49], v[80:81], v[68:69]
	v_addc_co_u32_e32 v5, vcc, 0, v3, vcc
	global_store_dwordx2 v[4:5], v[0:1], off offset:256
	s_or_b64 exec, exec, s[0:1]
	s_and_saveexec_b64 s[0:1], s[40:41]
	s_cbranch_execz .LBB543_84
.LBB543_117:
	v_add_co_u32_e32 v4, vcc, 0x1000, v2
	v_fma_f64 v[0:1], -v[48:49], v[84:85], v[82:83]
	v_addc_co_u32_e32 v5, vcc, 0, v3, vcc
	global_store_dwordx2 v[4:5], v[0:1], off offset:512
	s_or_b64 exec, exec, s[0:1]
	s_and_saveexec_b64 s[0:1], s[42:43]
	s_cbranch_execz .LBB543_85
.LBB543_118:
	v_add_co_u32_e32 v4, vcc, 0x1000, v2
	v_fma_f64 v[0:1], -v[48:49], v[88:89], v[78:79]
	v_addc_co_u32_e32 v5, vcc, 0, v3, vcc
	global_store_dwordx2 v[4:5], v[0:1], off offset:768
	s_or_b64 exec, exec, s[0:1]
	s_and_saveexec_b64 s[0:1], s[44:45]
	s_cbranch_execz .LBB543_86
.LBB543_119:
	v_add_co_u32_e32 v4, vcc, 0x1000, v2
	v_fma_f64 v[0:1], -v[48:49], v[92:93], v[90:91]
	v_addc_co_u32_e32 v5, vcc, 0, v3, vcc
	global_store_dwordx2 v[4:5], v[0:1], off offset:1024
	s_or_b64 exec, exec, s[0:1]
	s_and_saveexec_b64 s[0:1], s[46:47]
	s_cbranch_execz .LBB543_87
.LBB543_120:
	v_add_co_u32_e32 v4, vcc, 0x1000, v2
	v_fma_f64 v[0:1], -v[48:49], v[96:97], v[86:87]
	v_addc_co_u32_e32 v5, vcc, 0, v3, vcc
	global_store_dwordx2 v[4:5], v[0:1], off offset:1280
	s_or_b64 exec, exec, s[0:1]
	s_and_saveexec_b64 s[0:1], s[48:49]
	s_cbranch_execz .LBB543_88
.LBB543_121:
	v_add_co_u32_e32 v4, vcc, 0x1000, v2
	v_fma_f64 v[0:1], -v[48:49], v[100:101], v[98:99]
	v_addc_co_u32_e32 v5, vcc, 0, v3, vcc
	global_store_dwordx2 v[4:5], v[0:1], off offset:1536
	s_or_b64 exec, exec, s[0:1]
	s_and_saveexec_b64 s[0:1], s[50:51]
	s_cbranch_execz .LBB543_89
.LBB543_122:
	v_add_co_u32_e32 v4, vcc, 0x1000, v2
	v_fma_f64 v[0:1], -v[48:49], v[104:105], v[94:95]
	v_addc_co_u32_e32 v5, vcc, 0, v3, vcc
	global_store_dwordx2 v[4:5], v[0:1], off offset:1792
	s_or_b64 exec, exec, s[0:1]
	s_and_saveexec_b64 s[0:1], s[52:53]
	s_cbranch_execz .LBB543_90
.LBB543_123:
	v_add_co_u32_e32 v4, vcc, 0x1000, v2
	v_fma_f64 v[0:1], -v[48:49], v[108:109], v[106:107]
	v_addc_co_u32_e32 v5, vcc, 0, v3, vcc
	global_store_dwordx2 v[4:5], v[0:1], off offset:2048
	s_or_b64 exec, exec, s[0:1]
	s_and_saveexec_b64 s[0:1], s[54:55]
	s_cbranch_execz .LBB543_91
.LBB543_124:
	v_add_co_u32_e32 v4, vcc, 0x1000, v2
	v_fma_f64 v[0:1], -v[48:49], v[112:113], v[102:103]
	v_addc_co_u32_e32 v5, vcc, 0, v3, vcc
	global_store_dwordx2 v[4:5], v[0:1], off offset:2304
	s_or_b64 exec, exec, s[0:1]
	s_and_saveexec_b64 s[0:1], s[56:57]
	s_cbranch_execz .LBB543_92
.LBB543_125:
	v_add_co_u32_e32 v4, vcc, 0x1000, v2
	v_fma_f64 v[0:1], -v[48:49], v[116:117], v[114:115]
	v_addc_co_u32_e32 v5, vcc, 0, v3, vcc
	global_store_dwordx2 v[4:5], v[0:1], off offset:2560
	s_or_b64 exec, exec, s[0:1]
	s_and_saveexec_b64 s[0:1], s[58:59]
	s_cbranch_execz .LBB543_93
.LBB543_126:
	v_add_co_u32_e32 v4, vcc, 0x1000, v2
	v_fma_f64 v[0:1], -v[48:49], v[120:121], v[110:111]
	v_addc_co_u32_e32 v5, vcc, 0, v3, vcc
	global_store_dwordx2 v[4:5], v[0:1], off offset:2816
	s_or_b64 exec, exec, s[0:1]
	s_and_saveexec_b64 s[0:1], s[60:61]
	s_cbranch_execz .LBB543_94
.LBB543_127:
	v_add_co_u32_e32 v4, vcc, 0x1000, v2
	v_fma_f64 v[0:1], -v[48:49], v[124:125], v[122:123]
	v_addc_co_u32_e32 v5, vcc, 0, v3, vcc
	global_store_dwordx2 v[4:5], v[0:1], off offset:3072
	s_or_b64 exec, exec, s[0:1]
	s_and_saveexec_b64 s[0:1], s[62:63]
	s_cbranch_execz .LBB543_95
.LBB543_128:
	v_add_co_u32_e32 v4, vcc, 0x1000, v2
	v_fma_f64 v[0:1], -v[48:49], v[126:127], v[118:119]
	v_addc_co_u32_e32 v5, vcc, 0, v3, vcc
	global_store_dwordx2 v[4:5], v[0:1], off offset:3328
	s_or_b64 exec, exec, s[0:1]
	s_and_saveexec_b64 s[0:1], s[64:65]
	s_cbranch_execz .LBB543_96
.LBB543_129:
	v_add_co_u32_e32 v4, vcc, 0x1000, v2
	v_fma_f64 v[0:1], -v[48:49], v[10:11], v[6:7]
	v_addc_co_u32_e32 v5, vcc, 0, v3, vcc
	global_store_dwordx2 v[4:5], v[0:1], off offset:3584
	s_or_b64 exec, exec, s[0:1]
	s_and_b64 exec, exec, s[66:67]
	s_cbranch_execnz .LBB543_97
	s_branch .LBB543_98
	.section	.rodata,"a",@progbits
	.p2align	6, 0x0
	.amdhsa_kernel _ZN12_GLOBAL__N_121softmax_warp_backwardIdddLi10ELb0ELb0ELi32EEEvPT0_PKT_S5_iiiPKb
		.amdhsa_group_segment_fixed_size 0
		.amdhsa_private_segment_fixed_size 40
		.amdhsa_kernarg_size 304
		.amdhsa_user_sgpr_count 6
		.amdhsa_user_sgpr_private_segment_buffer 1
		.amdhsa_user_sgpr_dispatch_ptr 0
		.amdhsa_user_sgpr_queue_ptr 0
		.amdhsa_user_sgpr_kernarg_segment_ptr 1
		.amdhsa_user_sgpr_dispatch_id 0
		.amdhsa_user_sgpr_flat_scratch_init 0
		.amdhsa_user_sgpr_kernarg_preload_length 0
		.amdhsa_user_sgpr_kernarg_preload_offset 0
		.amdhsa_user_sgpr_private_segment_size 0
		.amdhsa_uses_dynamic_stack 0
		.amdhsa_system_sgpr_private_segment_wavefront_offset 1
		.amdhsa_system_sgpr_workgroup_id_x 1
		.amdhsa_system_sgpr_workgroup_id_y 0
		.amdhsa_system_sgpr_workgroup_id_z 0
		.amdhsa_system_sgpr_workgroup_info 0
		.amdhsa_system_vgpr_workitem_id 1
		.amdhsa_next_free_vgpr 128
		.amdhsa_next_free_sgpr 80
		.amdhsa_accum_offset 128
		.amdhsa_reserve_vcc 1
		.amdhsa_reserve_flat_scratch 0
		.amdhsa_float_round_mode_32 0
		.amdhsa_float_round_mode_16_64 0
		.amdhsa_float_denorm_mode_32 3
		.amdhsa_float_denorm_mode_16_64 3
		.amdhsa_dx10_clamp 1
		.amdhsa_ieee_mode 1
		.amdhsa_fp16_overflow 0
		.amdhsa_tg_split 0
		.amdhsa_exception_fp_ieee_invalid_op 0
		.amdhsa_exception_fp_denorm_src 0
		.amdhsa_exception_fp_ieee_div_zero 0
		.amdhsa_exception_fp_ieee_overflow 0
		.amdhsa_exception_fp_ieee_underflow 0
		.amdhsa_exception_fp_ieee_inexact 0
		.amdhsa_exception_int_div_zero 0
	.end_amdhsa_kernel
	.section	.text._ZN12_GLOBAL__N_121softmax_warp_backwardIdddLi10ELb0ELb0ELi32EEEvPT0_PKT_S5_iiiPKb,"axG",@progbits,_ZN12_GLOBAL__N_121softmax_warp_backwardIdddLi10ELb0ELb0ELi32EEEvPT0_PKT_S5_iiiPKb,comdat
.Lfunc_end543:
	.size	_ZN12_GLOBAL__N_121softmax_warp_backwardIdddLi10ELb0ELb0ELi32EEEvPT0_PKT_S5_iiiPKb, .Lfunc_end543-_ZN12_GLOBAL__N_121softmax_warp_backwardIdddLi10ELb0ELb0ELi32EEEvPT0_PKT_S5_iiiPKb
                                        ; -- End function
	.section	.AMDGPU.csdata,"",@progbits
; Kernel info:
; codeLenInByte = 4800
; NumSgprs: 84
; NumVgprs: 128
; NumAgprs: 0
; TotalNumVgprs: 128
; ScratchSize: 40
; MemoryBound: 0
; FloatMode: 240
; IeeeMode: 1
; LDSByteSize: 0 bytes/workgroup (compile time only)
; SGPRBlocks: 10
; VGPRBlocks: 15
; NumSGPRsForWavesPerEU: 84
; NumVGPRsForWavesPerEU: 128
; AccumOffset: 128
; Occupancy: 4
; WaveLimiterHint : 0
; COMPUTE_PGM_RSRC2:SCRATCH_EN: 1
; COMPUTE_PGM_RSRC2:USER_SGPR: 6
; COMPUTE_PGM_RSRC2:TRAP_HANDLER: 0
; COMPUTE_PGM_RSRC2:TGID_X_EN: 1
; COMPUTE_PGM_RSRC2:TGID_Y_EN: 0
; COMPUTE_PGM_RSRC2:TGID_Z_EN: 0
; COMPUTE_PGM_RSRC2:TIDIG_COMP_CNT: 1
; COMPUTE_PGM_RSRC3_GFX90A:ACCUM_OFFSET: 31
; COMPUTE_PGM_RSRC3_GFX90A:TG_SPLIT: 0
	.section	.text._ZN2at6native12_GLOBAL__N_124cunn_SoftMaxBackwardSmemILi2EdddNS1_23SoftMaxBackwardEpilogueEEEvPT0_PKT2_S8_l,"axG",@progbits,_ZN2at6native12_GLOBAL__N_124cunn_SoftMaxBackwardSmemILi2EdddNS1_23SoftMaxBackwardEpilogueEEEvPT0_PKT2_S8_l,comdat
	.globl	_ZN2at6native12_GLOBAL__N_124cunn_SoftMaxBackwardSmemILi2EdddNS1_23SoftMaxBackwardEpilogueEEEvPT0_PKT2_S8_l ; -- Begin function _ZN2at6native12_GLOBAL__N_124cunn_SoftMaxBackwardSmemILi2EdddNS1_23SoftMaxBackwardEpilogueEEEvPT0_PKT2_S8_l
	.p2align	8
	.type	_ZN2at6native12_GLOBAL__N_124cunn_SoftMaxBackwardSmemILi2EdddNS1_23SoftMaxBackwardEpilogueEEEvPT0_PKT2_S8_l,@function
_ZN2at6native12_GLOBAL__N_124cunn_SoftMaxBackwardSmemILi2EdddNS1_23SoftMaxBackwardEpilogueEEEvPT0_PKT2_S8_l: ; @_ZN2at6native12_GLOBAL__N_124cunn_SoftMaxBackwardSmemILi2EdddNS1_23SoftMaxBackwardEpilogueEEEvPT0_PKT2_S8_l
; %bb.0:
	s_load_dwordx8 s[8:15], s[4:5], 0x0
	v_lshlrev_b32_e32 v2, 1, v0
	v_mov_b32_e32 v3, 0
	v_lshl_add_u32 v8, v0, 4, 0
	s_waitcnt lgkmcnt(0)
	s_mul_i32 s0, s6, s15
	s_mul_hi_u32 s1, s6, s14
	s_mul_i32 s2, s6, s14
	s_add_i32 s3, s1, s0
	v_cmp_gt_i64_e32 vcc, s[14:15], v[2:3]
	v_pk_mov_b32 v[2:3], 0, 0
	s_and_saveexec_b64 s[6:7], vcc
	s_cbranch_execz .LBB544_4
; %bb.1:
	s_load_dword s17, s[4:5], 0x2c
	s_lshl_b64 s[0:1], s[2:3], 3
	s_add_u32 s16, s12, s0
	s_addc_u32 s0, s13, s1
	v_lshl_add_u32 v1, v0, 4, 0
	s_waitcnt lgkmcnt(0)
	s_and_b32 s17, s17, 0xffff
	v_add_lshl_u32 v4, v0, s17, 1
	s_lshl_b32 s18, s17, 1
	s_lshl_b32 s19, s17, 4
	s_mov_b64 s[12:13], 0
	v_pk_mov_b32 v[2:3], 0, 0
	v_mov_b32_e32 v9, s0
	v_mov_b32_e32 v6, v0
.LBB544_2:                              ; =>This Inner Loop Header: Depth=1
	v_ashrrev_i32_e32 v7, 31, v6
	v_lshlrev_b64 v[10:11], 4, v[6:7]
	v_add_co_u32_e64 v10, s[0:1], s16, v10
	v_addc_co_u32_e64 v11, s[0:1], v9, v11, s[0:1]
	global_load_dwordx4 v[10:13], v[10:11], off
	v_ashrrev_i32_e32 v5, 31, v4
	v_cmp_le_i64_e64 s[0:1], s[14:15], v[4:5]
	v_add_u32_e32 v6, s17, v6
	v_add_u32_e32 v4, s18, v4
	s_or_b64 s[12:13], s[0:1], s[12:13]
	s_waitcnt vmcnt(0)
	v_add_f64 v[2:3], v[2:3], v[10:11]
	ds_write_b128 v1, v[10:13]
	v_add_u32_e32 v1, s19, v1
	v_add_f64 v[2:3], v[2:3], v[12:13]
	s_andn2_b64 exec, exec, s[12:13]
	s_cbranch_execnz .LBB544_2
; %bb.3:
	s_or_b64 exec, exec, s[12:13]
.LBB544_4:
	s_or_b64 exec, exec, s[6:7]
	v_mbcnt_lo_u32_b32 v1, -1, 0
	v_mbcnt_hi_u32_b32 v11, -1, v1
	v_and_b32_e32 v13, 63, v11
	v_cmp_gt_u32_e64 s[0:1], 32, v13
	v_cndmask_b32_e64 v1, 0, 1, s[0:1]
	v_lshlrev_b32_e32 v1, 5, v1
	v_add_lshl_u32 v1, v1, v11, 2
	ds_bpermute_b32 v4, v1, v2
	ds_bpermute_b32 v5, v1, v3
	v_cmp_gt_u32_e64 s[0:1], 48, v13
	v_cndmask_b32_e64 v6, 0, 1, s[0:1]
	v_cmp_gt_u32_e64 s[0:1], 56, v13
	v_and_b32_e32 v12, 63, v0
	s_waitcnt lgkmcnt(0)
	v_add_f64 v[2:3], v[2:3], v[4:5]
	v_lshlrev_b32_e32 v4, 4, v6
	v_add_lshl_u32 v6, v4, v11, 2
	ds_bpermute_b32 v4, v6, v2
	ds_bpermute_b32 v5, v6, v3
	s_waitcnt lgkmcnt(0)
	s_barrier
	v_add_f64 v[2:3], v[2:3], v[4:5]
	v_cndmask_b32_e64 v4, 0, 1, s[0:1]
	v_lshlrev_b32_e32 v4, 3, v4
	v_add_lshl_u32 v7, v4, v11, 2
	ds_bpermute_b32 v4, v7, v2
	ds_bpermute_b32 v5, v7, v3
	v_cmp_gt_u32_e64 s[0:1], 60, v13
	s_waitcnt lgkmcnt(0)
	v_add_f64 v[2:3], v[2:3], v[4:5]
	v_cndmask_b32_e64 v4, 0, 1, s[0:1]
	v_lshlrev_b32_e32 v4, 2, v4
	v_add_lshl_u32 v9, v4, v11, 2
	ds_bpermute_b32 v4, v9, v2
	ds_bpermute_b32 v5, v9, v3
	v_cmp_gt_u32_e64 s[0:1], 62, v13
	s_waitcnt lgkmcnt(0)
	v_add_f64 v[2:3], v[2:3], v[4:5]
	v_cndmask_b32_e64 v4, 0, 1, s[0:1]
	v_lshlrev_b32_e32 v4, 1, v4
	v_add_lshl_u32 v10, v4, v11, 2
	ds_bpermute_b32 v4, v10, v2
	ds_bpermute_b32 v5, v10, v3
	s_lshl_b32 s0, s14, 3
	s_add_i32 s12, s0, 0
	v_cmp_ne_u32_e64 s[0:1], 63, v13
	s_waitcnt lgkmcnt(0)
	v_add_f64 v[2:3], v[2:3], v[4:5]
	v_addc_co_u32_e64 v4, s[0:1], 0, v11, s[0:1]
	v_lshlrev_b32_e32 v11, 2, v4
	ds_bpermute_b32 v4, v11, v2
	ds_bpermute_b32 v5, v11, v3
	v_cmp_eq_u32_e64 s[0:1], 0, v12
	s_and_saveexec_b64 s[6:7], s[0:1]
	s_cbranch_execz .LBB544_6
; %bb.5:
	v_lshrrev_b32_e32 v13, 3, v0
	v_add_u32_e32 v13, s12, v13
	s_waitcnt lgkmcnt(0)
	v_add_f64 v[2:3], v[2:3], v[4:5]
	ds_write_b64 v13, v[2:3]
.LBB544_6:
	s_or_b64 exec, exec, s[6:7]
	s_waitcnt lgkmcnt(0)
	s_barrier
	s_load_dword s6, s[4:5], 0x2c
	v_pk_mov_b32 v[2:3], 0, 0
	s_waitcnt lgkmcnt(0)
	s_bfe_u32 s0, s6, 0xa0006
	v_cmp_gt_u32_e64 s[0:1], s0, v0
	s_and_saveexec_b64 s[4:5], s[0:1]
	s_cbranch_execnz .LBB544_14
; %bb.7:
	s_or_b64 exec, exec, s[4:5]
	v_cmp_gt_u32_e64 s[0:1], 64, v0
	s_and_saveexec_b64 s[4:5], s[0:1]
	s_cbranch_execnz .LBB544_15
.LBB544_8:
	s_or_b64 exec, exec, s[4:5]
	v_cmp_eq_u32_e64 s[0:1], 0, v0
	s_and_saveexec_b64 s[4:5], s[0:1]
	s_cbranch_execz .LBB544_10
.LBB544_9:
	v_mov_b32_e32 v1, s12
	s_waitcnt lgkmcnt(0)
	ds_write_b64 v1, v[2:3]
.LBB544_10:
	s_or_b64 exec, exec, s[4:5]
	s_waitcnt lgkmcnt(0)
	s_barrier
	s_and_saveexec_b64 s[0:1], vcc
	s_cbranch_execz .LBB544_13
; %bb.11:
	s_and_b32 s4, s6, 0xffff
	v_mov_b32_e32 v1, s12
	s_lshl_b64 s[0:1], s[2:3], 3
	ds_read_b64 v[2:3], v1
	s_add_u32 s5, s8, s0
	s_addc_u32 s9, s9, s1
	s_add_u32 s6, s10, s0
	s_addc_u32 s0, s11, s1
	v_add_lshl_u32 v4, v0, s4, 1
	s_lshl_b32 s7, s4, 1
	s_lshl_b32 s8, s4, 4
	s_mov_b64 s[2:3], 0
	v_mov_b32_e32 v6, s0
	v_mov_b32_e32 v7, s9
.LBB544_12:                             ; =>This Inner Loop Header: Depth=1
	v_ashrrev_i32_e32 v1, 31, v0
	v_lshlrev_b64 v[18:19], 4, v[0:1]
	v_add_co_u32_e32 v10, vcc, s6, v18
	v_addc_co_u32_e32 v11, vcc, v6, v19, vcc
	global_load_dwordx4 v[10:13], v[10:11], off
	ds_read_b128 v[14:17], v8
	v_ashrrev_i32_e32 v5, 31, v4
	v_cmp_le_i64_e32 vcc, s[14:15], v[4:5]
	v_add_co_u32_e64 v18, s[0:1], s5, v18
	v_add_u32_e32 v8, s8, v8
	v_add_u32_e32 v0, s4, v0
	;; [unrolled: 1-line block ×3, first 2 shown]
	v_addc_co_u32_e64 v19, s[0:1], v7, v19, s[0:1]
	s_or_b64 s[2:3], vcc, s[2:3]
	s_waitcnt vmcnt(0) lgkmcnt(0)
	v_fma_f64 v[10:11], -v[2:3], v[10:11], v[14:15]
	v_fma_f64 v[12:13], -v[2:3], v[12:13], v[16:17]
	global_store_dwordx4 v[18:19], v[10:13], off
	s_andn2_b64 exec, exec, s[2:3]
	s_cbranch_execnz .LBB544_12
.LBB544_13:
	s_endpgm
.LBB544_14:
	v_lshl_add_u32 v2, v12, 3, s12
	ds_read_b64 v[2:3], v2
	s_or_b64 exec, exec, s[4:5]
	v_cmp_gt_u32_e64 s[0:1], 64, v0
	s_and_saveexec_b64 s[4:5], s[0:1]
	s_cbranch_execz .LBB544_8
.LBB544_15:
	s_waitcnt lgkmcnt(0)
	ds_bpermute_b32 v4, v1, v2
	ds_bpermute_b32 v5, v1, v3
	s_waitcnt lgkmcnt(0)
	v_add_f64 v[2:3], v[2:3], v[4:5]
	ds_bpermute_b32 v4, v6, v2
	ds_bpermute_b32 v5, v6, v3
	s_waitcnt lgkmcnt(0)
	v_add_f64 v[2:3], v[2:3], v[4:5]
	;; [unrolled: 4-line block ×6, first 2 shown]
	s_or_b64 exec, exec, s[4:5]
	v_cmp_eq_u32_e64 s[0:1], 0, v0
	s_and_saveexec_b64 s[4:5], s[0:1]
	s_cbranch_execnz .LBB544_9
	s_branch .LBB544_10
	.section	.rodata,"a",@progbits
	.p2align	6, 0x0
	.amdhsa_kernel _ZN2at6native12_GLOBAL__N_124cunn_SoftMaxBackwardSmemILi2EdddNS1_23SoftMaxBackwardEpilogueEEEvPT0_PKT2_S8_l
		.amdhsa_group_segment_fixed_size 0
		.amdhsa_private_segment_fixed_size 0
		.amdhsa_kernarg_size 288
		.amdhsa_user_sgpr_count 6
		.amdhsa_user_sgpr_private_segment_buffer 1
		.amdhsa_user_sgpr_dispatch_ptr 0
		.amdhsa_user_sgpr_queue_ptr 0
		.amdhsa_user_sgpr_kernarg_segment_ptr 1
		.amdhsa_user_sgpr_dispatch_id 0
		.amdhsa_user_sgpr_flat_scratch_init 0
		.amdhsa_user_sgpr_kernarg_preload_length 0
		.amdhsa_user_sgpr_kernarg_preload_offset 0
		.amdhsa_user_sgpr_private_segment_size 0
		.amdhsa_uses_dynamic_stack 0
		.amdhsa_system_sgpr_private_segment_wavefront_offset 0
		.amdhsa_system_sgpr_workgroup_id_x 1
		.amdhsa_system_sgpr_workgroup_id_y 0
		.amdhsa_system_sgpr_workgroup_id_z 0
		.amdhsa_system_sgpr_workgroup_info 0
		.amdhsa_system_vgpr_workitem_id 0
		.amdhsa_next_free_vgpr 20
		.amdhsa_next_free_sgpr 20
		.amdhsa_accum_offset 20
		.amdhsa_reserve_vcc 1
		.amdhsa_reserve_flat_scratch 0
		.amdhsa_float_round_mode_32 0
		.amdhsa_float_round_mode_16_64 0
		.amdhsa_float_denorm_mode_32 3
		.amdhsa_float_denorm_mode_16_64 3
		.amdhsa_dx10_clamp 1
		.amdhsa_ieee_mode 1
		.amdhsa_fp16_overflow 0
		.amdhsa_tg_split 0
		.amdhsa_exception_fp_ieee_invalid_op 0
		.amdhsa_exception_fp_denorm_src 0
		.amdhsa_exception_fp_ieee_div_zero 0
		.amdhsa_exception_fp_ieee_overflow 0
		.amdhsa_exception_fp_ieee_underflow 0
		.amdhsa_exception_fp_ieee_inexact 0
		.amdhsa_exception_int_div_zero 0
	.end_amdhsa_kernel
	.section	.text._ZN2at6native12_GLOBAL__N_124cunn_SoftMaxBackwardSmemILi2EdddNS1_23SoftMaxBackwardEpilogueEEEvPT0_PKT2_S8_l,"axG",@progbits,_ZN2at6native12_GLOBAL__N_124cunn_SoftMaxBackwardSmemILi2EdddNS1_23SoftMaxBackwardEpilogueEEEvPT0_PKT2_S8_l,comdat
.Lfunc_end544:
	.size	_ZN2at6native12_GLOBAL__N_124cunn_SoftMaxBackwardSmemILi2EdddNS1_23SoftMaxBackwardEpilogueEEEvPT0_PKT2_S8_l, .Lfunc_end544-_ZN2at6native12_GLOBAL__N_124cunn_SoftMaxBackwardSmemILi2EdddNS1_23SoftMaxBackwardEpilogueEEEvPT0_PKT2_S8_l
                                        ; -- End function
	.section	.AMDGPU.csdata,"",@progbits
; Kernel info:
; codeLenInByte = 1192
; NumSgprs: 24
; NumVgprs: 20
; NumAgprs: 0
; TotalNumVgprs: 20
; ScratchSize: 0
; MemoryBound: 0
; FloatMode: 240
; IeeeMode: 1
; LDSByteSize: 0 bytes/workgroup (compile time only)
; SGPRBlocks: 2
; VGPRBlocks: 2
; NumSGPRsForWavesPerEU: 24
; NumVGPRsForWavesPerEU: 20
; AccumOffset: 20
; Occupancy: 8
; WaveLimiterHint : 0
; COMPUTE_PGM_RSRC2:SCRATCH_EN: 0
; COMPUTE_PGM_RSRC2:USER_SGPR: 6
; COMPUTE_PGM_RSRC2:TRAP_HANDLER: 0
; COMPUTE_PGM_RSRC2:TGID_X_EN: 1
; COMPUTE_PGM_RSRC2:TGID_Y_EN: 0
; COMPUTE_PGM_RSRC2:TGID_Z_EN: 0
; COMPUTE_PGM_RSRC2:TIDIG_COMP_CNT: 0
; COMPUTE_PGM_RSRC3_GFX90A:ACCUM_OFFSET: 4
; COMPUTE_PGM_RSRC3_GFX90A:TG_SPLIT: 0
	.section	.text._ZN2at6native12_GLOBAL__N_120cunn_SoftMaxBackwardILi2EdddNS1_23SoftMaxBackwardEpilogueEEEvPT0_PKT2_S8_l,"axG",@progbits,_ZN2at6native12_GLOBAL__N_120cunn_SoftMaxBackwardILi2EdddNS1_23SoftMaxBackwardEpilogueEEEvPT0_PKT2_S8_l,comdat
	.globl	_ZN2at6native12_GLOBAL__N_120cunn_SoftMaxBackwardILi2EdddNS1_23SoftMaxBackwardEpilogueEEEvPT0_PKT2_S8_l ; -- Begin function _ZN2at6native12_GLOBAL__N_120cunn_SoftMaxBackwardILi2EdddNS1_23SoftMaxBackwardEpilogueEEEvPT0_PKT2_S8_l
	.p2align	8
	.type	_ZN2at6native12_GLOBAL__N_120cunn_SoftMaxBackwardILi2EdddNS1_23SoftMaxBackwardEpilogueEEEvPT0_PKT2_S8_l,@function
_ZN2at6native12_GLOBAL__N_120cunn_SoftMaxBackwardILi2EdddNS1_23SoftMaxBackwardEpilogueEEEvPT0_PKT2_S8_l: ; @_ZN2at6native12_GLOBAL__N_120cunn_SoftMaxBackwardILi2EdddNS1_23SoftMaxBackwardEpilogueEEEvPT0_PKT2_S8_l
; %bb.0:
	s_load_dwordx8 s[12:19], s[4:5], 0x0
	v_mov_b32_e32 v2, 0x7ffffffe
	v_mov_b32_e32 v3, 0
	s_waitcnt lgkmcnt(0)
	s_mul_i32 s1, s6, s19
	s_mul_hi_u32 s2, s6, s18
	s_mul_i32 s0, s6, s18
	s_add_i32 s1, s2, s1
	s_lshl_b64 s[24:25], s[0:1], 3
	s_add_u32 s20, s16, s24
	s_addc_u32 s21, s17, s25
	v_cmp_gt_i64_e64 s[0:1], s[18:19], v[2:3]
	s_bitcmp1_b32 s20, 3
	s_cselect_b64 s[2:3], -1, 0
	s_and_b64 vcc, exec, s[0:1]
	s_cbranch_vccz .LBB545_5
; %bb.1:
	v_mov_b32_e32 v1, 0
	s_and_b64 vcc, exec, s[2:3]
	s_cbranch_vccz .LBB545_6
; %bb.2:
	v_cmp_ne_u32_e32 vcc, 0, v0
	v_pk_mov_b32 v[2:3], 0, 0
	s_and_saveexec_b64 s[8:9], vcc
	s_cbranch_execz .LBB545_4
; %bb.3:
	v_lshlrev_b32_e32 v2, 3, v0
	global_load_dwordx2 v[2:3], v2, s[20:21] offset:-8
	s_waitcnt vmcnt(0)
	v_add_f64 v[2:3], v[2:3], 0
.LBB545_4:
	s_or_b64 exec, exec, s[8:9]
	s_load_dword s7, s[4:5], 0x2c
	s_add_u32 s22, s4, 32
	s_addc_u32 s23, s5, 0
	s_waitcnt lgkmcnt(0)
	s_and_b32 s7, s7, 0xffff
	s_sub_u32 s8, s18, s7
	s_subb_u32 s9, s19, 0
	s_add_u32 s8, s8, 1
	s_addc_u32 s9, s9, 0
	s_lshl_b32 s7, s7, 3
	s_add_u32 s7, s20, s7
	s_addc_u32 s11, s21, 0
	s_add_u32 s10, s7, -8
	s_addc_u32 s11, s11, -1
	s_branch .LBB545_8
.LBB545_5:
                                        ; implicit-def: $vgpr2_vgpr3
	s_bfe_u32 s8, s20, 0x10003
	s_mov_b32 s9, 0
	s_cbranch_execnz .LBB545_18
	s_branch .LBB545_33
.LBB545_6:
                                        ; implicit-def: $sgpr10_sgpr11
                                        ; implicit-def: $sgpr8_sgpr9
                                        ; implicit-def: $vgpr2_vgpr3
                                        ; implicit-def: $sgpr22_sgpr23
	s_cbranch_execz .LBB545_8
; %bb.7:
	s_add_u32 s22, s4, 32
	s_addc_u32 s23, s5, 0
	v_pk_mov_b32 v[2:3], 0, 0
	s_mov_b64 s[8:9], s[18:19]
	s_mov_b64 s[10:11], s[20:21]
.LBB545_8:
	s_load_dword s7, s[22:23], 0x0
	v_mov_b32_e32 v4, 0
	s_waitcnt lgkmcnt(0)
	s_cmp_lt_u32 s6, s7
	s_cselect_b32 s7, 12, 18
	s_add_u32 s22, s22, s7
	s_addc_u32 s23, s23, 0
	global_load_ushort v4, v4, s[22:23]
	s_mov_b32 s22, 0
	s_mov_b32 s23, s9
	s_waitcnt vmcnt(0)
	v_readfirstlane_b32 s7, v4
	s_and_b32 s7, 0xffff, s7
	s_lshl_b32 s7, s7, 1
	s_cmp_lg_u64 s[22:23], 0
	v_and_b32_e32 v10, 0xffff, v4
	s_cbranch_scc0 .LBB545_41
; %bb.9:
	v_cvt_f32_u32_e32 v4, s7
	v_mov_b32_e32 v5, 0x4f800000
	s_sub_u32 s26, 0, s7
	s_subb_u32 s27, 0, 0
	v_mac_f32_e32 v4, 0, v5
	v_rcp_f32_e32 v4, v4
	v_mul_f32_e32 v4, 0x5f7ffffc, v4
	v_mul_f32_e32 v5, 0x2f800000, v4
	v_trunc_f32_e32 v5, v5
	v_madmk_f32 v4, v5, 0xcf800000, v4
	v_cvt_u32_f32_e32 v5, v5
	v_cvt_u32_f32_e32 v4, v4
	v_readfirstlane_b32 s28, v5
	v_readfirstlane_b32 s29, v4
	s_mul_i32 s30, s26, s28
	s_mul_hi_u32 s33, s26, s29
	s_mul_i32 s31, s27, s29
	s_add_i32 s30, s33, s30
	s_add_i32 s30, s30, s31
	s_mul_i32 s34, s26, s29
	s_mul_hi_u32 s31, s29, s30
	s_mul_i32 s33, s29, s30
	s_mul_hi_u32 s29, s29, s34
	s_add_u32 s29, s29, s33
	s_addc_u32 s31, 0, s31
	s_mul_hi_u32 s35, s28, s34
	s_mul_i32 s34, s28, s34
	s_add_u32 s29, s29, s34
	s_mul_hi_u32 s33, s28, s30
	s_addc_u32 s29, s31, s35
	s_addc_u32 s31, s33, 0
	s_mul_i32 s30, s28, s30
	s_add_u32 s29, s29, s30
	s_addc_u32 s30, 0, s31
	v_add_co_u32_e32 v4, vcc, s29, v4
	s_cmp_lg_u64 vcc, 0
	s_addc_u32 s28, s28, s30
	v_readfirstlane_b32 s30, v4
	s_mul_i32 s29, s26, s28
	s_mul_hi_u32 s31, s26, s30
	s_add_i32 s29, s31, s29
	s_mul_i32 s27, s27, s30
	s_add_i32 s29, s29, s27
	s_mul_i32 s26, s26, s30
	s_mul_hi_u32 s31, s28, s26
	s_mul_i32 s33, s28, s26
	s_mul_i32 s35, s30, s29
	s_mul_hi_u32 s26, s30, s26
	s_mul_hi_u32 s34, s30, s29
	s_add_u32 s26, s26, s35
	s_addc_u32 s30, 0, s34
	s_add_u32 s26, s26, s33
	s_mul_hi_u32 s27, s28, s29
	s_addc_u32 s26, s30, s31
	s_addc_u32 s27, s27, 0
	s_mul_i32 s29, s28, s29
	s_add_u32 s26, s26, s29
	s_addc_u32 s27, 0, s27
	v_add_co_u32_e32 v4, vcc, s26, v4
	s_cmp_lg_u64 vcc, 0
	s_addc_u32 s26, s28, s27
	v_readfirstlane_b32 s29, v4
	s_mul_i32 s28, s8, s26
	s_mul_hi_u32 s30, s8, s29
	s_mul_hi_u32 s27, s8, s26
	s_add_u32 s28, s30, s28
	s_addc_u32 s27, 0, s27
	s_mul_hi_u32 s31, s9, s29
	s_mul_i32 s29, s9, s29
	s_add_u32 s28, s28, s29
	s_mul_hi_u32 s30, s9, s26
	s_addc_u32 s27, s27, s31
	s_addc_u32 s28, s30, 0
	s_mul_i32 s26, s9, s26
	s_add_u32 s26, s27, s26
	s_addc_u32 s27, 0, s28
	s_mul_hi_u32 s28, s7, s26
	s_mul_i32 s26, s7, s26
	s_mul_i32 s27, s7, s27
	v_mov_b32_e32 v4, s26
	s_add_i32 s28, s28, s27
	v_sub_co_u32_e32 v4, vcc, s8, v4
	s_cmp_lg_u64 vcc, 0
	s_subb_u32 s26, s9, s28
	v_subrev_co_u32_e32 v5, vcc, s7, v4
	s_cmp_lg_u64 vcc, 0
	s_subb_u32 s27, s26, 0
	v_subrev_co_u32_e32 v6, vcc, s7, v5
	s_cmp_lg_u64 vcc, 0
	s_subb_u32 s28, s27, 0
	v_cmp_le_u32_e32 vcc, s7, v5
	s_cmp_eq_u32 s27, 0
	v_cndmask_b32_e64 v7, 0, -1, vcc
	s_cselect_b64 vcc, -1, 0
	v_cndmask_b32_e32 v7, -1, v7, vcc
	v_mov_b32_e32 v8, s27
	v_mov_b32_e32 v9, s28
	v_cmp_ne_u32_e32 vcc, 0, v7
	v_cndmask_b32_e32 v7, v8, v9, vcc
	v_cndmask_b32_e32 v6, v5, v6, vcc
	v_cmp_le_u32_e32 vcc, s7, v4
	s_cmp_eq_u32 s26, 0
	v_cndmask_b32_e64 v5, 0, -1, vcc
	s_cselect_b64 vcc, -1, 0
	v_cndmask_b32_e32 v5, -1, v5, vcc
	v_mov_b32_e32 v8, s26
	v_cmp_ne_u32_e32 vcc, 0, v5
	v_cndmask_b32_e32 v5, v8, v7, vcc
	v_cndmask_b32_e32 v4, v4, v6, vcc
	s_cbranch_execnz .LBB545_11
.LBB545_10:
	v_cvt_f32_u32_e32 v4, s7
	s_sub_i32 s22, 0, s7
	v_rcp_iflag_f32_e32 v4, v4
	v_mul_f32_e32 v4, 0x4f7ffffe, v4
	v_cvt_u32_f32_e32 v4, v4
	v_mul_lo_u32 v5, s22, v4
	v_mul_hi_u32 v5, v4, v5
	v_add_u32_e32 v4, v4, v5
	v_mul_hi_u32 v4, s8, v4
	v_mul_lo_u32 v4, v4, s7
	v_sub_u32_e32 v4, s8, v4
	v_subrev_u32_e32 v5, s7, v4
	v_cmp_le_u32_e32 vcc, s7, v4
	v_cndmask_b32_e32 v4, v4, v5, vcc
	v_subrev_u32_e32 v5, s7, v4
	v_cmp_le_u32_e32 vcc, s7, v4
	v_cndmask_b32_e32 v4, v4, v5, vcc
	v_mov_b32_e32 v5, 0
.LBB545_11:
	v_mov_b32_e32 v6, s9
	v_sub_co_u32_e32 v4, vcc, s8, v4
	v_subb_co_u32_e32 v5, vcc, v6, v5, vcc
	v_lshlrev_b32_e32 v6, 4, v0
	v_mov_b32_e32 v7, s11
	v_add_co_u32_e32 v6, vcc, s10, v6
	v_addc_co_u32_e32 v7, vcc, 0, v7, vcc
	v_add_co_u32_e32 v6, vcc, 8, v6
	v_addc_co_u32_e32 v7, vcc, 0, v7, vcc
	v_lshlrev_b32_e32 v11, 4, v10
	s_mov_b64 s[22:23], 0
	v_pk_mov_b32 v[8:9], v[0:1], v[0:1] op_sel:[0,1]
.LBB545_12:                             ; =>This Inner Loop Header: Depth=1
	global_load_dwordx4 v[12:15], v[6:7], off offset:-8
	v_add_co_u32_e32 v8, vcc, v8, v10
	v_addc_co_u32_e32 v9, vcc, 0, v9, vcc
	v_add_co_u32_e32 v6, vcc, v6, v11
	v_addc_co_u32_e32 v7, vcc, 0, v7, vcc
	v_lshlrev_b64 v[16:17], 1, v[8:9]
	v_cmp_ge_i64_e32 vcc, v[16:17], v[4:5]
	s_or_b64 s[22:23], vcc, s[22:23]
	s_waitcnt vmcnt(0)
	v_add_f64 v[2:3], v[2:3], v[12:13]
	v_add_f64 v[2:3], v[2:3], v[14:15]
	s_andn2_b64 exec, exec, s[22:23]
	s_cbranch_execnz .LBB545_12
; %bb.13:
	s_or_b64 exec, exec, s[22:23]
	v_add_co_u32_e32 v4, vcc, v4, v0
	v_addc_co_u32_e32 v5, vcc, 0, v5, vcc
	v_cmp_gt_i64_e32 vcc, s[8:9], v[4:5]
	s_and_saveexec_b64 s[22:23], vcc
	s_cbranch_execz .LBB545_17
; %bb.14:
	s_mov_b64 s[26:27], 0
	v_mov_b32_e32 v1, s11
.LBB545_15:                             ; =>This Inner Loop Header: Depth=1
	v_lshlrev_b64 v[6:7], 3, v[4:5]
	v_add_co_u32_e32 v6, vcc, s10, v6
	v_addc_co_u32_e32 v7, vcc, v1, v7, vcc
	global_load_dwordx2 v[6:7], v[6:7], off
	v_add_co_u32_e32 v4, vcc, v4, v10
	v_addc_co_u32_e32 v5, vcc, 0, v5, vcc
	v_cmp_le_i64_e32 vcc, s[8:9], v[4:5]
	s_or_b64 s[26:27], vcc, s[26:27]
	s_waitcnt vmcnt(0)
	v_add_f64 v[2:3], v[2:3], v[6:7]
	s_andn2_b64 exec, exec, s[26:27]
	s_cbranch_execnz .LBB545_15
; %bb.16:
	s_or_b64 exec, exec, s[26:27]
.LBB545_17:
	s_or_b64 exec, exec, s[22:23]
	s_bfe_u32 s8, s20, 0x10003
	s_mov_b32 s9, 0
	s_branch .LBB545_33
.LBB545_18:
	s_and_b64 vcc, exec, s[2:3]
	s_cbranch_vccz .LBB545_22
; %bb.19:
	v_cmp_ne_u32_e32 vcc, 0, v0
	v_cmp_ge_i32_e64 s[2:3], s18, v0
	s_and_b64 s[10:11], vcc, s[2:3]
	v_pk_mov_b32 v[2:3], 0, 0
	s_and_saveexec_b64 s[2:3], s[10:11]
	s_cbranch_execz .LBB545_21
; %bb.20:
	v_lshlrev_b32_e32 v1, 3, v0
	global_load_dwordx2 v[2:3], v1, s[20:21] offset:-8
	s_waitcnt vmcnt(0)
	v_add_f64 v[2:3], v[2:3], 0
.LBB545_21:
	s_or_b64 exec, exec, s[2:3]
	s_load_dword s2, s[4:5], 0x2c
	s_add_i32 s3, s18, 1
	s_add_u32 s10, s4, 32
	s_addc_u32 s11, s5, 0
	s_waitcnt lgkmcnt(0)
	s_and_b32 s2, s2, 0xffff
	v_mov_b32_e32 v1, s2
	s_lshl_b32 s2, s2, 3
	s_add_u32 s2, s20, s2
	v_sub_u32_e64 v1, s3, v1 clamp
	s_addc_u32 s3, s21, 0
	s_add_u32 s2, s2, -8
	v_readfirstlane_b32 s7, v1
	s_addc_u32 s3, s3, -1
	s_branch .LBB545_24
.LBB545_22:
                                        ; implicit-def: $sgpr2_sgpr3
                                        ; implicit-def: $sgpr7
                                        ; implicit-def: $vgpr2_vgpr3
                                        ; implicit-def: $sgpr10_sgpr11
	s_cbranch_execz .LBB545_24
; %bb.23:
	s_add_u32 s10, s4, 32
	s_addc_u32 s11, s5, 0
	v_pk_mov_b32 v[2:3], 0, 0
	s_mov_b32 s7, s18
	s_mov_b64 s[2:3], s[20:21]
.LBB545_24:
	s_load_dword s22, s[10:11], 0x0
	v_mov_b32_e32 v1, 0
	s_waitcnt lgkmcnt(0)
	s_cmp_lt_u32 s6, s22
	s_cselect_b32 s22, 12, 18
	s_add_u32 s10, s10, s22
	s_addc_u32 s11, s11, 0
	global_load_ushort v1, v1, s[10:11]
	s_waitcnt vmcnt(0)
	v_readfirstlane_b32 s10, v1
	s_lshl_b32 s10, s10, 1
	v_cvt_f32_u32_e32 v4, s10
	s_sub_i32 s11, 0, s10
	v_rcp_iflag_f32_e32 v4, v4
	v_mul_f32_e32 v4, 0x4f7ffffe, v4
	v_cvt_u32_f32_e32 v4, v4
	v_readfirstlane_b32 s22, v4
	s_mul_i32 s11, s11, s22
	s_mul_hi_u32 s11, s22, s11
	s_add_i32 s22, s22, s11
	s_mul_hi_u32 s11, s7, s22
	s_mul_i32 s11, s11, s10
	s_sub_i32 s11, s7, s11
	s_sub_i32 s22, s11, s10
	s_cmp_ge_u32 s11, s10
	s_cselect_b32 s11, s22, s11
	s_sub_i32 s22, s11, s10
	s_cmp_ge_u32 s11, s10
	s_cselect_b32 s10, s22, s11
	s_sub_i32 s26, s7, s10
	v_lshlrev_b32_e32 v4, 1, v0
	v_cmp_gt_i32_e32 vcc, s26, v4
	s_and_saveexec_b64 s[10:11], vcc
	s_cbranch_execz .LBB545_28
; %bb.25:
	s_mov_b64 s[22:23], 0
	v_mov_b32_e32 v6, s3
	v_mov_b32_e32 v4, v0
.LBB545_26:                             ; =>This Inner Loop Header: Depth=1
	v_ashrrev_i32_e32 v5, 31, v4
	v_lshlrev_b64 v[8:9], 4, v[4:5]
	v_add_co_u32_e32 v8, vcc, s2, v8
	v_addc_co_u32_e32 v9, vcc, v6, v9, vcc
	global_load_dwordx4 v[8:11], v[8:9], off
	v_add_u32_e32 v4, v4, v1
	v_lshlrev_b32_e32 v5, 1, v4
	v_cmp_le_i32_e32 vcc, s26, v5
	s_or_b64 s[22:23], vcc, s[22:23]
	s_waitcnt vmcnt(0)
	v_add_f64 v[2:3], v[2:3], v[8:9]
	v_add_f64 v[2:3], v[2:3], v[10:11]
	s_andn2_b64 exec, exec, s[22:23]
	s_cbranch_execnz .LBB545_26
; %bb.27:
	s_or_b64 exec, exec, s[22:23]
.LBB545_28:
	s_or_b64 exec, exec, s[10:11]
	v_add_u32_e32 v4, s26, v0
	v_cmp_gt_i32_e32 vcc, s7, v4
	s_and_saveexec_b64 s[10:11], vcc
	s_cbranch_execz .LBB545_32
; %bb.29:
	s_mov_b64 s[22:23], 0
	v_mov_b32_e32 v6, s3
.LBB545_30:                             ; =>This Inner Loop Header: Depth=1
	v_ashrrev_i32_e32 v5, 31, v4
	v_lshlrev_b64 v[8:9], 3, v[4:5]
	v_add_co_u32_e32 v8, vcc, s2, v8
	v_addc_co_u32_e32 v9, vcc, v6, v9, vcc
	global_load_dwordx2 v[8:9], v[8:9], off
	v_add_u32_e32 v4, v4, v1
	v_cmp_le_i32_e32 vcc, s7, v4
	s_or_b64 s[22:23], vcc, s[22:23]
	s_waitcnt vmcnt(0)
	v_add_f64 v[2:3], v[2:3], v[8:9]
	s_andn2_b64 exec, exec, s[22:23]
	s_cbranch_execnz .LBB545_30
; %bb.31:
	s_or_b64 exec, exec, s[22:23]
.LBB545_32:
	s_or_b64 exec, exec, s[10:11]
.LBB545_33:
	v_lshl_add_u32 v1, v0, 3, 0
	s_barrier
	ds_write_b64 v1, v[2:3]
	s_waitcnt lgkmcnt(0)
	s_barrier
	s_load_dword s7, s[4:5], 0x2c
	s_add_u32 s22, s4, 32
	s_addc_u32 s23, s5, 0
	s_waitcnt lgkmcnt(0)
	s_bfe_u32 s10, s7, 0xa0006
	s_min_u32 s2, s10, 64
	v_cmp_gt_u32_e32 vcc, s2, v0
	s_and_saveexec_b64 s[2:3], vcc
	s_cbranch_execz .LBB545_35
; %bb.34:
	s_movk_i32 s4, 0x1f8
	v_mad_u32_u24 v2, v0, s4, v1
	ds_read2_b64 v[4:7], v2 offset1:1
	ds_read2_b64 v[8:11], v2 offset0:2 offset1:3
	ds_read2_b64 v[12:15], v2 offset0:4 offset1:5
	;; [unrolled: 1-line block ×3, first 2 shown]
	s_waitcnt lgkmcnt(3)
	v_add_f64 v[4:5], v[4:5], 0
	v_add_f64 v[4:5], v[4:5], v[6:7]
	s_waitcnt lgkmcnt(2)
	v_add_f64 v[4:5], v[4:5], v[8:9]
	v_add_f64 v[4:5], v[4:5], v[10:11]
	s_waitcnt lgkmcnt(1)
	v_add_f64 v[8:9], v[4:5], v[12:13]
	ds_read2_b64 v[4:7], v2 offset0:8 offset1:9
	v_add_f64 v[8:9], v[8:9], v[14:15]
	s_waitcnt lgkmcnt(1)
	v_add_f64 v[12:13], v[8:9], v[16:17]
	ds_read2_b64 v[8:11], v2 offset0:10 offset1:11
	;; [unrolled: 4-line block ×25, first 2 shown]
	v_add_f64 v[8:9], v[8:9], v[10:11]
	s_waitcnt lgkmcnt(1)
	v_add_f64 v[8:9], v[8:9], v[12:13]
	v_add_f64 v[12:13], v[8:9], v[14:15]
	ds_read2_b64 v[8:11], v2 offset0:58 offset1:59
	s_waitcnt lgkmcnt(1)
	v_add_f64 v[4:5], v[12:13], v[4:5]
	ds_read2_b64 v[12:15], v2 offset0:60 offset1:61
	v_add_f64 v[6:7], v[4:5], v[6:7]
	ds_read2_b64 v[2:5], v2 offset0:62 offset1:63
	s_waitcnt lgkmcnt(2)
	v_add_f64 v[6:7], v[6:7], v[8:9]
	v_add_f64 v[6:7], v[6:7], v[10:11]
	s_waitcnt lgkmcnt(1)
	v_add_f64 v[6:7], v[6:7], v[12:13]
	v_add_f64 v[6:7], v[6:7], v[14:15]
	;; [unrolled: 3-line block ×3, first 2 shown]
	ds_write_b64 v1, v[2:3]
.LBB545_35:
	s_or_b64 exec, exec, s[2:3]
	s_and_b32 s7, s7, 0xffff
	v_cmp_ne_u32_e64 s[2:3], 0, v0
	v_cmp_eq_u32_e32 vcc, 0, v0
	s_waitcnt lgkmcnt(0)
	s_barrier
	s_and_saveexec_b64 s[4:5], vcc
	s_cbranch_execz .LBB545_46
; %bb.36:
	s_cmp_lt_u32 s7, 64
	v_pk_mov_b32 v[2:3], 0, 0
	s_cbranch_scc1 .LBB545_45
; %bb.37:
	s_add_i32 s11, s10, -1
	s_cmp_lt_u32 s11, 7
	s_cbranch_scc1 .LBB545_42
; %bb.38:
	s_and_b32 s11, s10, 0x3f8
	s_mov_b32 s26, 0
	s_mov_b32 s27, 0
	v_pk_mov_b32 v[2:3], 0, 0
.LBB545_39:                             ; =>This Inner Loop Header: Depth=1
	v_mov_b32_e32 v1, s27
	ds_read2_b64 v[4:7], v1 offset1:1
	ds_read2_b64 v[8:11], v1 offset0:2 offset1:3
	ds_read2_b64 v[12:15], v1 offset0:4 offset1:5
	;; [unrolled: 1-line block ×3, first 2 shown]
	s_add_i32 s26, s26, 8
	s_waitcnt lgkmcnt(3)
	v_add_f64 v[2:3], v[2:3], v[4:5]
	v_add_f64 v[2:3], v[2:3], v[6:7]
	s_waitcnt lgkmcnt(2)
	v_add_f64 v[2:3], v[2:3], v[8:9]
	v_add_f64 v[2:3], v[2:3], v[10:11]
	;; [unrolled: 3-line block ×3, first 2 shown]
	s_add_i32 s27, s27, 64
	s_waitcnt lgkmcnt(0)
	v_add_f64 v[2:3], v[2:3], v[16:17]
	s_cmp_eq_u32 s11, s26
	v_add_f64 v[2:3], v[2:3], v[18:19]
	s_cbranch_scc0 .LBB545_39
; %bb.40:
	s_and_b32 s10, s10, 7
	s_cmp_eq_u32 s10, 0
	s_cbranch_scc0 .LBB545_43
	s_branch .LBB545_45
.LBB545_41:
                                        ; implicit-def: $vgpr4_vgpr5
	s_branch .LBB545_10
.LBB545_42:
	s_mov_b32 s11, 0
	v_pk_mov_b32 v[2:3], 0, 0
	s_and_b32 s10, s10, 7
	s_cmp_eq_u32 s10, 0
	s_cbranch_scc1 .LBB545_45
.LBB545_43:
	s_lshl_b32 s11, s11, 3
	s_add_i32 s11, s11, 0
.LBB545_44:                             ; =>This Inner Loop Header: Depth=1
	v_mov_b32_e32 v1, s11
	ds_read_b64 v[4:5], v1
	s_add_i32 s11, s11, 8
	s_add_i32 s10, s10, -1
	s_cmp_lg_u32 s10, 0
	s_waitcnt lgkmcnt(0)
	v_add_f64 v[2:3], v[2:3], v[4:5]
	s_cbranch_scc1 .LBB545_44
.LBB545_45:
	v_mov_b32_e32 v1, 0
	ds_write_b64 v1, v[2:3]
.LBB545_46:
	s_or_b64 exec, exec, s[4:5]
	s_add_u32 s26, s12, s24
	s_addc_u32 s27, s13, s25
	s_add_u32 s28, s14, s24
	s_mov_b32 s31, 0
	s_addc_u32 s29, s15, s25
	s_bfe_u32 s30, s26, 0x10003
	s_bfe_u32 s4, s28, 0x10003
	s_mov_b32 s5, s31
	v_mov_b32_e32 v1, 0
	s_waitcnt lgkmcnt(0)
	s_barrier
	ds_read_b64 v[2:3], v1
	s_cmp_eq_u64 s[30:31], s[4:5]
	s_cselect_b64 s[4:5], -1, 0
	s_cmp_eq_u64 s[30:31], s[8:9]
	s_cselect_b64 s[8:9], -1, 0
	s_and_b64 s[4:5], s[4:5], s[8:9]
	s_andn2_b64 vcc, exec, s[4:5]
	s_mov_b64 s[4:5], -1
	s_cbranch_vccz .LBB545_65
; %bb.47:
	s_and_b64 vcc, exec, s[0:1]
	s_cbranch_vccz .LBB545_56
; %bb.48:
	s_lshl_b32 s33, s7, 1
	v_cvt_f32_u32_e32 v1, s33
	s_sub_i32 s5, 0, s33
	s_mov_b32 s4, 0
	v_rcp_iflag_f32_e32 v1, v1
	v_mul_f32_e32 v1, 0x4f7ffffe, v1
	v_cvt_u32_f32_e32 v4, v1
	v_mov_b32_e32 v1, 0
	v_readfirstlane_b32 s8, v4
	s_mul_i32 s5, s5, s8
	s_mul_hi_u32 s5, s8, s5
	s_add_i32 s8, s8, s5
	s_mul_hi_u32 s5, s18, s8
	s_mul_i32 s5, s5, s33
	s_sub_i32 s5, s18, s5
	s_sub_i32 s8, s5, s33
	s_cmp_ge_u32 s5, s33
	s_cselect_b32 s5, s8, s5
	s_sub_i32 s8, s5, s33
	s_cmp_ge_u32 s5, s33
	s_cselect_b32 s5, s8, s5
	s_bfe_i64 s[34:35], s[18:19], 0x200000
	s_sub_u32 s36, s34, s5
	s_subb_u32 s37, s35, 0
	v_cmp_gt_i64_e32 vcc, s[36:37], v[0:1]
	v_pk_mov_b32 v[4:5], v[0:1], v[0:1] op_sel:[0,1]
	s_and_saveexec_b64 s[38:39], vcc
	s_cbranch_execz .LBB545_52
; %bb.49:
	s_lshl_b32 s48, s7, 4
	s_lshl_b32 s5, s7, 3
	s_add_u32 s5, s24, s5
	s_addc_u32 s8, s25, 0
	s_add_u32 s49, s14, s5
	s_addc_u32 s50, s15, s8
	s_add_u32 s51, s16, s5
	s_addc_u32 s52, s17, s8
	s_add_u32 s53, s12, s5
	v_lshlrev_b64 v[6:7], 3, v[0:1]
	s_addc_u32 s54, s13, s8
	s_mov_b64 s[40:41], 0
	v_mov_b32_e32 v8, s4
	s_mov_b64 s[42:43], s[26:27]
	s_mov_b64 s[44:45], s[20:21]
	;; [unrolled: 1-line block ×3, first 2 shown]
	v_pk_mov_b32 v[4:5], v[0:1], v[0:1] op_sel:[0,1]
.LBB545_50:                             ; =>This Inner Loop Header: Depth=1
	v_mov_b32_e32 v1, s47
	v_mov_b32_e32 v9, s45
	v_add_co_u32_e32 v10, vcc, s44, v6
	v_mov_b32_e32 v13, s50
	v_add_co_u32_e64 v12, s[4:5], s49, v6
	v_mov_b32_e32 v15, s52
	v_add_co_u32_e64 v14, s[8:9], s51, v6
	v_add_co_u32_e64 v16, s[10:11], s46, v6
	v_addc_co_u32_e64 v17, s[10:11], v1, v7, s[10:11]
	v_addc_co_u32_e32 v11, vcc, v9, v7, vcc
	v_addc_co_u32_e64 v13, vcc, v13, v7, s[4:5]
	v_addc_co_u32_e64 v15, vcc, v15, v7, s[8:9]
	global_load_dwordx2 v[16:17], v[16:17], off
	s_nop 0
	global_load_dwordx2 v[10:11], v[10:11], off
	s_nop 0
	global_load_dwordx2 v[12:13], v[12:13], off
	s_nop 0
	global_load_dwordx2 v[14:15], v[14:15], off
	s_add_u32 s46, s46, s48
	s_addc_u32 s47, s47, 0
	s_add_u32 s49, s49, s48
	s_addc_u32 s50, s50, 0
	;; [unrolled: 2-line block ×3, first 2 shown]
	v_add_co_u32_e64 v4, s[4:5], s33, v4
	s_add_u32 s51, s51, s48
	v_addc_co_u32_e64 v5, s[4:5], v5, v8, s[4:5]
	s_addc_u32 s52, s52, 0
	v_add_co_u32_e64 v20, s[4:5], s42, v6
	s_add_u32 s42, s42, s48
	v_mov_b32_e32 v1, s43
	v_mov_b32_e32 v9, s54
	v_add_co_u32_e32 v18, vcc, s53, v6
	s_addc_u32 s43, s43, 0
	v_addc_co_u32_e32 v19, vcc, v9, v7, vcc
	s_add_u32 s53, s53, s48
	v_cmp_le_i64_e32 vcc, s[36:37], v[4:5]
	s_addc_u32 s54, s54, 0
	v_addc_co_u32_e64 v21, s[4:5], v1, v7, s[4:5]
	s_or_b64 s[40:41], vcc, s[40:41]
	s_waitcnt vmcnt(2) lgkmcnt(0)
	v_fma_f64 v[10:11], -v[2:3], v[16:17], v[10:11]
	s_waitcnt vmcnt(0)
	v_fma_f64 v[12:13], -v[2:3], v[12:13], v[14:15]
	global_store_dwordx2 v[20:21], v[10:11], off
	global_store_dwordx2 v[18:19], v[12:13], off
	s_andn2_b64 exec, exec, s[40:41]
	s_cbranch_execnz .LBB545_50
; %bb.51:
	s_or_b64 exec, exec, s[40:41]
.LBB545_52:
	s_or_b64 exec, exec, s[38:39]
	v_cmp_gt_i64_e32 vcc, s[34:35], v[4:5]
	s_and_saveexec_b64 s[4:5], vcc
	s_cbranch_execz .LBB545_55
; %bb.53:
	v_lshlrev_b64 v[6:7], 3, v[4:5]
	s_mov_b32 s11, 0
	v_mov_b32_e32 v1, s25
	v_add_co_u32_e32 v6, vcc, s24, v6
	v_addc_co_u32_e32 v1, vcc, v1, v7, vcc
	s_lshl_b32 s10, s7, 3
	s_mov_b64 s[8:9], 0
	v_mov_b32_e32 v7, s17
	v_mov_b32_e32 v8, s15
	;; [unrolled: 1-line block ×5, first 2 shown]
.LBB545_54:                             ; =>This Inner Loop Header: Depth=1
	v_add_co_u32_e32 v12, vcc, s16, v6
	v_addc_co_u32_e32 v13, vcc, v7, v1, vcc
	v_add_co_u32_e32 v14, vcc, s14, v6
	v_addc_co_u32_e32 v15, vcc, v8, v1, vcc
	global_load_dwordx2 v[16:17], v[12:13], off
	global_load_dwordx2 v[18:19], v[14:15], off
	v_add_co_u32_e32 v12, vcc, s12, v6
	v_addc_co_u32_e32 v13, vcc, v9, v1, vcc
	v_add_co_u32_e32 v4, vcc, s7, v4
	v_addc_co_u32_e32 v5, vcc, v5, v10, vcc
	;; [unrolled: 2-line block ×3, first 2 shown]
	v_cmp_le_i64_e32 vcc, s[34:35], v[4:5]
	s_or_b64 s[8:9], vcc, s[8:9]
	s_waitcnt vmcnt(0) lgkmcnt(0)
	v_fma_f64 v[14:15], -v[2:3], v[18:19], v[16:17]
	global_store_dwordx2 v[12:13], v[14:15], off
	s_andn2_b64 exec, exec, s[8:9]
	s_cbranch_execnz .LBB545_54
.LBB545_55:
	s_or_b64 exec, exec, s[4:5]
	s_mov_b64 s[4:5], 0
.LBB545_56:
	s_and_b64 vcc, exec, s[4:5]
	s_cbranch_vccz .LBB545_92
; %bb.57:
	s_lshl_b32 s4, s7, 1
	v_cvt_f32_u32_e32 v1, s4
	s_sub_i32 s5, 0, s4
	v_mov_b32_e32 v4, v0
	v_rcp_iflag_f32_e32 v1, v1
	v_mul_f32_e32 v1, 0x4f7ffffe, v1
	v_cvt_u32_f32_e32 v1, v1
	v_readfirstlane_b32 s8, v1
	s_mul_i32 s5, s5, s8
	s_mul_hi_u32 s5, s8, s5
	s_add_i32 s8, s8, s5
	s_mul_hi_u32 s5, s18, s8
	s_mul_i32 s5, s5, s4
	s_sub_i32 s5, s18, s5
	s_sub_i32 s8, s5, s4
	s_cmp_ge_u32 s5, s4
	s_cselect_b32 s5, s8, s5
	s_sub_i32 s8, s5, s4
	s_cmp_ge_u32 s5, s4
	s_cselect_b32 s4, s8, s5
	s_sub_i32 s10, s18, s4
	v_cmp_gt_i32_e32 vcc, s10, v0
	s_and_saveexec_b64 s[4:5], vcc
	s_cbranch_execz .LBB545_61
; %bb.58:
	s_mov_b64 s[8:9], 0
	v_mov_b32_e32 v1, s29
	v_mov_b32_e32 v6, s21
	;; [unrolled: 1-line block ×5, first 2 shown]
.LBB545_59:                             ; =>This Inner Loop Header: Depth=1
	v_lshlrev_b64 v[8:9], 3, v[4:5]
	v_add_co_u32_e32 v10, vcc, s28, v8
	v_addc_co_u32_e32 v11, vcc, v1, v9, vcc
	v_add_u32_e32 v4, s7, v4
	v_add_co_u32_e32 v12, vcc, s20, v8
	v_addc_co_u32_e32 v13, vcc, v6, v9, vcc
	v_lshlrev_b64 v[14:15], 3, v[4:5]
	global_load_dwordx2 v[16:17], v[10:11], off
	global_load_dwordx2 v[18:19], v[12:13], off
	v_add_co_u32_e32 v10, vcc, s28, v14
	v_addc_co_u32_e32 v11, vcc, v1, v15, vcc
	v_add_co_u32_e32 v12, vcc, s20, v14
	v_addc_co_u32_e32 v13, vcc, v6, v15, vcc
	global_load_dwordx2 v[20:21], v[10:11], off
	global_load_dwordx2 v[22:23], v[12:13], off
	v_add_co_u32_e32 v8, vcc, s26, v8
	v_addc_co_u32_e32 v9, vcc, v7, v9, vcc
	v_add_co_u32_e32 v10, vcc, s26, v14
	v_add_u32_e32 v4, s7, v4
	v_addc_co_u32_e32 v11, vcc, v7, v15, vcc
	v_cmp_le_i32_e32 vcc, s10, v4
	s_or_b64 s[8:9], vcc, s[8:9]
	s_waitcnt vmcnt(2) lgkmcnt(0)
	v_fma_f64 v[12:13], -v[2:3], v[16:17], v[18:19]
	global_store_dwordx2 v[8:9], v[12:13], off
	s_waitcnt vmcnt(1)
	v_fma_f64 v[8:9], -v[2:3], v[20:21], v[22:23]
	global_store_dwordx2 v[10:11], v[8:9], off
	s_andn2_b64 exec, exec, s[8:9]
	s_cbranch_execnz .LBB545_59
; %bb.60:
	s_or_b64 exec, exec, s[8:9]
.LBB545_61:
	s_or_b64 exec, exec, s[4:5]
	v_cmp_gt_i32_e32 vcc, s18, v4
	s_and_saveexec_b64 s[4:5], vcc
	s_cbranch_execz .LBB545_64
; %bb.62:
	s_mov_b64 s[8:9], 0
	v_mov_b32_e32 v1, s21
	v_mov_b32_e32 v6, s29
	;; [unrolled: 1-line block ×3, first 2 shown]
.LBB545_63:                             ; =>This Inner Loop Header: Depth=1
	v_ashrrev_i32_e32 v5, 31, v4
	v_lshlrev_b64 v[8:9], 3, v[4:5]
	v_add_co_u32_e32 v10, vcc, s20, v8
	v_addc_co_u32_e32 v11, vcc, v1, v9, vcc
	v_add_co_u32_e32 v12, vcc, s28, v8
	v_addc_co_u32_e32 v13, vcc, v6, v9, vcc
	global_load_dwordx2 v[10:11], v[10:11], off
	v_add_co_u32_e32 v8, vcc, s26, v8
	global_load_dwordx2 v[12:13], v[12:13], off
	v_add_u32_e32 v4, s7, v4
	v_addc_co_u32_e32 v9, vcc, v7, v9, vcc
	v_cmp_le_i32_e32 vcc, s18, v4
	s_or_b64 s[8:9], vcc, s[8:9]
	s_waitcnt vmcnt(0) lgkmcnt(0)
	v_fma_f64 v[10:11], -v[2:3], v[12:13], v[10:11]
	global_store_dwordx2 v[8:9], v[10:11], off
	s_andn2_b64 exec, exec, s[8:9]
	s_cbranch_execnz .LBB545_63
.LBB545_64:
	s_or_b64 exec, exec, s[4:5]
	s_mov_b64 s[4:5], 0
.LBB545_65:
	s_andn2_b64 vcc, exec, s[4:5]
	s_cbranch_vccnz .LBB545_93
.LBB545_66:
	s_cmp_lg_u64 s[30:31], 0
	s_cselect_b64 s[8:9], -1, 0
	v_cndmask_b32_e64 v1, 0, 1, s[8:9]
	s_mov_b64 s[4:5], -1
	s_and_b64 vcc, exec, s[0:1]
	v_cmp_ne_u32_e64 s[0:1], 1, v1
	s_cbranch_vccz .LBB545_81
; %bb.67:
	v_mov_b32_e32 v1, 0
	s_and_b64 vcc, exec, s[0:1]
	s_mov_b64 s[4:5], s[18:19]
	s_mov_b64 s[8:9], s[26:27]
	;; [unrolled: 1-line block ×4, first 2 shown]
	s_cbranch_vccnz .LBB545_71
; %bb.68:
	s_and_saveexec_b64 s[4:5], s[2:3]
	s_cbranch_execz .LBB545_70
; %bb.69:
	v_lshlrev_b64 v[4:5], 3, v[0:1]
	v_mov_b32_e32 v7, s21
	v_add_co_u32_e32 v6, vcc, s20, v4
	v_addc_co_u32_e32 v7, vcc, v7, v5, vcc
	v_mov_b32_e32 v9, s29
	v_add_co_u32_e32 v8, vcc, s28, v4
	v_addc_co_u32_e32 v9, vcc, v9, v5, vcc
	global_load_dwordx2 v[6:7], v[6:7], off offset:-8
	v_mov_b32_e32 v10, s27
	global_load_dwordx2 v[8:9], v[8:9], off offset:-8
	v_add_co_u32_e32 v4, vcc, s26, v4
	v_addc_co_u32_e32 v5, vcc, v10, v5, vcc
	s_waitcnt vmcnt(0) lgkmcnt(0)
	v_fma_f64 v[6:7], -v[2:3], v[8:9], v[6:7]
	global_store_dwordx2 v[4:5], v[6:7], off offset:-8
.LBB545_70:
	s_or_b64 exec, exec, s[4:5]
	s_sub_u32 s4, s18, s7
	s_subb_u32 s5, s19, 0
	s_add_u32 s4, s4, 1
	s_addc_u32 s5, s5, 0
	s_lshl_b32 s12, s7, 3
	s_add_u32 s8, s26, s12
	s_addc_u32 s9, s27, 0
	s_add_u32 s8, s8, -8
	s_addc_u32 s9, s9, -1
	s_add_u32 s10, s28, s12
	s_addc_u32 s11, s29, 0
	s_add_u32 s10, s10, -8
	s_addc_u32 s11, s11, -1
	s_add_u32 s12, s20, s12
	s_addc_u32 s13, s21, 0
	s_add_u32 s12, s12, -8
	s_addc_u32 s13, s13, -1
.LBB545_71:
	s_load_dword s14, s[22:23], 0x0
	v_mov_b32_e32 v4, 0
	s_waitcnt lgkmcnt(0)
	s_cmp_lt_u32 s6, s14
	s_cselect_b32 s14, 12, 18
	s_add_u32 s14, s22, s14
	s_addc_u32 s15, s23, 0
	global_load_ushort v6, v4, s[14:15]
	s_mov_b32 s14, 0
	s_waitcnt vmcnt(0)
	v_readfirstlane_b32 s15, v6
	s_and_b32 s15, 0xffff, s15
	s_lshl_b32 s16, s15, 1
	s_mov_b32 s15, s5
	s_cmp_lg_u64 s[14:15], 0
	s_cbranch_scc0 .LBB545_94
; %bb.72:
	v_cvt_f32_u32_e32 v4, s16
	v_mov_b32_e32 v5, 0x4f800000
	s_sub_u32 s17, 0, s16
	s_subb_u32 s19, 0, 0
	v_mac_f32_e32 v4, 0, v5
	v_rcp_f32_e32 v4, v4
	v_mul_f32_e32 v4, 0x5f7ffffc, v4
	v_mul_f32_e32 v5, 0x2f800000, v4
	v_trunc_f32_e32 v5, v5
	v_madmk_f32 v4, v5, 0xcf800000, v4
	v_cvt_u32_f32_e32 v5, v5
	v_cvt_u32_f32_e32 v4, v4
	v_readfirstlane_b32 s24, v5
	v_readfirstlane_b32 s25, v4
	s_mul_i32 s30, s17, s24
	s_mul_hi_u32 s33, s17, s25
	s_mul_i32 s31, s19, s25
	s_add_i32 s30, s33, s30
	s_add_i32 s30, s30, s31
	s_mul_i32 s34, s17, s25
	s_mul_hi_u32 s31, s25, s30
	s_mul_i32 s33, s25, s30
	s_mul_hi_u32 s25, s25, s34
	s_add_u32 s25, s25, s33
	s_addc_u32 s31, 0, s31
	s_mul_hi_u32 s35, s24, s34
	s_mul_i32 s34, s24, s34
	s_add_u32 s25, s25, s34
	s_mul_hi_u32 s33, s24, s30
	s_addc_u32 s25, s31, s35
	s_addc_u32 s31, s33, 0
	s_mul_i32 s30, s24, s30
	s_add_u32 s25, s25, s30
	s_addc_u32 s30, 0, s31
	v_add_co_u32_e32 v4, vcc, s25, v4
	s_cmp_lg_u64 vcc, 0
	s_addc_u32 s24, s24, s30
	v_readfirstlane_b32 s30, v4
	s_mul_i32 s25, s17, s24
	s_mul_hi_u32 s31, s17, s30
	s_add_i32 s25, s31, s25
	s_mul_i32 s19, s19, s30
	s_add_i32 s25, s25, s19
	s_mul_i32 s17, s17, s30
	s_mul_hi_u32 s31, s24, s17
	s_mul_i32 s33, s24, s17
	s_mul_i32 s35, s30, s25
	s_mul_hi_u32 s17, s30, s17
	s_mul_hi_u32 s34, s30, s25
	s_add_u32 s17, s17, s35
	s_addc_u32 s30, 0, s34
	s_add_u32 s17, s17, s33
	s_mul_hi_u32 s19, s24, s25
	s_addc_u32 s17, s30, s31
	s_addc_u32 s19, s19, 0
	s_mul_i32 s25, s24, s25
	s_add_u32 s17, s17, s25
	s_addc_u32 s19, 0, s19
	v_add_co_u32_e32 v4, vcc, s17, v4
	s_cmp_lg_u64 vcc, 0
	s_addc_u32 s17, s24, s19
	v_readfirstlane_b32 s25, v4
	s_mul_i32 s24, s4, s17
	s_mul_hi_u32 s30, s4, s25
	s_mul_hi_u32 s19, s4, s17
	s_add_u32 s24, s30, s24
	s_addc_u32 s19, 0, s19
	s_mul_hi_u32 s31, s5, s25
	s_mul_i32 s25, s5, s25
	s_add_u32 s24, s24, s25
	s_mul_hi_u32 s30, s5, s17
	s_addc_u32 s19, s19, s31
	s_addc_u32 s24, s30, 0
	s_mul_i32 s17, s5, s17
	s_add_u32 s17, s19, s17
	s_addc_u32 s19, 0, s24
	s_mul_hi_u32 s24, s16, s17
	s_mul_i32 s17, s16, s17
	s_mul_i32 s19, s16, s19
	v_mov_b32_e32 v4, s17
	s_add_i32 s24, s24, s19
	v_sub_co_u32_e32 v4, vcc, s4, v4
	s_cmp_lg_u64 vcc, 0
	s_subb_u32 s17, s5, s24
	v_subrev_co_u32_e32 v5, vcc, s16, v4
	s_cmp_lg_u64 vcc, 0
	s_subb_u32 s19, s17, 0
	v_subrev_co_u32_e32 v7, vcc, s16, v5
	s_cmp_lg_u64 vcc, 0
	s_subb_u32 s24, s19, 0
	v_cmp_le_u32_e32 vcc, s16, v5
	s_cmp_eq_u32 s19, 0
	v_cndmask_b32_e64 v8, 0, -1, vcc
	s_cselect_b64 vcc, -1, 0
	v_cndmask_b32_e32 v8, -1, v8, vcc
	v_mov_b32_e32 v9, s19
	v_mov_b32_e32 v10, s24
	v_cmp_ne_u32_e32 vcc, 0, v8
	v_cndmask_b32_e32 v8, v9, v10, vcc
	v_cndmask_b32_e32 v7, v5, v7, vcc
	v_cmp_le_u32_e32 vcc, s16, v4
	s_cmp_eq_u32 s17, 0
	v_cndmask_b32_e64 v5, 0, -1, vcc
	s_cselect_b64 vcc, -1, 0
	v_cndmask_b32_e32 v5, -1, v5, vcc
	v_mov_b32_e32 v9, s17
	v_cmp_ne_u32_e32 vcc, 0, v5
	v_cndmask_b32_e32 v5, v9, v8, vcc
	v_cndmask_b32_e32 v4, v4, v7, vcc
	v_and_b32_e32 v10, 0xffff, v6
	s_cbranch_execnz .LBB545_74
.LBB545_73:
	v_cvt_f32_u32_e32 v4, s16
	s_sub_i32 s14, 0, s16
	v_rcp_iflag_f32_e32 v4, v4
	v_mul_f32_e32 v4, 0x4f7ffffe, v4
	v_cvt_u32_f32_e32 v4, v4
	v_mul_lo_u32 v5, s14, v4
	v_mul_hi_u32 v5, v4, v5
	v_add_u32_e32 v4, v4, v5
	v_mul_hi_u32 v4, s4, v4
	v_mul_lo_u32 v4, v4, s16
	v_sub_u32_e32 v4, s4, v4
	v_subrev_u32_e32 v5, s16, v4
	v_cmp_le_u32_e32 vcc, s16, v4
	v_cndmask_b32_e32 v4, v4, v5, vcc
	v_subrev_u32_e32 v5, s16, v4
	v_cmp_le_u32_e32 vcc, s16, v4
	v_cndmask_b32_e32 v4, v4, v5, vcc
	v_mov_b32_e32 v5, 0
.LBB545_74:
	v_mov_b32_e32 v6, s5
	v_sub_co_u32_e32 v4, vcc, s4, v4
	v_subb_co_u32_e32 v5, vcc, v6, v5, vcc
	v_lshlrev_b64 v[6:7], 1, v[0:1]
	v_cmp_lt_u64_e32 vcc, v[6:7], v[4:5]
	s_and_saveexec_b64 s[14:15], vcc
	s_cbranch_execz .LBB545_77
; %bb.75:
	v_lshlrev_b64 v[6:7], 4, v[0:1]
	v_or_b32_e32 v6, 8, v6
	v_lshlrev_b32_e32 v11, 4, v10
	s_mov_b64 s[16:17], 0
	v_mov_b32_e32 v12, s11
	v_mov_b32_e32 v13, s13
	;; [unrolled: 1-line block ×3, first 2 shown]
	v_pk_mov_b32 v[8:9], v[0:1], v[0:1] op_sel:[0,1]
.LBB545_76:                             ; =>This Inner Loop Header: Depth=1
	v_add_co_u32_e32 v24, vcc, s10, v6
	v_addc_co_u32_e32 v25, vcc, v12, v7, vcc
	v_add_co_u32_e32 v26, vcc, s12, v6
	v_addc_co_u32_e32 v27, vcc, v13, v7, vcc
	global_load_dwordx4 v[16:19], v[24:25], off offset:-8
	global_load_dwordx4 v[20:23], v[26:27], off offset:-8
	v_add_co_u32_e32 v24, vcc, s8, v6
	v_addc_co_u32_e32 v25, vcc, v14, v7, vcc
	v_add_co_u32_e32 v8, vcc, v8, v10
	v_addc_co_u32_e32 v9, vcc, 0, v9, vcc
	v_add_co_u32_e32 v6, vcc, v6, v11
	v_addc_co_u32_e32 v7, vcc, 0, v7, vcc
	v_lshlrev_b64 v[26:27], 1, v[8:9]
	v_cmp_ge_i64_e32 vcc, v[26:27], v[4:5]
	s_or_b64 s[16:17], vcc, s[16:17]
	s_waitcnt vmcnt(0)
	v_fma_f64 v[16:17], -v[2:3], v[16:17], v[20:21]
	v_fma_f64 v[18:19], -v[2:3], v[18:19], v[22:23]
	global_store_dwordx4 v[24:25], v[16:19], off offset:-8
	s_andn2_b64 exec, exec, s[16:17]
	s_cbranch_execnz .LBB545_76
.LBB545_77:
	s_or_b64 exec, exec, s[14:15]
	v_add_co_u32_e32 v4, vcc, v4, v0
	v_addc_co_u32_e32 v5, vcc, 0, v5, vcc
	v_cmp_gt_i64_e32 vcc, s[4:5], v[4:5]
	s_and_saveexec_b64 s[14:15], vcc
	s_cbranch_execz .LBB545_80
; %bb.78:
	s_mov_b64 s[16:17], 0
	v_mov_b32_e32 v1, s13
	v_mov_b32_e32 v6, s11
	;; [unrolled: 1-line block ×3, first 2 shown]
.LBB545_79:                             ; =>This Inner Loop Header: Depth=1
	v_lshlrev_b64 v[8:9], 3, v[4:5]
	v_add_co_u32_e32 v12, vcc, s12, v8
	v_addc_co_u32_e32 v13, vcc, v1, v9, vcc
	v_add_co_u32_e32 v14, vcc, s10, v8
	v_addc_co_u32_e32 v15, vcc, v6, v9, vcc
	global_load_dwordx2 v[16:17], v[12:13], off
	global_load_dwordx2 v[18:19], v[14:15], off
	v_add_co_u32_e32 v4, vcc, v4, v10
	v_addc_co_u32_e32 v5, vcc, 0, v5, vcc
	v_add_co_u32_e32 v8, vcc, s8, v8
	v_addc_co_u32_e32 v9, vcc, v7, v9, vcc
	v_cmp_le_i64_e32 vcc, s[4:5], v[4:5]
	s_or_b64 s[16:17], vcc, s[16:17]
	s_waitcnt vmcnt(0)
	v_fma_f64 v[12:13], -v[2:3], v[18:19], v[16:17]
	global_store_dwordx2 v[8:9], v[12:13], off
	s_andn2_b64 exec, exec, s[16:17]
	s_cbranch_execnz .LBB545_79
.LBB545_80:
	s_or_b64 exec, exec, s[14:15]
	s_mov_b64 s[4:5], 0
.LBB545_81:
	s_and_b64 vcc, exec, s[4:5]
	s_cbranch_vccz .LBB545_93
; %bb.82:
	s_and_b64 vcc, exec, s[0:1]
	s_cbranch_vccnz .LBB545_86
; %bb.83:
	s_and_saveexec_b64 s[0:1], s[2:3]
	s_cbranch_execz .LBB545_85
; %bb.84:
	v_mov_b32_e32 v1, 0
	v_lshlrev_b64 v[4:5], 3, v[0:1]
	v_mov_b32_e32 v1, s21
	v_add_co_u32_e32 v6, vcc, s20, v4
	v_addc_co_u32_e32 v7, vcc, v1, v5, vcc
	v_mov_b32_e32 v1, s29
	v_add_co_u32_e32 v8, vcc, s28, v4
	v_addc_co_u32_e32 v9, vcc, v1, v5, vcc
	global_load_dwordx2 v[6:7], v[6:7], off offset:-8
	v_mov_b32_e32 v1, s27
	global_load_dwordx2 v[8:9], v[8:9], off offset:-8
	v_add_co_u32_e32 v4, vcc, s26, v4
	v_addc_co_u32_e32 v5, vcc, v1, v5, vcc
	s_waitcnt vmcnt(0) lgkmcnt(0)
	v_fma_f64 v[6:7], -v[2:3], v[8:9], v[6:7]
	global_store_dwordx2 v[4:5], v[6:7], off offset:-8
.LBB545_85:
	s_or_b64 exec, exec, s[0:1]
	s_add_i32 s0, s18, 1
	v_mov_b32_e32 v1, s7
	v_sub_u32_e64 v1, s0, v1 clamp
	s_lshl_b32 s0, s7, 3
	s_add_u32 s1, s26, s0
	s_addc_u32 s2, s27, 0
	s_add_u32 s26, s1, -8
	s_addc_u32 s27, s2, -1
	s_add_u32 s1, s28, s0
	s_addc_u32 s2, s29, 0
	s_add_u32 s28, s1, -8
	s_addc_u32 s29, s2, -1
	s_add_u32 s0, s20, s0
	s_addc_u32 s1, s21, 0
	s_add_u32 s20, s0, -8
	v_readfirstlane_b32 s18, v1
	s_addc_u32 s21, s1, -1
.LBB545_86:
	s_load_dword s0, s[22:23], 0x0
	v_mov_b32_e32 v1, 0
	s_waitcnt lgkmcnt(0)
	s_cmp_lt_u32 s6, s0
	s_cselect_b32 s0, 12, 18
	s_add_u32 s0, s22, s0
	s_addc_u32 s1, s23, 0
	global_load_ushort v6, v1, s[0:1]
	s_waitcnt vmcnt(0)
	v_readfirstlane_b32 s0, v6
	s_lshl_b32 s0, s0, 1
	v_cvt_f32_u32_e32 v1, s0
	s_sub_i32 s1, 0, s0
	v_rcp_iflag_f32_e32 v1, v1
	v_mul_f32_e32 v1, 0x4f7ffffe, v1
	v_cvt_u32_f32_e32 v1, v1
	v_readfirstlane_b32 s2, v1
	s_mul_i32 s1, s1, s2
	s_mul_hi_u32 s1, s2, s1
	s_add_i32 s2, s2, s1
	s_mul_hi_u32 s1, s18, s2
	s_mul_i32 s1, s1, s0
	s_sub_i32 s1, s18, s1
	s_sub_i32 s2, s1, s0
	s_cmp_ge_u32 s1, s0
	s_cselect_b32 s1, s2, s1
	s_sub_i32 s2, s1, s0
	s_cmp_ge_u32 s1, s0
	s_cselect_b32 s0, s2, s1
	s_sub_i32 s4, s18, s0
	v_lshlrev_b32_e32 v1, 1, v0
	v_cmp_gt_i32_e32 vcc, s4, v1
	s_and_saveexec_b64 s[0:1], vcc
	s_cbranch_execz .LBB545_89
; %bb.87:
	s_mov_b64 s[2:3], 0
	v_mov_b32_e32 v1, s29
	v_mov_b32_e32 v7, s21
	;; [unrolled: 1-line block ×4, first 2 shown]
.LBB545_88:                             ; =>This Inner Loop Header: Depth=1
	v_ashrrev_i32_e32 v5, 31, v4
	v_lshlrev_b64 v[18:19], 4, v[4:5]
	v_add_co_u32_e32 v10, vcc, s28, v18
	v_addc_co_u32_e32 v11, vcc, v1, v19, vcc
	v_add_co_u32_e32 v14, vcc, s20, v18
	v_addc_co_u32_e32 v15, vcc, v7, v19, vcc
	global_load_dwordx4 v[10:13], v[10:11], off
	v_add_u32_e32 v4, v4, v6
	global_load_dwordx4 v[14:17], v[14:15], off
	v_add_co_u32_e32 v18, vcc, s26, v18
	v_addc_co_u32_e32 v19, vcc, v8, v19, vcc
	v_lshlrev_b32_e32 v5, 1, v4
	v_cmp_le_i32_e32 vcc, s4, v5
	s_or_b64 s[2:3], vcc, s[2:3]
	s_waitcnt vmcnt(0)
	v_fma_f64 v[10:11], -v[2:3], v[10:11], v[14:15]
	v_fma_f64 v[12:13], -v[2:3], v[12:13], v[16:17]
	global_store_dwordx4 v[18:19], v[10:13], off
	s_andn2_b64 exec, exec, s[2:3]
	s_cbranch_execnz .LBB545_88
.LBB545_89:
	s_or_b64 exec, exec, s[0:1]
	v_add_u32_e32 v0, s4, v0
	v_cmp_gt_i32_e32 vcc, s18, v0
	s_and_saveexec_b64 s[0:1], vcc
	s_cbranch_execz .LBB545_93
; %bb.90:
	s_mov_b64 s[0:1], 0
	v_mov_b32_e32 v4, s21
	v_mov_b32_e32 v5, s29
	v_mov_b32_e32 v7, s27
.LBB545_91:                             ; =>This Inner Loop Header: Depth=1
	v_ashrrev_i32_e32 v1, 31, v0
	v_lshlrev_b64 v[8:9], 3, v[0:1]
	v_add_co_u32_e32 v10, vcc, s20, v8
	v_addc_co_u32_e32 v11, vcc, v4, v9, vcc
	v_add_co_u32_e32 v12, vcc, s28, v8
	v_addc_co_u32_e32 v13, vcc, v5, v9, vcc
	global_load_dwordx2 v[10:11], v[10:11], off
	v_add_co_u32_e32 v8, vcc, s26, v8
	global_load_dwordx2 v[12:13], v[12:13], off
	v_add_u32_e32 v0, v0, v6
	v_addc_co_u32_e32 v9, vcc, v7, v9, vcc
	v_cmp_le_i32_e32 vcc, s18, v0
	s_or_b64 s[0:1], vcc, s[0:1]
	s_waitcnt vmcnt(0)
	v_fma_f64 v[10:11], -v[2:3], v[12:13], v[10:11]
	global_store_dwordx2 v[8:9], v[10:11], off
	s_andn2_b64 exec, exec, s[0:1]
	s_cbranch_execnz .LBB545_91
	s_branch .LBB545_93
.LBB545_92:
	s_cbranch_execz .LBB545_66
.LBB545_93:
	s_endpgm
.LBB545_94:
                                        ; implicit-def: $vgpr4_vgpr5
	v_and_b32_e32 v10, 0xffff, v6
	s_branch .LBB545_73
	.section	.rodata,"a",@progbits
	.p2align	6, 0x0
	.amdhsa_kernel _ZN2at6native12_GLOBAL__N_120cunn_SoftMaxBackwardILi2EdddNS1_23SoftMaxBackwardEpilogueEEEvPT0_PKT2_S8_l
		.amdhsa_group_segment_fixed_size 0
		.amdhsa_private_segment_fixed_size 0
		.amdhsa_kernarg_size 288
		.amdhsa_user_sgpr_count 6
		.amdhsa_user_sgpr_private_segment_buffer 1
		.amdhsa_user_sgpr_dispatch_ptr 0
		.amdhsa_user_sgpr_queue_ptr 0
		.amdhsa_user_sgpr_kernarg_segment_ptr 1
		.amdhsa_user_sgpr_dispatch_id 0
		.amdhsa_user_sgpr_flat_scratch_init 0
		.amdhsa_user_sgpr_kernarg_preload_length 0
		.amdhsa_user_sgpr_kernarg_preload_offset 0
		.amdhsa_user_sgpr_private_segment_size 0
		.amdhsa_uses_dynamic_stack 0
		.amdhsa_system_sgpr_private_segment_wavefront_offset 0
		.amdhsa_system_sgpr_workgroup_id_x 1
		.amdhsa_system_sgpr_workgroup_id_y 0
		.amdhsa_system_sgpr_workgroup_id_z 0
		.amdhsa_system_sgpr_workgroup_info 0
		.amdhsa_system_vgpr_workitem_id 0
		.amdhsa_next_free_vgpr 28
		.amdhsa_next_free_sgpr 55
		.amdhsa_accum_offset 28
		.amdhsa_reserve_vcc 1
		.amdhsa_reserve_flat_scratch 0
		.amdhsa_float_round_mode_32 0
		.amdhsa_float_round_mode_16_64 0
		.amdhsa_float_denorm_mode_32 3
		.amdhsa_float_denorm_mode_16_64 3
		.amdhsa_dx10_clamp 1
		.amdhsa_ieee_mode 1
		.amdhsa_fp16_overflow 0
		.amdhsa_tg_split 0
		.amdhsa_exception_fp_ieee_invalid_op 0
		.amdhsa_exception_fp_denorm_src 0
		.amdhsa_exception_fp_ieee_div_zero 0
		.amdhsa_exception_fp_ieee_overflow 0
		.amdhsa_exception_fp_ieee_underflow 0
		.amdhsa_exception_fp_ieee_inexact 0
		.amdhsa_exception_int_div_zero 0
	.end_amdhsa_kernel
	.section	.text._ZN2at6native12_GLOBAL__N_120cunn_SoftMaxBackwardILi2EdddNS1_23SoftMaxBackwardEpilogueEEEvPT0_PKT2_S8_l,"axG",@progbits,_ZN2at6native12_GLOBAL__N_120cunn_SoftMaxBackwardILi2EdddNS1_23SoftMaxBackwardEpilogueEEEvPT0_PKT2_S8_l,comdat
.Lfunc_end545:
	.size	_ZN2at6native12_GLOBAL__N_120cunn_SoftMaxBackwardILi2EdddNS1_23SoftMaxBackwardEpilogueEEEvPT0_PKT2_S8_l, .Lfunc_end545-_ZN2at6native12_GLOBAL__N_120cunn_SoftMaxBackwardILi2EdddNS1_23SoftMaxBackwardEpilogueEEEvPT0_PKT2_S8_l
                                        ; -- End function
	.section	.AMDGPU.csdata,"",@progbits
; Kernel info:
; codeLenInByte = 5924
; NumSgprs: 59
; NumVgprs: 28
; NumAgprs: 0
; TotalNumVgprs: 28
; ScratchSize: 0
; MemoryBound: 0
; FloatMode: 240
; IeeeMode: 1
; LDSByteSize: 0 bytes/workgroup (compile time only)
; SGPRBlocks: 7
; VGPRBlocks: 3
; NumSGPRsForWavesPerEU: 59
; NumVGPRsForWavesPerEU: 28
; AccumOffset: 28
; Occupancy: 8
; WaveLimiterHint : 0
; COMPUTE_PGM_RSRC2:SCRATCH_EN: 0
; COMPUTE_PGM_RSRC2:USER_SGPR: 6
; COMPUTE_PGM_RSRC2:TRAP_HANDLER: 0
; COMPUTE_PGM_RSRC2:TGID_X_EN: 1
; COMPUTE_PGM_RSRC2:TGID_Y_EN: 0
; COMPUTE_PGM_RSRC2:TGID_Z_EN: 0
; COMPUTE_PGM_RSRC2:TIDIG_COMP_CNT: 0
; COMPUTE_PGM_RSRC3_GFX90A:ACCUM_OFFSET: 6
; COMPUTE_PGM_RSRC3_GFX90A:TG_SPLIT: 0
	.section	.text._ZN12_GLOBAL__N_121softmax_warp_backwardIfffLi0ELb0ELb0ELi64EEEvPT0_PKT_S5_iiiPKb,"axG",@progbits,_ZN12_GLOBAL__N_121softmax_warp_backwardIfffLi0ELb0ELb0ELi64EEEvPT0_PKT_S5_iiiPKb,comdat
	.globl	_ZN12_GLOBAL__N_121softmax_warp_backwardIfffLi0ELb0ELb0ELi64EEEvPT0_PKT_S5_iiiPKb ; -- Begin function _ZN12_GLOBAL__N_121softmax_warp_backwardIfffLi0ELb0ELb0ELi64EEEvPT0_PKT_S5_iiiPKb
	.p2align	8
	.type	_ZN12_GLOBAL__N_121softmax_warp_backwardIfffLi0ELb0ELb0ELi64EEEvPT0_PKT_S5_iiiPKb,@function
_ZN12_GLOBAL__N_121softmax_warp_backwardIfffLi0ELb0ELb0ELi64EEEvPT0_PKT_S5_iiiPKb: ; @_ZN12_GLOBAL__N_121softmax_warp_backwardIfffLi0ELb0ELb0ELi64EEEvPT0_PKT_S5_iiiPKb
; %bb.0:
	s_load_dword s2, s[4:5], 0x3c
	s_load_dwordx4 s[8:11], s[4:5], 0x18
	s_load_dwordx4 s[12:15], s[4:5], 0x0
	s_load_dwordx2 s[0:1], s[4:5], 0x10
	v_bfe_u32 v0, v0, 10, 10
	s_waitcnt lgkmcnt(0)
	s_lshr_b32 s2, s2, 16
	s_mul_i32 s6, s6, s2
	v_add_lshl_u32 v0, s6, v0, 1
	v_sub_u32_e32 v6, s8, v0
	v_mul_lo_u32 v0, v0, s9
	v_ashrrev_i32_e32 v1, 31, v0
	v_lshlrev_b64 v[0:1], 2, v[0:1]
	v_mov_b32_e32 v3, s15
	v_add_co_u32_e32 v2, vcc, s14, v0
	v_addc_co_u32_e32 v3, vcc, v3, v1, vcc
	v_mov_b32_e32 v5, s1
	v_add_co_u32_e32 v4, vcc, s0, v0
	v_addc_co_u32_e32 v5, vcc, v5, v1, vcc
	s_cmp_gt_i32 s10, 0
	s_cselect_b64 s[2:3], -1, 0
	v_cmp_lt_i32_e32 vcc, 0, v6
	s_and_b64 s[4:5], s[2:3], vcc
	v_mov_b32_e32 v7, 0
	v_mov_b32_e32 v8, 0
	;; [unrolled: 1-line block ×3, first 2 shown]
	s_and_saveexec_b64 s[0:1], s[4:5]
	s_cbranch_execz .LBB546_2
; %bb.1:
	global_load_dword v8, v[2:3], off
	global_load_dword v9, v[4:5], off
.LBB546_2:
	s_or_b64 exec, exec, s[0:1]
	v_cmp_lt_i32_e64 s[0:1], 1, v6
	s_and_b64 s[0:1], s[2:3], s[0:1]
	s_mov_b32 s11, 0
	v_mov_b32_e32 v10, 0
	s_and_saveexec_b64 s[4:5], s[0:1]
	s_cbranch_execz .LBB546_4
; %bb.3:
	s_lshl_b64 s[6:7], s[10:11], 2
	v_mov_b32_e32 v10, s7
	v_add_co_u32_e64 v2, s[0:1], s6, v2
	v_addc_co_u32_e64 v3, s[0:1], v3, v10, s[0:1]
	global_load_dword v7, v[2:3], off
	v_add_co_u32_e64 v2, s[0:1], s6, v4
	v_addc_co_u32_e64 v3, s[0:1], v5, v10, s[0:1]
	global_load_dword v10, v[2:3], off
.LBB546_4:
	s_or_b64 exec, exec, s[4:5]
	s_and_saveexec_b64 s[0:1], vcc
	s_cbranch_execz .LBB546_10
; %bb.5:
	v_mov_b32_e32 v2, s13
	v_cndmask_b32_e64 v3, 0, 1, s[2:3]
	s_andn2_b64 vcc, exec, s[2:3]
	v_add_co_u32_e64 v0, s[2:3], s12, v0
	v_cmp_ne_u32_e64 s[0:1], 1, v3
	v_addc_co_u32_e64 v1, s[2:3], v2, v1, s[2:3]
	s_cbranch_vccnz .LBB546_7
; %bb.6:
	s_waitcnt vmcnt(1)
	v_add_f32_e32 v2, 0, v8
	s_waitcnt vmcnt(0)
	v_fma_f32 v2, -v2, v9, v8
	global_store_dword v[0:1], v2, off
.LBB546_7:
	v_cmp_ne_u32_e32 vcc, 1, v6
	s_and_b64 exec, exec, vcc
	s_cbranch_execz .LBB546_10
; %bb.8:
	s_and_b64 vcc, exec, s[0:1]
	s_cbranch_vccnz .LBB546_10
; %bb.9:
	s_lshl_b64 s[0:1], s[10:11], 2
	s_waitcnt vmcnt(1)
	v_add_f32_e32 v2, 0, v7
	v_mov_b32_e32 v3, s1
	v_add_co_u32_e32 v0, vcc, s0, v0
	s_waitcnt vmcnt(0)
	v_fma_f32 v2, -v2, v10, v7
	v_addc_co_u32_e32 v1, vcc, v1, v3, vcc
	global_store_dword v[0:1], v2, off
.LBB546_10:
	s_endpgm
	.section	.rodata,"a",@progbits
	.p2align	6, 0x0
	.amdhsa_kernel _ZN12_GLOBAL__N_121softmax_warp_backwardIfffLi0ELb0ELb0ELi64EEEvPT0_PKT_S5_iiiPKb
		.amdhsa_group_segment_fixed_size 0
		.amdhsa_private_segment_fixed_size 0
		.amdhsa_kernarg_size 304
		.amdhsa_user_sgpr_count 6
		.amdhsa_user_sgpr_private_segment_buffer 1
		.amdhsa_user_sgpr_dispatch_ptr 0
		.amdhsa_user_sgpr_queue_ptr 0
		.amdhsa_user_sgpr_kernarg_segment_ptr 1
		.amdhsa_user_sgpr_dispatch_id 0
		.amdhsa_user_sgpr_flat_scratch_init 0
		.amdhsa_user_sgpr_kernarg_preload_length 0
		.amdhsa_user_sgpr_kernarg_preload_offset 0
		.amdhsa_user_sgpr_private_segment_size 0
		.amdhsa_uses_dynamic_stack 0
		.amdhsa_system_sgpr_private_segment_wavefront_offset 0
		.amdhsa_system_sgpr_workgroup_id_x 1
		.amdhsa_system_sgpr_workgroup_id_y 0
		.amdhsa_system_sgpr_workgroup_id_z 0
		.amdhsa_system_sgpr_workgroup_info 0
		.amdhsa_system_vgpr_workitem_id 1
		.amdhsa_next_free_vgpr 11
		.amdhsa_next_free_sgpr 16
		.amdhsa_accum_offset 12
		.amdhsa_reserve_vcc 1
		.amdhsa_reserve_flat_scratch 0
		.amdhsa_float_round_mode_32 0
		.amdhsa_float_round_mode_16_64 0
		.amdhsa_float_denorm_mode_32 3
		.amdhsa_float_denorm_mode_16_64 3
		.amdhsa_dx10_clamp 1
		.amdhsa_ieee_mode 1
		.amdhsa_fp16_overflow 0
		.amdhsa_tg_split 0
		.amdhsa_exception_fp_ieee_invalid_op 0
		.amdhsa_exception_fp_denorm_src 0
		.amdhsa_exception_fp_ieee_div_zero 0
		.amdhsa_exception_fp_ieee_overflow 0
		.amdhsa_exception_fp_ieee_underflow 0
		.amdhsa_exception_fp_ieee_inexact 0
		.amdhsa_exception_int_div_zero 0
	.end_amdhsa_kernel
	.section	.text._ZN12_GLOBAL__N_121softmax_warp_backwardIfffLi0ELb0ELb0ELi64EEEvPT0_PKT_S5_iiiPKb,"axG",@progbits,_ZN12_GLOBAL__N_121softmax_warp_backwardIfffLi0ELb0ELb0ELi64EEEvPT0_PKT_S5_iiiPKb,comdat
.Lfunc_end546:
	.size	_ZN12_GLOBAL__N_121softmax_warp_backwardIfffLi0ELb0ELb0ELi64EEEvPT0_PKT_S5_iiiPKb, .Lfunc_end546-_ZN12_GLOBAL__N_121softmax_warp_backwardIfffLi0ELb0ELb0ELi64EEEvPT0_PKT_S5_iiiPKb
                                        ; -- End function
	.section	.AMDGPU.csdata,"",@progbits
; Kernel info:
; codeLenInByte = 400
; NumSgprs: 20
; NumVgprs: 11
; NumAgprs: 0
; TotalNumVgprs: 11
; ScratchSize: 0
; MemoryBound: 0
; FloatMode: 240
; IeeeMode: 1
; LDSByteSize: 0 bytes/workgroup (compile time only)
; SGPRBlocks: 2
; VGPRBlocks: 1
; NumSGPRsForWavesPerEU: 20
; NumVGPRsForWavesPerEU: 11
; AccumOffset: 12
; Occupancy: 8
; WaveLimiterHint : 0
; COMPUTE_PGM_RSRC2:SCRATCH_EN: 0
; COMPUTE_PGM_RSRC2:USER_SGPR: 6
; COMPUTE_PGM_RSRC2:TRAP_HANDLER: 0
; COMPUTE_PGM_RSRC2:TGID_X_EN: 1
; COMPUTE_PGM_RSRC2:TGID_Y_EN: 0
; COMPUTE_PGM_RSRC2:TGID_Z_EN: 0
; COMPUTE_PGM_RSRC2:TIDIG_COMP_CNT: 1
; COMPUTE_PGM_RSRC3_GFX90A:ACCUM_OFFSET: 2
; COMPUTE_PGM_RSRC3_GFX90A:TG_SPLIT: 0
	.section	.text._ZN12_GLOBAL__N_121softmax_warp_backwardIfffLi0ELb0ELb0ELi32EEEvPT0_PKT_S5_iiiPKb,"axG",@progbits,_ZN12_GLOBAL__N_121softmax_warp_backwardIfffLi0ELb0ELb0ELi32EEEvPT0_PKT_S5_iiiPKb,comdat
	.globl	_ZN12_GLOBAL__N_121softmax_warp_backwardIfffLi0ELb0ELb0ELi32EEEvPT0_PKT_S5_iiiPKb ; -- Begin function _ZN12_GLOBAL__N_121softmax_warp_backwardIfffLi0ELb0ELb0ELi32EEEvPT0_PKT_S5_iiiPKb
	.p2align	8
	.type	_ZN12_GLOBAL__N_121softmax_warp_backwardIfffLi0ELb0ELb0ELi32EEEvPT0_PKT_S5_iiiPKb,@function
_ZN12_GLOBAL__N_121softmax_warp_backwardIfffLi0ELb0ELb0ELi32EEEvPT0_PKT_S5_iiiPKb: ; @_ZN12_GLOBAL__N_121softmax_warp_backwardIfffLi0ELb0ELb0ELi32EEEvPT0_PKT_S5_iiiPKb
; %bb.0:
	s_load_dword s2, s[4:5], 0x3c
	s_load_dwordx4 s[8:11], s[4:5], 0x18
	s_load_dwordx4 s[12:15], s[4:5], 0x0
	s_load_dwordx2 s[0:1], s[4:5], 0x10
	v_bfe_u32 v0, v0, 10, 10
	s_waitcnt lgkmcnt(0)
	s_lshr_b32 s2, s2, 16
	s_mul_i32 s6, s6, s2
	v_add_lshl_u32 v0, s6, v0, 1
	v_sub_u32_e32 v6, s8, v0
	v_mul_lo_u32 v0, v0, s9
	v_ashrrev_i32_e32 v1, 31, v0
	v_lshlrev_b64 v[0:1], 2, v[0:1]
	v_mov_b32_e32 v3, s15
	v_add_co_u32_e32 v2, vcc, s14, v0
	v_addc_co_u32_e32 v3, vcc, v3, v1, vcc
	v_mov_b32_e32 v5, s1
	v_add_co_u32_e32 v4, vcc, s0, v0
	v_addc_co_u32_e32 v5, vcc, v5, v1, vcc
	s_cmp_gt_i32 s10, 0
	s_cselect_b64 s[2:3], -1, 0
	v_cmp_lt_i32_e32 vcc, 0, v6
	s_and_b64 s[4:5], s[2:3], vcc
	v_mov_b32_e32 v7, 0
	v_mov_b32_e32 v8, 0
	;; [unrolled: 1-line block ×3, first 2 shown]
	s_and_saveexec_b64 s[0:1], s[4:5]
	s_cbranch_execz .LBB547_2
; %bb.1:
	global_load_dword v8, v[2:3], off
	global_load_dword v9, v[4:5], off
.LBB547_2:
	s_or_b64 exec, exec, s[0:1]
	v_cmp_lt_i32_e64 s[0:1], 1, v6
	s_and_b64 s[0:1], s[2:3], s[0:1]
	s_mov_b32 s11, 0
	v_mov_b32_e32 v10, 0
	s_and_saveexec_b64 s[4:5], s[0:1]
	s_cbranch_execz .LBB547_4
; %bb.3:
	s_lshl_b64 s[6:7], s[10:11], 2
	v_mov_b32_e32 v10, s7
	v_add_co_u32_e64 v2, s[0:1], s6, v2
	v_addc_co_u32_e64 v3, s[0:1], v3, v10, s[0:1]
	global_load_dword v7, v[2:3], off
	v_add_co_u32_e64 v2, s[0:1], s6, v4
	v_addc_co_u32_e64 v3, s[0:1], v5, v10, s[0:1]
	global_load_dword v10, v[2:3], off
.LBB547_4:
	s_or_b64 exec, exec, s[4:5]
	s_and_saveexec_b64 s[0:1], vcc
	s_cbranch_execz .LBB547_10
; %bb.5:
	v_mov_b32_e32 v2, s13
	v_cndmask_b32_e64 v3, 0, 1, s[2:3]
	s_andn2_b64 vcc, exec, s[2:3]
	v_add_co_u32_e64 v0, s[2:3], s12, v0
	v_cmp_ne_u32_e64 s[0:1], 1, v3
	v_addc_co_u32_e64 v1, s[2:3], v2, v1, s[2:3]
	s_cbranch_vccnz .LBB547_7
; %bb.6:
	s_waitcnt vmcnt(1)
	v_add_f32_e32 v2, 0, v8
	s_waitcnt vmcnt(0)
	v_fma_f32 v2, -v2, v9, v8
	global_store_dword v[0:1], v2, off
.LBB547_7:
	v_cmp_ne_u32_e32 vcc, 1, v6
	s_and_b64 exec, exec, vcc
	s_cbranch_execz .LBB547_10
; %bb.8:
	s_and_b64 vcc, exec, s[0:1]
	s_cbranch_vccnz .LBB547_10
; %bb.9:
	s_lshl_b64 s[0:1], s[10:11], 2
	s_waitcnt vmcnt(1)
	v_add_f32_e32 v2, 0, v7
	v_mov_b32_e32 v3, s1
	v_add_co_u32_e32 v0, vcc, s0, v0
	s_waitcnt vmcnt(0)
	v_fma_f32 v2, -v2, v10, v7
	v_addc_co_u32_e32 v1, vcc, v1, v3, vcc
	global_store_dword v[0:1], v2, off
.LBB547_10:
	s_endpgm
	.section	.rodata,"a",@progbits
	.p2align	6, 0x0
	.amdhsa_kernel _ZN12_GLOBAL__N_121softmax_warp_backwardIfffLi0ELb0ELb0ELi32EEEvPT0_PKT_S5_iiiPKb
		.amdhsa_group_segment_fixed_size 0
		.amdhsa_private_segment_fixed_size 0
		.amdhsa_kernarg_size 304
		.amdhsa_user_sgpr_count 6
		.amdhsa_user_sgpr_private_segment_buffer 1
		.amdhsa_user_sgpr_dispatch_ptr 0
		.amdhsa_user_sgpr_queue_ptr 0
		.amdhsa_user_sgpr_kernarg_segment_ptr 1
		.amdhsa_user_sgpr_dispatch_id 0
		.amdhsa_user_sgpr_flat_scratch_init 0
		.amdhsa_user_sgpr_kernarg_preload_length 0
		.amdhsa_user_sgpr_kernarg_preload_offset 0
		.amdhsa_user_sgpr_private_segment_size 0
		.amdhsa_uses_dynamic_stack 0
		.amdhsa_system_sgpr_private_segment_wavefront_offset 0
		.amdhsa_system_sgpr_workgroup_id_x 1
		.amdhsa_system_sgpr_workgroup_id_y 0
		.amdhsa_system_sgpr_workgroup_id_z 0
		.amdhsa_system_sgpr_workgroup_info 0
		.amdhsa_system_vgpr_workitem_id 1
		.amdhsa_next_free_vgpr 11
		.amdhsa_next_free_sgpr 16
		.amdhsa_accum_offset 12
		.amdhsa_reserve_vcc 1
		.amdhsa_reserve_flat_scratch 0
		.amdhsa_float_round_mode_32 0
		.amdhsa_float_round_mode_16_64 0
		.amdhsa_float_denorm_mode_32 3
		.amdhsa_float_denorm_mode_16_64 3
		.amdhsa_dx10_clamp 1
		.amdhsa_ieee_mode 1
		.amdhsa_fp16_overflow 0
		.amdhsa_tg_split 0
		.amdhsa_exception_fp_ieee_invalid_op 0
		.amdhsa_exception_fp_denorm_src 0
		.amdhsa_exception_fp_ieee_div_zero 0
		.amdhsa_exception_fp_ieee_overflow 0
		.amdhsa_exception_fp_ieee_underflow 0
		.amdhsa_exception_fp_ieee_inexact 0
		.amdhsa_exception_int_div_zero 0
	.end_amdhsa_kernel
	.section	.text._ZN12_GLOBAL__N_121softmax_warp_backwardIfffLi0ELb0ELb0ELi32EEEvPT0_PKT_S5_iiiPKb,"axG",@progbits,_ZN12_GLOBAL__N_121softmax_warp_backwardIfffLi0ELb0ELb0ELi32EEEvPT0_PKT_S5_iiiPKb,comdat
.Lfunc_end547:
	.size	_ZN12_GLOBAL__N_121softmax_warp_backwardIfffLi0ELb0ELb0ELi32EEEvPT0_PKT_S5_iiiPKb, .Lfunc_end547-_ZN12_GLOBAL__N_121softmax_warp_backwardIfffLi0ELb0ELb0ELi32EEEvPT0_PKT_S5_iiiPKb
                                        ; -- End function
	.section	.AMDGPU.csdata,"",@progbits
; Kernel info:
; codeLenInByte = 400
; NumSgprs: 20
; NumVgprs: 11
; NumAgprs: 0
; TotalNumVgprs: 11
; ScratchSize: 0
; MemoryBound: 0
; FloatMode: 240
; IeeeMode: 1
; LDSByteSize: 0 bytes/workgroup (compile time only)
; SGPRBlocks: 2
; VGPRBlocks: 1
; NumSGPRsForWavesPerEU: 20
; NumVGPRsForWavesPerEU: 11
; AccumOffset: 12
; Occupancy: 8
; WaveLimiterHint : 0
; COMPUTE_PGM_RSRC2:SCRATCH_EN: 0
; COMPUTE_PGM_RSRC2:USER_SGPR: 6
; COMPUTE_PGM_RSRC2:TRAP_HANDLER: 0
; COMPUTE_PGM_RSRC2:TGID_X_EN: 1
; COMPUTE_PGM_RSRC2:TGID_Y_EN: 0
; COMPUTE_PGM_RSRC2:TGID_Z_EN: 0
; COMPUTE_PGM_RSRC2:TIDIG_COMP_CNT: 1
; COMPUTE_PGM_RSRC3_GFX90A:ACCUM_OFFSET: 2
; COMPUTE_PGM_RSRC3_GFX90A:TG_SPLIT: 0
	.section	.text._ZN12_GLOBAL__N_121softmax_warp_backwardIfffLi1ELb0ELb0ELi64EEEvPT0_PKT_S5_iiiPKb,"axG",@progbits,_ZN12_GLOBAL__N_121softmax_warp_backwardIfffLi1ELb0ELb0ELi64EEEvPT0_PKT_S5_iiiPKb,comdat
	.globl	_ZN12_GLOBAL__N_121softmax_warp_backwardIfffLi1ELb0ELb0ELi64EEEvPT0_PKT_S5_iiiPKb ; -- Begin function _ZN12_GLOBAL__N_121softmax_warp_backwardIfffLi1ELb0ELb0ELi64EEEvPT0_PKT_S5_iiiPKb
	.p2align	8
	.type	_ZN12_GLOBAL__N_121softmax_warp_backwardIfffLi1ELb0ELb0ELi64EEEvPT0_PKT_S5_iiiPKb,@function
_ZN12_GLOBAL__N_121softmax_warp_backwardIfffLi1ELb0ELb0ELi64EEEvPT0_PKT_S5_iiiPKb: ; @_ZN12_GLOBAL__N_121softmax_warp_backwardIfffLi1ELb0ELb0ELi64EEEvPT0_PKT_S5_iiiPKb
; %bb.0:
	s_load_dword s2, s[4:5], 0x3c
	s_load_dwordx4 s[8:11], s[4:5], 0x18
	s_load_dwordx4 s[12:15], s[4:5], 0x0
	s_load_dwordx2 s[0:1], s[4:5], 0x10
	v_bfe_u32 v1, v0, 10, 10
	s_waitcnt lgkmcnt(0)
	s_lshr_b32 s2, s2, 16
	s_mul_i32 s6, s6, s2
	v_add_lshl_u32 v1, s6, v1, 1
	v_sub_u32_e32 v8, s8, v1
	v_mul_lo_u32 v1, v1, s9
	v_and_b32_e32 v9, 1, v0
	v_or_b32_e32 v0, v1, v9
	v_ashrrev_i32_e32 v1, 31, v0
	v_lshlrev_b64 v[2:3], 2, v[0:1]
	v_mov_b32_e32 v0, s15
	v_add_co_u32_e32 v4, vcc, s14, v2
	v_addc_co_u32_e32 v5, vcc, v0, v3, vcc
	v_mov_b32_e32 v0, s1
	v_add_co_u32_e32 v6, vcc, s0, v2
	v_addc_co_u32_e32 v7, vcc, v0, v3, vcc
	v_cmp_gt_i32_e32 vcc, s10, v9
	v_cmp_lt_i32_e64 s[0:1], 0, v8
	s_and_b64 s[4:5], vcc, s[0:1]
	v_mov_b32_e32 v1, 0
	v_mov_b32_e32 v0, 0
	;; [unrolled: 1-line block ×3, first 2 shown]
	s_and_saveexec_b64 s[2:3], s[4:5]
	s_cbranch_execz .LBB548_2
; %bb.1:
	global_load_dword v0, v[4:5], off
	global_load_dword v9, v[6:7], off
.LBB548_2:
	s_or_b64 exec, exec, s[2:3]
	v_cmp_lt_i32_e64 s[2:3], 1, v8
	s_and_b64 s[2:3], vcc, s[2:3]
	s_mov_b32 s11, 0
	v_mov_b32_e32 v10, 0
	s_and_saveexec_b64 s[4:5], s[2:3]
	s_cbranch_execz .LBB548_4
; %bb.3:
	s_lshl_b64 s[6:7], s[10:11], 2
	v_mov_b32_e32 v10, s7
	v_add_co_u32_e64 v4, s[2:3], s6, v4
	v_addc_co_u32_e64 v5, s[2:3], v5, v10, s[2:3]
	global_load_dword v1, v[4:5], off
	v_add_co_u32_e64 v4, s[2:3], s6, v6
	v_addc_co_u32_e64 v5, s[2:3], v7, v10, s[2:3]
	global_load_dword v10, v[4:5], off
.LBB548_4:
	s_or_b64 exec, exec, s[4:5]
	v_mbcnt_lo_u32_b32 v6, -1, 0
	v_mbcnt_hi_u32_b32 v6, -1, v6
	v_and_b32_e32 v11, 0x7e, v6
	v_xor_b32_e32 v7, 1, v6
	v_add_u32_e32 v11, 2, v11
	v_cmp_lt_i32_e64 s[2:3], v7, v11
	v_cndmask_b32_e64 v6, v6, v7, s[2:3]
	s_waitcnt vmcnt(1)
	v_pk_add_f32 v[4:5], v[0:1], 0 op_sel_hi:[1,0]
	v_lshlrev_b32_e32 v7, 2, v6
	ds_bpermute_b32 v6, v7, v4
	ds_bpermute_b32 v7, v7, v5
	s_and_saveexec_b64 s[2:3], s[0:1]
	s_cbranch_execz .LBB548_10
; %bb.5:
	v_mov_b32_e32 v11, s13
	v_add_co_u32_e64 v2, s[0:1], s12, v2
	v_addc_co_u32_e64 v3, s[0:1], v11, v3, s[0:1]
	s_waitcnt lgkmcnt(0)
	v_pk_add_f32 v[4:5], v[4:5], v[6:7]
	s_and_saveexec_b64 s[0:1], vcc
	s_cbranch_execz .LBB548_7
; %bb.6:
	s_waitcnt vmcnt(0)
	v_fma_f32 v0, -v4, v9, v0
	global_store_dword v[2:3], v0, off
.LBB548_7:
	s_or_b64 exec, exec, s[0:1]
	v_cmp_ne_u32_e64 s[0:1], 1, v8
	s_and_b64 exec, exec, s[0:1]
	s_cbranch_execz .LBB548_10
; %bb.8:
	s_and_b64 exec, exec, vcc
	s_cbranch_execz .LBB548_10
; %bb.9:
	s_lshl_b64 s[0:1], s[10:11], 2
	s_waitcnt vmcnt(0)
	v_fma_f32 v4, -v5, v10, v1
	v_mov_b32_e32 v1, s1
	v_add_co_u32_e32 v0, vcc, s0, v2
	v_addc_co_u32_e32 v1, vcc, v3, v1, vcc
	global_store_dword v[0:1], v4, off
.LBB548_10:
	s_endpgm
	.section	.rodata,"a",@progbits
	.p2align	6, 0x0
	.amdhsa_kernel _ZN12_GLOBAL__N_121softmax_warp_backwardIfffLi1ELb0ELb0ELi64EEEvPT0_PKT_S5_iiiPKb
		.amdhsa_group_segment_fixed_size 0
		.amdhsa_private_segment_fixed_size 0
		.amdhsa_kernarg_size 304
		.amdhsa_user_sgpr_count 6
		.amdhsa_user_sgpr_private_segment_buffer 1
		.amdhsa_user_sgpr_dispatch_ptr 0
		.amdhsa_user_sgpr_queue_ptr 0
		.amdhsa_user_sgpr_kernarg_segment_ptr 1
		.amdhsa_user_sgpr_dispatch_id 0
		.amdhsa_user_sgpr_flat_scratch_init 0
		.amdhsa_user_sgpr_kernarg_preload_length 0
		.amdhsa_user_sgpr_kernarg_preload_offset 0
		.amdhsa_user_sgpr_private_segment_size 0
		.amdhsa_uses_dynamic_stack 0
		.amdhsa_system_sgpr_private_segment_wavefront_offset 0
		.amdhsa_system_sgpr_workgroup_id_x 1
		.amdhsa_system_sgpr_workgroup_id_y 0
		.amdhsa_system_sgpr_workgroup_id_z 0
		.amdhsa_system_sgpr_workgroup_info 0
		.amdhsa_system_vgpr_workitem_id 1
		.amdhsa_next_free_vgpr 12
		.amdhsa_next_free_sgpr 16
		.amdhsa_accum_offset 12
		.amdhsa_reserve_vcc 1
		.amdhsa_reserve_flat_scratch 0
		.amdhsa_float_round_mode_32 0
		.amdhsa_float_round_mode_16_64 0
		.amdhsa_float_denorm_mode_32 3
		.amdhsa_float_denorm_mode_16_64 3
		.amdhsa_dx10_clamp 1
		.amdhsa_ieee_mode 1
		.amdhsa_fp16_overflow 0
		.amdhsa_tg_split 0
		.amdhsa_exception_fp_ieee_invalid_op 0
		.amdhsa_exception_fp_denorm_src 0
		.amdhsa_exception_fp_ieee_div_zero 0
		.amdhsa_exception_fp_ieee_overflow 0
		.amdhsa_exception_fp_ieee_underflow 0
		.amdhsa_exception_fp_ieee_inexact 0
		.amdhsa_exception_int_div_zero 0
	.end_amdhsa_kernel
	.section	.text._ZN12_GLOBAL__N_121softmax_warp_backwardIfffLi1ELb0ELb0ELi64EEEvPT0_PKT_S5_iiiPKb,"axG",@progbits,_ZN12_GLOBAL__N_121softmax_warp_backwardIfffLi1ELb0ELb0ELi64EEEvPT0_PKT_S5_iiiPKb,comdat
.Lfunc_end548:
	.size	_ZN12_GLOBAL__N_121softmax_warp_backwardIfffLi1ELb0ELb0ELi64EEEvPT0_PKT_S5_iiiPKb, .Lfunc_end548-_ZN12_GLOBAL__N_121softmax_warp_backwardIfffLi1ELb0ELb0ELi64EEEvPT0_PKT_S5_iiiPKb
                                        ; -- End function
	.section	.AMDGPU.csdata,"",@progbits
; Kernel info:
; codeLenInByte = 476
; NumSgprs: 20
; NumVgprs: 12
; NumAgprs: 0
; TotalNumVgprs: 12
; ScratchSize: 0
; MemoryBound: 0
; FloatMode: 240
; IeeeMode: 1
; LDSByteSize: 0 bytes/workgroup (compile time only)
; SGPRBlocks: 2
; VGPRBlocks: 1
; NumSGPRsForWavesPerEU: 20
; NumVGPRsForWavesPerEU: 12
; AccumOffset: 12
; Occupancy: 8
; WaveLimiterHint : 0
; COMPUTE_PGM_RSRC2:SCRATCH_EN: 0
; COMPUTE_PGM_RSRC2:USER_SGPR: 6
; COMPUTE_PGM_RSRC2:TRAP_HANDLER: 0
; COMPUTE_PGM_RSRC2:TGID_X_EN: 1
; COMPUTE_PGM_RSRC2:TGID_Y_EN: 0
; COMPUTE_PGM_RSRC2:TGID_Z_EN: 0
; COMPUTE_PGM_RSRC2:TIDIG_COMP_CNT: 1
; COMPUTE_PGM_RSRC3_GFX90A:ACCUM_OFFSET: 2
; COMPUTE_PGM_RSRC3_GFX90A:TG_SPLIT: 0
	.section	.text._ZN12_GLOBAL__N_121softmax_warp_backwardIfffLi1ELb0ELb0ELi32EEEvPT0_PKT_S5_iiiPKb,"axG",@progbits,_ZN12_GLOBAL__N_121softmax_warp_backwardIfffLi1ELb0ELb0ELi32EEEvPT0_PKT_S5_iiiPKb,comdat
	.globl	_ZN12_GLOBAL__N_121softmax_warp_backwardIfffLi1ELb0ELb0ELi32EEEvPT0_PKT_S5_iiiPKb ; -- Begin function _ZN12_GLOBAL__N_121softmax_warp_backwardIfffLi1ELb0ELb0ELi32EEEvPT0_PKT_S5_iiiPKb
	.p2align	8
	.type	_ZN12_GLOBAL__N_121softmax_warp_backwardIfffLi1ELb0ELb0ELi32EEEvPT0_PKT_S5_iiiPKb,@function
_ZN12_GLOBAL__N_121softmax_warp_backwardIfffLi1ELb0ELb0ELi32EEEvPT0_PKT_S5_iiiPKb: ; @_ZN12_GLOBAL__N_121softmax_warp_backwardIfffLi1ELb0ELb0ELi32EEEvPT0_PKT_S5_iiiPKb
; %bb.0:
	s_load_dword s2, s[4:5], 0x3c
	s_load_dwordx4 s[8:11], s[4:5], 0x18
	s_load_dwordx4 s[12:15], s[4:5], 0x0
	s_load_dwordx2 s[0:1], s[4:5], 0x10
	v_bfe_u32 v1, v0, 10, 10
	s_waitcnt lgkmcnt(0)
	s_lshr_b32 s2, s2, 16
	s_mul_i32 s6, s6, s2
	v_add_lshl_u32 v1, s6, v1, 1
	v_sub_u32_e32 v8, s8, v1
	v_mul_lo_u32 v1, v1, s9
	v_and_b32_e32 v9, 1, v0
	v_or_b32_e32 v0, v1, v9
	v_ashrrev_i32_e32 v1, 31, v0
	v_lshlrev_b64 v[2:3], 2, v[0:1]
	v_mov_b32_e32 v0, s15
	v_add_co_u32_e32 v4, vcc, s14, v2
	v_addc_co_u32_e32 v5, vcc, v0, v3, vcc
	v_mov_b32_e32 v0, s1
	v_add_co_u32_e32 v6, vcc, s0, v2
	v_addc_co_u32_e32 v7, vcc, v0, v3, vcc
	v_cmp_gt_i32_e32 vcc, s10, v9
	v_cmp_lt_i32_e64 s[0:1], 0, v8
	s_and_b64 s[4:5], vcc, s[0:1]
	v_mov_b32_e32 v1, 0
	v_mov_b32_e32 v0, 0
	;; [unrolled: 1-line block ×3, first 2 shown]
	s_and_saveexec_b64 s[2:3], s[4:5]
	s_cbranch_execz .LBB549_2
; %bb.1:
	global_load_dword v0, v[4:5], off
	global_load_dword v9, v[6:7], off
.LBB549_2:
	s_or_b64 exec, exec, s[2:3]
	v_cmp_lt_i32_e64 s[2:3], 1, v8
	s_and_b64 s[2:3], vcc, s[2:3]
	s_mov_b32 s11, 0
	v_mov_b32_e32 v10, 0
	s_and_saveexec_b64 s[4:5], s[2:3]
	s_cbranch_execz .LBB549_4
; %bb.3:
	s_lshl_b64 s[6:7], s[10:11], 2
	v_mov_b32_e32 v10, s7
	v_add_co_u32_e64 v4, s[2:3], s6, v4
	v_addc_co_u32_e64 v5, s[2:3], v5, v10, s[2:3]
	global_load_dword v1, v[4:5], off
	v_add_co_u32_e64 v4, s[2:3], s6, v6
	v_addc_co_u32_e64 v5, s[2:3], v7, v10, s[2:3]
	global_load_dword v10, v[4:5], off
.LBB549_4:
	s_or_b64 exec, exec, s[4:5]
	v_mbcnt_lo_u32_b32 v6, -1, 0
	v_mbcnt_hi_u32_b32 v6, -1, v6
	v_and_b32_e32 v11, 0x7e, v6
	v_xor_b32_e32 v7, 1, v6
	v_add_u32_e32 v11, 2, v11
	v_cmp_lt_i32_e64 s[2:3], v7, v11
	v_cndmask_b32_e64 v6, v6, v7, s[2:3]
	s_waitcnt vmcnt(1)
	v_pk_add_f32 v[4:5], v[0:1], 0 op_sel_hi:[1,0]
	v_lshlrev_b32_e32 v7, 2, v6
	ds_bpermute_b32 v6, v7, v4
	ds_bpermute_b32 v7, v7, v5
	s_and_saveexec_b64 s[2:3], s[0:1]
	s_cbranch_execz .LBB549_10
; %bb.5:
	v_mov_b32_e32 v11, s13
	v_add_co_u32_e64 v2, s[0:1], s12, v2
	v_addc_co_u32_e64 v3, s[0:1], v11, v3, s[0:1]
	s_waitcnt lgkmcnt(0)
	v_pk_add_f32 v[4:5], v[4:5], v[6:7]
	s_and_saveexec_b64 s[0:1], vcc
	s_cbranch_execz .LBB549_7
; %bb.6:
	s_waitcnt vmcnt(0)
	v_fma_f32 v0, -v4, v9, v0
	global_store_dword v[2:3], v0, off
.LBB549_7:
	s_or_b64 exec, exec, s[0:1]
	v_cmp_ne_u32_e64 s[0:1], 1, v8
	s_and_b64 exec, exec, s[0:1]
	s_cbranch_execz .LBB549_10
; %bb.8:
	s_and_b64 exec, exec, vcc
	s_cbranch_execz .LBB549_10
; %bb.9:
	s_lshl_b64 s[0:1], s[10:11], 2
	s_waitcnt vmcnt(0)
	v_fma_f32 v4, -v5, v10, v1
	v_mov_b32_e32 v1, s1
	v_add_co_u32_e32 v0, vcc, s0, v2
	v_addc_co_u32_e32 v1, vcc, v3, v1, vcc
	global_store_dword v[0:1], v4, off
.LBB549_10:
	s_endpgm
	.section	.rodata,"a",@progbits
	.p2align	6, 0x0
	.amdhsa_kernel _ZN12_GLOBAL__N_121softmax_warp_backwardIfffLi1ELb0ELb0ELi32EEEvPT0_PKT_S5_iiiPKb
		.amdhsa_group_segment_fixed_size 0
		.amdhsa_private_segment_fixed_size 0
		.amdhsa_kernarg_size 304
		.amdhsa_user_sgpr_count 6
		.amdhsa_user_sgpr_private_segment_buffer 1
		.amdhsa_user_sgpr_dispatch_ptr 0
		.amdhsa_user_sgpr_queue_ptr 0
		.amdhsa_user_sgpr_kernarg_segment_ptr 1
		.amdhsa_user_sgpr_dispatch_id 0
		.amdhsa_user_sgpr_flat_scratch_init 0
		.amdhsa_user_sgpr_kernarg_preload_length 0
		.amdhsa_user_sgpr_kernarg_preload_offset 0
		.amdhsa_user_sgpr_private_segment_size 0
		.amdhsa_uses_dynamic_stack 0
		.amdhsa_system_sgpr_private_segment_wavefront_offset 0
		.amdhsa_system_sgpr_workgroup_id_x 1
		.amdhsa_system_sgpr_workgroup_id_y 0
		.amdhsa_system_sgpr_workgroup_id_z 0
		.amdhsa_system_sgpr_workgroup_info 0
		.amdhsa_system_vgpr_workitem_id 1
		.amdhsa_next_free_vgpr 12
		.amdhsa_next_free_sgpr 16
		.amdhsa_accum_offset 12
		.amdhsa_reserve_vcc 1
		.amdhsa_reserve_flat_scratch 0
		.amdhsa_float_round_mode_32 0
		.amdhsa_float_round_mode_16_64 0
		.amdhsa_float_denorm_mode_32 3
		.amdhsa_float_denorm_mode_16_64 3
		.amdhsa_dx10_clamp 1
		.amdhsa_ieee_mode 1
		.amdhsa_fp16_overflow 0
		.amdhsa_tg_split 0
		.amdhsa_exception_fp_ieee_invalid_op 0
		.amdhsa_exception_fp_denorm_src 0
		.amdhsa_exception_fp_ieee_div_zero 0
		.amdhsa_exception_fp_ieee_overflow 0
		.amdhsa_exception_fp_ieee_underflow 0
		.amdhsa_exception_fp_ieee_inexact 0
		.amdhsa_exception_int_div_zero 0
	.end_amdhsa_kernel
	.section	.text._ZN12_GLOBAL__N_121softmax_warp_backwardIfffLi1ELb0ELb0ELi32EEEvPT0_PKT_S5_iiiPKb,"axG",@progbits,_ZN12_GLOBAL__N_121softmax_warp_backwardIfffLi1ELb0ELb0ELi32EEEvPT0_PKT_S5_iiiPKb,comdat
.Lfunc_end549:
	.size	_ZN12_GLOBAL__N_121softmax_warp_backwardIfffLi1ELb0ELb0ELi32EEEvPT0_PKT_S5_iiiPKb, .Lfunc_end549-_ZN12_GLOBAL__N_121softmax_warp_backwardIfffLi1ELb0ELb0ELi32EEEvPT0_PKT_S5_iiiPKb
                                        ; -- End function
	.section	.AMDGPU.csdata,"",@progbits
; Kernel info:
; codeLenInByte = 476
; NumSgprs: 20
; NumVgprs: 12
; NumAgprs: 0
; TotalNumVgprs: 12
; ScratchSize: 0
; MemoryBound: 0
; FloatMode: 240
; IeeeMode: 1
; LDSByteSize: 0 bytes/workgroup (compile time only)
; SGPRBlocks: 2
; VGPRBlocks: 1
; NumSGPRsForWavesPerEU: 20
; NumVGPRsForWavesPerEU: 12
; AccumOffset: 12
; Occupancy: 8
; WaveLimiterHint : 0
; COMPUTE_PGM_RSRC2:SCRATCH_EN: 0
; COMPUTE_PGM_RSRC2:USER_SGPR: 6
; COMPUTE_PGM_RSRC2:TRAP_HANDLER: 0
; COMPUTE_PGM_RSRC2:TGID_X_EN: 1
; COMPUTE_PGM_RSRC2:TGID_Y_EN: 0
; COMPUTE_PGM_RSRC2:TGID_Z_EN: 0
; COMPUTE_PGM_RSRC2:TIDIG_COMP_CNT: 1
; COMPUTE_PGM_RSRC3_GFX90A:ACCUM_OFFSET: 2
; COMPUTE_PGM_RSRC3_GFX90A:TG_SPLIT: 0
	.section	.text._ZN12_GLOBAL__N_121softmax_warp_backwardIfffLi2ELb0ELb0ELi64EEEvPT0_PKT_S5_iiiPKb,"axG",@progbits,_ZN12_GLOBAL__N_121softmax_warp_backwardIfffLi2ELb0ELb0ELi64EEEvPT0_PKT_S5_iiiPKb,comdat
	.globl	_ZN12_GLOBAL__N_121softmax_warp_backwardIfffLi2ELb0ELb0ELi64EEEvPT0_PKT_S5_iiiPKb ; -- Begin function _ZN12_GLOBAL__N_121softmax_warp_backwardIfffLi2ELb0ELb0ELi64EEEvPT0_PKT_S5_iiiPKb
	.p2align	8
	.type	_ZN12_GLOBAL__N_121softmax_warp_backwardIfffLi2ELb0ELb0ELi64EEEvPT0_PKT_S5_iiiPKb,@function
_ZN12_GLOBAL__N_121softmax_warp_backwardIfffLi2ELb0ELb0ELi64EEEvPT0_PKT_S5_iiiPKb: ; @_ZN12_GLOBAL__N_121softmax_warp_backwardIfffLi2ELb0ELb0ELi64EEEvPT0_PKT_S5_iiiPKb
; %bb.0:
	s_load_dword s2, s[4:5], 0x3c
	s_load_dwordx4 s[8:11], s[4:5], 0x18
	s_load_dwordx4 s[12:15], s[4:5], 0x0
	s_load_dwordx2 s[0:1], s[4:5], 0x10
	v_bfe_u32 v1, v0, 10, 10
	s_waitcnt lgkmcnt(0)
	s_lshr_b32 s2, s2, 16
	s_mul_i32 s6, s6, s2
	v_add_lshl_u32 v1, s6, v1, 1
	v_and_b32_e32 v0, 3, v0
	v_mad_u64_u32 v[2:3], s[2:3], v1, s9, v[0:1]
	v_ashrrev_i32_e32 v3, 31, v2
	v_lshlrev_b64 v[2:3], 2, v[2:3]
	v_sub_u32_e32 v8, s8, v1
	v_mov_b32_e32 v1, s15
	v_add_co_u32_e32 v4, vcc, s14, v2
	v_addc_co_u32_e32 v5, vcc, v1, v3, vcc
	v_mov_b32_e32 v1, s1
	v_add_co_u32_e32 v6, vcc, s0, v2
	v_addc_co_u32_e32 v7, vcc, v1, v3, vcc
	v_cmp_gt_i32_e32 vcc, s10, v0
	v_cmp_lt_i32_e64 s[0:1], 0, v8
	s_and_b64 s[4:5], vcc, s[0:1]
	v_mov_b32_e32 v1, 0
	v_mov_b32_e32 v0, 0
	;; [unrolled: 1-line block ×3, first 2 shown]
	s_and_saveexec_b64 s[2:3], s[4:5]
	s_cbranch_execz .LBB550_2
; %bb.1:
	global_load_dword v0, v[4:5], off
	global_load_dword v9, v[6:7], off
.LBB550_2:
	s_or_b64 exec, exec, s[2:3]
	v_cmp_lt_i32_e64 s[2:3], 1, v8
	s_and_b64 s[2:3], vcc, s[2:3]
	s_mov_b32 s11, 0
	v_mov_b32_e32 v10, 0
	s_and_saveexec_b64 s[4:5], s[2:3]
	s_cbranch_execz .LBB550_4
; %bb.3:
	s_lshl_b64 s[6:7], s[10:11], 2
	v_mov_b32_e32 v10, s7
	v_add_co_u32_e64 v4, s[2:3], s6, v4
	v_addc_co_u32_e64 v5, s[2:3], v5, v10, s[2:3]
	global_load_dword v1, v[4:5], off
	v_add_co_u32_e64 v4, s[2:3], s6, v6
	v_addc_co_u32_e64 v5, s[2:3], v7, v10, s[2:3]
	global_load_dword v10, v[4:5], off
.LBB550_4:
	s_or_b64 exec, exec, s[4:5]
	v_mbcnt_lo_u32_b32 v6, -1, 0
	v_mbcnt_hi_u32_b32 v11, -1, v6
	v_and_b32_e32 v6, 0x7c, v11
	v_add_u32_e32 v12, 4, v6
	v_xor_b32_e32 v6, 2, v11
	v_cmp_lt_i32_e64 s[2:3], v6, v12
	v_cndmask_b32_e64 v6, v11, v6, s[2:3]
	s_waitcnt vmcnt(1)
	v_pk_add_f32 v[4:5], v[0:1], 0 op_sel_hi:[1,0]
	v_lshlrev_b32_e32 v7, 2, v6
	ds_bpermute_b32 v6, v7, v4
	ds_bpermute_b32 v7, v7, v5
	v_xor_b32_e32 v13, 1, v11
	v_cmp_lt_i32_e64 s[2:3], v13, v12
	v_cndmask_b32_e64 v11, v11, v13, s[2:3]
	v_lshlrev_b32_e32 v11, 2, v11
	s_waitcnt lgkmcnt(0)
	v_pk_add_f32 v[4:5], v[4:5], v[6:7]
	ds_bpermute_b32 v6, v11, v4
	ds_bpermute_b32 v7, v11, v5
	s_and_saveexec_b64 s[2:3], s[0:1]
	s_cbranch_execz .LBB550_10
; %bb.5:
	v_mov_b32_e32 v11, s13
	v_add_co_u32_e64 v2, s[0:1], s12, v2
	v_addc_co_u32_e64 v3, s[0:1], v11, v3, s[0:1]
	s_waitcnt lgkmcnt(0)
	v_pk_add_f32 v[4:5], v[4:5], v[6:7]
	s_and_saveexec_b64 s[0:1], vcc
	s_cbranch_execz .LBB550_7
; %bb.6:
	s_waitcnt vmcnt(0)
	v_fma_f32 v0, -v4, v9, v0
	global_store_dword v[2:3], v0, off
.LBB550_7:
	s_or_b64 exec, exec, s[0:1]
	v_cmp_ne_u32_e64 s[0:1], 1, v8
	s_and_b64 exec, exec, s[0:1]
	s_cbranch_execz .LBB550_10
; %bb.8:
	s_and_b64 exec, exec, vcc
	s_cbranch_execz .LBB550_10
; %bb.9:
	s_lshl_b64 s[0:1], s[10:11], 2
	s_waitcnt vmcnt(0)
	v_fma_f32 v4, -v5, v10, v1
	v_mov_b32_e32 v1, s1
	v_add_co_u32_e32 v0, vcc, s0, v2
	v_addc_co_u32_e32 v1, vcc, v3, v1, vcc
	global_store_dword v[0:1], v4, off
.LBB550_10:
	s_endpgm
	.section	.rodata,"a",@progbits
	.p2align	6, 0x0
	.amdhsa_kernel _ZN12_GLOBAL__N_121softmax_warp_backwardIfffLi2ELb0ELb0ELi64EEEvPT0_PKT_S5_iiiPKb
		.amdhsa_group_segment_fixed_size 0
		.amdhsa_private_segment_fixed_size 0
		.amdhsa_kernarg_size 304
		.amdhsa_user_sgpr_count 6
		.amdhsa_user_sgpr_private_segment_buffer 1
		.amdhsa_user_sgpr_dispatch_ptr 0
		.amdhsa_user_sgpr_queue_ptr 0
		.amdhsa_user_sgpr_kernarg_segment_ptr 1
		.amdhsa_user_sgpr_dispatch_id 0
		.amdhsa_user_sgpr_flat_scratch_init 0
		.amdhsa_user_sgpr_kernarg_preload_length 0
		.amdhsa_user_sgpr_kernarg_preload_offset 0
		.amdhsa_user_sgpr_private_segment_size 0
		.amdhsa_uses_dynamic_stack 0
		.amdhsa_system_sgpr_private_segment_wavefront_offset 0
		.amdhsa_system_sgpr_workgroup_id_x 1
		.amdhsa_system_sgpr_workgroup_id_y 0
		.amdhsa_system_sgpr_workgroup_id_z 0
		.amdhsa_system_sgpr_workgroup_info 0
		.amdhsa_system_vgpr_workitem_id 1
		.amdhsa_next_free_vgpr 14
		.amdhsa_next_free_sgpr 16
		.amdhsa_accum_offset 16
		.amdhsa_reserve_vcc 1
		.amdhsa_reserve_flat_scratch 0
		.amdhsa_float_round_mode_32 0
		.amdhsa_float_round_mode_16_64 0
		.amdhsa_float_denorm_mode_32 3
		.amdhsa_float_denorm_mode_16_64 3
		.amdhsa_dx10_clamp 1
		.amdhsa_ieee_mode 1
		.amdhsa_fp16_overflow 0
		.amdhsa_tg_split 0
		.amdhsa_exception_fp_ieee_invalid_op 0
		.amdhsa_exception_fp_denorm_src 0
		.amdhsa_exception_fp_ieee_div_zero 0
		.amdhsa_exception_fp_ieee_overflow 0
		.amdhsa_exception_fp_ieee_underflow 0
		.amdhsa_exception_fp_ieee_inexact 0
		.amdhsa_exception_int_div_zero 0
	.end_amdhsa_kernel
	.section	.text._ZN12_GLOBAL__N_121softmax_warp_backwardIfffLi2ELb0ELb0ELi64EEEvPT0_PKT_S5_iiiPKb,"axG",@progbits,_ZN12_GLOBAL__N_121softmax_warp_backwardIfffLi2ELb0ELb0ELi64EEEvPT0_PKT_S5_iiiPKb,comdat
.Lfunc_end550:
	.size	_ZN12_GLOBAL__N_121softmax_warp_backwardIfffLi2ELb0ELb0ELi64EEEvPT0_PKT_S5_iiiPKb, .Lfunc_end550-_ZN12_GLOBAL__N_121softmax_warp_backwardIfffLi2ELb0ELb0ELi64EEEvPT0_PKT_S5_iiiPKb
                                        ; -- End function
	.section	.AMDGPU.csdata,"",@progbits
; Kernel info:
; codeLenInByte = 524
; NumSgprs: 20
; NumVgprs: 14
; NumAgprs: 0
; TotalNumVgprs: 14
; ScratchSize: 0
; MemoryBound: 0
; FloatMode: 240
; IeeeMode: 1
; LDSByteSize: 0 bytes/workgroup (compile time only)
; SGPRBlocks: 2
; VGPRBlocks: 1
; NumSGPRsForWavesPerEU: 20
; NumVGPRsForWavesPerEU: 14
; AccumOffset: 16
; Occupancy: 8
; WaveLimiterHint : 0
; COMPUTE_PGM_RSRC2:SCRATCH_EN: 0
; COMPUTE_PGM_RSRC2:USER_SGPR: 6
; COMPUTE_PGM_RSRC2:TRAP_HANDLER: 0
; COMPUTE_PGM_RSRC2:TGID_X_EN: 1
; COMPUTE_PGM_RSRC2:TGID_Y_EN: 0
; COMPUTE_PGM_RSRC2:TGID_Z_EN: 0
; COMPUTE_PGM_RSRC2:TIDIG_COMP_CNT: 1
; COMPUTE_PGM_RSRC3_GFX90A:ACCUM_OFFSET: 3
; COMPUTE_PGM_RSRC3_GFX90A:TG_SPLIT: 0
	.section	.text._ZN12_GLOBAL__N_121softmax_warp_backwardIfffLi2ELb0ELb0ELi32EEEvPT0_PKT_S5_iiiPKb,"axG",@progbits,_ZN12_GLOBAL__N_121softmax_warp_backwardIfffLi2ELb0ELb0ELi32EEEvPT0_PKT_S5_iiiPKb,comdat
	.globl	_ZN12_GLOBAL__N_121softmax_warp_backwardIfffLi2ELb0ELb0ELi32EEEvPT0_PKT_S5_iiiPKb ; -- Begin function _ZN12_GLOBAL__N_121softmax_warp_backwardIfffLi2ELb0ELb0ELi32EEEvPT0_PKT_S5_iiiPKb
	.p2align	8
	.type	_ZN12_GLOBAL__N_121softmax_warp_backwardIfffLi2ELb0ELb0ELi32EEEvPT0_PKT_S5_iiiPKb,@function
_ZN12_GLOBAL__N_121softmax_warp_backwardIfffLi2ELb0ELb0ELi32EEEvPT0_PKT_S5_iiiPKb: ; @_ZN12_GLOBAL__N_121softmax_warp_backwardIfffLi2ELb0ELb0ELi32EEEvPT0_PKT_S5_iiiPKb
; %bb.0:
	s_load_dword s2, s[4:5], 0x3c
	s_load_dwordx4 s[8:11], s[4:5], 0x18
	s_load_dwordx4 s[12:15], s[4:5], 0x0
	s_load_dwordx2 s[0:1], s[4:5], 0x10
	v_bfe_u32 v1, v0, 10, 10
	s_waitcnt lgkmcnt(0)
	s_lshr_b32 s2, s2, 16
	s_mul_i32 s6, s6, s2
	v_add_lshl_u32 v1, s6, v1, 1
	v_and_b32_e32 v0, 3, v0
	v_mad_u64_u32 v[2:3], s[2:3], v1, s9, v[0:1]
	v_ashrrev_i32_e32 v3, 31, v2
	v_lshlrev_b64 v[2:3], 2, v[2:3]
	v_sub_u32_e32 v8, s8, v1
	v_mov_b32_e32 v1, s15
	v_add_co_u32_e32 v4, vcc, s14, v2
	v_addc_co_u32_e32 v5, vcc, v1, v3, vcc
	v_mov_b32_e32 v1, s1
	v_add_co_u32_e32 v6, vcc, s0, v2
	v_addc_co_u32_e32 v7, vcc, v1, v3, vcc
	v_cmp_gt_i32_e32 vcc, s10, v0
	v_cmp_lt_i32_e64 s[0:1], 0, v8
	s_and_b64 s[4:5], vcc, s[0:1]
	v_mov_b32_e32 v1, 0
	v_mov_b32_e32 v0, 0
	;; [unrolled: 1-line block ×3, first 2 shown]
	s_and_saveexec_b64 s[2:3], s[4:5]
	s_cbranch_execz .LBB551_2
; %bb.1:
	global_load_dword v0, v[4:5], off
	global_load_dword v9, v[6:7], off
.LBB551_2:
	s_or_b64 exec, exec, s[2:3]
	v_cmp_lt_i32_e64 s[2:3], 1, v8
	s_and_b64 s[2:3], vcc, s[2:3]
	s_mov_b32 s11, 0
	v_mov_b32_e32 v10, 0
	s_and_saveexec_b64 s[4:5], s[2:3]
	s_cbranch_execz .LBB551_4
; %bb.3:
	s_lshl_b64 s[6:7], s[10:11], 2
	v_mov_b32_e32 v10, s7
	v_add_co_u32_e64 v4, s[2:3], s6, v4
	v_addc_co_u32_e64 v5, s[2:3], v5, v10, s[2:3]
	global_load_dword v1, v[4:5], off
	v_add_co_u32_e64 v4, s[2:3], s6, v6
	v_addc_co_u32_e64 v5, s[2:3], v7, v10, s[2:3]
	global_load_dword v10, v[4:5], off
.LBB551_4:
	s_or_b64 exec, exec, s[4:5]
	v_mbcnt_lo_u32_b32 v6, -1, 0
	v_mbcnt_hi_u32_b32 v11, -1, v6
	v_and_b32_e32 v6, 0x7c, v11
	v_add_u32_e32 v12, 4, v6
	v_xor_b32_e32 v6, 2, v11
	v_cmp_lt_i32_e64 s[2:3], v6, v12
	v_cndmask_b32_e64 v6, v11, v6, s[2:3]
	s_waitcnt vmcnt(1)
	v_pk_add_f32 v[4:5], v[0:1], 0 op_sel_hi:[1,0]
	v_lshlrev_b32_e32 v7, 2, v6
	ds_bpermute_b32 v6, v7, v4
	ds_bpermute_b32 v7, v7, v5
	v_xor_b32_e32 v13, 1, v11
	v_cmp_lt_i32_e64 s[2:3], v13, v12
	v_cndmask_b32_e64 v11, v11, v13, s[2:3]
	v_lshlrev_b32_e32 v11, 2, v11
	s_waitcnt lgkmcnt(0)
	v_pk_add_f32 v[4:5], v[4:5], v[6:7]
	ds_bpermute_b32 v6, v11, v4
	ds_bpermute_b32 v7, v11, v5
	s_and_saveexec_b64 s[2:3], s[0:1]
	s_cbranch_execz .LBB551_10
; %bb.5:
	v_mov_b32_e32 v11, s13
	v_add_co_u32_e64 v2, s[0:1], s12, v2
	v_addc_co_u32_e64 v3, s[0:1], v11, v3, s[0:1]
	s_waitcnt lgkmcnt(0)
	v_pk_add_f32 v[4:5], v[4:5], v[6:7]
	s_and_saveexec_b64 s[0:1], vcc
	s_cbranch_execz .LBB551_7
; %bb.6:
	s_waitcnt vmcnt(0)
	v_fma_f32 v0, -v4, v9, v0
	global_store_dword v[2:3], v0, off
.LBB551_7:
	s_or_b64 exec, exec, s[0:1]
	v_cmp_ne_u32_e64 s[0:1], 1, v8
	s_and_b64 exec, exec, s[0:1]
	s_cbranch_execz .LBB551_10
; %bb.8:
	s_and_b64 exec, exec, vcc
	s_cbranch_execz .LBB551_10
; %bb.9:
	s_lshl_b64 s[0:1], s[10:11], 2
	s_waitcnt vmcnt(0)
	v_fma_f32 v4, -v5, v10, v1
	v_mov_b32_e32 v1, s1
	v_add_co_u32_e32 v0, vcc, s0, v2
	v_addc_co_u32_e32 v1, vcc, v3, v1, vcc
	global_store_dword v[0:1], v4, off
.LBB551_10:
	s_endpgm
	.section	.rodata,"a",@progbits
	.p2align	6, 0x0
	.amdhsa_kernel _ZN12_GLOBAL__N_121softmax_warp_backwardIfffLi2ELb0ELb0ELi32EEEvPT0_PKT_S5_iiiPKb
		.amdhsa_group_segment_fixed_size 0
		.amdhsa_private_segment_fixed_size 0
		.amdhsa_kernarg_size 304
		.amdhsa_user_sgpr_count 6
		.amdhsa_user_sgpr_private_segment_buffer 1
		.amdhsa_user_sgpr_dispatch_ptr 0
		.amdhsa_user_sgpr_queue_ptr 0
		.amdhsa_user_sgpr_kernarg_segment_ptr 1
		.amdhsa_user_sgpr_dispatch_id 0
		.amdhsa_user_sgpr_flat_scratch_init 0
		.amdhsa_user_sgpr_kernarg_preload_length 0
		.amdhsa_user_sgpr_kernarg_preload_offset 0
		.amdhsa_user_sgpr_private_segment_size 0
		.amdhsa_uses_dynamic_stack 0
		.amdhsa_system_sgpr_private_segment_wavefront_offset 0
		.amdhsa_system_sgpr_workgroup_id_x 1
		.amdhsa_system_sgpr_workgroup_id_y 0
		.amdhsa_system_sgpr_workgroup_id_z 0
		.amdhsa_system_sgpr_workgroup_info 0
		.amdhsa_system_vgpr_workitem_id 1
		.amdhsa_next_free_vgpr 14
		.amdhsa_next_free_sgpr 16
		.amdhsa_accum_offset 16
		.amdhsa_reserve_vcc 1
		.amdhsa_reserve_flat_scratch 0
		.amdhsa_float_round_mode_32 0
		.amdhsa_float_round_mode_16_64 0
		.amdhsa_float_denorm_mode_32 3
		.amdhsa_float_denorm_mode_16_64 3
		.amdhsa_dx10_clamp 1
		.amdhsa_ieee_mode 1
		.amdhsa_fp16_overflow 0
		.amdhsa_tg_split 0
		.amdhsa_exception_fp_ieee_invalid_op 0
		.amdhsa_exception_fp_denorm_src 0
		.amdhsa_exception_fp_ieee_div_zero 0
		.amdhsa_exception_fp_ieee_overflow 0
		.amdhsa_exception_fp_ieee_underflow 0
		.amdhsa_exception_fp_ieee_inexact 0
		.amdhsa_exception_int_div_zero 0
	.end_amdhsa_kernel
	.section	.text._ZN12_GLOBAL__N_121softmax_warp_backwardIfffLi2ELb0ELb0ELi32EEEvPT0_PKT_S5_iiiPKb,"axG",@progbits,_ZN12_GLOBAL__N_121softmax_warp_backwardIfffLi2ELb0ELb0ELi32EEEvPT0_PKT_S5_iiiPKb,comdat
.Lfunc_end551:
	.size	_ZN12_GLOBAL__N_121softmax_warp_backwardIfffLi2ELb0ELb0ELi32EEEvPT0_PKT_S5_iiiPKb, .Lfunc_end551-_ZN12_GLOBAL__N_121softmax_warp_backwardIfffLi2ELb0ELb0ELi32EEEvPT0_PKT_S5_iiiPKb
                                        ; -- End function
	.section	.AMDGPU.csdata,"",@progbits
; Kernel info:
; codeLenInByte = 524
; NumSgprs: 20
; NumVgprs: 14
; NumAgprs: 0
; TotalNumVgprs: 14
; ScratchSize: 0
; MemoryBound: 0
; FloatMode: 240
; IeeeMode: 1
; LDSByteSize: 0 bytes/workgroup (compile time only)
; SGPRBlocks: 2
; VGPRBlocks: 1
; NumSGPRsForWavesPerEU: 20
; NumVGPRsForWavesPerEU: 14
; AccumOffset: 16
; Occupancy: 8
; WaveLimiterHint : 0
; COMPUTE_PGM_RSRC2:SCRATCH_EN: 0
; COMPUTE_PGM_RSRC2:USER_SGPR: 6
; COMPUTE_PGM_RSRC2:TRAP_HANDLER: 0
; COMPUTE_PGM_RSRC2:TGID_X_EN: 1
; COMPUTE_PGM_RSRC2:TGID_Y_EN: 0
; COMPUTE_PGM_RSRC2:TGID_Z_EN: 0
; COMPUTE_PGM_RSRC2:TIDIG_COMP_CNT: 1
; COMPUTE_PGM_RSRC3_GFX90A:ACCUM_OFFSET: 3
; COMPUTE_PGM_RSRC3_GFX90A:TG_SPLIT: 0
	.section	.text._ZN12_GLOBAL__N_121softmax_warp_backwardIfffLi3ELb0ELb0ELi64EEEvPT0_PKT_S5_iiiPKb,"axG",@progbits,_ZN12_GLOBAL__N_121softmax_warp_backwardIfffLi3ELb0ELb0ELi64EEEvPT0_PKT_S5_iiiPKb,comdat
	.globl	_ZN12_GLOBAL__N_121softmax_warp_backwardIfffLi3ELb0ELb0ELi64EEEvPT0_PKT_S5_iiiPKb ; -- Begin function _ZN12_GLOBAL__N_121softmax_warp_backwardIfffLi3ELb0ELb0ELi64EEEvPT0_PKT_S5_iiiPKb
	.p2align	8
	.type	_ZN12_GLOBAL__N_121softmax_warp_backwardIfffLi3ELb0ELb0ELi64EEEvPT0_PKT_S5_iiiPKb,@function
_ZN12_GLOBAL__N_121softmax_warp_backwardIfffLi3ELb0ELb0ELi64EEEvPT0_PKT_S5_iiiPKb: ; @_ZN12_GLOBAL__N_121softmax_warp_backwardIfffLi3ELb0ELb0ELi64EEEvPT0_PKT_S5_iiiPKb
; %bb.0:
	s_load_dword s2, s[4:5], 0x3c
	s_load_dwordx4 s[8:11], s[4:5], 0x18
	s_load_dwordx4 s[12:15], s[4:5], 0x0
	s_load_dwordx2 s[0:1], s[4:5], 0x10
	v_bfe_u32 v1, v0, 10, 10
	s_waitcnt lgkmcnt(0)
	s_lshr_b32 s2, s2, 16
	s_mul_i32 s6, s6, s2
	v_add_lshl_u32 v1, s6, v1, 1
	v_and_b32_e32 v0, 7, v0
	v_mad_u64_u32 v[2:3], s[2:3], v1, s9, v[0:1]
	v_ashrrev_i32_e32 v3, 31, v2
	v_lshlrev_b64 v[2:3], 2, v[2:3]
	v_sub_u32_e32 v8, s8, v1
	v_mov_b32_e32 v1, s15
	v_add_co_u32_e32 v4, vcc, s14, v2
	v_addc_co_u32_e32 v5, vcc, v1, v3, vcc
	v_mov_b32_e32 v1, s1
	v_add_co_u32_e32 v6, vcc, s0, v2
	v_addc_co_u32_e32 v7, vcc, v1, v3, vcc
	v_cmp_gt_i32_e32 vcc, s10, v0
	v_cmp_lt_i32_e64 s[0:1], 0, v8
	s_and_b64 s[4:5], vcc, s[0:1]
	v_mov_b32_e32 v1, 0
	v_mov_b32_e32 v0, 0
	;; [unrolled: 1-line block ×3, first 2 shown]
	s_and_saveexec_b64 s[2:3], s[4:5]
	s_cbranch_execz .LBB552_2
; %bb.1:
	global_load_dword v0, v[4:5], off
	global_load_dword v9, v[6:7], off
.LBB552_2:
	s_or_b64 exec, exec, s[2:3]
	v_cmp_lt_i32_e64 s[2:3], 1, v8
	s_and_b64 s[2:3], vcc, s[2:3]
	s_mov_b32 s11, 0
	v_mov_b32_e32 v10, 0
	s_and_saveexec_b64 s[4:5], s[2:3]
	s_cbranch_execz .LBB552_4
; %bb.3:
	s_lshl_b64 s[6:7], s[10:11], 2
	v_mov_b32_e32 v10, s7
	v_add_co_u32_e64 v4, s[2:3], s6, v4
	v_addc_co_u32_e64 v5, s[2:3], v5, v10, s[2:3]
	global_load_dword v1, v[4:5], off
	v_add_co_u32_e64 v4, s[2:3], s6, v6
	v_addc_co_u32_e64 v5, s[2:3], v7, v10, s[2:3]
	global_load_dword v10, v[4:5], off
.LBB552_4:
	s_or_b64 exec, exec, s[4:5]
	v_mbcnt_lo_u32_b32 v6, -1, 0
	v_mbcnt_hi_u32_b32 v11, -1, v6
	v_and_b32_e32 v6, 0x78, v11
	v_add_u32_e32 v12, 8, v6
	v_xor_b32_e32 v6, 4, v11
	v_cmp_lt_i32_e64 s[2:3], v6, v12
	v_cndmask_b32_e64 v6, v11, v6, s[2:3]
	s_waitcnt vmcnt(1)
	v_pk_add_f32 v[4:5], v[0:1], 0 op_sel_hi:[1,0]
	v_lshlrev_b32_e32 v7, 2, v6
	ds_bpermute_b32 v6, v7, v4
	ds_bpermute_b32 v7, v7, v5
	v_xor_b32_e32 v13, 2, v11
	v_cmp_lt_i32_e64 s[2:3], v13, v12
	v_cndmask_b32_e64 v13, v11, v13, s[2:3]
	v_lshlrev_b32_e32 v13, 2, v13
	s_waitcnt lgkmcnt(0)
	v_pk_add_f32 v[4:5], v[4:5], v[6:7]
	ds_bpermute_b32 v6, v13, v4
	ds_bpermute_b32 v7, v13, v5
	v_xor_b32_e32 v13, 1, v11
	v_cmp_lt_i32_e64 s[2:3], v13, v12
	v_cndmask_b32_e64 v11, v11, v13, s[2:3]
	v_lshlrev_b32_e32 v11, 2, v11
	s_waitcnt lgkmcnt(0)
	v_pk_add_f32 v[4:5], v[4:5], v[6:7]
	ds_bpermute_b32 v6, v11, v4
	ds_bpermute_b32 v7, v11, v5
	s_and_saveexec_b64 s[2:3], s[0:1]
	s_cbranch_execz .LBB552_10
; %bb.5:
	v_mov_b32_e32 v11, s13
	v_add_co_u32_e64 v2, s[0:1], s12, v2
	v_addc_co_u32_e64 v3, s[0:1], v11, v3, s[0:1]
	s_waitcnt lgkmcnt(0)
	v_pk_add_f32 v[4:5], v[4:5], v[6:7]
	s_and_saveexec_b64 s[0:1], vcc
	s_cbranch_execz .LBB552_7
; %bb.6:
	s_waitcnt vmcnt(0)
	v_fma_f32 v0, -v4, v9, v0
	global_store_dword v[2:3], v0, off
.LBB552_7:
	s_or_b64 exec, exec, s[0:1]
	v_cmp_ne_u32_e64 s[0:1], 1, v8
	s_and_b64 exec, exec, s[0:1]
	s_cbranch_execz .LBB552_10
; %bb.8:
	s_and_b64 exec, exec, vcc
	s_cbranch_execz .LBB552_10
; %bb.9:
	s_lshl_b64 s[0:1], s[10:11], 2
	s_waitcnt vmcnt(0)
	v_fma_f32 v4, -v5, v10, v1
	v_mov_b32_e32 v1, s1
	v_add_co_u32_e32 v0, vcc, s0, v2
	v_addc_co_u32_e32 v1, vcc, v3, v1, vcc
	global_store_dword v[0:1], v4, off
.LBB552_10:
	s_endpgm
	.section	.rodata,"a",@progbits
	.p2align	6, 0x0
	.amdhsa_kernel _ZN12_GLOBAL__N_121softmax_warp_backwardIfffLi3ELb0ELb0ELi64EEEvPT0_PKT_S5_iiiPKb
		.amdhsa_group_segment_fixed_size 0
		.amdhsa_private_segment_fixed_size 0
		.amdhsa_kernarg_size 304
		.amdhsa_user_sgpr_count 6
		.amdhsa_user_sgpr_private_segment_buffer 1
		.amdhsa_user_sgpr_dispatch_ptr 0
		.amdhsa_user_sgpr_queue_ptr 0
		.amdhsa_user_sgpr_kernarg_segment_ptr 1
		.amdhsa_user_sgpr_dispatch_id 0
		.amdhsa_user_sgpr_flat_scratch_init 0
		.amdhsa_user_sgpr_kernarg_preload_length 0
		.amdhsa_user_sgpr_kernarg_preload_offset 0
		.amdhsa_user_sgpr_private_segment_size 0
		.amdhsa_uses_dynamic_stack 0
		.amdhsa_system_sgpr_private_segment_wavefront_offset 0
		.amdhsa_system_sgpr_workgroup_id_x 1
		.amdhsa_system_sgpr_workgroup_id_y 0
		.amdhsa_system_sgpr_workgroup_id_z 0
		.amdhsa_system_sgpr_workgroup_info 0
		.amdhsa_system_vgpr_workitem_id 1
		.amdhsa_next_free_vgpr 14
		.amdhsa_next_free_sgpr 16
		.amdhsa_accum_offset 16
		.amdhsa_reserve_vcc 1
		.amdhsa_reserve_flat_scratch 0
		.amdhsa_float_round_mode_32 0
		.amdhsa_float_round_mode_16_64 0
		.amdhsa_float_denorm_mode_32 3
		.amdhsa_float_denorm_mode_16_64 3
		.amdhsa_dx10_clamp 1
		.amdhsa_ieee_mode 1
		.amdhsa_fp16_overflow 0
		.amdhsa_tg_split 0
		.amdhsa_exception_fp_ieee_invalid_op 0
		.amdhsa_exception_fp_denorm_src 0
		.amdhsa_exception_fp_ieee_div_zero 0
		.amdhsa_exception_fp_ieee_overflow 0
		.amdhsa_exception_fp_ieee_underflow 0
		.amdhsa_exception_fp_ieee_inexact 0
		.amdhsa_exception_int_div_zero 0
	.end_amdhsa_kernel
	.section	.text._ZN12_GLOBAL__N_121softmax_warp_backwardIfffLi3ELb0ELb0ELi64EEEvPT0_PKT_S5_iiiPKb,"axG",@progbits,_ZN12_GLOBAL__N_121softmax_warp_backwardIfffLi3ELb0ELb0ELi64EEEvPT0_PKT_S5_iiiPKb,comdat
.Lfunc_end552:
	.size	_ZN12_GLOBAL__N_121softmax_warp_backwardIfffLi3ELb0ELb0ELi64EEEvPT0_PKT_S5_iiiPKb, .Lfunc_end552-_ZN12_GLOBAL__N_121softmax_warp_backwardIfffLi3ELb0ELb0ELi64EEEvPT0_PKT_S5_iiiPKb
                                        ; -- End function
	.section	.AMDGPU.csdata,"",@progbits
; Kernel info:
; codeLenInByte = 576
; NumSgprs: 20
; NumVgprs: 14
; NumAgprs: 0
; TotalNumVgprs: 14
; ScratchSize: 0
; MemoryBound: 0
; FloatMode: 240
; IeeeMode: 1
; LDSByteSize: 0 bytes/workgroup (compile time only)
; SGPRBlocks: 2
; VGPRBlocks: 1
; NumSGPRsForWavesPerEU: 20
; NumVGPRsForWavesPerEU: 14
; AccumOffset: 16
; Occupancy: 8
; WaveLimiterHint : 0
; COMPUTE_PGM_RSRC2:SCRATCH_EN: 0
; COMPUTE_PGM_RSRC2:USER_SGPR: 6
; COMPUTE_PGM_RSRC2:TRAP_HANDLER: 0
; COMPUTE_PGM_RSRC2:TGID_X_EN: 1
; COMPUTE_PGM_RSRC2:TGID_Y_EN: 0
; COMPUTE_PGM_RSRC2:TGID_Z_EN: 0
; COMPUTE_PGM_RSRC2:TIDIG_COMP_CNT: 1
; COMPUTE_PGM_RSRC3_GFX90A:ACCUM_OFFSET: 3
; COMPUTE_PGM_RSRC3_GFX90A:TG_SPLIT: 0
	.section	.text._ZN12_GLOBAL__N_121softmax_warp_backwardIfffLi3ELb0ELb0ELi32EEEvPT0_PKT_S5_iiiPKb,"axG",@progbits,_ZN12_GLOBAL__N_121softmax_warp_backwardIfffLi3ELb0ELb0ELi32EEEvPT0_PKT_S5_iiiPKb,comdat
	.globl	_ZN12_GLOBAL__N_121softmax_warp_backwardIfffLi3ELb0ELb0ELi32EEEvPT0_PKT_S5_iiiPKb ; -- Begin function _ZN12_GLOBAL__N_121softmax_warp_backwardIfffLi3ELb0ELb0ELi32EEEvPT0_PKT_S5_iiiPKb
	.p2align	8
	.type	_ZN12_GLOBAL__N_121softmax_warp_backwardIfffLi3ELb0ELb0ELi32EEEvPT0_PKT_S5_iiiPKb,@function
_ZN12_GLOBAL__N_121softmax_warp_backwardIfffLi3ELb0ELb0ELi32EEEvPT0_PKT_S5_iiiPKb: ; @_ZN12_GLOBAL__N_121softmax_warp_backwardIfffLi3ELb0ELb0ELi32EEEvPT0_PKT_S5_iiiPKb
; %bb.0:
	s_load_dword s2, s[4:5], 0x3c
	s_load_dwordx4 s[8:11], s[4:5], 0x18
	s_load_dwordx4 s[12:15], s[4:5], 0x0
	s_load_dwordx2 s[0:1], s[4:5], 0x10
	v_bfe_u32 v1, v0, 10, 10
	s_waitcnt lgkmcnt(0)
	s_lshr_b32 s2, s2, 16
	s_mul_i32 s6, s6, s2
	v_add_lshl_u32 v1, s6, v1, 1
	v_and_b32_e32 v0, 7, v0
	v_mad_u64_u32 v[2:3], s[2:3], v1, s9, v[0:1]
	v_ashrrev_i32_e32 v3, 31, v2
	v_lshlrev_b64 v[2:3], 2, v[2:3]
	v_sub_u32_e32 v8, s8, v1
	v_mov_b32_e32 v1, s15
	v_add_co_u32_e32 v4, vcc, s14, v2
	v_addc_co_u32_e32 v5, vcc, v1, v3, vcc
	v_mov_b32_e32 v1, s1
	v_add_co_u32_e32 v6, vcc, s0, v2
	v_addc_co_u32_e32 v7, vcc, v1, v3, vcc
	v_cmp_gt_i32_e32 vcc, s10, v0
	v_cmp_lt_i32_e64 s[0:1], 0, v8
	s_and_b64 s[4:5], vcc, s[0:1]
	v_mov_b32_e32 v1, 0
	v_mov_b32_e32 v0, 0
	;; [unrolled: 1-line block ×3, first 2 shown]
	s_and_saveexec_b64 s[2:3], s[4:5]
	s_cbranch_execz .LBB553_2
; %bb.1:
	global_load_dword v0, v[4:5], off
	global_load_dword v9, v[6:7], off
.LBB553_2:
	s_or_b64 exec, exec, s[2:3]
	v_cmp_lt_i32_e64 s[2:3], 1, v8
	s_and_b64 s[2:3], vcc, s[2:3]
	s_mov_b32 s11, 0
	v_mov_b32_e32 v10, 0
	s_and_saveexec_b64 s[4:5], s[2:3]
	s_cbranch_execz .LBB553_4
; %bb.3:
	s_lshl_b64 s[6:7], s[10:11], 2
	v_mov_b32_e32 v10, s7
	v_add_co_u32_e64 v4, s[2:3], s6, v4
	v_addc_co_u32_e64 v5, s[2:3], v5, v10, s[2:3]
	global_load_dword v1, v[4:5], off
	v_add_co_u32_e64 v4, s[2:3], s6, v6
	v_addc_co_u32_e64 v5, s[2:3], v7, v10, s[2:3]
	global_load_dword v10, v[4:5], off
.LBB553_4:
	s_or_b64 exec, exec, s[4:5]
	v_mbcnt_lo_u32_b32 v6, -1, 0
	v_mbcnt_hi_u32_b32 v11, -1, v6
	v_and_b32_e32 v6, 0x78, v11
	v_add_u32_e32 v12, 8, v6
	v_xor_b32_e32 v6, 4, v11
	v_cmp_lt_i32_e64 s[2:3], v6, v12
	v_cndmask_b32_e64 v6, v11, v6, s[2:3]
	s_waitcnt vmcnt(1)
	v_pk_add_f32 v[4:5], v[0:1], 0 op_sel_hi:[1,0]
	v_lshlrev_b32_e32 v7, 2, v6
	ds_bpermute_b32 v6, v7, v4
	ds_bpermute_b32 v7, v7, v5
	v_xor_b32_e32 v13, 2, v11
	v_cmp_lt_i32_e64 s[2:3], v13, v12
	v_cndmask_b32_e64 v13, v11, v13, s[2:3]
	v_lshlrev_b32_e32 v13, 2, v13
	s_waitcnt lgkmcnt(0)
	v_pk_add_f32 v[4:5], v[4:5], v[6:7]
	ds_bpermute_b32 v6, v13, v4
	ds_bpermute_b32 v7, v13, v5
	v_xor_b32_e32 v13, 1, v11
	v_cmp_lt_i32_e64 s[2:3], v13, v12
	v_cndmask_b32_e64 v11, v11, v13, s[2:3]
	v_lshlrev_b32_e32 v11, 2, v11
	s_waitcnt lgkmcnt(0)
	v_pk_add_f32 v[4:5], v[4:5], v[6:7]
	ds_bpermute_b32 v6, v11, v4
	ds_bpermute_b32 v7, v11, v5
	s_and_saveexec_b64 s[2:3], s[0:1]
	s_cbranch_execz .LBB553_10
; %bb.5:
	v_mov_b32_e32 v11, s13
	v_add_co_u32_e64 v2, s[0:1], s12, v2
	v_addc_co_u32_e64 v3, s[0:1], v11, v3, s[0:1]
	s_waitcnt lgkmcnt(0)
	v_pk_add_f32 v[4:5], v[4:5], v[6:7]
	s_and_saveexec_b64 s[0:1], vcc
	s_cbranch_execz .LBB553_7
; %bb.6:
	s_waitcnt vmcnt(0)
	v_fma_f32 v0, -v4, v9, v0
	global_store_dword v[2:3], v0, off
.LBB553_7:
	s_or_b64 exec, exec, s[0:1]
	v_cmp_ne_u32_e64 s[0:1], 1, v8
	s_and_b64 exec, exec, s[0:1]
	s_cbranch_execz .LBB553_10
; %bb.8:
	s_and_b64 exec, exec, vcc
	s_cbranch_execz .LBB553_10
; %bb.9:
	s_lshl_b64 s[0:1], s[10:11], 2
	s_waitcnt vmcnt(0)
	v_fma_f32 v4, -v5, v10, v1
	v_mov_b32_e32 v1, s1
	v_add_co_u32_e32 v0, vcc, s0, v2
	v_addc_co_u32_e32 v1, vcc, v3, v1, vcc
	global_store_dword v[0:1], v4, off
.LBB553_10:
	s_endpgm
	.section	.rodata,"a",@progbits
	.p2align	6, 0x0
	.amdhsa_kernel _ZN12_GLOBAL__N_121softmax_warp_backwardIfffLi3ELb0ELb0ELi32EEEvPT0_PKT_S5_iiiPKb
		.amdhsa_group_segment_fixed_size 0
		.amdhsa_private_segment_fixed_size 0
		.amdhsa_kernarg_size 304
		.amdhsa_user_sgpr_count 6
		.amdhsa_user_sgpr_private_segment_buffer 1
		.amdhsa_user_sgpr_dispatch_ptr 0
		.amdhsa_user_sgpr_queue_ptr 0
		.amdhsa_user_sgpr_kernarg_segment_ptr 1
		.amdhsa_user_sgpr_dispatch_id 0
		.amdhsa_user_sgpr_flat_scratch_init 0
		.amdhsa_user_sgpr_kernarg_preload_length 0
		.amdhsa_user_sgpr_kernarg_preload_offset 0
		.amdhsa_user_sgpr_private_segment_size 0
		.amdhsa_uses_dynamic_stack 0
		.amdhsa_system_sgpr_private_segment_wavefront_offset 0
		.amdhsa_system_sgpr_workgroup_id_x 1
		.amdhsa_system_sgpr_workgroup_id_y 0
		.amdhsa_system_sgpr_workgroup_id_z 0
		.amdhsa_system_sgpr_workgroup_info 0
		.amdhsa_system_vgpr_workitem_id 1
		.amdhsa_next_free_vgpr 14
		.amdhsa_next_free_sgpr 16
		.amdhsa_accum_offset 16
		.amdhsa_reserve_vcc 1
		.amdhsa_reserve_flat_scratch 0
		.amdhsa_float_round_mode_32 0
		.amdhsa_float_round_mode_16_64 0
		.amdhsa_float_denorm_mode_32 3
		.amdhsa_float_denorm_mode_16_64 3
		.amdhsa_dx10_clamp 1
		.amdhsa_ieee_mode 1
		.amdhsa_fp16_overflow 0
		.amdhsa_tg_split 0
		.amdhsa_exception_fp_ieee_invalid_op 0
		.amdhsa_exception_fp_denorm_src 0
		.amdhsa_exception_fp_ieee_div_zero 0
		.amdhsa_exception_fp_ieee_overflow 0
		.amdhsa_exception_fp_ieee_underflow 0
		.amdhsa_exception_fp_ieee_inexact 0
		.amdhsa_exception_int_div_zero 0
	.end_amdhsa_kernel
	.section	.text._ZN12_GLOBAL__N_121softmax_warp_backwardIfffLi3ELb0ELb0ELi32EEEvPT0_PKT_S5_iiiPKb,"axG",@progbits,_ZN12_GLOBAL__N_121softmax_warp_backwardIfffLi3ELb0ELb0ELi32EEEvPT0_PKT_S5_iiiPKb,comdat
.Lfunc_end553:
	.size	_ZN12_GLOBAL__N_121softmax_warp_backwardIfffLi3ELb0ELb0ELi32EEEvPT0_PKT_S5_iiiPKb, .Lfunc_end553-_ZN12_GLOBAL__N_121softmax_warp_backwardIfffLi3ELb0ELb0ELi32EEEvPT0_PKT_S5_iiiPKb
                                        ; -- End function
	.section	.AMDGPU.csdata,"",@progbits
; Kernel info:
; codeLenInByte = 576
; NumSgprs: 20
; NumVgprs: 14
; NumAgprs: 0
; TotalNumVgprs: 14
; ScratchSize: 0
; MemoryBound: 0
; FloatMode: 240
; IeeeMode: 1
; LDSByteSize: 0 bytes/workgroup (compile time only)
; SGPRBlocks: 2
; VGPRBlocks: 1
; NumSGPRsForWavesPerEU: 20
; NumVGPRsForWavesPerEU: 14
; AccumOffset: 16
; Occupancy: 8
; WaveLimiterHint : 0
; COMPUTE_PGM_RSRC2:SCRATCH_EN: 0
; COMPUTE_PGM_RSRC2:USER_SGPR: 6
; COMPUTE_PGM_RSRC2:TRAP_HANDLER: 0
; COMPUTE_PGM_RSRC2:TGID_X_EN: 1
; COMPUTE_PGM_RSRC2:TGID_Y_EN: 0
; COMPUTE_PGM_RSRC2:TGID_Z_EN: 0
; COMPUTE_PGM_RSRC2:TIDIG_COMP_CNT: 1
; COMPUTE_PGM_RSRC3_GFX90A:ACCUM_OFFSET: 3
; COMPUTE_PGM_RSRC3_GFX90A:TG_SPLIT: 0
	.section	.text._ZN12_GLOBAL__N_121softmax_warp_backwardIfffLi4ELb0ELb0ELi64EEEvPT0_PKT_S5_iiiPKb,"axG",@progbits,_ZN12_GLOBAL__N_121softmax_warp_backwardIfffLi4ELb0ELb0ELi64EEEvPT0_PKT_S5_iiiPKb,comdat
	.globl	_ZN12_GLOBAL__N_121softmax_warp_backwardIfffLi4ELb0ELb0ELi64EEEvPT0_PKT_S5_iiiPKb ; -- Begin function _ZN12_GLOBAL__N_121softmax_warp_backwardIfffLi4ELb0ELb0ELi64EEEvPT0_PKT_S5_iiiPKb
	.p2align	8
	.type	_ZN12_GLOBAL__N_121softmax_warp_backwardIfffLi4ELb0ELb0ELi64EEEvPT0_PKT_S5_iiiPKb,@function
_ZN12_GLOBAL__N_121softmax_warp_backwardIfffLi4ELb0ELb0ELi64EEEvPT0_PKT_S5_iiiPKb: ; @_ZN12_GLOBAL__N_121softmax_warp_backwardIfffLi4ELb0ELb0ELi64EEEvPT0_PKT_S5_iiiPKb
; %bb.0:
	s_load_dword s2, s[4:5], 0x3c
	s_load_dwordx4 s[8:11], s[4:5], 0x18
	s_load_dwordx4 s[12:15], s[4:5], 0x0
	s_load_dwordx2 s[0:1], s[4:5], 0x10
	v_bfe_u32 v1, v0, 10, 10
	s_waitcnt lgkmcnt(0)
	s_lshr_b32 s2, s2, 16
	s_mul_i32 s6, s6, s2
	v_add_lshl_u32 v1, s6, v1, 1
	v_and_b32_e32 v0, 15, v0
	v_mad_u64_u32 v[2:3], s[2:3], v1, s9, v[0:1]
	v_ashrrev_i32_e32 v3, 31, v2
	v_lshlrev_b64 v[2:3], 2, v[2:3]
	v_sub_u32_e32 v8, s8, v1
	v_mov_b32_e32 v1, s15
	v_add_co_u32_e32 v4, vcc, s14, v2
	v_addc_co_u32_e32 v5, vcc, v1, v3, vcc
	v_mov_b32_e32 v1, s1
	v_add_co_u32_e32 v6, vcc, s0, v2
	v_addc_co_u32_e32 v7, vcc, v1, v3, vcc
	v_cmp_gt_i32_e32 vcc, s10, v0
	v_cmp_lt_i32_e64 s[0:1], 0, v8
	s_and_b64 s[4:5], vcc, s[0:1]
	v_mov_b32_e32 v1, 0
	v_mov_b32_e32 v0, 0
	;; [unrolled: 1-line block ×3, first 2 shown]
	s_and_saveexec_b64 s[2:3], s[4:5]
	s_cbranch_execz .LBB554_2
; %bb.1:
	global_load_dword v0, v[4:5], off
	global_load_dword v9, v[6:7], off
.LBB554_2:
	s_or_b64 exec, exec, s[2:3]
	v_cmp_lt_i32_e64 s[2:3], 1, v8
	s_and_b64 s[2:3], vcc, s[2:3]
	s_mov_b32 s11, 0
	v_mov_b32_e32 v10, 0
	s_and_saveexec_b64 s[4:5], s[2:3]
	s_cbranch_execz .LBB554_4
; %bb.3:
	s_lshl_b64 s[6:7], s[10:11], 2
	v_mov_b32_e32 v10, s7
	v_add_co_u32_e64 v4, s[2:3], s6, v4
	v_addc_co_u32_e64 v5, s[2:3], v5, v10, s[2:3]
	global_load_dword v1, v[4:5], off
	v_add_co_u32_e64 v4, s[2:3], s6, v6
	v_addc_co_u32_e64 v5, s[2:3], v7, v10, s[2:3]
	global_load_dword v10, v[4:5], off
.LBB554_4:
	s_or_b64 exec, exec, s[4:5]
	v_mbcnt_lo_u32_b32 v6, -1, 0
	v_mbcnt_hi_u32_b32 v11, -1, v6
	v_and_b32_e32 v6, 0x70, v11
	v_add_u32_e32 v12, 16, v6
	v_xor_b32_e32 v6, 8, v11
	v_cmp_lt_i32_e64 s[2:3], v6, v12
	v_cndmask_b32_e64 v6, v11, v6, s[2:3]
	s_waitcnt vmcnt(1)
	v_pk_add_f32 v[4:5], v[0:1], 0 op_sel_hi:[1,0]
	v_lshlrev_b32_e32 v7, 2, v6
	ds_bpermute_b32 v6, v7, v4
	ds_bpermute_b32 v7, v7, v5
	v_xor_b32_e32 v13, 4, v11
	v_cmp_lt_i32_e64 s[2:3], v13, v12
	v_cndmask_b32_e64 v13, v11, v13, s[2:3]
	v_lshlrev_b32_e32 v13, 2, v13
	s_waitcnt lgkmcnt(0)
	v_pk_add_f32 v[4:5], v[4:5], v[6:7]
	ds_bpermute_b32 v6, v13, v4
	ds_bpermute_b32 v7, v13, v5
	v_xor_b32_e32 v13, 2, v11
	v_cmp_lt_i32_e64 s[2:3], v13, v12
	v_cndmask_b32_e64 v13, v11, v13, s[2:3]
	v_lshlrev_b32_e32 v13, 2, v13
	s_waitcnt lgkmcnt(0)
	v_pk_add_f32 v[4:5], v[4:5], v[6:7]
	ds_bpermute_b32 v6, v13, v4
	ds_bpermute_b32 v7, v13, v5
	v_xor_b32_e32 v13, 1, v11
	v_cmp_lt_i32_e64 s[2:3], v13, v12
	v_cndmask_b32_e64 v11, v11, v13, s[2:3]
	v_lshlrev_b32_e32 v11, 2, v11
	s_waitcnt lgkmcnt(0)
	v_pk_add_f32 v[4:5], v[4:5], v[6:7]
	ds_bpermute_b32 v6, v11, v4
	ds_bpermute_b32 v7, v11, v5
	s_and_saveexec_b64 s[2:3], s[0:1]
	s_cbranch_execz .LBB554_10
; %bb.5:
	v_mov_b32_e32 v11, s13
	v_add_co_u32_e64 v2, s[0:1], s12, v2
	v_addc_co_u32_e64 v3, s[0:1], v11, v3, s[0:1]
	s_waitcnt lgkmcnt(0)
	v_pk_add_f32 v[4:5], v[4:5], v[6:7]
	s_and_saveexec_b64 s[0:1], vcc
	s_cbranch_execz .LBB554_7
; %bb.6:
	s_waitcnt vmcnt(0)
	v_fma_f32 v0, -v4, v9, v0
	global_store_dword v[2:3], v0, off
.LBB554_7:
	s_or_b64 exec, exec, s[0:1]
	v_cmp_ne_u32_e64 s[0:1], 1, v8
	s_and_b64 exec, exec, s[0:1]
	s_cbranch_execz .LBB554_10
; %bb.8:
	s_and_b64 exec, exec, vcc
	s_cbranch_execz .LBB554_10
; %bb.9:
	s_lshl_b64 s[0:1], s[10:11], 2
	s_waitcnt vmcnt(0)
	v_fma_f32 v4, -v5, v10, v1
	v_mov_b32_e32 v1, s1
	v_add_co_u32_e32 v0, vcc, s0, v2
	v_addc_co_u32_e32 v1, vcc, v3, v1, vcc
	global_store_dword v[0:1], v4, off
.LBB554_10:
	s_endpgm
	.section	.rodata,"a",@progbits
	.p2align	6, 0x0
	.amdhsa_kernel _ZN12_GLOBAL__N_121softmax_warp_backwardIfffLi4ELb0ELb0ELi64EEEvPT0_PKT_S5_iiiPKb
		.amdhsa_group_segment_fixed_size 0
		.amdhsa_private_segment_fixed_size 0
		.amdhsa_kernarg_size 304
		.amdhsa_user_sgpr_count 6
		.amdhsa_user_sgpr_private_segment_buffer 1
		.amdhsa_user_sgpr_dispatch_ptr 0
		.amdhsa_user_sgpr_queue_ptr 0
		.amdhsa_user_sgpr_kernarg_segment_ptr 1
		.amdhsa_user_sgpr_dispatch_id 0
		.amdhsa_user_sgpr_flat_scratch_init 0
		.amdhsa_user_sgpr_kernarg_preload_length 0
		.amdhsa_user_sgpr_kernarg_preload_offset 0
		.amdhsa_user_sgpr_private_segment_size 0
		.amdhsa_uses_dynamic_stack 0
		.amdhsa_system_sgpr_private_segment_wavefront_offset 0
		.amdhsa_system_sgpr_workgroup_id_x 1
		.amdhsa_system_sgpr_workgroup_id_y 0
		.amdhsa_system_sgpr_workgroup_id_z 0
		.amdhsa_system_sgpr_workgroup_info 0
		.amdhsa_system_vgpr_workitem_id 1
		.amdhsa_next_free_vgpr 14
		.amdhsa_next_free_sgpr 16
		.amdhsa_accum_offset 16
		.amdhsa_reserve_vcc 1
		.amdhsa_reserve_flat_scratch 0
		.amdhsa_float_round_mode_32 0
		.amdhsa_float_round_mode_16_64 0
		.amdhsa_float_denorm_mode_32 3
		.amdhsa_float_denorm_mode_16_64 3
		.amdhsa_dx10_clamp 1
		.amdhsa_ieee_mode 1
		.amdhsa_fp16_overflow 0
		.amdhsa_tg_split 0
		.amdhsa_exception_fp_ieee_invalid_op 0
		.amdhsa_exception_fp_denorm_src 0
		.amdhsa_exception_fp_ieee_div_zero 0
		.amdhsa_exception_fp_ieee_overflow 0
		.amdhsa_exception_fp_ieee_underflow 0
		.amdhsa_exception_fp_ieee_inexact 0
		.amdhsa_exception_int_div_zero 0
	.end_amdhsa_kernel
	.section	.text._ZN12_GLOBAL__N_121softmax_warp_backwardIfffLi4ELb0ELb0ELi64EEEvPT0_PKT_S5_iiiPKb,"axG",@progbits,_ZN12_GLOBAL__N_121softmax_warp_backwardIfffLi4ELb0ELb0ELi64EEEvPT0_PKT_S5_iiiPKb,comdat
.Lfunc_end554:
	.size	_ZN12_GLOBAL__N_121softmax_warp_backwardIfffLi4ELb0ELb0ELi64EEEvPT0_PKT_S5_iiiPKb, .Lfunc_end554-_ZN12_GLOBAL__N_121softmax_warp_backwardIfffLi4ELb0ELb0ELi64EEEvPT0_PKT_S5_iiiPKb
                                        ; -- End function
	.section	.AMDGPU.csdata,"",@progbits
; Kernel info:
; codeLenInByte = 628
; NumSgprs: 20
; NumVgprs: 14
; NumAgprs: 0
; TotalNumVgprs: 14
; ScratchSize: 0
; MemoryBound: 0
; FloatMode: 240
; IeeeMode: 1
; LDSByteSize: 0 bytes/workgroup (compile time only)
; SGPRBlocks: 2
; VGPRBlocks: 1
; NumSGPRsForWavesPerEU: 20
; NumVGPRsForWavesPerEU: 14
; AccumOffset: 16
; Occupancy: 8
; WaveLimiterHint : 0
; COMPUTE_PGM_RSRC2:SCRATCH_EN: 0
; COMPUTE_PGM_RSRC2:USER_SGPR: 6
; COMPUTE_PGM_RSRC2:TRAP_HANDLER: 0
; COMPUTE_PGM_RSRC2:TGID_X_EN: 1
; COMPUTE_PGM_RSRC2:TGID_Y_EN: 0
; COMPUTE_PGM_RSRC2:TGID_Z_EN: 0
; COMPUTE_PGM_RSRC2:TIDIG_COMP_CNT: 1
; COMPUTE_PGM_RSRC3_GFX90A:ACCUM_OFFSET: 3
; COMPUTE_PGM_RSRC3_GFX90A:TG_SPLIT: 0
	.section	.text._ZN12_GLOBAL__N_121softmax_warp_backwardIfffLi4ELb0ELb0ELi32EEEvPT0_PKT_S5_iiiPKb,"axG",@progbits,_ZN12_GLOBAL__N_121softmax_warp_backwardIfffLi4ELb0ELb0ELi32EEEvPT0_PKT_S5_iiiPKb,comdat
	.globl	_ZN12_GLOBAL__N_121softmax_warp_backwardIfffLi4ELb0ELb0ELi32EEEvPT0_PKT_S5_iiiPKb ; -- Begin function _ZN12_GLOBAL__N_121softmax_warp_backwardIfffLi4ELb0ELb0ELi32EEEvPT0_PKT_S5_iiiPKb
	.p2align	8
	.type	_ZN12_GLOBAL__N_121softmax_warp_backwardIfffLi4ELb0ELb0ELi32EEEvPT0_PKT_S5_iiiPKb,@function
_ZN12_GLOBAL__N_121softmax_warp_backwardIfffLi4ELb0ELb0ELi32EEEvPT0_PKT_S5_iiiPKb: ; @_ZN12_GLOBAL__N_121softmax_warp_backwardIfffLi4ELb0ELb0ELi32EEEvPT0_PKT_S5_iiiPKb
; %bb.0:
	s_load_dword s2, s[4:5], 0x3c
	s_load_dwordx4 s[8:11], s[4:5], 0x18
	s_load_dwordx4 s[12:15], s[4:5], 0x0
	s_load_dwordx2 s[0:1], s[4:5], 0x10
	v_bfe_u32 v1, v0, 10, 10
	s_waitcnt lgkmcnt(0)
	s_lshr_b32 s2, s2, 16
	s_mul_i32 s6, s6, s2
	v_add_lshl_u32 v1, s6, v1, 1
	v_and_b32_e32 v0, 15, v0
	v_mad_u64_u32 v[2:3], s[2:3], v1, s9, v[0:1]
	v_ashrrev_i32_e32 v3, 31, v2
	v_lshlrev_b64 v[2:3], 2, v[2:3]
	v_sub_u32_e32 v8, s8, v1
	v_mov_b32_e32 v1, s15
	v_add_co_u32_e32 v4, vcc, s14, v2
	v_addc_co_u32_e32 v5, vcc, v1, v3, vcc
	v_mov_b32_e32 v1, s1
	v_add_co_u32_e32 v6, vcc, s0, v2
	v_addc_co_u32_e32 v7, vcc, v1, v3, vcc
	v_cmp_gt_i32_e32 vcc, s10, v0
	v_cmp_lt_i32_e64 s[0:1], 0, v8
	s_and_b64 s[4:5], vcc, s[0:1]
	v_mov_b32_e32 v1, 0
	v_mov_b32_e32 v0, 0
	;; [unrolled: 1-line block ×3, first 2 shown]
	s_and_saveexec_b64 s[2:3], s[4:5]
	s_cbranch_execz .LBB555_2
; %bb.1:
	global_load_dword v0, v[4:5], off
	global_load_dword v9, v[6:7], off
.LBB555_2:
	s_or_b64 exec, exec, s[2:3]
	v_cmp_lt_i32_e64 s[2:3], 1, v8
	s_and_b64 s[2:3], vcc, s[2:3]
	s_mov_b32 s11, 0
	v_mov_b32_e32 v10, 0
	s_and_saveexec_b64 s[4:5], s[2:3]
	s_cbranch_execz .LBB555_4
; %bb.3:
	s_lshl_b64 s[6:7], s[10:11], 2
	v_mov_b32_e32 v10, s7
	v_add_co_u32_e64 v4, s[2:3], s6, v4
	v_addc_co_u32_e64 v5, s[2:3], v5, v10, s[2:3]
	global_load_dword v1, v[4:5], off
	v_add_co_u32_e64 v4, s[2:3], s6, v6
	v_addc_co_u32_e64 v5, s[2:3], v7, v10, s[2:3]
	global_load_dword v10, v[4:5], off
.LBB555_4:
	s_or_b64 exec, exec, s[4:5]
	v_mbcnt_lo_u32_b32 v6, -1, 0
	v_mbcnt_hi_u32_b32 v11, -1, v6
	v_and_b32_e32 v6, 0x70, v11
	v_add_u32_e32 v12, 16, v6
	v_xor_b32_e32 v6, 8, v11
	v_cmp_lt_i32_e64 s[2:3], v6, v12
	v_cndmask_b32_e64 v6, v11, v6, s[2:3]
	s_waitcnt vmcnt(1)
	v_pk_add_f32 v[4:5], v[0:1], 0 op_sel_hi:[1,0]
	v_lshlrev_b32_e32 v7, 2, v6
	ds_bpermute_b32 v6, v7, v4
	ds_bpermute_b32 v7, v7, v5
	v_xor_b32_e32 v13, 4, v11
	v_cmp_lt_i32_e64 s[2:3], v13, v12
	v_cndmask_b32_e64 v13, v11, v13, s[2:3]
	v_lshlrev_b32_e32 v13, 2, v13
	s_waitcnt lgkmcnt(0)
	v_pk_add_f32 v[4:5], v[4:5], v[6:7]
	ds_bpermute_b32 v6, v13, v4
	ds_bpermute_b32 v7, v13, v5
	v_xor_b32_e32 v13, 2, v11
	v_cmp_lt_i32_e64 s[2:3], v13, v12
	v_cndmask_b32_e64 v13, v11, v13, s[2:3]
	v_lshlrev_b32_e32 v13, 2, v13
	s_waitcnt lgkmcnt(0)
	v_pk_add_f32 v[4:5], v[4:5], v[6:7]
	;; [unrolled: 8-line block ×3, first 2 shown]
	ds_bpermute_b32 v6, v11, v4
	ds_bpermute_b32 v7, v11, v5
	s_and_saveexec_b64 s[2:3], s[0:1]
	s_cbranch_execz .LBB555_10
; %bb.5:
	v_mov_b32_e32 v11, s13
	v_add_co_u32_e64 v2, s[0:1], s12, v2
	v_addc_co_u32_e64 v3, s[0:1], v11, v3, s[0:1]
	s_waitcnt lgkmcnt(0)
	v_pk_add_f32 v[4:5], v[4:5], v[6:7]
	s_and_saveexec_b64 s[0:1], vcc
	s_cbranch_execz .LBB555_7
; %bb.6:
	s_waitcnt vmcnt(0)
	v_fma_f32 v0, -v4, v9, v0
	global_store_dword v[2:3], v0, off
.LBB555_7:
	s_or_b64 exec, exec, s[0:1]
	v_cmp_ne_u32_e64 s[0:1], 1, v8
	s_and_b64 exec, exec, s[0:1]
	s_cbranch_execz .LBB555_10
; %bb.8:
	s_and_b64 exec, exec, vcc
	s_cbranch_execz .LBB555_10
; %bb.9:
	s_lshl_b64 s[0:1], s[10:11], 2
	s_waitcnt vmcnt(0)
	v_fma_f32 v4, -v5, v10, v1
	v_mov_b32_e32 v1, s1
	v_add_co_u32_e32 v0, vcc, s0, v2
	v_addc_co_u32_e32 v1, vcc, v3, v1, vcc
	global_store_dword v[0:1], v4, off
.LBB555_10:
	s_endpgm
	.section	.rodata,"a",@progbits
	.p2align	6, 0x0
	.amdhsa_kernel _ZN12_GLOBAL__N_121softmax_warp_backwardIfffLi4ELb0ELb0ELi32EEEvPT0_PKT_S5_iiiPKb
		.amdhsa_group_segment_fixed_size 0
		.amdhsa_private_segment_fixed_size 0
		.amdhsa_kernarg_size 304
		.amdhsa_user_sgpr_count 6
		.amdhsa_user_sgpr_private_segment_buffer 1
		.amdhsa_user_sgpr_dispatch_ptr 0
		.amdhsa_user_sgpr_queue_ptr 0
		.amdhsa_user_sgpr_kernarg_segment_ptr 1
		.amdhsa_user_sgpr_dispatch_id 0
		.amdhsa_user_sgpr_flat_scratch_init 0
		.amdhsa_user_sgpr_kernarg_preload_length 0
		.amdhsa_user_sgpr_kernarg_preload_offset 0
		.amdhsa_user_sgpr_private_segment_size 0
		.amdhsa_uses_dynamic_stack 0
		.amdhsa_system_sgpr_private_segment_wavefront_offset 0
		.amdhsa_system_sgpr_workgroup_id_x 1
		.amdhsa_system_sgpr_workgroup_id_y 0
		.amdhsa_system_sgpr_workgroup_id_z 0
		.amdhsa_system_sgpr_workgroup_info 0
		.amdhsa_system_vgpr_workitem_id 1
		.amdhsa_next_free_vgpr 14
		.amdhsa_next_free_sgpr 16
		.amdhsa_accum_offset 16
		.amdhsa_reserve_vcc 1
		.amdhsa_reserve_flat_scratch 0
		.amdhsa_float_round_mode_32 0
		.amdhsa_float_round_mode_16_64 0
		.amdhsa_float_denorm_mode_32 3
		.amdhsa_float_denorm_mode_16_64 3
		.amdhsa_dx10_clamp 1
		.amdhsa_ieee_mode 1
		.amdhsa_fp16_overflow 0
		.amdhsa_tg_split 0
		.amdhsa_exception_fp_ieee_invalid_op 0
		.amdhsa_exception_fp_denorm_src 0
		.amdhsa_exception_fp_ieee_div_zero 0
		.amdhsa_exception_fp_ieee_overflow 0
		.amdhsa_exception_fp_ieee_underflow 0
		.amdhsa_exception_fp_ieee_inexact 0
		.amdhsa_exception_int_div_zero 0
	.end_amdhsa_kernel
	.section	.text._ZN12_GLOBAL__N_121softmax_warp_backwardIfffLi4ELb0ELb0ELi32EEEvPT0_PKT_S5_iiiPKb,"axG",@progbits,_ZN12_GLOBAL__N_121softmax_warp_backwardIfffLi4ELb0ELb0ELi32EEEvPT0_PKT_S5_iiiPKb,comdat
.Lfunc_end555:
	.size	_ZN12_GLOBAL__N_121softmax_warp_backwardIfffLi4ELb0ELb0ELi32EEEvPT0_PKT_S5_iiiPKb, .Lfunc_end555-_ZN12_GLOBAL__N_121softmax_warp_backwardIfffLi4ELb0ELb0ELi32EEEvPT0_PKT_S5_iiiPKb
                                        ; -- End function
	.section	.AMDGPU.csdata,"",@progbits
; Kernel info:
; codeLenInByte = 628
; NumSgprs: 20
; NumVgprs: 14
; NumAgprs: 0
; TotalNumVgprs: 14
; ScratchSize: 0
; MemoryBound: 0
; FloatMode: 240
; IeeeMode: 1
; LDSByteSize: 0 bytes/workgroup (compile time only)
; SGPRBlocks: 2
; VGPRBlocks: 1
; NumSGPRsForWavesPerEU: 20
; NumVGPRsForWavesPerEU: 14
; AccumOffset: 16
; Occupancy: 8
; WaveLimiterHint : 0
; COMPUTE_PGM_RSRC2:SCRATCH_EN: 0
; COMPUTE_PGM_RSRC2:USER_SGPR: 6
; COMPUTE_PGM_RSRC2:TRAP_HANDLER: 0
; COMPUTE_PGM_RSRC2:TGID_X_EN: 1
; COMPUTE_PGM_RSRC2:TGID_Y_EN: 0
; COMPUTE_PGM_RSRC2:TGID_Z_EN: 0
; COMPUTE_PGM_RSRC2:TIDIG_COMP_CNT: 1
; COMPUTE_PGM_RSRC3_GFX90A:ACCUM_OFFSET: 3
; COMPUTE_PGM_RSRC3_GFX90A:TG_SPLIT: 0
	.section	.text._ZN12_GLOBAL__N_121softmax_warp_backwardIfffLi5ELb0ELb0ELi64EEEvPT0_PKT_S5_iiiPKb,"axG",@progbits,_ZN12_GLOBAL__N_121softmax_warp_backwardIfffLi5ELb0ELb0ELi64EEEvPT0_PKT_S5_iiiPKb,comdat
	.globl	_ZN12_GLOBAL__N_121softmax_warp_backwardIfffLi5ELb0ELb0ELi64EEEvPT0_PKT_S5_iiiPKb ; -- Begin function _ZN12_GLOBAL__N_121softmax_warp_backwardIfffLi5ELb0ELb0ELi64EEEvPT0_PKT_S5_iiiPKb
	.p2align	8
	.type	_ZN12_GLOBAL__N_121softmax_warp_backwardIfffLi5ELb0ELb0ELi64EEEvPT0_PKT_S5_iiiPKb,@function
_ZN12_GLOBAL__N_121softmax_warp_backwardIfffLi5ELb0ELb0ELi64EEEvPT0_PKT_S5_iiiPKb: ; @_ZN12_GLOBAL__N_121softmax_warp_backwardIfffLi5ELb0ELb0ELi64EEEvPT0_PKT_S5_iiiPKb
; %bb.0:
	s_load_dword s2, s[4:5], 0x3c
	s_load_dwordx4 s[8:11], s[4:5], 0x18
	s_load_dwordx4 s[12:15], s[4:5], 0x0
	s_load_dwordx2 s[0:1], s[4:5], 0x10
	v_bfe_u32 v1, v0, 10, 10
	s_waitcnt lgkmcnt(0)
	s_lshr_b32 s2, s2, 16
	s_mul_i32 s6, s6, s2
	v_add_lshl_u32 v1, s6, v1, 1
	v_and_b32_e32 v0, 31, v0
	v_mad_u64_u32 v[2:3], s[2:3], v1, s9, v[0:1]
	v_ashrrev_i32_e32 v3, 31, v2
	v_lshlrev_b64 v[2:3], 2, v[2:3]
	v_sub_u32_e32 v8, s8, v1
	v_mov_b32_e32 v1, s15
	v_add_co_u32_e32 v4, vcc, s14, v2
	v_addc_co_u32_e32 v5, vcc, v1, v3, vcc
	v_mov_b32_e32 v1, s1
	v_add_co_u32_e32 v6, vcc, s0, v2
	v_addc_co_u32_e32 v7, vcc, v1, v3, vcc
	v_cmp_gt_i32_e32 vcc, s10, v0
	v_cmp_lt_i32_e64 s[0:1], 0, v8
	s_and_b64 s[4:5], vcc, s[0:1]
	v_mov_b32_e32 v1, 0
	v_mov_b32_e32 v0, 0
	;; [unrolled: 1-line block ×3, first 2 shown]
	s_and_saveexec_b64 s[2:3], s[4:5]
	s_cbranch_execz .LBB556_2
; %bb.1:
	global_load_dword v0, v[4:5], off
	global_load_dword v9, v[6:7], off
.LBB556_2:
	s_or_b64 exec, exec, s[2:3]
	v_cmp_lt_i32_e64 s[2:3], 1, v8
	s_and_b64 s[2:3], vcc, s[2:3]
	s_mov_b32 s11, 0
	v_mov_b32_e32 v10, 0
	s_and_saveexec_b64 s[4:5], s[2:3]
	s_cbranch_execz .LBB556_4
; %bb.3:
	s_lshl_b64 s[6:7], s[10:11], 2
	v_mov_b32_e32 v10, s7
	v_add_co_u32_e64 v4, s[2:3], s6, v4
	v_addc_co_u32_e64 v5, s[2:3], v5, v10, s[2:3]
	global_load_dword v1, v[4:5], off
	v_add_co_u32_e64 v4, s[2:3], s6, v6
	v_addc_co_u32_e64 v5, s[2:3], v7, v10, s[2:3]
	global_load_dword v10, v[4:5], off
.LBB556_4:
	s_or_b64 exec, exec, s[4:5]
	v_mbcnt_lo_u32_b32 v6, -1, 0
	v_mbcnt_hi_u32_b32 v11, -1, v6
	v_and_b32_e32 v6, 0x60, v11
	v_add_u32_e32 v12, 32, v6
	v_xor_b32_e32 v6, 16, v11
	v_cmp_lt_i32_e64 s[2:3], v6, v12
	v_cndmask_b32_e64 v6, v11, v6, s[2:3]
	s_waitcnt vmcnt(1)
	v_pk_add_f32 v[4:5], v[0:1], 0 op_sel_hi:[1,0]
	v_lshlrev_b32_e32 v7, 2, v6
	ds_bpermute_b32 v6, v7, v4
	ds_bpermute_b32 v7, v7, v5
	v_xor_b32_e32 v13, 8, v11
	v_cmp_lt_i32_e64 s[2:3], v13, v12
	v_cndmask_b32_e64 v13, v11, v13, s[2:3]
	v_lshlrev_b32_e32 v13, 2, v13
	s_waitcnt lgkmcnt(0)
	v_pk_add_f32 v[4:5], v[4:5], v[6:7]
	ds_bpermute_b32 v6, v13, v4
	ds_bpermute_b32 v7, v13, v5
	v_xor_b32_e32 v13, 4, v11
	v_cmp_lt_i32_e64 s[2:3], v13, v12
	v_cndmask_b32_e64 v13, v11, v13, s[2:3]
	v_lshlrev_b32_e32 v13, 2, v13
	s_waitcnt lgkmcnt(0)
	v_pk_add_f32 v[4:5], v[4:5], v[6:7]
	ds_bpermute_b32 v6, v13, v4
	ds_bpermute_b32 v7, v13, v5
	v_xor_b32_e32 v13, 2, v11
	v_cmp_lt_i32_e64 s[2:3], v13, v12
	v_cndmask_b32_e64 v13, v11, v13, s[2:3]
	v_lshlrev_b32_e32 v13, 2, v13
	s_waitcnt lgkmcnt(0)
	v_pk_add_f32 v[4:5], v[4:5], v[6:7]
	ds_bpermute_b32 v6, v13, v4
	ds_bpermute_b32 v7, v13, v5
	v_xor_b32_e32 v13, 1, v11
	v_cmp_lt_i32_e64 s[2:3], v13, v12
	v_cndmask_b32_e64 v11, v11, v13, s[2:3]
	v_lshlrev_b32_e32 v11, 2, v11
	s_waitcnt lgkmcnt(0)
	v_pk_add_f32 v[4:5], v[4:5], v[6:7]
	ds_bpermute_b32 v6, v11, v4
	ds_bpermute_b32 v7, v11, v5
	s_and_saveexec_b64 s[2:3], s[0:1]
	s_cbranch_execz .LBB556_10
; %bb.5:
	v_mov_b32_e32 v11, s13
	v_add_co_u32_e64 v2, s[0:1], s12, v2
	v_addc_co_u32_e64 v3, s[0:1], v11, v3, s[0:1]
	s_waitcnt lgkmcnt(0)
	v_pk_add_f32 v[4:5], v[4:5], v[6:7]
	s_and_saveexec_b64 s[0:1], vcc
	s_cbranch_execz .LBB556_7
; %bb.6:
	s_waitcnt vmcnt(0)
	v_fma_f32 v0, -v4, v9, v0
	global_store_dword v[2:3], v0, off
.LBB556_7:
	s_or_b64 exec, exec, s[0:1]
	v_cmp_ne_u32_e64 s[0:1], 1, v8
	s_and_b64 exec, exec, s[0:1]
	s_cbranch_execz .LBB556_10
; %bb.8:
	s_and_b64 exec, exec, vcc
	s_cbranch_execz .LBB556_10
; %bb.9:
	s_lshl_b64 s[0:1], s[10:11], 2
	s_waitcnt vmcnt(0)
	v_fma_f32 v4, -v5, v10, v1
	v_mov_b32_e32 v1, s1
	v_add_co_u32_e32 v0, vcc, s0, v2
	v_addc_co_u32_e32 v1, vcc, v3, v1, vcc
	global_store_dword v[0:1], v4, off
.LBB556_10:
	s_endpgm
	.section	.rodata,"a",@progbits
	.p2align	6, 0x0
	.amdhsa_kernel _ZN12_GLOBAL__N_121softmax_warp_backwardIfffLi5ELb0ELb0ELi64EEEvPT0_PKT_S5_iiiPKb
		.amdhsa_group_segment_fixed_size 0
		.amdhsa_private_segment_fixed_size 0
		.amdhsa_kernarg_size 304
		.amdhsa_user_sgpr_count 6
		.amdhsa_user_sgpr_private_segment_buffer 1
		.amdhsa_user_sgpr_dispatch_ptr 0
		.amdhsa_user_sgpr_queue_ptr 0
		.amdhsa_user_sgpr_kernarg_segment_ptr 1
		.amdhsa_user_sgpr_dispatch_id 0
		.amdhsa_user_sgpr_flat_scratch_init 0
		.amdhsa_user_sgpr_kernarg_preload_length 0
		.amdhsa_user_sgpr_kernarg_preload_offset 0
		.amdhsa_user_sgpr_private_segment_size 0
		.amdhsa_uses_dynamic_stack 0
		.amdhsa_system_sgpr_private_segment_wavefront_offset 0
		.amdhsa_system_sgpr_workgroup_id_x 1
		.amdhsa_system_sgpr_workgroup_id_y 0
		.amdhsa_system_sgpr_workgroup_id_z 0
		.amdhsa_system_sgpr_workgroup_info 0
		.amdhsa_system_vgpr_workitem_id 1
		.amdhsa_next_free_vgpr 14
		.amdhsa_next_free_sgpr 16
		.amdhsa_accum_offset 16
		.amdhsa_reserve_vcc 1
		.amdhsa_reserve_flat_scratch 0
		.amdhsa_float_round_mode_32 0
		.amdhsa_float_round_mode_16_64 0
		.amdhsa_float_denorm_mode_32 3
		.amdhsa_float_denorm_mode_16_64 3
		.amdhsa_dx10_clamp 1
		.amdhsa_ieee_mode 1
		.amdhsa_fp16_overflow 0
		.amdhsa_tg_split 0
		.amdhsa_exception_fp_ieee_invalid_op 0
		.amdhsa_exception_fp_denorm_src 0
		.amdhsa_exception_fp_ieee_div_zero 0
		.amdhsa_exception_fp_ieee_overflow 0
		.amdhsa_exception_fp_ieee_underflow 0
		.amdhsa_exception_fp_ieee_inexact 0
		.amdhsa_exception_int_div_zero 0
	.end_amdhsa_kernel
	.section	.text._ZN12_GLOBAL__N_121softmax_warp_backwardIfffLi5ELb0ELb0ELi64EEEvPT0_PKT_S5_iiiPKb,"axG",@progbits,_ZN12_GLOBAL__N_121softmax_warp_backwardIfffLi5ELb0ELb0ELi64EEEvPT0_PKT_S5_iiiPKb,comdat
.Lfunc_end556:
	.size	_ZN12_GLOBAL__N_121softmax_warp_backwardIfffLi5ELb0ELb0ELi64EEEvPT0_PKT_S5_iiiPKb, .Lfunc_end556-_ZN12_GLOBAL__N_121softmax_warp_backwardIfffLi5ELb0ELb0ELi64EEEvPT0_PKT_S5_iiiPKb
                                        ; -- End function
	.section	.AMDGPU.csdata,"",@progbits
; Kernel info:
; codeLenInByte = 680
; NumSgprs: 20
; NumVgprs: 14
; NumAgprs: 0
; TotalNumVgprs: 14
; ScratchSize: 0
; MemoryBound: 0
; FloatMode: 240
; IeeeMode: 1
; LDSByteSize: 0 bytes/workgroup (compile time only)
; SGPRBlocks: 2
; VGPRBlocks: 1
; NumSGPRsForWavesPerEU: 20
; NumVGPRsForWavesPerEU: 14
; AccumOffset: 16
; Occupancy: 8
; WaveLimiterHint : 0
; COMPUTE_PGM_RSRC2:SCRATCH_EN: 0
; COMPUTE_PGM_RSRC2:USER_SGPR: 6
; COMPUTE_PGM_RSRC2:TRAP_HANDLER: 0
; COMPUTE_PGM_RSRC2:TGID_X_EN: 1
; COMPUTE_PGM_RSRC2:TGID_Y_EN: 0
; COMPUTE_PGM_RSRC2:TGID_Z_EN: 0
; COMPUTE_PGM_RSRC2:TIDIG_COMP_CNT: 1
; COMPUTE_PGM_RSRC3_GFX90A:ACCUM_OFFSET: 3
; COMPUTE_PGM_RSRC3_GFX90A:TG_SPLIT: 0
	.section	.text._ZN12_GLOBAL__N_121softmax_warp_backwardIfffLi5ELb0ELb0ELi32EEEvPT0_PKT_S5_iiiPKb,"axG",@progbits,_ZN12_GLOBAL__N_121softmax_warp_backwardIfffLi5ELb0ELb0ELi32EEEvPT0_PKT_S5_iiiPKb,comdat
	.globl	_ZN12_GLOBAL__N_121softmax_warp_backwardIfffLi5ELb0ELb0ELi32EEEvPT0_PKT_S5_iiiPKb ; -- Begin function _ZN12_GLOBAL__N_121softmax_warp_backwardIfffLi5ELb0ELb0ELi32EEEvPT0_PKT_S5_iiiPKb
	.p2align	8
	.type	_ZN12_GLOBAL__N_121softmax_warp_backwardIfffLi5ELb0ELb0ELi32EEEvPT0_PKT_S5_iiiPKb,@function
_ZN12_GLOBAL__N_121softmax_warp_backwardIfffLi5ELb0ELb0ELi32EEEvPT0_PKT_S5_iiiPKb: ; @_ZN12_GLOBAL__N_121softmax_warp_backwardIfffLi5ELb0ELb0ELi32EEEvPT0_PKT_S5_iiiPKb
; %bb.0:
	s_load_dword s2, s[4:5], 0x3c
	s_load_dwordx4 s[8:11], s[4:5], 0x18
	s_load_dwordx4 s[12:15], s[4:5], 0x0
	s_load_dwordx2 s[0:1], s[4:5], 0x10
	v_bfe_u32 v1, v0, 10, 10
	s_waitcnt lgkmcnt(0)
	s_lshr_b32 s2, s2, 16
	s_mul_i32 s6, s6, s2
	v_add_lshl_u32 v1, s6, v1, 1
	v_and_b32_e32 v0, 31, v0
	v_mad_u64_u32 v[2:3], s[2:3], v1, s9, v[0:1]
	v_ashrrev_i32_e32 v3, 31, v2
	v_lshlrev_b64 v[2:3], 2, v[2:3]
	v_sub_u32_e32 v8, s8, v1
	v_mov_b32_e32 v1, s15
	v_add_co_u32_e32 v4, vcc, s14, v2
	v_addc_co_u32_e32 v5, vcc, v1, v3, vcc
	v_mov_b32_e32 v1, s1
	v_add_co_u32_e32 v6, vcc, s0, v2
	v_addc_co_u32_e32 v7, vcc, v1, v3, vcc
	v_cmp_gt_i32_e32 vcc, s10, v0
	v_cmp_lt_i32_e64 s[0:1], 0, v8
	s_and_b64 s[4:5], vcc, s[0:1]
	v_mov_b32_e32 v1, 0
	v_mov_b32_e32 v0, 0
	;; [unrolled: 1-line block ×3, first 2 shown]
	s_and_saveexec_b64 s[2:3], s[4:5]
	s_cbranch_execz .LBB557_2
; %bb.1:
	global_load_dword v0, v[4:5], off
	global_load_dword v9, v[6:7], off
.LBB557_2:
	s_or_b64 exec, exec, s[2:3]
	v_cmp_lt_i32_e64 s[2:3], 1, v8
	s_and_b64 s[2:3], vcc, s[2:3]
	s_mov_b32 s11, 0
	v_mov_b32_e32 v10, 0
	s_and_saveexec_b64 s[4:5], s[2:3]
	s_cbranch_execz .LBB557_4
; %bb.3:
	s_lshl_b64 s[6:7], s[10:11], 2
	v_mov_b32_e32 v10, s7
	v_add_co_u32_e64 v4, s[2:3], s6, v4
	v_addc_co_u32_e64 v5, s[2:3], v5, v10, s[2:3]
	global_load_dword v1, v[4:5], off
	v_add_co_u32_e64 v4, s[2:3], s6, v6
	v_addc_co_u32_e64 v5, s[2:3], v7, v10, s[2:3]
	global_load_dword v10, v[4:5], off
.LBB557_4:
	s_or_b64 exec, exec, s[4:5]
	v_mbcnt_lo_u32_b32 v6, -1, 0
	v_mbcnt_hi_u32_b32 v11, -1, v6
	v_and_b32_e32 v6, 0x60, v11
	v_add_u32_e32 v12, 32, v6
	v_xor_b32_e32 v6, 16, v11
	v_cmp_lt_i32_e64 s[2:3], v6, v12
	v_cndmask_b32_e64 v6, v11, v6, s[2:3]
	s_waitcnt vmcnt(1)
	v_pk_add_f32 v[4:5], v[0:1], 0 op_sel_hi:[1,0]
	v_lshlrev_b32_e32 v7, 2, v6
	ds_bpermute_b32 v6, v7, v4
	ds_bpermute_b32 v7, v7, v5
	v_xor_b32_e32 v13, 8, v11
	v_cmp_lt_i32_e64 s[2:3], v13, v12
	v_cndmask_b32_e64 v13, v11, v13, s[2:3]
	v_lshlrev_b32_e32 v13, 2, v13
	s_waitcnt lgkmcnt(0)
	v_pk_add_f32 v[4:5], v[4:5], v[6:7]
	ds_bpermute_b32 v6, v13, v4
	ds_bpermute_b32 v7, v13, v5
	v_xor_b32_e32 v13, 4, v11
	v_cmp_lt_i32_e64 s[2:3], v13, v12
	v_cndmask_b32_e64 v13, v11, v13, s[2:3]
	v_lshlrev_b32_e32 v13, 2, v13
	s_waitcnt lgkmcnt(0)
	v_pk_add_f32 v[4:5], v[4:5], v[6:7]
	;; [unrolled: 8-line block ×4, first 2 shown]
	ds_bpermute_b32 v6, v11, v4
	ds_bpermute_b32 v7, v11, v5
	s_and_saveexec_b64 s[2:3], s[0:1]
	s_cbranch_execz .LBB557_10
; %bb.5:
	v_mov_b32_e32 v11, s13
	v_add_co_u32_e64 v2, s[0:1], s12, v2
	v_addc_co_u32_e64 v3, s[0:1], v11, v3, s[0:1]
	s_waitcnt lgkmcnt(0)
	v_pk_add_f32 v[4:5], v[4:5], v[6:7]
	s_and_saveexec_b64 s[0:1], vcc
	s_cbranch_execz .LBB557_7
; %bb.6:
	s_waitcnt vmcnt(0)
	v_fma_f32 v0, -v4, v9, v0
	global_store_dword v[2:3], v0, off
.LBB557_7:
	s_or_b64 exec, exec, s[0:1]
	v_cmp_ne_u32_e64 s[0:1], 1, v8
	s_and_b64 exec, exec, s[0:1]
	s_cbranch_execz .LBB557_10
; %bb.8:
	s_and_b64 exec, exec, vcc
	s_cbranch_execz .LBB557_10
; %bb.9:
	s_lshl_b64 s[0:1], s[10:11], 2
	s_waitcnt vmcnt(0)
	v_fma_f32 v4, -v5, v10, v1
	v_mov_b32_e32 v1, s1
	v_add_co_u32_e32 v0, vcc, s0, v2
	v_addc_co_u32_e32 v1, vcc, v3, v1, vcc
	global_store_dword v[0:1], v4, off
.LBB557_10:
	s_endpgm
	.section	.rodata,"a",@progbits
	.p2align	6, 0x0
	.amdhsa_kernel _ZN12_GLOBAL__N_121softmax_warp_backwardIfffLi5ELb0ELb0ELi32EEEvPT0_PKT_S5_iiiPKb
		.amdhsa_group_segment_fixed_size 0
		.amdhsa_private_segment_fixed_size 0
		.amdhsa_kernarg_size 304
		.amdhsa_user_sgpr_count 6
		.amdhsa_user_sgpr_private_segment_buffer 1
		.amdhsa_user_sgpr_dispatch_ptr 0
		.amdhsa_user_sgpr_queue_ptr 0
		.amdhsa_user_sgpr_kernarg_segment_ptr 1
		.amdhsa_user_sgpr_dispatch_id 0
		.amdhsa_user_sgpr_flat_scratch_init 0
		.amdhsa_user_sgpr_kernarg_preload_length 0
		.amdhsa_user_sgpr_kernarg_preload_offset 0
		.amdhsa_user_sgpr_private_segment_size 0
		.amdhsa_uses_dynamic_stack 0
		.amdhsa_system_sgpr_private_segment_wavefront_offset 0
		.amdhsa_system_sgpr_workgroup_id_x 1
		.amdhsa_system_sgpr_workgroup_id_y 0
		.amdhsa_system_sgpr_workgroup_id_z 0
		.amdhsa_system_sgpr_workgroup_info 0
		.amdhsa_system_vgpr_workitem_id 1
		.amdhsa_next_free_vgpr 14
		.amdhsa_next_free_sgpr 16
		.amdhsa_accum_offset 16
		.amdhsa_reserve_vcc 1
		.amdhsa_reserve_flat_scratch 0
		.amdhsa_float_round_mode_32 0
		.amdhsa_float_round_mode_16_64 0
		.amdhsa_float_denorm_mode_32 3
		.amdhsa_float_denorm_mode_16_64 3
		.amdhsa_dx10_clamp 1
		.amdhsa_ieee_mode 1
		.amdhsa_fp16_overflow 0
		.amdhsa_tg_split 0
		.amdhsa_exception_fp_ieee_invalid_op 0
		.amdhsa_exception_fp_denorm_src 0
		.amdhsa_exception_fp_ieee_div_zero 0
		.amdhsa_exception_fp_ieee_overflow 0
		.amdhsa_exception_fp_ieee_underflow 0
		.amdhsa_exception_fp_ieee_inexact 0
		.amdhsa_exception_int_div_zero 0
	.end_amdhsa_kernel
	.section	.text._ZN12_GLOBAL__N_121softmax_warp_backwardIfffLi5ELb0ELb0ELi32EEEvPT0_PKT_S5_iiiPKb,"axG",@progbits,_ZN12_GLOBAL__N_121softmax_warp_backwardIfffLi5ELb0ELb0ELi32EEEvPT0_PKT_S5_iiiPKb,comdat
.Lfunc_end557:
	.size	_ZN12_GLOBAL__N_121softmax_warp_backwardIfffLi5ELb0ELb0ELi32EEEvPT0_PKT_S5_iiiPKb, .Lfunc_end557-_ZN12_GLOBAL__N_121softmax_warp_backwardIfffLi5ELb0ELb0ELi32EEEvPT0_PKT_S5_iiiPKb
                                        ; -- End function
	.section	.AMDGPU.csdata,"",@progbits
; Kernel info:
; codeLenInByte = 680
; NumSgprs: 20
; NumVgprs: 14
; NumAgprs: 0
; TotalNumVgprs: 14
; ScratchSize: 0
; MemoryBound: 0
; FloatMode: 240
; IeeeMode: 1
; LDSByteSize: 0 bytes/workgroup (compile time only)
; SGPRBlocks: 2
; VGPRBlocks: 1
; NumSGPRsForWavesPerEU: 20
; NumVGPRsForWavesPerEU: 14
; AccumOffset: 16
; Occupancy: 8
; WaveLimiterHint : 0
; COMPUTE_PGM_RSRC2:SCRATCH_EN: 0
; COMPUTE_PGM_RSRC2:USER_SGPR: 6
; COMPUTE_PGM_RSRC2:TRAP_HANDLER: 0
; COMPUTE_PGM_RSRC2:TGID_X_EN: 1
; COMPUTE_PGM_RSRC2:TGID_Y_EN: 0
; COMPUTE_PGM_RSRC2:TGID_Z_EN: 0
; COMPUTE_PGM_RSRC2:TIDIG_COMP_CNT: 1
; COMPUTE_PGM_RSRC3_GFX90A:ACCUM_OFFSET: 3
; COMPUTE_PGM_RSRC3_GFX90A:TG_SPLIT: 0
	.section	.text._ZN12_GLOBAL__N_121softmax_warp_backwardIfffLi6ELb0ELb0ELi64EEEvPT0_PKT_S5_iiiPKb,"axG",@progbits,_ZN12_GLOBAL__N_121softmax_warp_backwardIfffLi6ELb0ELb0ELi64EEEvPT0_PKT_S5_iiiPKb,comdat
	.globl	_ZN12_GLOBAL__N_121softmax_warp_backwardIfffLi6ELb0ELb0ELi64EEEvPT0_PKT_S5_iiiPKb ; -- Begin function _ZN12_GLOBAL__N_121softmax_warp_backwardIfffLi6ELb0ELb0ELi64EEEvPT0_PKT_S5_iiiPKb
	.p2align	8
	.type	_ZN12_GLOBAL__N_121softmax_warp_backwardIfffLi6ELb0ELb0ELi64EEEvPT0_PKT_S5_iiiPKb,@function
_ZN12_GLOBAL__N_121softmax_warp_backwardIfffLi6ELb0ELb0ELi64EEEvPT0_PKT_S5_iiiPKb: ; @_ZN12_GLOBAL__N_121softmax_warp_backwardIfffLi6ELb0ELb0ELi64EEEvPT0_PKT_S5_iiiPKb
; %bb.0:
	s_load_dword s2, s[4:5], 0x3c
	s_load_dwordx4 s[8:11], s[4:5], 0x18
	s_load_dwordx4 s[12:15], s[4:5], 0x0
	s_load_dwordx2 s[0:1], s[4:5], 0x10
	v_bfe_u32 v1, v0, 10, 10
	s_waitcnt lgkmcnt(0)
	s_lshr_b32 s2, s2, 16
	s_mul_i32 s6, s6, s2
	v_add_lshl_u32 v1, s6, v1, 1
	v_and_b32_e32 v0, 63, v0
	v_mad_u64_u32 v[2:3], s[2:3], v1, s9, v[0:1]
	v_ashrrev_i32_e32 v3, 31, v2
	v_lshlrev_b64 v[2:3], 2, v[2:3]
	v_sub_u32_e32 v8, s8, v1
	v_mov_b32_e32 v1, s15
	v_add_co_u32_e32 v4, vcc, s14, v2
	v_addc_co_u32_e32 v5, vcc, v1, v3, vcc
	v_mov_b32_e32 v1, s1
	v_add_co_u32_e32 v6, vcc, s0, v2
	v_addc_co_u32_e32 v7, vcc, v1, v3, vcc
	v_cmp_gt_i32_e32 vcc, s10, v0
	v_cmp_lt_i32_e64 s[0:1], 0, v8
	s_and_b64 s[4:5], vcc, s[0:1]
	v_mov_b32_e32 v1, 0
	v_mov_b32_e32 v0, 0
	;; [unrolled: 1-line block ×3, first 2 shown]
	s_and_saveexec_b64 s[2:3], s[4:5]
	s_cbranch_execz .LBB558_2
; %bb.1:
	global_load_dword v0, v[4:5], off
	global_load_dword v9, v[6:7], off
.LBB558_2:
	s_or_b64 exec, exec, s[2:3]
	v_cmp_lt_i32_e64 s[2:3], 1, v8
	s_and_b64 s[2:3], vcc, s[2:3]
	s_mov_b32 s11, 0
	v_mov_b32_e32 v10, 0
	s_and_saveexec_b64 s[4:5], s[2:3]
	s_cbranch_execz .LBB558_4
; %bb.3:
	s_lshl_b64 s[6:7], s[10:11], 2
	v_mov_b32_e32 v10, s7
	v_add_co_u32_e64 v4, s[2:3], s6, v4
	v_addc_co_u32_e64 v5, s[2:3], v5, v10, s[2:3]
	global_load_dword v1, v[4:5], off
	v_add_co_u32_e64 v4, s[2:3], s6, v6
	v_addc_co_u32_e64 v5, s[2:3], v7, v10, s[2:3]
	global_load_dword v10, v[4:5], off
.LBB558_4:
	s_or_b64 exec, exec, s[4:5]
	v_mbcnt_lo_u32_b32 v6, -1, 0
	v_mbcnt_hi_u32_b32 v11, -1, v6
	v_and_b32_e32 v6, 64, v11
	v_add_u32_e32 v12, 64, v6
	v_xor_b32_e32 v6, 32, v11
	v_cmp_lt_i32_e64 s[2:3], v6, v12
	v_cndmask_b32_e64 v6, v11, v6, s[2:3]
	s_waitcnt vmcnt(1)
	v_pk_add_f32 v[4:5], v[0:1], 0 op_sel_hi:[1,0]
	v_lshlrev_b32_e32 v7, 2, v6
	ds_bpermute_b32 v6, v7, v4
	ds_bpermute_b32 v7, v7, v5
	v_xor_b32_e32 v13, 16, v11
	v_cmp_lt_i32_e64 s[2:3], v13, v12
	v_cndmask_b32_e64 v13, v11, v13, s[2:3]
	v_lshlrev_b32_e32 v13, 2, v13
	s_waitcnt lgkmcnt(0)
	v_pk_add_f32 v[4:5], v[4:5], v[6:7]
	ds_bpermute_b32 v6, v13, v4
	ds_bpermute_b32 v7, v13, v5
	v_xor_b32_e32 v13, 8, v11
	v_cmp_lt_i32_e64 s[2:3], v13, v12
	v_cndmask_b32_e64 v13, v11, v13, s[2:3]
	v_lshlrev_b32_e32 v13, 2, v13
	s_waitcnt lgkmcnt(0)
	v_pk_add_f32 v[4:5], v[4:5], v[6:7]
	;; [unrolled: 8-line block ×5, first 2 shown]
	ds_bpermute_b32 v6, v11, v4
	ds_bpermute_b32 v7, v11, v5
	s_and_saveexec_b64 s[2:3], s[0:1]
	s_cbranch_execz .LBB558_10
; %bb.5:
	v_mov_b32_e32 v11, s13
	v_add_co_u32_e64 v2, s[0:1], s12, v2
	v_addc_co_u32_e64 v3, s[0:1], v11, v3, s[0:1]
	s_waitcnt lgkmcnt(0)
	v_pk_add_f32 v[4:5], v[4:5], v[6:7]
	s_and_saveexec_b64 s[0:1], vcc
	s_cbranch_execz .LBB558_7
; %bb.6:
	s_waitcnt vmcnt(0)
	v_fma_f32 v0, -v4, v9, v0
	global_store_dword v[2:3], v0, off
.LBB558_7:
	s_or_b64 exec, exec, s[0:1]
	v_cmp_ne_u32_e64 s[0:1], 1, v8
	s_and_b64 exec, exec, s[0:1]
	s_cbranch_execz .LBB558_10
; %bb.8:
	s_and_b64 exec, exec, vcc
	s_cbranch_execz .LBB558_10
; %bb.9:
	s_lshl_b64 s[0:1], s[10:11], 2
	s_waitcnt vmcnt(0)
	v_fma_f32 v4, -v5, v10, v1
	v_mov_b32_e32 v1, s1
	v_add_co_u32_e32 v0, vcc, s0, v2
	v_addc_co_u32_e32 v1, vcc, v3, v1, vcc
	global_store_dword v[0:1], v4, off
.LBB558_10:
	s_endpgm
	.section	.rodata,"a",@progbits
	.p2align	6, 0x0
	.amdhsa_kernel _ZN12_GLOBAL__N_121softmax_warp_backwardIfffLi6ELb0ELb0ELi64EEEvPT0_PKT_S5_iiiPKb
		.amdhsa_group_segment_fixed_size 0
		.amdhsa_private_segment_fixed_size 0
		.amdhsa_kernarg_size 304
		.amdhsa_user_sgpr_count 6
		.amdhsa_user_sgpr_private_segment_buffer 1
		.amdhsa_user_sgpr_dispatch_ptr 0
		.amdhsa_user_sgpr_queue_ptr 0
		.amdhsa_user_sgpr_kernarg_segment_ptr 1
		.amdhsa_user_sgpr_dispatch_id 0
		.amdhsa_user_sgpr_flat_scratch_init 0
		.amdhsa_user_sgpr_kernarg_preload_length 0
		.amdhsa_user_sgpr_kernarg_preload_offset 0
		.amdhsa_user_sgpr_private_segment_size 0
		.amdhsa_uses_dynamic_stack 0
		.amdhsa_system_sgpr_private_segment_wavefront_offset 0
		.amdhsa_system_sgpr_workgroup_id_x 1
		.amdhsa_system_sgpr_workgroup_id_y 0
		.amdhsa_system_sgpr_workgroup_id_z 0
		.amdhsa_system_sgpr_workgroup_info 0
		.amdhsa_system_vgpr_workitem_id 1
		.amdhsa_next_free_vgpr 14
		.amdhsa_next_free_sgpr 16
		.amdhsa_accum_offset 16
		.amdhsa_reserve_vcc 1
		.amdhsa_reserve_flat_scratch 0
		.amdhsa_float_round_mode_32 0
		.amdhsa_float_round_mode_16_64 0
		.amdhsa_float_denorm_mode_32 3
		.amdhsa_float_denorm_mode_16_64 3
		.amdhsa_dx10_clamp 1
		.amdhsa_ieee_mode 1
		.amdhsa_fp16_overflow 0
		.amdhsa_tg_split 0
		.amdhsa_exception_fp_ieee_invalid_op 0
		.amdhsa_exception_fp_denorm_src 0
		.amdhsa_exception_fp_ieee_div_zero 0
		.amdhsa_exception_fp_ieee_overflow 0
		.amdhsa_exception_fp_ieee_underflow 0
		.amdhsa_exception_fp_ieee_inexact 0
		.amdhsa_exception_int_div_zero 0
	.end_amdhsa_kernel
	.section	.text._ZN12_GLOBAL__N_121softmax_warp_backwardIfffLi6ELb0ELb0ELi64EEEvPT0_PKT_S5_iiiPKb,"axG",@progbits,_ZN12_GLOBAL__N_121softmax_warp_backwardIfffLi6ELb0ELb0ELi64EEEvPT0_PKT_S5_iiiPKb,comdat
.Lfunc_end558:
	.size	_ZN12_GLOBAL__N_121softmax_warp_backwardIfffLi6ELb0ELb0ELi64EEEvPT0_PKT_S5_iiiPKb, .Lfunc_end558-_ZN12_GLOBAL__N_121softmax_warp_backwardIfffLi6ELb0ELb0ELi64EEEvPT0_PKT_S5_iiiPKb
                                        ; -- End function
	.section	.AMDGPU.csdata,"",@progbits
; Kernel info:
; codeLenInByte = 728
; NumSgprs: 20
; NumVgprs: 14
; NumAgprs: 0
; TotalNumVgprs: 14
; ScratchSize: 0
; MemoryBound: 0
; FloatMode: 240
; IeeeMode: 1
; LDSByteSize: 0 bytes/workgroup (compile time only)
; SGPRBlocks: 2
; VGPRBlocks: 1
; NumSGPRsForWavesPerEU: 20
; NumVGPRsForWavesPerEU: 14
; AccumOffset: 16
; Occupancy: 8
; WaveLimiterHint : 0
; COMPUTE_PGM_RSRC2:SCRATCH_EN: 0
; COMPUTE_PGM_RSRC2:USER_SGPR: 6
; COMPUTE_PGM_RSRC2:TRAP_HANDLER: 0
; COMPUTE_PGM_RSRC2:TGID_X_EN: 1
; COMPUTE_PGM_RSRC2:TGID_Y_EN: 0
; COMPUTE_PGM_RSRC2:TGID_Z_EN: 0
; COMPUTE_PGM_RSRC2:TIDIG_COMP_CNT: 1
; COMPUTE_PGM_RSRC3_GFX90A:ACCUM_OFFSET: 3
; COMPUTE_PGM_RSRC3_GFX90A:TG_SPLIT: 0
	.section	.text._ZN12_GLOBAL__N_121softmax_warp_backwardIfffLi6ELb0ELb0ELi32EEEvPT0_PKT_S5_iiiPKb,"axG",@progbits,_ZN12_GLOBAL__N_121softmax_warp_backwardIfffLi6ELb0ELb0ELi32EEEvPT0_PKT_S5_iiiPKb,comdat
	.globl	_ZN12_GLOBAL__N_121softmax_warp_backwardIfffLi6ELb0ELb0ELi32EEEvPT0_PKT_S5_iiiPKb ; -- Begin function _ZN12_GLOBAL__N_121softmax_warp_backwardIfffLi6ELb0ELb0ELi32EEEvPT0_PKT_S5_iiiPKb
	.p2align	8
	.type	_ZN12_GLOBAL__N_121softmax_warp_backwardIfffLi6ELb0ELb0ELi32EEEvPT0_PKT_S5_iiiPKb,@function
_ZN12_GLOBAL__N_121softmax_warp_backwardIfffLi6ELb0ELb0ELi32EEEvPT0_PKT_S5_iiiPKb: ; @_ZN12_GLOBAL__N_121softmax_warp_backwardIfffLi6ELb0ELb0ELi32EEEvPT0_PKT_S5_iiiPKb
; %bb.0:
	s_load_dword s2, s[4:5], 0x3c
	s_load_dwordx4 s[8:11], s[4:5], 0x18
	s_load_dwordx4 s[12:15], s[4:5], 0x0
	s_load_dwordx2 s[0:1], s[4:5], 0x10
	v_bfe_u32 v1, v0, 10, 10
	s_waitcnt lgkmcnt(0)
	s_lshr_b32 s2, s2, 16
	s_mul_i32 s6, s6, s2
	v_add_lshl_u32 v1, s6, v1, 1
	v_sub_u32_e32 v11, s8, v1
	v_and_b32_e32 v10, 31, v0
	v_mad_u64_u32 v[0:1], s[2:3], v1, s9, v[10:11]
	v_ashrrev_i32_e32 v1, 31, v0
	v_lshlrev_b64 v[4:5], 2, v[0:1]
	v_mov_b32_e32 v0, s15
	v_add_co_u32_e32 v6, vcc, s14, v4
	v_addc_co_u32_e32 v7, vcc, v0, v5, vcc
	v_mov_b32_e32 v0, s1
	v_add_co_u32_e32 v8, vcc, s0, v4
	v_cmp_lt_i32_e64 s[2:3], 0, v11
	v_cmp_gt_i32_e64 s[0:1], s10, v10
	v_addc_co_u32_e32 v9, vcc, v0, v5, vcc
	s_and_b64 s[6:7], s[2:3], s[0:1]
	v_mov_b32_e32 v0, 0
	v_mov_b32_e32 v2, 0
	;; [unrolled: 1-line block ×3, first 2 shown]
	s_and_saveexec_b64 s[4:5], s[6:7]
	s_cbranch_execz .LBB559_2
; %bb.1:
	global_load_dword v2, v[6:7], off
	global_load_dword v12, v[8:9], off
.LBB559_2:
	s_or_b64 exec, exec, s[4:5]
	v_or_b32_e32 v1, 32, v10
	v_cmp_gt_i32_e32 vcc, s10, v1
	s_and_b64 s[6:7], s[2:3], vcc
	v_mov_b32_e32 v10, 0
	s_and_saveexec_b64 s[4:5], s[6:7]
	s_cbranch_execz .LBB559_4
; %bb.3:
	global_load_dword v0, v[6:7], off offset:128
	global_load_dword v10, v[8:9], off offset:128
.LBB559_4:
	s_or_b64 exec, exec, s[4:5]
	v_cmp_lt_i32_e64 s[4:5], 1, v11
	s_and_b64 s[6:7], s[4:5], s[0:1]
	s_mov_b32 s11, 0
	v_mov_b32_e32 v1, 0
	v_mov_b32_e32 v3, 0
	;; [unrolled: 1-line block ×3, first 2 shown]
	s_and_saveexec_b64 s[8:9], s[6:7]
	s_cbranch_execz .LBB559_6
; %bb.5:
	s_lshl_b64 s[14:15], s[10:11], 2
	v_mov_b32_e32 v13, s15
	v_add_co_u32_e64 v14, s[6:7], s14, v6
	v_addc_co_u32_e64 v15, s[6:7], v7, v13, s[6:7]
	global_load_dword v3, v[14:15], off
	v_add_co_u32_e64 v14, s[6:7], s14, v8
	v_addc_co_u32_e64 v15, s[6:7], v9, v13, s[6:7]
	global_load_dword v13, v[14:15], off
.LBB559_6:
	s_or_b64 exec, exec, s[8:9]
	s_and_b64 s[4:5], s[4:5], vcc
	v_mov_b32_e32 v14, 0
	s_and_saveexec_b64 s[6:7], s[4:5]
	s_cbranch_execz .LBB559_8
; %bb.7:
	s_lshl_b64 s[8:9], s[10:11], 2
	v_mov_b32_e32 v14, s9
	v_add_co_u32_e64 v6, s[4:5], s8, v6
	v_addc_co_u32_e64 v7, s[4:5], v7, v14, s[4:5]
	global_load_dword v1, v[6:7], off offset:128
	v_add_co_u32_e64 v6, s[4:5], s8, v8
	v_addc_co_u32_e64 v7, s[4:5], v9, v14, s[4:5]
	global_load_dword v14, v[6:7], off offset:128
.LBB559_8:
	s_or_b64 exec, exec, s[6:7]
	v_mbcnt_lo_u32_b32 v8, -1, 0
	v_mbcnt_hi_u32_b32 v15, -1, v8
	v_and_b32_e32 v8, 0x60, v15
	v_add_u32_e32 v16, 32, v8
	v_xor_b32_e32 v8, 16, v15
	v_cmp_lt_i32_e64 s[4:5], v8, v16
	s_waitcnt vmcnt(1)
	v_pk_add_f32 v[6:7], v[2:3], 0 op_sel_hi:[1,0]
	v_cndmask_b32_e64 v8, v15, v8, s[4:5]
	v_lshlrev_b32_e32 v9, 2, v8
	v_pk_add_f32 v[6:7], v[6:7], v[0:1]
	ds_bpermute_b32 v8, v9, v6
	ds_bpermute_b32 v9, v9, v7
	v_xor_b32_e32 v17, 8, v15
	v_cmp_lt_i32_e64 s[4:5], v17, v16
	v_cndmask_b32_e64 v17, v15, v17, s[4:5]
	v_lshlrev_b32_e32 v17, 2, v17
	s_waitcnt lgkmcnt(0)
	v_pk_add_f32 v[6:7], v[6:7], v[8:9]
	ds_bpermute_b32 v8, v17, v6
	ds_bpermute_b32 v9, v17, v7
	v_xor_b32_e32 v17, 4, v15
	v_cmp_lt_i32_e64 s[4:5], v17, v16
	v_cndmask_b32_e64 v17, v15, v17, s[4:5]
	v_lshlrev_b32_e32 v17, 2, v17
	s_waitcnt lgkmcnt(0)
	;; [unrolled: 8-line block ×4, first 2 shown]
	v_pk_add_f32 v[6:7], v[6:7], v[8:9]
	ds_bpermute_b32 v8, v15, v6
	ds_bpermute_b32 v9, v15, v7
	s_and_saveexec_b64 s[4:5], s[2:3]
	s_cbranch_execz .LBB559_12
; %bb.9:
	v_mov_b32_e32 v15, s13
	v_add_co_u32_e64 v4, s[2:3], s12, v4
	v_addc_co_u32_e64 v5, s[2:3], v15, v5, s[2:3]
	s_waitcnt lgkmcnt(0)
	v_pk_add_f32 v[6:7], v[6:7], v[8:9]
	s_and_saveexec_b64 s[2:3], s[0:1]
	s_cbranch_execnz .LBB559_13
; %bb.10:
	s_or_b64 exec, exec, s[2:3]
	s_and_saveexec_b64 s[2:3], vcc
	s_cbranch_execnz .LBB559_14
.LBB559_11:
	s_or_b64 exec, exec, s[2:3]
	v_cmp_ne_u32_e64 s[2:3], 1, v11
	s_and_b64 exec, exec, s[2:3]
	s_cbranch_execnz .LBB559_15
.LBB559_12:
	s_endpgm
.LBB559_13:
	s_waitcnt vmcnt(0)
	v_fma_f32 v2, -v6, v12, v2
	global_store_dword v[4:5], v2, off
	s_or_b64 exec, exec, s[2:3]
	s_and_saveexec_b64 s[2:3], vcc
	s_cbranch_execz .LBB559_11
.LBB559_14:
	s_waitcnt vmcnt(0)
	v_fma_f32 v0, -v6, v10, v0
	global_store_dword v[4:5], v0, off offset:128
	s_or_b64 exec, exec, s[2:3]
	v_cmp_ne_u32_e64 s[2:3], 1, v11
	s_and_b64 exec, exec, s[2:3]
	s_cbranch_execz .LBB559_12
.LBB559_15:
	s_and_saveexec_b64 s[2:3], s[0:1]
	s_cbranch_execz .LBB559_17
; %bb.16:
	s_lshl_b64 s[0:1], s[10:11], 2
	s_waitcnt vmcnt(0)
	v_fma_f32 v0, -v7, v13, v3
	v_mov_b32_e32 v3, s1
	v_add_co_u32_e64 v2, s[0:1], s0, v4
	v_addc_co_u32_e64 v3, s[0:1], v5, v3, s[0:1]
	global_store_dword v[2:3], v0, off
.LBB559_17:
	s_or_b64 exec, exec, s[2:3]
	s_and_b64 exec, exec, vcc
	s_cbranch_execz .LBB559_12
; %bb.18:
	s_ashr_i32 s11, s10, 31
	s_lshl_b64 s[0:1], s[10:11], 2
	s_waitcnt vmcnt(0)
	v_fma_f32 v2, -v7, v14, v1
	v_mov_b32_e32 v1, s1
	v_add_co_u32_e32 v0, vcc, s0, v4
	v_addc_co_u32_e32 v1, vcc, v5, v1, vcc
	global_store_dword v[0:1], v2, off offset:128
	s_endpgm
	.section	.rodata,"a",@progbits
	.p2align	6, 0x0
	.amdhsa_kernel _ZN12_GLOBAL__N_121softmax_warp_backwardIfffLi6ELb0ELb0ELi32EEEvPT0_PKT_S5_iiiPKb
		.amdhsa_group_segment_fixed_size 0
		.amdhsa_private_segment_fixed_size 0
		.amdhsa_kernarg_size 304
		.amdhsa_user_sgpr_count 6
		.amdhsa_user_sgpr_private_segment_buffer 1
		.amdhsa_user_sgpr_dispatch_ptr 0
		.amdhsa_user_sgpr_queue_ptr 0
		.amdhsa_user_sgpr_kernarg_segment_ptr 1
		.amdhsa_user_sgpr_dispatch_id 0
		.amdhsa_user_sgpr_flat_scratch_init 0
		.amdhsa_user_sgpr_kernarg_preload_length 0
		.amdhsa_user_sgpr_kernarg_preload_offset 0
		.amdhsa_user_sgpr_private_segment_size 0
		.amdhsa_uses_dynamic_stack 0
		.amdhsa_system_sgpr_private_segment_wavefront_offset 0
		.amdhsa_system_sgpr_workgroup_id_x 1
		.amdhsa_system_sgpr_workgroup_id_y 0
		.amdhsa_system_sgpr_workgroup_id_z 0
		.amdhsa_system_sgpr_workgroup_info 0
		.amdhsa_system_vgpr_workitem_id 1
		.amdhsa_next_free_vgpr 18
		.amdhsa_next_free_sgpr 16
		.amdhsa_accum_offset 20
		.amdhsa_reserve_vcc 1
		.amdhsa_reserve_flat_scratch 0
		.amdhsa_float_round_mode_32 0
		.amdhsa_float_round_mode_16_64 0
		.amdhsa_float_denorm_mode_32 3
		.amdhsa_float_denorm_mode_16_64 3
		.amdhsa_dx10_clamp 1
		.amdhsa_ieee_mode 1
		.amdhsa_fp16_overflow 0
		.amdhsa_tg_split 0
		.amdhsa_exception_fp_ieee_invalid_op 0
		.amdhsa_exception_fp_denorm_src 0
		.amdhsa_exception_fp_ieee_div_zero 0
		.amdhsa_exception_fp_ieee_overflow 0
		.amdhsa_exception_fp_ieee_underflow 0
		.amdhsa_exception_fp_ieee_inexact 0
		.amdhsa_exception_int_div_zero 0
	.end_amdhsa_kernel
	.section	.text._ZN12_GLOBAL__N_121softmax_warp_backwardIfffLi6ELb0ELb0ELi32EEEvPT0_PKT_S5_iiiPKb,"axG",@progbits,_ZN12_GLOBAL__N_121softmax_warp_backwardIfffLi6ELb0ELb0ELi32EEEvPT0_PKT_S5_iiiPKb,comdat
.Lfunc_end559:
	.size	_ZN12_GLOBAL__N_121softmax_warp_backwardIfffLi6ELb0ELb0ELi32EEEvPT0_PKT_S5_iiiPKb, .Lfunc_end559-_ZN12_GLOBAL__N_121softmax_warp_backwardIfffLi6ELb0ELb0ELi32EEEvPT0_PKT_S5_iiiPKb
                                        ; -- End function
	.section	.AMDGPU.csdata,"",@progbits
; Kernel info:
; codeLenInByte = 948
; NumSgprs: 20
; NumVgprs: 18
; NumAgprs: 0
; TotalNumVgprs: 18
; ScratchSize: 0
; MemoryBound: 0
; FloatMode: 240
; IeeeMode: 1
; LDSByteSize: 0 bytes/workgroup (compile time only)
; SGPRBlocks: 2
; VGPRBlocks: 2
; NumSGPRsForWavesPerEU: 20
; NumVGPRsForWavesPerEU: 18
; AccumOffset: 20
; Occupancy: 8
; WaveLimiterHint : 0
; COMPUTE_PGM_RSRC2:SCRATCH_EN: 0
; COMPUTE_PGM_RSRC2:USER_SGPR: 6
; COMPUTE_PGM_RSRC2:TRAP_HANDLER: 0
; COMPUTE_PGM_RSRC2:TGID_X_EN: 1
; COMPUTE_PGM_RSRC2:TGID_Y_EN: 0
; COMPUTE_PGM_RSRC2:TGID_Z_EN: 0
; COMPUTE_PGM_RSRC2:TIDIG_COMP_CNT: 1
; COMPUTE_PGM_RSRC3_GFX90A:ACCUM_OFFSET: 4
; COMPUTE_PGM_RSRC3_GFX90A:TG_SPLIT: 0
	.section	.text._ZN12_GLOBAL__N_121softmax_warp_backwardIfffLi7ELb0ELb0ELi64EEEvPT0_PKT_S5_iiiPKb,"axG",@progbits,_ZN12_GLOBAL__N_121softmax_warp_backwardIfffLi7ELb0ELb0ELi64EEEvPT0_PKT_S5_iiiPKb,comdat
	.globl	_ZN12_GLOBAL__N_121softmax_warp_backwardIfffLi7ELb0ELb0ELi64EEEvPT0_PKT_S5_iiiPKb ; -- Begin function _ZN12_GLOBAL__N_121softmax_warp_backwardIfffLi7ELb0ELb0ELi64EEEvPT0_PKT_S5_iiiPKb
	.p2align	8
	.type	_ZN12_GLOBAL__N_121softmax_warp_backwardIfffLi7ELb0ELb0ELi64EEEvPT0_PKT_S5_iiiPKb,@function
_ZN12_GLOBAL__N_121softmax_warp_backwardIfffLi7ELb0ELb0ELi64EEEvPT0_PKT_S5_iiiPKb: ; @_ZN12_GLOBAL__N_121softmax_warp_backwardIfffLi7ELb0ELb0ELi64EEEvPT0_PKT_S5_iiiPKb
; %bb.0:
	s_load_dword s2, s[4:5], 0x3c
	s_load_dwordx4 s[8:11], s[4:5], 0x18
	s_load_dwordx4 s[12:15], s[4:5], 0x0
	s_load_dwordx2 s[0:1], s[4:5], 0x10
	v_bfe_u32 v1, v0, 10, 10
	s_waitcnt lgkmcnt(0)
	s_lshr_b32 s2, s2, 16
	s_mul_i32 s6, s6, s2
	v_add_lshl_u32 v1, s6, v1, 1
	v_sub_u32_e32 v11, s8, v1
	v_and_b32_e32 v10, 63, v0
	v_mad_u64_u32 v[0:1], s[2:3], v1, s9, v[10:11]
	v_ashrrev_i32_e32 v1, 31, v0
	v_lshlrev_b64 v[4:5], 2, v[0:1]
	v_mov_b32_e32 v0, s15
	v_add_co_u32_e32 v6, vcc, s14, v4
	v_addc_co_u32_e32 v7, vcc, v0, v5, vcc
	v_mov_b32_e32 v0, s1
	v_add_co_u32_e32 v8, vcc, s0, v4
	v_cmp_lt_i32_e64 s[2:3], 0, v11
	v_cmp_gt_i32_e64 s[0:1], s10, v10
	v_addc_co_u32_e32 v9, vcc, v0, v5, vcc
	s_and_b64 s[6:7], s[2:3], s[0:1]
	v_mov_b32_e32 v0, 0
	v_mov_b32_e32 v2, 0
	;; [unrolled: 1-line block ×3, first 2 shown]
	s_and_saveexec_b64 s[4:5], s[6:7]
	s_cbranch_execz .LBB560_2
; %bb.1:
	global_load_dword v2, v[6:7], off
	global_load_dword v12, v[8:9], off
.LBB560_2:
	s_or_b64 exec, exec, s[4:5]
	v_or_b32_e32 v1, 64, v10
	v_cmp_gt_i32_e32 vcc, s10, v1
	s_and_b64 s[6:7], s[2:3], vcc
	v_mov_b32_e32 v10, 0
	s_and_saveexec_b64 s[4:5], s[6:7]
	s_cbranch_execz .LBB560_4
; %bb.3:
	global_load_dword v0, v[6:7], off offset:256
	global_load_dword v10, v[8:9], off offset:256
.LBB560_4:
	s_or_b64 exec, exec, s[4:5]
	v_cmp_lt_i32_e64 s[4:5], 1, v11
	s_and_b64 s[6:7], s[4:5], s[0:1]
	s_mov_b32 s11, 0
	v_mov_b32_e32 v1, 0
	v_mov_b32_e32 v3, 0
	;; [unrolled: 1-line block ×3, first 2 shown]
	s_and_saveexec_b64 s[8:9], s[6:7]
	s_cbranch_execz .LBB560_6
; %bb.5:
	s_lshl_b64 s[14:15], s[10:11], 2
	v_mov_b32_e32 v13, s15
	v_add_co_u32_e64 v14, s[6:7], s14, v6
	v_addc_co_u32_e64 v15, s[6:7], v7, v13, s[6:7]
	global_load_dword v3, v[14:15], off
	v_add_co_u32_e64 v14, s[6:7], s14, v8
	v_addc_co_u32_e64 v15, s[6:7], v9, v13, s[6:7]
	global_load_dword v13, v[14:15], off
.LBB560_6:
	s_or_b64 exec, exec, s[8:9]
	s_and_b64 s[4:5], s[4:5], vcc
	v_mov_b32_e32 v14, 0
	s_and_saveexec_b64 s[6:7], s[4:5]
	s_cbranch_execz .LBB560_8
; %bb.7:
	s_lshl_b64 s[8:9], s[10:11], 2
	v_mov_b32_e32 v14, s9
	v_add_co_u32_e64 v6, s[4:5], s8, v6
	v_addc_co_u32_e64 v7, s[4:5], v7, v14, s[4:5]
	global_load_dword v1, v[6:7], off offset:256
	v_add_co_u32_e64 v6, s[4:5], s8, v8
	v_addc_co_u32_e64 v7, s[4:5], v9, v14, s[4:5]
	global_load_dword v14, v[6:7], off offset:256
.LBB560_8:
	s_or_b64 exec, exec, s[6:7]
	v_mbcnt_lo_u32_b32 v8, -1, 0
	v_mbcnt_hi_u32_b32 v15, -1, v8
	v_and_b32_e32 v8, 64, v15
	v_add_u32_e32 v16, 64, v8
	v_xor_b32_e32 v8, 32, v15
	v_cmp_lt_i32_e64 s[4:5], v8, v16
	s_waitcnt vmcnt(1)
	v_pk_add_f32 v[6:7], v[2:3], 0 op_sel_hi:[1,0]
	v_cndmask_b32_e64 v8, v15, v8, s[4:5]
	v_lshlrev_b32_e32 v9, 2, v8
	v_pk_add_f32 v[6:7], v[6:7], v[0:1]
	ds_bpermute_b32 v8, v9, v6
	ds_bpermute_b32 v9, v9, v7
	v_xor_b32_e32 v17, 16, v15
	v_cmp_lt_i32_e64 s[4:5], v17, v16
	v_cndmask_b32_e64 v17, v15, v17, s[4:5]
	v_lshlrev_b32_e32 v17, 2, v17
	s_waitcnt lgkmcnt(0)
	v_pk_add_f32 v[6:7], v[6:7], v[8:9]
	ds_bpermute_b32 v8, v17, v6
	ds_bpermute_b32 v9, v17, v7
	v_xor_b32_e32 v17, 8, v15
	v_cmp_lt_i32_e64 s[4:5], v17, v16
	v_cndmask_b32_e64 v17, v15, v17, s[4:5]
	v_lshlrev_b32_e32 v17, 2, v17
	s_waitcnt lgkmcnt(0)
	;; [unrolled: 8-line block ×5, first 2 shown]
	v_pk_add_f32 v[6:7], v[6:7], v[8:9]
	ds_bpermute_b32 v8, v15, v6
	ds_bpermute_b32 v9, v15, v7
	s_and_saveexec_b64 s[4:5], s[2:3]
	s_cbranch_execz .LBB560_12
; %bb.9:
	v_mov_b32_e32 v15, s13
	v_add_co_u32_e64 v4, s[2:3], s12, v4
	v_addc_co_u32_e64 v5, s[2:3], v15, v5, s[2:3]
	s_waitcnt lgkmcnt(0)
	v_pk_add_f32 v[6:7], v[6:7], v[8:9]
	s_and_saveexec_b64 s[2:3], s[0:1]
	s_cbranch_execnz .LBB560_13
; %bb.10:
	s_or_b64 exec, exec, s[2:3]
	s_and_saveexec_b64 s[2:3], vcc
	s_cbranch_execnz .LBB560_14
.LBB560_11:
	s_or_b64 exec, exec, s[2:3]
	v_cmp_ne_u32_e64 s[2:3], 1, v11
	s_and_b64 exec, exec, s[2:3]
	s_cbranch_execnz .LBB560_15
.LBB560_12:
	s_endpgm
.LBB560_13:
	s_waitcnt vmcnt(0)
	v_fma_f32 v2, -v6, v12, v2
	global_store_dword v[4:5], v2, off
	s_or_b64 exec, exec, s[2:3]
	s_and_saveexec_b64 s[2:3], vcc
	s_cbranch_execz .LBB560_11
.LBB560_14:
	s_waitcnt vmcnt(0)
	v_fma_f32 v0, -v6, v10, v0
	global_store_dword v[4:5], v0, off offset:256
	s_or_b64 exec, exec, s[2:3]
	v_cmp_ne_u32_e64 s[2:3], 1, v11
	s_and_b64 exec, exec, s[2:3]
	s_cbranch_execz .LBB560_12
.LBB560_15:
	s_and_saveexec_b64 s[2:3], s[0:1]
	s_cbranch_execz .LBB560_17
; %bb.16:
	s_lshl_b64 s[0:1], s[10:11], 2
	s_waitcnt vmcnt(0)
	v_fma_f32 v0, -v7, v13, v3
	v_mov_b32_e32 v3, s1
	v_add_co_u32_e64 v2, s[0:1], s0, v4
	v_addc_co_u32_e64 v3, s[0:1], v5, v3, s[0:1]
	global_store_dword v[2:3], v0, off
.LBB560_17:
	s_or_b64 exec, exec, s[2:3]
	s_and_b64 exec, exec, vcc
	s_cbranch_execz .LBB560_12
; %bb.18:
	s_ashr_i32 s11, s10, 31
	s_lshl_b64 s[0:1], s[10:11], 2
	s_waitcnt vmcnt(0)
	v_fma_f32 v2, -v7, v14, v1
	v_mov_b32_e32 v1, s1
	v_add_co_u32_e32 v0, vcc, s0, v4
	v_addc_co_u32_e32 v1, vcc, v5, v1, vcc
	global_store_dword v[0:1], v2, off offset:256
	s_endpgm
	.section	.rodata,"a",@progbits
	.p2align	6, 0x0
	.amdhsa_kernel _ZN12_GLOBAL__N_121softmax_warp_backwardIfffLi7ELb0ELb0ELi64EEEvPT0_PKT_S5_iiiPKb
		.amdhsa_group_segment_fixed_size 0
		.amdhsa_private_segment_fixed_size 0
		.amdhsa_kernarg_size 304
		.amdhsa_user_sgpr_count 6
		.amdhsa_user_sgpr_private_segment_buffer 1
		.amdhsa_user_sgpr_dispatch_ptr 0
		.amdhsa_user_sgpr_queue_ptr 0
		.amdhsa_user_sgpr_kernarg_segment_ptr 1
		.amdhsa_user_sgpr_dispatch_id 0
		.amdhsa_user_sgpr_flat_scratch_init 0
		.amdhsa_user_sgpr_kernarg_preload_length 0
		.amdhsa_user_sgpr_kernarg_preload_offset 0
		.amdhsa_user_sgpr_private_segment_size 0
		.amdhsa_uses_dynamic_stack 0
		.amdhsa_system_sgpr_private_segment_wavefront_offset 0
		.amdhsa_system_sgpr_workgroup_id_x 1
		.amdhsa_system_sgpr_workgroup_id_y 0
		.amdhsa_system_sgpr_workgroup_id_z 0
		.amdhsa_system_sgpr_workgroup_info 0
		.amdhsa_system_vgpr_workitem_id 1
		.amdhsa_next_free_vgpr 18
		.amdhsa_next_free_sgpr 16
		.amdhsa_accum_offset 20
		.amdhsa_reserve_vcc 1
		.amdhsa_reserve_flat_scratch 0
		.amdhsa_float_round_mode_32 0
		.amdhsa_float_round_mode_16_64 0
		.amdhsa_float_denorm_mode_32 3
		.amdhsa_float_denorm_mode_16_64 3
		.amdhsa_dx10_clamp 1
		.amdhsa_ieee_mode 1
		.amdhsa_fp16_overflow 0
		.amdhsa_tg_split 0
		.amdhsa_exception_fp_ieee_invalid_op 0
		.amdhsa_exception_fp_denorm_src 0
		.amdhsa_exception_fp_ieee_div_zero 0
		.amdhsa_exception_fp_ieee_overflow 0
		.amdhsa_exception_fp_ieee_underflow 0
		.amdhsa_exception_fp_ieee_inexact 0
		.amdhsa_exception_int_div_zero 0
	.end_amdhsa_kernel
	.section	.text._ZN12_GLOBAL__N_121softmax_warp_backwardIfffLi7ELb0ELb0ELi64EEEvPT0_PKT_S5_iiiPKb,"axG",@progbits,_ZN12_GLOBAL__N_121softmax_warp_backwardIfffLi7ELb0ELb0ELi64EEEvPT0_PKT_S5_iiiPKb,comdat
.Lfunc_end560:
	.size	_ZN12_GLOBAL__N_121softmax_warp_backwardIfffLi7ELb0ELb0ELi64EEEvPT0_PKT_S5_iiiPKb, .Lfunc_end560-_ZN12_GLOBAL__N_121softmax_warp_backwardIfffLi7ELb0ELb0ELi64EEEvPT0_PKT_S5_iiiPKb
                                        ; -- End function
	.section	.AMDGPU.csdata,"",@progbits
; Kernel info:
; codeLenInByte = 996
; NumSgprs: 20
; NumVgprs: 18
; NumAgprs: 0
; TotalNumVgprs: 18
; ScratchSize: 0
; MemoryBound: 0
; FloatMode: 240
; IeeeMode: 1
; LDSByteSize: 0 bytes/workgroup (compile time only)
; SGPRBlocks: 2
; VGPRBlocks: 2
; NumSGPRsForWavesPerEU: 20
; NumVGPRsForWavesPerEU: 18
; AccumOffset: 20
; Occupancy: 8
; WaveLimiterHint : 0
; COMPUTE_PGM_RSRC2:SCRATCH_EN: 0
; COMPUTE_PGM_RSRC2:USER_SGPR: 6
; COMPUTE_PGM_RSRC2:TRAP_HANDLER: 0
; COMPUTE_PGM_RSRC2:TGID_X_EN: 1
; COMPUTE_PGM_RSRC2:TGID_Y_EN: 0
; COMPUTE_PGM_RSRC2:TGID_Z_EN: 0
; COMPUTE_PGM_RSRC2:TIDIG_COMP_CNT: 1
; COMPUTE_PGM_RSRC3_GFX90A:ACCUM_OFFSET: 4
; COMPUTE_PGM_RSRC3_GFX90A:TG_SPLIT: 0
	.section	.text._ZN12_GLOBAL__N_121softmax_warp_backwardIfffLi7ELb0ELb0ELi32EEEvPT0_PKT_S5_iiiPKb,"axG",@progbits,_ZN12_GLOBAL__N_121softmax_warp_backwardIfffLi7ELb0ELb0ELi32EEEvPT0_PKT_S5_iiiPKb,comdat
	.globl	_ZN12_GLOBAL__N_121softmax_warp_backwardIfffLi7ELb0ELb0ELi32EEEvPT0_PKT_S5_iiiPKb ; -- Begin function _ZN12_GLOBAL__N_121softmax_warp_backwardIfffLi7ELb0ELb0ELi32EEEvPT0_PKT_S5_iiiPKb
	.p2align	8
	.type	_ZN12_GLOBAL__N_121softmax_warp_backwardIfffLi7ELb0ELb0ELi32EEEvPT0_PKT_S5_iiiPKb,@function
_ZN12_GLOBAL__N_121softmax_warp_backwardIfffLi7ELb0ELb0ELi32EEEvPT0_PKT_S5_iiiPKb: ; @_ZN12_GLOBAL__N_121softmax_warp_backwardIfffLi7ELb0ELb0ELi32EEEvPT0_PKT_S5_iiiPKb
; %bb.0:
	s_load_dword s2, s[4:5], 0x3c
	s_load_dwordx4 s[12:15], s[4:5], 0x18
	s_load_dwordx4 s[16:19], s[4:5], 0x0
	s_load_dwordx2 s[0:1], s[4:5], 0x10
	v_bfe_u32 v1, v0, 10, 10
	s_waitcnt lgkmcnt(0)
	s_lshr_b32 s2, s2, 16
	s_mul_i32 s6, s6, s2
	v_add_lshl_u32 v1, s6, v1, 1
	v_and_b32_e32 v14, 31, v0
	v_sub_u32_e32 v16, s12, v1
	v_mad_u64_u32 v[0:1], s[2:3], v1, s13, v[14:15]
	v_ashrrev_i32_e32 v1, 31, v0
	v_lshlrev_b64 v[8:9], 2, v[0:1]
	v_mov_b32_e32 v0, s19
	v_add_co_u32_e32 v10, vcc, s18, v8
	v_addc_co_u32_e32 v11, vcc, v0, v9, vcc
	v_mov_b32_e32 v0, s1
	v_add_co_u32_e32 v12, vcc, s0, v8
	v_addc_co_u32_e32 v13, vcc, v0, v9, vcc
	v_cmp_lt_i32_e64 s[6:7], 0, v16
	v_cmp_gt_i32_e32 vcc, s14, v14
	s_and_b64 s[2:3], s[6:7], vcc
	v_mov_b32_e32 v0, 0
	v_mov_b32_e32 v2, 0
	;; [unrolled: 1-line block ×3, first 2 shown]
	s_and_saveexec_b64 s[0:1], s[2:3]
	s_cbranch_execz .LBB561_2
; %bb.1:
	global_load_dword v2, v[10:11], off
	global_load_dword v17, v[12:13], off
.LBB561_2:
	s_or_b64 exec, exec, s[0:1]
	v_or_b32_e32 v1, 32, v14
	v_cmp_gt_i32_e64 s[0:1], s14, v1
	s_and_b64 s[4:5], s[6:7], s[0:1]
	v_mov_b32_e32 v18, 0
	s_and_saveexec_b64 s[2:3], s[4:5]
	s_cbranch_execz .LBB561_4
; %bb.3:
	global_load_dword v0, v[10:11], off offset:128
	global_load_dword v18, v[12:13], off offset:128
.LBB561_4:
	s_or_b64 exec, exec, s[2:3]
	v_or_b32_e32 v1, 64, v14
	v_cmp_gt_i32_e64 s[2:3], s14, v1
	s_and_b64 s[8:9], s[6:7], s[2:3]
	v_mov_b32_e32 v4, 0
	v_mov_b32_e32 v6, 0
	;; [unrolled: 1-line block ×3, first 2 shown]
	s_and_saveexec_b64 s[4:5], s[8:9]
	s_cbranch_execz .LBB561_6
; %bb.5:
	global_load_dword v6, v[10:11], off offset:256
	global_load_dword v19, v[12:13], off offset:256
.LBB561_6:
	s_or_b64 exec, exec, s[4:5]
	v_or_b32_e32 v1, 0x60, v14
	v_cmp_gt_i32_e64 s[4:5], s14, v1
	s_and_b64 s[10:11], s[6:7], s[4:5]
	v_mov_b32_e32 v20, 0
	s_and_saveexec_b64 s[8:9], s[10:11]
	s_cbranch_execz .LBB561_8
; %bb.7:
	global_load_dword v4, v[10:11], off offset:384
	global_load_dword v20, v[12:13], off offset:384
.LBB561_8:
	s_or_b64 exec, exec, s[8:9]
	v_cmp_lt_i32_e64 s[8:9], 1, v16
	s_and_b64 s[10:11], s[8:9], vcc
	s_mov_b32 s15, 0
	v_mov_b32_e32 v1, 0
	v_mov_b32_e32 v3, 0
	;; [unrolled: 1-line block ×3, first 2 shown]
	s_and_saveexec_b64 s[12:13], s[10:11]
	s_cbranch_execz .LBB561_10
; %bb.9:
	s_lshl_b64 s[18:19], s[14:15], 2
	v_mov_b32_e32 v5, s19
	v_add_co_u32_e64 v14, s[10:11], s18, v10
	v_addc_co_u32_e64 v15, s[10:11], v11, v5, s[10:11]
	global_load_dword v3, v[14:15], off
	v_add_co_u32_e64 v14, s[10:11], s18, v12
	v_addc_co_u32_e64 v15, s[10:11], v13, v5, s[10:11]
	global_load_dword v21, v[14:15], off
.LBB561_10:
	s_or_b64 exec, exec, s[12:13]
	s_and_b64 s[10:11], s[8:9], s[0:1]
	v_mov_b32_e32 v22, 0
	s_and_saveexec_b64 s[12:13], s[10:11]
	s_cbranch_execz .LBB561_12
; %bb.11:
	s_lshl_b64 s[18:19], s[14:15], 2
	v_mov_b32_e32 v5, s19
	v_add_co_u32_e64 v14, s[10:11], s18, v10
	v_addc_co_u32_e64 v15, s[10:11], v11, v5, s[10:11]
	global_load_dword v1, v[14:15], off offset:128
	v_add_co_u32_e64 v14, s[10:11], s18, v12
	v_addc_co_u32_e64 v15, s[10:11], v13, v5, s[10:11]
	global_load_dword v22, v[14:15], off offset:128
.LBB561_12:
	s_or_b64 exec, exec, s[12:13]
	s_and_b64 s[10:11], s[8:9], s[2:3]
	v_mov_b32_e32 v5, 0
	v_mov_b32_e32 v7, 0
	;; [unrolled: 1-line block ×3, first 2 shown]
	s_and_saveexec_b64 s[12:13], s[10:11]
	s_cbranch_execz .LBB561_14
; %bb.13:
	s_lshl_b64 s[18:19], s[14:15], 2
	v_mov_b32_e32 v23, s19
	v_add_co_u32_e64 v14, s[10:11], s18, v10
	v_addc_co_u32_e64 v15, s[10:11], v11, v23, s[10:11]
	global_load_dword v7, v[14:15], off offset:256
	v_add_co_u32_e64 v14, s[10:11], s18, v12
	v_addc_co_u32_e64 v15, s[10:11], v13, v23, s[10:11]
	global_load_dword v23, v[14:15], off offset:256
.LBB561_14:
	s_or_b64 exec, exec, s[12:13]
	s_and_b64 s[8:9], s[8:9], s[4:5]
	v_mov_b32_e32 v24, 0
	s_and_saveexec_b64 s[10:11], s[8:9]
	s_cbranch_execz .LBB561_16
; %bb.15:
	s_lshl_b64 s[12:13], s[14:15], 2
	v_mov_b32_e32 v14, s13
	v_add_co_u32_e64 v10, s[8:9], s12, v10
	v_addc_co_u32_e64 v11, s[8:9], v11, v14, s[8:9]
	global_load_dword v5, v[10:11], off offset:384
	v_add_co_u32_e64 v10, s[8:9], s12, v12
	v_addc_co_u32_e64 v11, s[8:9], v13, v14, s[8:9]
	global_load_dword v24, v[10:11], off offset:384
.LBB561_16:
	s_or_b64 exec, exec, s[10:11]
	v_mbcnt_lo_u32_b32 v12, -1, 0
	v_mbcnt_hi_u32_b32 v14, -1, v12
	v_and_b32_e32 v12, 0x60, v14
	s_waitcnt vmcnt(1)
	v_pk_add_f32 v[10:11], v[2:3], 0 op_sel_hi:[1,0]
	v_add_u32_e32 v15, 32, v12
	v_xor_b32_e32 v12, 16, v14
	v_cmp_lt_i32_e64 s[8:9], v12, v15
	v_pk_add_f32 v[10:11], v[10:11], v[0:1]
	v_cndmask_b32_e64 v12, v14, v12, s[8:9]
	v_pk_add_f32 v[10:11], v[10:11], v[6:7]
	v_lshlrev_b32_e32 v13, 2, v12
	v_pk_add_f32 v[10:11], v[10:11], v[4:5]
	ds_bpermute_b32 v12, v13, v10
	ds_bpermute_b32 v13, v13, v11
	v_xor_b32_e32 v25, 8, v14
	v_cmp_lt_i32_e64 s[8:9], v25, v15
	v_cndmask_b32_e64 v25, v14, v25, s[8:9]
	v_lshlrev_b32_e32 v25, 2, v25
	s_waitcnt lgkmcnt(0)
	v_pk_add_f32 v[10:11], v[10:11], v[12:13]
	ds_bpermute_b32 v12, v25, v10
	ds_bpermute_b32 v13, v25, v11
	v_xor_b32_e32 v25, 4, v14
	v_cmp_lt_i32_e64 s[8:9], v25, v15
	v_cndmask_b32_e64 v25, v14, v25, s[8:9]
	v_lshlrev_b32_e32 v25, 2, v25
	s_waitcnt lgkmcnt(0)
	v_pk_add_f32 v[10:11], v[10:11], v[12:13]
	ds_bpermute_b32 v12, v25, v10
	ds_bpermute_b32 v13, v25, v11
	v_xor_b32_e32 v25, 2, v14
	v_cmp_lt_i32_e64 s[8:9], v25, v15
	v_cndmask_b32_e64 v25, v14, v25, s[8:9]
	v_lshlrev_b32_e32 v25, 2, v25
	s_waitcnt lgkmcnt(0)
	v_pk_add_f32 v[10:11], v[10:11], v[12:13]
	ds_bpermute_b32 v12, v25, v10
	ds_bpermute_b32 v13, v25, v11
	v_xor_b32_e32 v25, 1, v14
	v_cmp_lt_i32_e64 s[8:9], v25, v15
	v_cndmask_b32_e64 v14, v14, v25, s[8:9]
	v_lshlrev_b32_e32 v15, 2, v14
	s_waitcnt lgkmcnt(0)
	v_pk_add_f32 v[12:13], v[10:11], v[12:13]
	ds_bpermute_b32 v14, v15, v12
	ds_bpermute_b32 v15, v15, v13
	s_and_saveexec_b64 s[8:9], s[6:7]
	s_cbranch_execz .LBB561_22
; %bb.17:
	v_mov_b32_e32 v11, s17
	v_add_co_u32_e64 v10, s[6:7], s16, v8
	v_addc_co_u32_e64 v11, s[6:7], v11, v9, s[6:7]
	s_waitcnt lgkmcnt(0)
	v_pk_add_f32 v[8:9], v[12:13], v[14:15]
	s_and_saveexec_b64 s[6:7], vcc
	s_cbranch_execnz .LBB561_23
; %bb.18:
	s_or_b64 exec, exec, s[6:7]
	s_and_saveexec_b64 s[6:7], s[0:1]
	s_cbranch_execnz .LBB561_24
.LBB561_19:
	s_or_b64 exec, exec, s[6:7]
	s_and_saveexec_b64 s[6:7], s[2:3]
	s_cbranch_execnz .LBB561_25
.LBB561_20:
	s_or_b64 exec, exec, s[6:7]
	s_and_saveexec_b64 s[6:7], s[4:5]
	s_cbranch_execnz .LBB561_26
.LBB561_21:
	s_or_b64 exec, exec, s[6:7]
	v_cmp_ne_u32_e64 s[6:7], 1, v16
	s_and_b64 exec, exec, s[6:7]
	s_cbranch_execnz .LBB561_27
.LBB561_22:
	s_endpgm
.LBB561_23:
	s_waitcnt vmcnt(0)
	v_fma_f32 v2, -v8, v17, v2
	global_store_dword v[10:11], v2, off
	s_or_b64 exec, exec, s[6:7]
	s_and_saveexec_b64 s[6:7], s[0:1]
	s_cbranch_execz .LBB561_19
.LBB561_24:
	s_waitcnt vmcnt(0)
	v_fma_f32 v0, -v8, v18, v0
	global_store_dword v[10:11], v0, off offset:128
	s_or_b64 exec, exec, s[6:7]
	s_and_saveexec_b64 s[6:7], s[2:3]
	s_cbranch_execz .LBB561_20
.LBB561_25:
	s_waitcnt vmcnt(0)
	v_fma_f32 v0, -v8, v19, v6
	global_store_dword v[10:11], v0, off offset:256
	s_or_b64 exec, exec, s[6:7]
	s_and_saveexec_b64 s[6:7], s[4:5]
	s_cbranch_execz .LBB561_21
.LBB561_26:
	s_waitcnt vmcnt(0)
	v_fma_f32 v0, -v8, v20, v4
	global_store_dword v[10:11], v0, off offset:384
	s_or_b64 exec, exec, s[6:7]
	v_cmp_ne_u32_e64 s[6:7], 1, v16
	s_and_b64 exec, exec, s[6:7]
	s_cbranch_execz .LBB561_22
.LBB561_27:
	s_ashr_i32 s15, s14, 31
	s_lshl_b64 s[6:7], s[14:15], 2
	v_mov_b32_e32 v0, s7
	v_add_co_u32_e64 v10, s[6:7], s6, v10
	v_addc_co_u32_e64 v11, s[6:7], v11, v0, s[6:7]
	s_and_saveexec_b64 s[6:7], vcc
	s_cbranch_execnz .LBB561_31
; %bb.28:
	s_or_b64 exec, exec, s[6:7]
	s_and_saveexec_b64 s[6:7], s[0:1]
	s_cbranch_execnz .LBB561_32
.LBB561_29:
	s_or_b64 exec, exec, s[6:7]
	s_and_saveexec_b64 s[0:1], s[2:3]
	s_cbranch_execnz .LBB561_33
.LBB561_30:
	s_or_b64 exec, exec, s[0:1]
	s_and_b64 exec, exec, s[4:5]
	s_cbranch_execz .LBB561_22
	s_branch .LBB561_34
.LBB561_31:
	s_waitcnt vmcnt(0)
	v_fma_f32 v0, -v9, v21, v3
	global_store_dword v[10:11], v0, off
	s_or_b64 exec, exec, s[6:7]
	s_and_saveexec_b64 s[6:7], s[0:1]
	s_cbranch_execz .LBB561_29
.LBB561_32:
	s_waitcnt vmcnt(0)
	v_fma_f32 v0, -v9, v22, v1
	global_store_dword v[10:11], v0, off offset:128
	s_or_b64 exec, exec, s[6:7]
	s_and_saveexec_b64 s[0:1], s[2:3]
	s_cbranch_execz .LBB561_30
.LBB561_33:
	s_waitcnt vmcnt(0)
	v_fma_f32 v0, -v9, v23, v7
	global_store_dword v[10:11], v0, off offset:256
	s_or_b64 exec, exec, s[0:1]
	s_and_b64 exec, exec, s[4:5]
	s_cbranch_execz .LBB561_22
.LBB561_34:
	s_waitcnt vmcnt(0)
	v_fma_f32 v0, -v9, v24, v5
	global_store_dword v[10:11], v0, off offset:384
	s_endpgm
	.section	.rodata,"a",@progbits
	.p2align	6, 0x0
	.amdhsa_kernel _ZN12_GLOBAL__N_121softmax_warp_backwardIfffLi7ELb0ELb0ELi32EEEvPT0_PKT_S5_iiiPKb
		.amdhsa_group_segment_fixed_size 0
		.amdhsa_private_segment_fixed_size 0
		.amdhsa_kernarg_size 304
		.amdhsa_user_sgpr_count 6
		.amdhsa_user_sgpr_private_segment_buffer 1
		.amdhsa_user_sgpr_dispatch_ptr 0
		.amdhsa_user_sgpr_queue_ptr 0
		.amdhsa_user_sgpr_kernarg_segment_ptr 1
		.amdhsa_user_sgpr_dispatch_id 0
		.amdhsa_user_sgpr_flat_scratch_init 0
		.amdhsa_user_sgpr_kernarg_preload_length 0
		.amdhsa_user_sgpr_kernarg_preload_offset 0
		.amdhsa_user_sgpr_private_segment_size 0
		.amdhsa_uses_dynamic_stack 0
		.amdhsa_system_sgpr_private_segment_wavefront_offset 0
		.amdhsa_system_sgpr_workgroup_id_x 1
		.amdhsa_system_sgpr_workgroup_id_y 0
		.amdhsa_system_sgpr_workgroup_id_z 0
		.amdhsa_system_sgpr_workgroup_info 0
		.amdhsa_system_vgpr_workitem_id 1
		.amdhsa_next_free_vgpr 26
		.amdhsa_next_free_sgpr 20
		.amdhsa_accum_offset 28
		.amdhsa_reserve_vcc 1
		.amdhsa_reserve_flat_scratch 0
		.amdhsa_float_round_mode_32 0
		.amdhsa_float_round_mode_16_64 0
		.amdhsa_float_denorm_mode_32 3
		.amdhsa_float_denorm_mode_16_64 3
		.amdhsa_dx10_clamp 1
		.amdhsa_ieee_mode 1
		.amdhsa_fp16_overflow 0
		.amdhsa_tg_split 0
		.amdhsa_exception_fp_ieee_invalid_op 0
		.amdhsa_exception_fp_denorm_src 0
		.amdhsa_exception_fp_ieee_div_zero 0
		.amdhsa_exception_fp_ieee_overflow 0
		.amdhsa_exception_fp_ieee_underflow 0
		.amdhsa_exception_fp_ieee_inexact 0
		.amdhsa_exception_int_div_zero 0
	.end_amdhsa_kernel
	.section	.text._ZN12_GLOBAL__N_121softmax_warp_backwardIfffLi7ELb0ELb0ELi32EEEvPT0_PKT_S5_iiiPKb,"axG",@progbits,_ZN12_GLOBAL__N_121softmax_warp_backwardIfffLi7ELb0ELb0ELi32EEEvPT0_PKT_S5_iiiPKb,comdat
.Lfunc_end561:
	.size	_ZN12_GLOBAL__N_121softmax_warp_backwardIfffLi7ELb0ELb0ELi32EEEvPT0_PKT_S5_iiiPKb, .Lfunc_end561-_ZN12_GLOBAL__N_121softmax_warp_backwardIfffLi7ELb0ELb0ELi32EEEvPT0_PKT_S5_iiiPKb
                                        ; -- End function
	.section	.AMDGPU.csdata,"",@progbits
; Kernel info:
; codeLenInByte = 1408
; NumSgprs: 24
; NumVgprs: 26
; NumAgprs: 0
; TotalNumVgprs: 26
; ScratchSize: 0
; MemoryBound: 0
; FloatMode: 240
; IeeeMode: 1
; LDSByteSize: 0 bytes/workgroup (compile time only)
; SGPRBlocks: 2
; VGPRBlocks: 3
; NumSGPRsForWavesPerEU: 24
; NumVGPRsForWavesPerEU: 26
; AccumOffset: 28
; Occupancy: 8
; WaveLimiterHint : 0
; COMPUTE_PGM_RSRC2:SCRATCH_EN: 0
; COMPUTE_PGM_RSRC2:USER_SGPR: 6
; COMPUTE_PGM_RSRC2:TRAP_HANDLER: 0
; COMPUTE_PGM_RSRC2:TGID_X_EN: 1
; COMPUTE_PGM_RSRC2:TGID_Y_EN: 0
; COMPUTE_PGM_RSRC2:TGID_Z_EN: 0
; COMPUTE_PGM_RSRC2:TIDIG_COMP_CNT: 1
; COMPUTE_PGM_RSRC3_GFX90A:ACCUM_OFFSET: 6
; COMPUTE_PGM_RSRC3_GFX90A:TG_SPLIT: 0
	.section	.text._ZN12_GLOBAL__N_121softmax_warp_backwardIfffLi8ELb0ELb0ELi64EEEvPT0_PKT_S5_iiiPKb,"axG",@progbits,_ZN12_GLOBAL__N_121softmax_warp_backwardIfffLi8ELb0ELb0ELi64EEEvPT0_PKT_S5_iiiPKb,comdat
	.globl	_ZN12_GLOBAL__N_121softmax_warp_backwardIfffLi8ELb0ELb0ELi64EEEvPT0_PKT_S5_iiiPKb ; -- Begin function _ZN12_GLOBAL__N_121softmax_warp_backwardIfffLi8ELb0ELb0ELi64EEEvPT0_PKT_S5_iiiPKb
	.p2align	8
	.type	_ZN12_GLOBAL__N_121softmax_warp_backwardIfffLi8ELb0ELb0ELi64EEEvPT0_PKT_S5_iiiPKb,@function
_ZN12_GLOBAL__N_121softmax_warp_backwardIfffLi8ELb0ELb0ELi64EEEvPT0_PKT_S5_iiiPKb: ; @_ZN12_GLOBAL__N_121softmax_warp_backwardIfffLi8ELb0ELb0ELi64EEEvPT0_PKT_S5_iiiPKb
; %bb.0:
	s_load_dword s2, s[4:5], 0x3c
	s_load_dwordx4 s[12:15], s[4:5], 0x18
	s_load_dwordx4 s[8:11], s[4:5], 0x0
	s_load_dwordx2 s[0:1], s[4:5], 0x10
	v_bfe_u32 v1, v0, 10, 10
	s_waitcnt lgkmcnt(0)
	s_lshr_b32 s2, s2, 16
	s_mul_i32 s6, s6, s2
	v_add_u32_e32 v1, s6, v1
	v_and_b32_e32 v4, 63, v0
	v_sub_u32_e32 v8, s12, v1
	v_mad_u64_u32 v[0:1], s[2:3], v1, s13, v[4:5]
	v_ashrrev_i32_e32 v1, 31, v0
	v_lshlrev_b64 v[0:1], 2, v[0:1]
	v_mov_b32_e32 v3, s11
	v_add_co_u32_e32 v2, vcc, s10, v0
	v_addc_co_u32_e32 v3, vcc, v3, v1, vcc
	v_mov_b32_e32 v5, s1
	v_add_co_u32_e32 v6, vcc, s0, v0
	v_addc_co_u32_e32 v7, vcc, v5, v1, vcc
	v_cmp_lt_i32_e64 s[6:7], 0, v8
	v_cmp_gt_i32_e32 vcc, s14, v4
	s_and_b64 s[2:3], s[6:7], vcc
	v_mov_b32_e32 v5, 0
	v_mov_b32_e32 v9, 0
	;; [unrolled: 1-line block ×3, first 2 shown]
	s_and_saveexec_b64 s[0:1], s[2:3]
	s_cbranch_execz .LBB562_2
; %bb.1:
	global_load_dword v9, v[2:3], off
	global_load_dword v10, v[6:7], off
.LBB562_2:
	s_or_b64 exec, exec, s[0:1]
	v_or_b32_e32 v11, 64, v4
	v_cmp_gt_i32_e64 s[0:1], s14, v11
	s_and_b64 s[4:5], s[6:7], s[0:1]
	v_mov_b32_e32 v12, 0
	s_and_saveexec_b64 s[2:3], s[4:5]
	s_cbranch_execz .LBB562_4
; %bb.3:
	global_load_dword v5, v[2:3], off offset:256
	global_load_dword v12, v[6:7], off offset:256
.LBB562_4:
	s_or_b64 exec, exec, s[2:3]
	v_or_b32_e32 v11, 0x80, v4
	v_cmp_gt_i32_e64 s[2:3], s14, v11
	s_and_b64 s[10:11], s[6:7], s[2:3]
	v_mov_b32_e32 v11, 0
	v_mov_b32_e32 v13, 0
	;; [unrolled: 1-line block ×3, first 2 shown]
	s_and_saveexec_b64 s[4:5], s[10:11]
	s_cbranch_execz .LBB562_6
; %bb.5:
	global_load_dword v13, v[2:3], off offset:512
	global_load_dword v14, v[6:7], off offset:512
.LBB562_6:
	s_or_b64 exec, exec, s[4:5]
	v_or_b32_e32 v4, 0xc0, v4
	v_cmp_gt_i32_e64 s[4:5], s14, v4
	s_and_b64 s[10:11], s[6:7], s[4:5]
	v_mov_b32_e32 v4, 0
	s_and_saveexec_b64 s[6:7], s[10:11]
	s_cbranch_execz .LBB562_8
; %bb.7:
	global_load_dword v11, v[2:3], off offset:768
	global_load_dword v4, v[6:7], off offset:768
.LBB562_8:
	s_or_b64 exec, exec, s[6:7]
	v_mbcnt_lo_u32_b32 v3, -1, 0
	v_mbcnt_hi_u32_b32 v3, -1, v3
	v_and_b32_e32 v6, 64, v3
	s_waitcnt vmcnt(1)
	v_add_f32_e32 v2, 0, v9
	v_add_u32_e32 v6, 64, v6
	v_xor_b32_e32 v7, 32, v3
	v_add_f32_e32 v2, v2, v5
	v_cmp_lt_i32_e64 s[6:7], v7, v6
	v_add_f32_e32 v2, v2, v13
	v_cndmask_b32_e64 v7, v3, v7, s[6:7]
	v_add_f32_e32 v2, v2, v11
	v_lshlrev_b32_e32 v7, 2, v7
	ds_bpermute_b32 v7, v7, v2
	s_waitcnt lgkmcnt(0)
	v_add_f32_e32 v2, v2, v7
	v_xor_b32_e32 v7, 16, v3
	v_cmp_lt_i32_e64 s[6:7], v7, v6
	v_cndmask_b32_e64 v7, v3, v7, s[6:7]
	v_lshlrev_b32_e32 v7, 2, v7
	ds_bpermute_b32 v7, v7, v2
	s_waitcnt lgkmcnt(0)
	v_add_f32_e32 v2, v2, v7
	v_xor_b32_e32 v7, 8, v3
	v_cmp_lt_i32_e64 s[6:7], v7, v6
	v_cndmask_b32_e64 v7, v3, v7, s[6:7]
	;; [unrolled: 7-line block ×5, first 2 shown]
	v_lshlrev_b32_e32 v3, 2, v3
	ds_bpermute_b32 v3, v3, v2
	v_cmp_lt_i32_e64 s[6:7], 0, v8
	s_and_saveexec_b64 s[10:11], s[6:7]
	s_cbranch_execz .LBB562_14
; %bb.9:
	v_mov_b32_e32 v6, s9
	v_add_co_u32_e64 v0, s[6:7], s8, v0
	v_addc_co_u32_e64 v1, s[6:7], v6, v1, s[6:7]
	s_waitcnt lgkmcnt(0)
	v_add_f32_e32 v2, v2, v3
	s_and_saveexec_b64 s[6:7], vcc
	s_cbranch_execnz .LBB562_15
; %bb.10:
	s_or_b64 exec, exec, s[6:7]
	s_and_saveexec_b64 s[6:7], s[0:1]
	s_cbranch_execnz .LBB562_16
.LBB562_11:
	s_or_b64 exec, exec, s[6:7]
	s_and_saveexec_b64 s[0:1], s[2:3]
	s_cbranch_execnz .LBB562_17
.LBB562_12:
	s_or_b64 exec, exec, s[0:1]
	s_and_b64 exec, exec, s[4:5]
	s_cbranch_execz .LBB562_14
.LBB562_13:
	s_waitcnt vmcnt(0)
	v_fma_f32 v2, -v2, v4, v11
	global_store_dword v[0:1], v2, off offset:768
.LBB562_14:
	s_endpgm
.LBB562_15:
	s_waitcnt vmcnt(0)
	v_fma_f32 v3, -v2, v10, v9
	global_store_dword v[0:1], v3, off
	s_or_b64 exec, exec, s[6:7]
	s_and_saveexec_b64 s[6:7], s[0:1]
	s_cbranch_execz .LBB562_11
.LBB562_16:
	s_waitcnt vmcnt(0)
	v_fma_f32 v3, -v2, v12, v5
	global_store_dword v[0:1], v3, off offset:256
	s_or_b64 exec, exec, s[6:7]
	s_and_saveexec_b64 s[0:1], s[2:3]
	s_cbranch_execz .LBB562_12
.LBB562_17:
	s_waitcnt vmcnt(0)
	v_fma_f32 v3, -v2, v14, v13
	global_store_dword v[0:1], v3, off offset:512
	s_or_b64 exec, exec, s[0:1]
	s_and_b64 exec, exec, s[4:5]
	s_cbranch_execnz .LBB562_13
	s_branch .LBB562_14
	.section	.rodata,"a",@progbits
	.p2align	6, 0x0
	.amdhsa_kernel _ZN12_GLOBAL__N_121softmax_warp_backwardIfffLi8ELb0ELb0ELi64EEEvPT0_PKT_S5_iiiPKb
		.amdhsa_group_segment_fixed_size 0
		.amdhsa_private_segment_fixed_size 0
		.amdhsa_kernarg_size 304
		.amdhsa_user_sgpr_count 6
		.amdhsa_user_sgpr_private_segment_buffer 1
		.amdhsa_user_sgpr_dispatch_ptr 0
		.amdhsa_user_sgpr_queue_ptr 0
		.amdhsa_user_sgpr_kernarg_segment_ptr 1
		.amdhsa_user_sgpr_dispatch_id 0
		.amdhsa_user_sgpr_flat_scratch_init 0
		.amdhsa_user_sgpr_kernarg_preload_length 0
		.amdhsa_user_sgpr_kernarg_preload_offset 0
		.amdhsa_user_sgpr_private_segment_size 0
		.amdhsa_uses_dynamic_stack 0
		.amdhsa_system_sgpr_private_segment_wavefront_offset 0
		.amdhsa_system_sgpr_workgroup_id_x 1
		.amdhsa_system_sgpr_workgroup_id_y 0
		.amdhsa_system_sgpr_workgroup_id_z 0
		.amdhsa_system_sgpr_workgroup_info 0
		.amdhsa_system_vgpr_workitem_id 1
		.amdhsa_next_free_vgpr 15
		.amdhsa_next_free_sgpr 16
		.amdhsa_accum_offset 16
		.amdhsa_reserve_vcc 1
		.amdhsa_reserve_flat_scratch 0
		.amdhsa_float_round_mode_32 0
		.amdhsa_float_round_mode_16_64 0
		.amdhsa_float_denorm_mode_32 3
		.amdhsa_float_denorm_mode_16_64 3
		.amdhsa_dx10_clamp 1
		.amdhsa_ieee_mode 1
		.amdhsa_fp16_overflow 0
		.amdhsa_tg_split 0
		.amdhsa_exception_fp_ieee_invalid_op 0
		.amdhsa_exception_fp_denorm_src 0
		.amdhsa_exception_fp_ieee_div_zero 0
		.amdhsa_exception_fp_ieee_overflow 0
		.amdhsa_exception_fp_ieee_underflow 0
		.amdhsa_exception_fp_ieee_inexact 0
		.amdhsa_exception_int_div_zero 0
	.end_amdhsa_kernel
	.section	.text._ZN12_GLOBAL__N_121softmax_warp_backwardIfffLi8ELb0ELb0ELi64EEEvPT0_PKT_S5_iiiPKb,"axG",@progbits,_ZN12_GLOBAL__N_121softmax_warp_backwardIfffLi8ELb0ELb0ELi64EEEvPT0_PKT_S5_iiiPKb,comdat
.Lfunc_end562:
	.size	_ZN12_GLOBAL__N_121softmax_warp_backwardIfffLi8ELb0ELb0ELi64EEEvPT0_PKT_S5_iiiPKb, .Lfunc_end562-_ZN12_GLOBAL__N_121softmax_warp_backwardIfffLi8ELb0ELb0ELi64EEEvPT0_PKT_S5_iiiPKb
                                        ; -- End function
	.section	.AMDGPU.csdata,"",@progbits
; Kernel info:
; codeLenInByte = 812
; NumSgprs: 20
; NumVgprs: 15
; NumAgprs: 0
; TotalNumVgprs: 15
; ScratchSize: 0
; MemoryBound: 0
; FloatMode: 240
; IeeeMode: 1
; LDSByteSize: 0 bytes/workgroup (compile time only)
; SGPRBlocks: 2
; VGPRBlocks: 1
; NumSGPRsForWavesPerEU: 20
; NumVGPRsForWavesPerEU: 15
; AccumOffset: 16
; Occupancy: 8
; WaveLimiterHint : 0
; COMPUTE_PGM_RSRC2:SCRATCH_EN: 0
; COMPUTE_PGM_RSRC2:USER_SGPR: 6
; COMPUTE_PGM_RSRC2:TRAP_HANDLER: 0
; COMPUTE_PGM_RSRC2:TGID_X_EN: 1
; COMPUTE_PGM_RSRC2:TGID_Y_EN: 0
; COMPUTE_PGM_RSRC2:TGID_Z_EN: 0
; COMPUTE_PGM_RSRC2:TIDIG_COMP_CNT: 1
; COMPUTE_PGM_RSRC3_GFX90A:ACCUM_OFFSET: 3
; COMPUTE_PGM_RSRC3_GFX90A:TG_SPLIT: 0
	.section	.text._ZN12_GLOBAL__N_121softmax_warp_backwardIfffLi8ELb0ELb0ELi32EEEvPT0_PKT_S5_iiiPKb,"axG",@progbits,_ZN12_GLOBAL__N_121softmax_warp_backwardIfffLi8ELb0ELb0ELi32EEEvPT0_PKT_S5_iiiPKb,comdat
	.globl	_ZN12_GLOBAL__N_121softmax_warp_backwardIfffLi8ELb0ELb0ELi32EEEvPT0_PKT_S5_iiiPKb ; -- Begin function _ZN12_GLOBAL__N_121softmax_warp_backwardIfffLi8ELb0ELb0ELi32EEEvPT0_PKT_S5_iiiPKb
	.p2align	8
	.type	_ZN12_GLOBAL__N_121softmax_warp_backwardIfffLi8ELb0ELb0ELi32EEEvPT0_PKT_S5_iiiPKb,@function
_ZN12_GLOBAL__N_121softmax_warp_backwardIfffLi8ELb0ELb0ELi32EEEvPT0_PKT_S5_iiiPKb: ; @_ZN12_GLOBAL__N_121softmax_warp_backwardIfffLi8ELb0ELb0ELi32EEEvPT0_PKT_S5_iiiPKb
; %bb.0:
	s_load_dword s2, s[4:5], 0x3c
	s_load_dwordx4 s[20:23], s[4:5], 0x18
	s_load_dwordx4 s[16:19], s[4:5], 0x0
	s_load_dwordx2 s[0:1], s[4:5], 0x10
	v_bfe_u32 v1, v0, 10, 10
	s_waitcnt lgkmcnt(0)
	s_lshr_b32 s2, s2, 16
	s_mul_i32 s6, s6, s2
	v_add_u32_e32 v1, s6, v1
	v_and_b32_e32 v4, 31, v0
	v_sub_u32_e32 v8, s20, v1
	v_mad_u64_u32 v[0:1], s[2:3], v1, s21, v[4:5]
	v_ashrrev_i32_e32 v1, 31, v0
	v_lshlrev_b64 v[0:1], 2, v[0:1]
	v_mov_b32_e32 v3, s19
	v_add_co_u32_e32 v2, vcc, s18, v0
	v_addc_co_u32_e32 v3, vcc, v3, v1, vcc
	v_mov_b32_e32 v5, s1
	v_add_co_u32_e32 v6, vcc, s0, v0
	v_addc_co_u32_e32 v7, vcc, v5, v1, vcc
	v_cmp_lt_i32_e64 s[14:15], 0, v8
	v_cmp_gt_i32_e32 vcc, s22, v4
	s_and_b64 s[2:3], s[14:15], vcc
	v_mov_b32_e32 v5, 0
	v_mov_b32_e32 v9, 0
	;; [unrolled: 1-line block ×3, first 2 shown]
	s_and_saveexec_b64 s[0:1], s[2:3]
	s_cbranch_execz .LBB563_2
; %bb.1:
	global_load_dword v9, v[2:3], off
	global_load_dword v10, v[6:7], off
.LBB563_2:
	s_or_b64 exec, exec, s[0:1]
	v_or_b32_e32 v11, 32, v4
	v_cmp_gt_i32_e64 s[0:1], s22, v11
	s_and_b64 s[4:5], s[14:15], s[0:1]
	v_mov_b32_e32 v12, 0
	s_and_saveexec_b64 s[2:3], s[4:5]
	s_cbranch_execz .LBB563_4
; %bb.3:
	global_load_dword v5, v[2:3], off offset:128
	global_load_dword v12, v[6:7], off offset:128
.LBB563_4:
	s_or_b64 exec, exec, s[2:3]
	v_or_b32_e32 v11, 64, v4
	v_cmp_gt_i32_e64 s[2:3], s22, v11
	s_and_b64 s[6:7], s[14:15], s[2:3]
	v_mov_b32_e32 v11, 0
	v_mov_b32_e32 v13, 0
	v_mov_b32_e32 v14, 0
	s_and_saveexec_b64 s[4:5], s[6:7]
	s_cbranch_execz .LBB563_6
; %bb.5:
	global_load_dword v13, v[2:3], off offset:256
	global_load_dword v14, v[6:7], off offset:256
.LBB563_6:
	s_or_b64 exec, exec, s[4:5]
	v_or_b32_e32 v15, 0x60, v4
	v_cmp_gt_i32_e64 s[4:5], s22, v15
	s_and_b64 s[8:9], s[14:15], s[4:5]
	v_mov_b32_e32 v16, 0
	s_and_saveexec_b64 s[6:7], s[8:9]
	s_cbranch_execz .LBB563_8
; %bb.7:
	global_load_dword v11, v[2:3], off offset:384
	global_load_dword v16, v[6:7], off offset:384
.LBB563_8:
	s_or_b64 exec, exec, s[6:7]
	v_or_b32_e32 v15, 0x80, v4
	v_cmp_gt_i32_e64 s[6:7], s22, v15
	s_and_b64 s[10:11], s[14:15], s[6:7]
	v_mov_b32_e32 v15, 0
	v_mov_b32_e32 v17, 0
	v_mov_b32_e32 v18, 0
	s_and_saveexec_b64 s[8:9], s[10:11]
	s_cbranch_execz .LBB563_10
; %bb.9:
	global_load_dword v17, v[2:3], off offset:512
	global_load_dword v18, v[6:7], off offset:512
.LBB563_10:
	;; [unrolled: 24-line block ×3, first 2 shown]
	s_or_b64 exec, exec, s[12:13]
	v_or_b32_e32 v4, 0xe0, v4
	v_cmp_gt_i32_e64 s[12:13], s22, v4
	s_and_b64 s[18:19], s[14:15], s[12:13]
	v_mov_b32_e32 v4, 0
	s_and_saveexec_b64 s[14:15], s[18:19]
	s_cbranch_execz .LBB563_16
; %bb.15:
	global_load_dword v19, v[2:3], off offset:896
	global_load_dword v4, v[6:7], off offset:896
.LBB563_16:
	s_or_b64 exec, exec, s[14:15]
	s_waitcnt vmcnt(1)
	v_add_f32_e32 v2, 0, v9
	v_add_f32_e32 v2, v2, v5
	v_mbcnt_lo_u32_b32 v3, -1, 0
	v_add_f32_e32 v2, v2, v13
	v_mbcnt_hi_u32_b32 v3, -1, v3
	v_add_f32_e32 v2, v2, v11
	v_and_b32_e32 v6, 0x60, v3
	v_add_f32_e32 v2, v2, v17
	v_add_u32_e32 v6, 32, v6
	v_xor_b32_e32 v7, 16, v3
	v_add_f32_e32 v2, v2, v15
	v_cmp_lt_i32_e64 s[14:15], v7, v6
	v_add_f32_e32 v2, v2, v21
	v_cndmask_b32_e64 v7, v3, v7, s[14:15]
	v_add_f32_e32 v2, v2, v19
	v_lshlrev_b32_e32 v7, 2, v7
	ds_bpermute_b32 v7, v7, v2
	s_waitcnt lgkmcnt(0)
	v_add_f32_e32 v2, v2, v7
	v_xor_b32_e32 v7, 8, v3
	v_cmp_lt_i32_e64 s[14:15], v7, v6
	v_cndmask_b32_e64 v7, v3, v7, s[14:15]
	v_lshlrev_b32_e32 v7, 2, v7
	ds_bpermute_b32 v7, v7, v2
	s_waitcnt lgkmcnt(0)
	v_add_f32_e32 v2, v2, v7
	v_xor_b32_e32 v7, 4, v3
	v_cmp_lt_i32_e64 s[14:15], v7, v6
	v_cndmask_b32_e64 v7, v3, v7, s[14:15]
	;; [unrolled: 7-line block ×4, first 2 shown]
	v_lshlrev_b32_e32 v3, 2, v3
	ds_bpermute_b32 v3, v3, v2
	v_cmp_lt_i32_e64 s[14:15], 0, v8
	s_and_saveexec_b64 s[18:19], s[14:15]
	s_cbranch_execz .LBB563_26
; %bb.17:
	v_mov_b32_e32 v6, s17
	v_add_co_u32_e64 v0, s[14:15], s16, v0
	v_addc_co_u32_e64 v1, s[14:15], v6, v1, s[14:15]
	s_waitcnt lgkmcnt(0)
	v_add_f32_e32 v2, v2, v3
	s_and_saveexec_b64 s[14:15], vcc
	s_cbranch_execnz .LBB563_27
; %bb.18:
	s_or_b64 exec, exec, s[14:15]
	s_and_saveexec_b64 s[14:15], s[0:1]
	s_cbranch_execnz .LBB563_28
.LBB563_19:
	s_or_b64 exec, exec, s[14:15]
	s_and_saveexec_b64 s[0:1], s[2:3]
	s_cbranch_execnz .LBB563_29
.LBB563_20:
	s_or_b64 exec, exec, s[0:1]
	s_and_saveexec_b64 s[0:1], s[4:5]
	s_cbranch_execnz .LBB563_30
.LBB563_21:
	s_or_b64 exec, exec, s[0:1]
	s_and_saveexec_b64 s[0:1], s[6:7]
	s_cbranch_execnz .LBB563_31
.LBB563_22:
	s_or_b64 exec, exec, s[0:1]
	s_and_saveexec_b64 s[0:1], s[8:9]
	s_cbranch_execnz .LBB563_32
.LBB563_23:
	s_or_b64 exec, exec, s[0:1]
	s_and_saveexec_b64 s[0:1], s[10:11]
	s_cbranch_execnz .LBB563_33
.LBB563_24:
	s_or_b64 exec, exec, s[0:1]
	s_and_b64 exec, exec, s[12:13]
	s_cbranch_execz .LBB563_26
.LBB563_25:
	s_waitcnt vmcnt(0)
	v_fma_f32 v2, -v2, v4, v19
	global_store_dword v[0:1], v2, off offset:896
.LBB563_26:
	s_endpgm
.LBB563_27:
	s_waitcnt vmcnt(0)
	v_fma_f32 v3, -v2, v10, v9
	global_store_dword v[0:1], v3, off
	s_or_b64 exec, exec, s[14:15]
	s_and_saveexec_b64 s[14:15], s[0:1]
	s_cbranch_execz .LBB563_19
.LBB563_28:
	s_waitcnt vmcnt(0)
	v_fma_f32 v3, -v2, v12, v5
	global_store_dword v[0:1], v3, off offset:128
	s_or_b64 exec, exec, s[14:15]
	s_and_saveexec_b64 s[0:1], s[2:3]
	s_cbranch_execz .LBB563_20
.LBB563_29:
	s_waitcnt vmcnt(0)
	v_fma_f32 v3, -v2, v14, v13
	global_store_dword v[0:1], v3, off offset:256
	s_or_b64 exec, exec, s[0:1]
	s_and_saveexec_b64 s[0:1], s[4:5]
	s_cbranch_execz .LBB563_21
.LBB563_30:
	s_waitcnt vmcnt(0)
	v_fma_f32 v3, -v2, v16, v11
	global_store_dword v[0:1], v3, off offset:384
	s_or_b64 exec, exec, s[0:1]
	s_and_saveexec_b64 s[0:1], s[6:7]
	s_cbranch_execz .LBB563_22
.LBB563_31:
	s_waitcnt vmcnt(0)
	v_fma_f32 v3, -v2, v18, v17
	global_store_dword v[0:1], v3, off offset:512
	s_or_b64 exec, exec, s[0:1]
	s_and_saveexec_b64 s[0:1], s[8:9]
	s_cbranch_execz .LBB563_23
.LBB563_32:
	s_waitcnt vmcnt(0)
	v_fma_f32 v3, -v2, v20, v15
	global_store_dword v[0:1], v3, off offset:640
	s_or_b64 exec, exec, s[0:1]
	s_and_saveexec_b64 s[0:1], s[10:11]
	s_cbranch_execz .LBB563_24
.LBB563_33:
	s_waitcnt vmcnt(0)
	v_fma_f32 v3, -v2, v22, v21
	global_store_dword v[0:1], v3, off offset:768
	s_or_b64 exec, exec, s[0:1]
	s_and_b64 exec, exec, s[12:13]
	s_cbranch_execnz .LBB563_25
	s_branch .LBB563_26
	.section	.rodata,"a",@progbits
	.p2align	6, 0x0
	.amdhsa_kernel _ZN12_GLOBAL__N_121softmax_warp_backwardIfffLi8ELb0ELb0ELi32EEEvPT0_PKT_S5_iiiPKb
		.amdhsa_group_segment_fixed_size 0
		.amdhsa_private_segment_fixed_size 0
		.amdhsa_kernarg_size 304
		.amdhsa_user_sgpr_count 6
		.amdhsa_user_sgpr_private_segment_buffer 1
		.amdhsa_user_sgpr_dispatch_ptr 0
		.amdhsa_user_sgpr_queue_ptr 0
		.amdhsa_user_sgpr_kernarg_segment_ptr 1
		.amdhsa_user_sgpr_dispatch_id 0
		.amdhsa_user_sgpr_flat_scratch_init 0
		.amdhsa_user_sgpr_kernarg_preload_length 0
		.amdhsa_user_sgpr_kernarg_preload_offset 0
		.amdhsa_user_sgpr_private_segment_size 0
		.amdhsa_uses_dynamic_stack 0
		.amdhsa_system_sgpr_private_segment_wavefront_offset 0
		.amdhsa_system_sgpr_workgroup_id_x 1
		.amdhsa_system_sgpr_workgroup_id_y 0
		.amdhsa_system_sgpr_workgroup_id_z 0
		.amdhsa_system_sgpr_workgroup_info 0
		.amdhsa_system_vgpr_workitem_id 1
		.amdhsa_next_free_vgpr 23
		.amdhsa_next_free_sgpr 24
		.amdhsa_accum_offset 24
		.amdhsa_reserve_vcc 1
		.amdhsa_reserve_flat_scratch 0
		.amdhsa_float_round_mode_32 0
		.amdhsa_float_round_mode_16_64 0
		.amdhsa_float_denorm_mode_32 3
		.amdhsa_float_denorm_mode_16_64 3
		.amdhsa_dx10_clamp 1
		.amdhsa_ieee_mode 1
		.amdhsa_fp16_overflow 0
		.amdhsa_tg_split 0
		.amdhsa_exception_fp_ieee_invalid_op 0
		.amdhsa_exception_fp_denorm_src 0
		.amdhsa_exception_fp_ieee_div_zero 0
		.amdhsa_exception_fp_ieee_overflow 0
		.amdhsa_exception_fp_ieee_underflow 0
		.amdhsa_exception_fp_ieee_inexact 0
		.amdhsa_exception_int_div_zero 0
	.end_amdhsa_kernel
	.section	.text._ZN12_GLOBAL__N_121softmax_warp_backwardIfffLi8ELb0ELb0ELi32EEEvPT0_PKT_S5_iiiPKb,"axG",@progbits,_ZN12_GLOBAL__N_121softmax_warp_backwardIfffLi8ELb0ELb0ELi32EEEvPT0_PKT_S5_iiiPKb,comdat
.Lfunc_end563:
	.size	_ZN12_GLOBAL__N_121softmax_warp_backwardIfffLi8ELb0ELb0ELi32EEEvPT0_PKT_S5_iiiPKb, .Lfunc_end563-_ZN12_GLOBAL__N_121softmax_warp_backwardIfffLi8ELb0ELb0ELi32EEEvPT0_PKT_S5_iiiPKb
                                        ; -- End function
	.section	.AMDGPU.csdata,"",@progbits
; Kernel info:
; codeLenInByte = 1188
; NumSgprs: 28
; NumVgprs: 23
; NumAgprs: 0
; TotalNumVgprs: 23
; ScratchSize: 0
; MemoryBound: 0
; FloatMode: 240
; IeeeMode: 1
; LDSByteSize: 0 bytes/workgroup (compile time only)
; SGPRBlocks: 3
; VGPRBlocks: 2
; NumSGPRsForWavesPerEU: 28
; NumVGPRsForWavesPerEU: 23
; AccumOffset: 24
; Occupancy: 8
; WaveLimiterHint : 0
; COMPUTE_PGM_RSRC2:SCRATCH_EN: 0
; COMPUTE_PGM_RSRC2:USER_SGPR: 6
; COMPUTE_PGM_RSRC2:TRAP_HANDLER: 0
; COMPUTE_PGM_RSRC2:TGID_X_EN: 1
; COMPUTE_PGM_RSRC2:TGID_Y_EN: 0
; COMPUTE_PGM_RSRC2:TGID_Z_EN: 0
; COMPUTE_PGM_RSRC2:TIDIG_COMP_CNT: 1
; COMPUTE_PGM_RSRC3_GFX90A:ACCUM_OFFSET: 5
; COMPUTE_PGM_RSRC3_GFX90A:TG_SPLIT: 0
	.section	.text._ZN12_GLOBAL__N_121softmax_warp_backwardIfffLi9ELb0ELb0ELi64EEEvPT0_PKT_S5_iiiPKb,"axG",@progbits,_ZN12_GLOBAL__N_121softmax_warp_backwardIfffLi9ELb0ELb0ELi64EEEvPT0_PKT_S5_iiiPKb,comdat
	.globl	_ZN12_GLOBAL__N_121softmax_warp_backwardIfffLi9ELb0ELb0ELi64EEEvPT0_PKT_S5_iiiPKb ; -- Begin function _ZN12_GLOBAL__N_121softmax_warp_backwardIfffLi9ELb0ELb0ELi64EEEvPT0_PKT_S5_iiiPKb
	.p2align	8
	.type	_ZN12_GLOBAL__N_121softmax_warp_backwardIfffLi9ELb0ELb0ELi64EEEvPT0_PKT_S5_iiiPKb,@function
_ZN12_GLOBAL__N_121softmax_warp_backwardIfffLi9ELb0ELb0ELi64EEEvPT0_PKT_S5_iiiPKb: ; @_ZN12_GLOBAL__N_121softmax_warp_backwardIfffLi9ELb0ELb0ELi64EEEvPT0_PKT_S5_iiiPKb
; %bb.0:
	s_load_dword s2, s[4:5], 0x3c
	s_load_dwordx4 s[20:23], s[4:5], 0x18
	s_load_dwordx4 s[16:19], s[4:5], 0x0
	s_load_dwordx2 s[0:1], s[4:5], 0x10
	v_bfe_u32 v1, v0, 10, 10
	s_waitcnt lgkmcnt(0)
	s_lshr_b32 s2, s2, 16
	s_mul_i32 s6, s6, s2
	v_add_u32_e32 v1, s6, v1
	v_and_b32_e32 v4, 63, v0
	v_sub_u32_e32 v8, s20, v1
	v_mad_u64_u32 v[0:1], s[2:3], v1, s21, v[4:5]
	v_ashrrev_i32_e32 v1, 31, v0
	v_lshlrev_b64 v[0:1], 2, v[0:1]
	v_mov_b32_e32 v3, s19
	v_add_co_u32_e32 v2, vcc, s18, v0
	v_addc_co_u32_e32 v3, vcc, v3, v1, vcc
	v_mov_b32_e32 v5, s1
	v_add_co_u32_e32 v6, vcc, s0, v0
	v_addc_co_u32_e32 v7, vcc, v5, v1, vcc
	v_cmp_lt_i32_e64 s[14:15], 0, v8
	v_cmp_gt_i32_e32 vcc, s22, v4
	s_and_b64 s[2:3], s[14:15], vcc
	v_mov_b32_e32 v5, 0
	v_mov_b32_e32 v9, 0
	;; [unrolled: 1-line block ×3, first 2 shown]
	s_and_saveexec_b64 s[0:1], s[2:3]
	s_cbranch_execz .LBB564_2
; %bb.1:
	global_load_dword v9, v[2:3], off
	global_load_dword v10, v[6:7], off
.LBB564_2:
	s_or_b64 exec, exec, s[0:1]
	v_or_b32_e32 v11, 64, v4
	v_cmp_gt_i32_e64 s[0:1], s22, v11
	s_and_b64 s[4:5], s[14:15], s[0:1]
	v_mov_b32_e32 v12, 0
	s_and_saveexec_b64 s[2:3], s[4:5]
	s_cbranch_execz .LBB564_4
; %bb.3:
	global_load_dword v5, v[2:3], off offset:256
	global_load_dword v12, v[6:7], off offset:256
.LBB564_4:
	s_or_b64 exec, exec, s[2:3]
	v_or_b32_e32 v11, 0x80, v4
	v_cmp_gt_i32_e64 s[2:3], s22, v11
	s_and_b64 s[6:7], s[14:15], s[2:3]
	v_mov_b32_e32 v11, 0
	v_mov_b32_e32 v13, 0
	v_mov_b32_e32 v14, 0
	s_and_saveexec_b64 s[4:5], s[6:7]
	s_cbranch_execz .LBB564_6
; %bb.5:
	global_load_dword v13, v[2:3], off offset:512
	global_load_dword v14, v[6:7], off offset:512
.LBB564_6:
	s_or_b64 exec, exec, s[4:5]
	v_or_b32_e32 v15, 0xc0, v4
	v_cmp_gt_i32_e64 s[4:5], s22, v15
	s_and_b64 s[8:9], s[14:15], s[4:5]
	v_mov_b32_e32 v16, 0
	s_and_saveexec_b64 s[6:7], s[8:9]
	s_cbranch_execz .LBB564_8
; %bb.7:
	global_load_dword v11, v[2:3], off offset:768
	global_load_dword v16, v[6:7], off offset:768
.LBB564_8:
	s_or_b64 exec, exec, s[6:7]
	v_or_b32_e32 v15, 0x100, v4
	v_cmp_gt_i32_e64 s[6:7], s22, v15
	s_and_b64 s[10:11], s[14:15], s[6:7]
	v_mov_b32_e32 v15, 0
	v_mov_b32_e32 v17, 0
	v_mov_b32_e32 v18, 0
	s_and_saveexec_b64 s[8:9], s[10:11]
	s_cbranch_execz .LBB564_10
; %bb.9:
	global_load_dword v17, v[2:3], off offset:1024
	global_load_dword v18, v[6:7], off offset:1024
.LBB564_10:
	;; [unrolled: 24-line block ×3, first 2 shown]
	s_or_b64 exec, exec, s[12:13]
	v_or_b32_e32 v4, 0x1c0, v4
	v_cmp_gt_i32_e64 s[12:13], s22, v4
	s_and_b64 s[18:19], s[14:15], s[12:13]
	v_mov_b32_e32 v4, 0
	s_and_saveexec_b64 s[14:15], s[18:19]
	s_cbranch_execz .LBB564_16
; %bb.15:
	global_load_dword v19, v[2:3], off offset:1792
	global_load_dword v4, v[6:7], off offset:1792
.LBB564_16:
	s_or_b64 exec, exec, s[14:15]
	s_waitcnt vmcnt(1)
	v_add_f32_e32 v2, 0, v9
	v_add_f32_e32 v2, v2, v5
	v_mbcnt_lo_u32_b32 v3, -1, 0
	v_add_f32_e32 v2, v2, v13
	v_mbcnt_hi_u32_b32 v3, -1, v3
	v_add_f32_e32 v2, v2, v11
	v_and_b32_e32 v6, 64, v3
	v_add_f32_e32 v2, v2, v17
	v_add_u32_e32 v6, 64, v6
	v_xor_b32_e32 v7, 32, v3
	v_add_f32_e32 v2, v2, v15
	v_cmp_lt_i32_e64 s[14:15], v7, v6
	v_add_f32_e32 v2, v2, v21
	v_cndmask_b32_e64 v7, v3, v7, s[14:15]
	v_add_f32_e32 v2, v2, v19
	v_lshlrev_b32_e32 v7, 2, v7
	ds_bpermute_b32 v7, v7, v2
	s_waitcnt lgkmcnt(0)
	v_add_f32_e32 v2, v2, v7
	v_xor_b32_e32 v7, 16, v3
	v_cmp_lt_i32_e64 s[14:15], v7, v6
	v_cndmask_b32_e64 v7, v3, v7, s[14:15]
	v_lshlrev_b32_e32 v7, 2, v7
	ds_bpermute_b32 v7, v7, v2
	s_waitcnt lgkmcnt(0)
	v_add_f32_e32 v2, v2, v7
	v_xor_b32_e32 v7, 8, v3
	v_cmp_lt_i32_e64 s[14:15], v7, v6
	v_cndmask_b32_e64 v7, v3, v7, s[14:15]
	;; [unrolled: 7-line block ×5, first 2 shown]
	v_lshlrev_b32_e32 v3, 2, v3
	ds_bpermute_b32 v3, v3, v2
	v_cmp_lt_i32_e64 s[14:15], 0, v8
	s_and_saveexec_b64 s[18:19], s[14:15]
	s_cbranch_execz .LBB564_26
; %bb.17:
	v_mov_b32_e32 v6, s17
	v_add_co_u32_e64 v0, s[14:15], s16, v0
	v_addc_co_u32_e64 v1, s[14:15], v6, v1, s[14:15]
	s_waitcnt lgkmcnt(0)
	v_add_f32_e32 v2, v2, v3
	s_and_saveexec_b64 s[14:15], vcc
	s_cbranch_execnz .LBB564_27
; %bb.18:
	s_or_b64 exec, exec, s[14:15]
	s_and_saveexec_b64 s[14:15], s[0:1]
	s_cbranch_execnz .LBB564_28
.LBB564_19:
	s_or_b64 exec, exec, s[14:15]
	s_and_saveexec_b64 s[0:1], s[2:3]
	s_cbranch_execnz .LBB564_29
.LBB564_20:
	s_or_b64 exec, exec, s[0:1]
	s_and_saveexec_b64 s[0:1], s[4:5]
	s_cbranch_execnz .LBB564_30
.LBB564_21:
	s_or_b64 exec, exec, s[0:1]
	s_and_saveexec_b64 s[0:1], s[6:7]
	s_cbranch_execnz .LBB564_31
.LBB564_22:
	s_or_b64 exec, exec, s[0:1]
	s_and_saveexec_b64 s[0:1], s[8:9]
	s_cbranch_execnz .LBB564_32
.LBB564_23:
	s_or_b64 exec, exec, s[0:1]
	s_and_saveexec_b64 s[0:1], s[10:11]
	s_cbranch_execnz .LBB564_33
.LBB564_24:
	s_or_b64 exec, exec, s[0:1]
	s_and_b64 exec, exec, s[12:13]
	s_cbranch_execz .LBB564_26
.LBB564_25:
	s_waitcnt vmcnt(0)
	v_fma_f32 v2, -v2, v4, v19
	global_store_dword v[0:1], v2, off offset:1792
.LBB564_26:
	s_endpgm
.LBB564_27:
	s_waitcnt vmcnt(0)
	v_fma_f32 v3, -v2, v10, v9
	global_store_dword v[0:1], v3, off
	s_or_b64 exec, exec, s[14:15]
	s_and_saveexec_b64 s[14:15], s[0:1]
	s_cbranch_execz .LBB564_19
.LBB564_28:
	s_waitcnt vmcnt(0)
	v_fma_f32 v3, -v2, v12, v5
	global_store_dword v[0:1], v3, off offset:256
	s_or_b64 exec, exec, s[14:15]
	s_and_saveexec_b64 s[0:1], s[2:3]
	s_cbranch_execz .LBB564_20
.LBB564_29:
	s_waitcnt vmcnt(0)
	v_fma_f32 v3, -v2, v14, v13
	global_store_dword v[0:1], v3, off offset:512
	s_or_b64 exec, exec, s[0:1]
	s_and_saveexec_b64 s[0:1], s[4:5]
	s_cbranch_execz .LBB564_21
.LBB564_30:
	s_waitcnt vmcnt(0)
	v_fma_f32 v3, -v2, v16, v11
	global_store_dword v[0:1], v3, off offset:768
	s_or_b64 exec, exec, s[0:1]
	s_and_saveexec_b64 s[0:1], s[6:7]
	s_cbranch_execz .LBB564_22
.LBB564_31:
	s_waitcnt vmcnt(0)
	v_fma_f32 v3, -v2, v18, v17
	global_store_dword v[0:1], v3, off offset:1024
	s_or_b64 exec, exec, s[0:1]
	s_and_saveexec_b64 s[0:1], s[8:9]
	s_cbranch_execz .LBB564_23
.LBB564_32:
	s_waitcnt vmcnt(0)
	v_fma_f32 v3, -v2, v20, v15
	global_store_dword v[0:1], v3, off offset:1280
	s_or_b64 exec, exec, s[0:1]
	s_and_saveexec_b64 s[0:1], s[10:11]
	s_cbranch_execz .LBB564_24
.LBB564_33:
	s_waitcnt vmcnt(0)
	v_fma_f32 v3, -v2, v22, v21
	global_store_dword v[0:1], v3, off offset:1536
	s_or_b64 exec, exec, s[0:1]
	s_and_b64 exec, exec, s[12:13]
	s_cbranch_execnz .LBB564_25
	s_branch .LBB564_26
	.section	.rodata,"a",@progbits
	.p2align	6, 0x0
	.amdhsa_kernel _ZN12_GLOBAL__N_121softmax_warp_backwardIfffLi9ELb0ELb0ELi64EEEvPT0_PKT_S5_iiiPKb
		.amdhsa_group_segment_fixed_size 0
		.amdhsa_private_segment_fixed_size 0
		.amdhsa_kernarg_size 304
		.amdhsa_user_sgpr_count 6
		.amdhsa_user_sgpr_private_segment_buffer 1
		.amdhsa_user_sgpr_dispatch_ptr 0
		.amdhsa_user_sgpr_queue_ptr 0
		.amdhsa_user_sgpr_kernarg_segment_ptr 1
		.amdhsa_user_sgpr_dispatch_id 0
		.amdhsa_user_sgpr_flat_scratch_init 0
		.amdhsa_user_sgpr_kernarg_preload_length 0
		.amdhsa_user_sgpr_kernarg_preload_offset 0
		.amdhsa_user_sgpr_private_segment_size 0
		.amdhsa_uses_dynamic_stack 0
		.amdhsa_system_sgpr_private_segment_wavefront_offset 0
		.amdhsa_system_sgpr_workgroup_id_x 1
		.amdhsa_system_sgpr_workgroup_id_y 0
		.amdhsa_system_sgpr_workgroup_id_z 0
		.amdhsa_system_sgpr_workgroup_info 0
		.amdhsa_system_vgpr_workitem_id 1
		.amdhsa_next_free_vgpr 23
		.amdhsa_next_free_sgpr 24
		.amdhsa_accum_offset 24
		.amdhsa_reserve_vcc 1
		.amdhsa_reserve_flat_scratch 0
		.amdhsa_float_round_mode_32 0
		.amdhsa_float_round_mode_16_64 0
		.amdhsa_float_denorm_mode_32 3
		.amdhsa_float_denorm_mode_16_64 3
		.amdhsa_dx10_clamp 1
		.amdhsa_ieee_mode 1
		.amdhsa_fp16_overflow 0
		.amdhsa_tg_split 0
		.amdhsa_exception_fp_ieee_invalid_op 0
		.amdhsa_exception_fp_denorm_src 0
		.amdhsa_exception_fp_ieee_div_zero 0
		.amdhsa_exception_fp_ieee_overflow 0
		.amdhsa_exception_fp_ieee_underflow 0
		.amdhsa_exception_fp_ieee_inexact 0
		.amdhsa_exception_int_div_zero 0
	.end_amdhsa_kernel
	.section	.text._ZN12_GLOBAL__N_121softmax_warp_backwardIfffLi9ELb0ELb0ELi64EEEvPT0_PKT_S5_iiiPKb,"axG",@progbits,_ZN12_GLOBAL__N_121softmax_warp_backwardIfffLi9ELb0ELb0ELi64EEEvPT0_PKT_S5_iiiPKb,comdat
.Lfunc_end564:
	.size	_ZN12_GLOBAL__N_121softmax_warp_backwardIfffLi9ELb0ELb0ELi64EEEvPT0_PKT_S5_iiiPKb, .Lfunc_end564-_ZN12_GLOBAL__N_121softmax_warp_backwardIfffLi9ELb0ELb0ELi64EEEvPT0_PKT_S5_iiiPKb
                                        ; -- End function
	.section	.AMDGPU.csdata,"",@progbits
; Kernel info:
; codeLenInByte = 1228
; NumSgprs: 28
; NumVgprs: 23
; NumAgprs: 0
; TotalNumVgprs: 23
; ScratchSize: 0
; MemoryBound: 0
; FloatMode: 240
; IeeeMode: 1
; LDSByteSize: 0 bytes/workgroup (compile time only)
; SGPRBlocks: 3
; VGPRBlocks: 2
; NumSGPRsForWavesPerEU: 28
; NumVGPRsForWavesPerEU: 23
; AccumOffset: 24
; Occupancy: 8
; WaveLimiterHint : 0
; COMPUTE_PGM_RSRC2:SCRATCH_EN: 0
; COMPUTE_PGM_RSRC2:USER_SGPR: 6
; COMPUTE_PGM_RSRC2:TRAP_HANDLER: 0
; COMPUTE_PGM_RSRC2:TGID_X_EN: 1
; COMPUTE_PGM_RSRC2:TGID_Y_EN: 0
; COMPUTE_PGM_RSRC2:TGID_Z_EN: 0
; COMPUTE_PGM_RSRC2:TIDIG_COMP_CNT: 1
; COMPUTE_PGM_RSRC3_GFX90A:ACCUM_OFFSET: 5
; COMPUTE_PGM_RSRC3_GFX90A:TG_SPLIT: 0
	.section	.text._ZN12_GLOBAL__N_121softmax_warp_backwardIfffLi9ELb0ELb0ELi32EEEvPT0_PKT_S5_iiiPKb,"axG",@progbits,_ZN12_GLOBAL__N_121softmax_warp_backwardIfffLi9ELb0ELb0ELi32EEEvPT0_PKT_S5_iiiPKb,comdat
	.globl	_ZN12_GLOBAL__N_121softmax_warp_backwardIfffLi9ELb0ELb0ELi32EEEvPT0_PKT_S5_iiiPKb ; -- Begin function _ZN12_GLOBAL__N_121softmax_warp_backwardIfffLi9ELb0ELb0ELi32EEEvPT0_PKT_S5_iiiPKb
	.p2align	8
	.type	_ZN12_GLOBAL__N_121softmax_warp_backwardIfffLi9ELb0ELb0ELi32EEEvPT0_PKT_S5_iiiPKb,@function
_ZN12_GLOBAL__N_121softmax_warp_backwardIfffLi9ELb0ELb0ELi32EEEvPT0_PKT_S5_iiiPKb: ; @_ZN12_GLOBAL__N_121softmax_warp_backwardIfffLi9ELb0ELb0ELi32EEEvPT0_PKT_S5_iiiPKb
; %bb.0:
	s_load_dword s2, s[4:5], 0x3c
	s_load_dwordx4 s[28:31], s[4:5], 0x18
	s_load_dwordx4 s[36:39], s[4:5], 0x0
	s_load_dwordx2 s[0:1], s[4:5], 0x10
	v_bfe_u32 v1, v0, 10, 10
	s_waitcnt lgkmcnt(0)
	s_lshr_b32 s2, s2, 16
	s_mul_i32 s6, s6, s2
	v_add_u32_e32 v1, s6, v1
	v_and_b32_e32 v4, 31, v0
	v_sub_u32_e32 v8, s28, v1
	v_mad_u64_u32 v[0:1], s[2:3], v1, s29, v[4:5]
	v_ashrrev_i32_e32 v1, 31, v0
	v_lshlrev_b64 v[0:1], 2, v[0:1]
	v_mov_b32_e32 v3, s39
	v_add_co_u32_e32 v2, vcc, s38, v0
	v_addc_co_u32_e32 v3, vcc, v3, v1, vcc
	v_mov_b32_e32 v5, s1
	v_add_co_u32_e32 v6, vcc, s0, v0
	v_addc_co_u32_e32 v7, vcc, v5, v1, vcc
	v_cmp_lt_i32_e64 s[16:17], 0, v8
	v_cmp_gt_i32_e32 vcc, s30, v4
	s_and_b64 s[2:3], s[16:17], vcc
	v_mov_b32_e32 v5, 0
	v_mov_b32_e32 v9, 0
	;; [unrolled: 1-line block ×3, first 2 shown]
	s_and_saveexec_b64 s[0:1], s[2:3]
	s_cbranch_execz .LBB565_2
; %bb.1:
	global_load_dword v9, v[2:3], off
	global_load_dword v10, v[6:7], off
.LBB565_2:
	s_or_b64 exec, exec, s[0:1]
	v_or_b32_e32 v11, 32, v4
	v_cmp_gt_i32_e64 s[0:1], s30, v11
	s_and_b64 s[4:5], s[16:17], s[0:1]
	v_mov_b32_e32 v12, 0
	s_and_saveexec_b64 s[2:3], s[4:5]
	s_cbranch_execz .LBB565_4
; %bb.3:
	global_load_dword v5, v[2:3], off offset:128
	global_load_dword v12, v[6:7], off offset:128
.LBB565_4:
	s_or_b64 exec, exec, s[2:3]
	v_or_b32_e32 v11, 64, v4
	v_cmp_gt_i32_e64 s[2:3], s30, v11
	s_and_b64 s[6:7], s[16:17], s[2:3]
	v_mov_b32_e32 v11, 0
	v_mov_b32_e32 v13, 0
	v_mov_b32_e32 v14, 0
	s_and_saveexec_b64 s[4:5], s[6:7]
	s_cbranch_execz .LBB565_6
; %bb.5:
	global_load_dword v13, v[2:3], off offset:256
	global_load_dword v14, v[6:7], off offset:256
.LBB565_6:
	s_or_b64 exec, exec, s[4:5]
	v_or_b32_e32 v15, 0x60, v4
	v_cmp_gt_i32_e64 s[4:5], s30, v15
	s_and_b64 s[8:9], s[16:17], s[4:5]
	v_mov_b32_e32 v16, 0
	s_and_saveexec_b64 s[6:7], s[8:9]
	s_cbranch_execz .LBB565_8
; %bb.7:
	global_load_dword v11, v[2:3], off offset:384
	global_load_dword v16, v[6:7], off offset:384
.LBB565_8:
	s_or_b64 exec, exec, s[6:7]
	v_or_b32_e32 v15, 0x80, v4
	v_cmp_gt_i32_e64 s[6:7], s30, v15
	s_and_b64 s[10:11], s[16:17], s[6:7]
	v_mov_b32_e32 v15, 0
	v_mov_b32_e32 v17, 0
	v_mov_b32_e32 v18, 0
	s_and_saveexec_b64 s[8:9], s[10:11]
	s_cbranch_execz .LBB565_10
; %bb.9:
	global_load_dword v17, v[2:3], off offset:512
	global_load_dword v18, v[6:7], off offset:512
.LBB565_10:
	;; [unrolled: 24-line block ×7, first 2 shown]
	s_or_b64 exec, exec, s[34:35]
	v_or_b32_e32 v4, 0x1e0, v4
	v_cmp_gt_i32_e64 s[30:31], s30, v4
	s_and_b64 s[34:35], s[16:17], s[30:31]
	v_mov_b32_e32 v4, 0
	s_and_saveexec_b64 s[16:17], s[34:35]
	s_cbranch_execz .LBB565_32
; %bb.31:
	global_load_dword v35, v[2:3], off offset:1920
	global_load_dword v4, v[6:7], off offset:1920
.LBB565_32:
	s_or_b64 exec, exec, s[16:17]
	s_waitcnt vmcnt(1)
	v_add_f32_e32 v2, 0, v9
	v_add_f32_e32 v2, v2, v5
	;; [unrolled: 1-line block ×10, first 2 shown]
	v_mbcnt_lo_u32_b32 v3, -1, 0
	v_add_f32_e32 v2, v2, v29
	v_mbcnt_hi_u32_b32 v3, -1, v3
	v_add_f32_e32 v2, v2, v27
	v_and_b32_e32 v6, 0x60, v3
	v_add_f32_e32 v2, v2, v33
	v_add_u32_e32 v6, 32, v6
	v_xor_b32_e32 v7, 16, v3
	v_add_f32_e32 v2, v2, v31
	v_cmp_lt_i32_e64 s[16:17], v7, v6
	v_add_f32_e32 v2, v2, v37
	v_cndmask_b32_e64 v7, v3, v7, s[16:17]
	v_add_f32_e32 v2, v2, v35
	v_lshlrev_b32_e32 v7, 2, v7
	ds_bpermute_b32 v7, v7, v2
	s_waitcnt lgkmcnt(0)
	v_add_f32_e32 v2, v2, v7
	v_xor_b32_e32 v7, 8, v3
	v_cmp_lt_i32_e64 s[16:17], v7, v6
	v_cndmask_b32_e64 v7, v3, v7, s[16:17]
	v_lshlrev_b32_e32 v7, 2, v7
	ds_bpermute_b32 v7, v7, v2
	s_waitcnt lgkmcnt(0)
	v_add_f32_e32 v2, v2, v7
	v_xor_b32_e32 v7, 4, v3
	v_cmp_lt_i32_e64 s[16:17], v7, v6
	v_cndmask_b32_e64 v7, v3, v7, s[16:17]
	;; [unrolled: 7-line block ×4, first 2 shown]
	v_lshlrev_b32_e32 v3, 2, v3
	ds_bpermute_b32 v3, v3, v2
	v_cmp_lt_i32_e64 s[16:17], 0, v8
	s_and_saveexec_b64 s[34:35], s[16:17]
	s_cbranch_execz .LBB565_50
; %bb.33:
	v_mov_b32_e32 v6, s37
	v_add_co_u32_e64 v0, s[16:17], s36, v0
	v_addc_co_u32_e64 v1, s[16:17], v6, v1, s[16:17]
	s_waitcnt lgkmcnt(0)
	v_add_f32_e32 v2, v2, v3
	s_and_saveexec_b64 s[16:17], vcc
	s_cbranch_execnz .LBB565_51
; %bb.34:
	s_or_b64 exec, exec, s[16:17]
	s_and_saveexec_b64 s[16:17], s[0:1]
	s_cbranch_execnz .LBB565_52
.LBB565_35:
	s_or_b64 exec, exec, s[16:17]
	s_and_saveexec_b64 s[0:1], s[2:3]
	s_cbranch_execnz .LBB565_53
.LBB565_36:
	s_or_b64 exec, exec, s[0:1]
	s_and_saveexec_b64 s[0:1], s[4:5]
	s_cbranch_execnz .LBB565_54
.LBB565_37:
	s_or_b64 exec, exec, s[0:1]
	s_and_saveexec_b64 s[0:1], s[6:7]
	s_cbranch_execnz .LBB565_55
.LBB565_38:
	s_or_b64 exec, exec, s[0:1]
	s_and_saveexec_b64 s[0:1], s[8:9]
	s_cbranch_execnz .LBB565_56
.LBB565_39:
	s_or_b64 exec, exec, s[0:1]
	s_and_saveexec_b64 s[0:1], s[10:11]
	s_cbranch_execnz .LBB565_57
.LBB565_40:
	s_or_b64 exec, exec, s[0:1]
	s_and_saveexec_b64 s[0:1], s[12:13]
	s_cbranch_execnz .LBB565_58
.LBB565_41:
	s_or_b64 exec, exec, s[0:1]
	s_and_saveexec_b64 s[0:1], s[14:15]
	s_cbranch_execnz .LBB565_59
.LBB565_42:
	s_or_b64 exec, exec, s[0:1]
	s_and_saveexec_b64 s[0:1], s[18:19]
	s_cbranch_execnz .LBB565_60
.LBB565_43:
	s_or_b64 exec, exec, s[0:1]
	s_and_saveexec_b64 s[0:1], s[20:21]
	s_cbranch_execnz .LBB565_61
.LBB565_44:
	s_or_b64 exec, exec, s[0:1]
	s_and_saveexec_b64 s[0:1], s[22:23]
	s_cbranch_execnz .LBB565_62
.LBB565_45:
	s_or_b64 exec, exec, s[0:1]
	s_and_saveexec_b64 s[0:1], s[24:25]
	s_cbranch_execnz .LBB565_63
.LBB565_46:
	s_or_b64 exec, exec, s[0:1]
	s_and_saveexec_b64 s[0:1], s[26:27]
	s_cbranch_execnz .LBB565_64
.LBB565_47:
	s_or_b64 exec, exec, s[0:1]
	s_and_saveexec_b64 s[0:1], s[28:29]
	s_cbranch_execnz .LBB565_65
.LBB565_48:
	s_or_b64 exec, exec, s[0:1]
	s_and_b64 exec, exec, s[30:31]
	s_cbranch_execz .LBB565_50
.LBB565_49:
	s_waitcnt vmcnt(0)
	v_fma_f32 v2, -v2, v4, v35
	global_store_dword v[0:1], v2, off offset:1920
.LBB565_50:
	s_endpgm
.LBB565_51:
	s_waitcnt vmcnt(0)
	v_fma_f32 v3, -v2, v10, v9
	global_store_dword v[0:1], v3, off
	s_or_b64 exec, exec, s[16:17]
	s_and_saveexec_b64 s[16:17], s[0:1]
	s_cbranch_execz .LBB565_35
.LBB565_52:
	s_waitcnt vmcnt(0)
	v_fma_f32 v3, -v2, v12, v5
	global_store_dword v[0:1], v3, off offset:128
	s_or_b64 exec, exec, s[16:17]
	s_and_saveexec_b64 s[0:1], s[2:3]
	s_cbranch_execz .LBB565_36
.LBB565_53:
	s_waitcnt vmcnt(0)
	v_fma_f32 v3, -v2, v14, v13
	global_store_dword v[0:1], v3, off offset:256
	s_or_b64 exec, exec, s[0:1]
	s_and_saveexec_b64 s[0:1], s[4:5]
	s_cbranch_execz .LBB565_37
.LBB565_54:
	s_waitcnt vmcnt(0)
	v_fma_f32 v3, -v2, v16, v11
	global_store_dword v[0:1], v3, off offset:384
	s_or_b64 exec, exec, s[0:1]
	s_and_saveexec_b64 s[0:1], s[6:7]
	s_cbranch_execz .LBB565_38
.LBB565_55:
	s_waitcnt vmcnt(0)
	v_fma_f32 v3, -v2, v18, v17
	global_store_dword v[0:1], v3, off offset:512
	s_or_b64 exec, exec, s[0:1]
	s_and_saveexec_b64 s[0:1], s[8:9]
	s_cbranch_execz .LBB565_39
.LBB565_56:
	s_waitcnt vmcnt(0)
	v_fma_f32 v3, -v2, v20, v15
	global_store_dword v[0:1], v3, off offset:640
	s_or_b64 exec, exec, s[0:1]
	s_and_saveexec_b64 s[0:1], s[10:11]
	s_cbranch_execz .LBB565_40
.LBB565_57:
	s_waitcnt vmcnt(0)
	v_fma_f32 v3, -v2, v22, v21
	global_store_dword v[0:1], v3, off offset:768
	s_or_b64 exec, exec, s[0:1]
	s_and_saveexec_b64 s[0:1], s[12:13]
	s_cbranch_execz .LBB565_41
.LBB565_58:
	s_waitcnt vmcnt(0)
	v_fma_f32 v3, -v2, v24, v19
	global_store_dword v[0:1], v3, off offset:896
	s_or_b64 exec, exec, s[0:1]
	s_and_saveexec_b64 s[0:1], s[14:15]
	s_cbranch_execz .LBB565_42
.LBB565_59:
	s_waitcnt vmcnt(0)
	v_fma_f32 v3, -v2, v26, v25
	global_store_dword v[0:1], v3, off offset:1024
	s_or_b64 exec, exec, s[0:1]
	s_and_saveexec_b64 s[0:1], s[18:19]
	s_cbranch_execz .LBB565_43
.LBB565_60:
	s_waitcnt vmcnt(0)
	v_fma_f32 v3, -v2, v28, v23
	global_store_dword v[0:1], v3, off offset:1152
	s_or_b64 exec, exec, s[0:1]
	s_and_saveexec_b64 s[0:1], s[20:21]
	s_cbranch_execz .LBB565_44
.LBB565_61:
	s_waitcnt vmcnt(0)
	v_fma_f32 v3, -v2, v30, v29
	global_store_dword v[0:1], v3, off offset:1280
	s_or_b64 exec, exec, s[0:1]
	s_and_saveexec_b64 s[0:1], s[22:23]
	s_cbranch_execz .LBB565_45
.LBB565_62:
	s_waitcnt vmcnt(0)
	v_fma_f32 v3, -v2, v32, v27
	global_store_dword v[0:1], v3, off offset:1408
	s_or_b64 exec, exec, s[0:1]
	s_and_saveexec_b64 s[0:1], s[24:25]
	s_cbranch_execz .LBB565_46
.LBB565_63:
	s_waitcnt vmcnt(0)
	v_fma_f32 v3, -v2, v34, v33
	global_store_dword v[0:1], v3, off offset:1536
	s_or_b64 exec, exec, s[0:1]
	s_and_saveexec_b64 s[0:1], s[26:27]
	s_cbranch_execz .LBB565_47
.LBB565_64:
	s_waitcnt vmcnt(0)
	v_fma_f32 v3, -v2, v36, v31
	global_store_dword v[0:1], v3, off offset:1664
	s_or_b64 exec, exec, s[0:1]
	s_and_saveexec_b64 s[0:1], s[28:29]
	s_cbranch_execz .LBB565_48
.LBB565_65:
	s_waitcnt vmcnt(0)
	v_fma_f32 v3, -v2, v38, v37
	global_store_dword v[0:1], v3, off offset:1792
	s_or_b64 exec, exec, s[0:1]
	s_and_b64 exec, exec, s[30:31]
	s_cbranch_execnz .LBB565_49
	s_branch .LBB565_50
	.section	.rodata,"a",@progbits
	.p2align	6, 0x0
	.amdhsa_kernel _ZN12_GLOBAL__N_121softmax_warp_backwardIfffLi9ELb0ELb0ELi32EEEvPT0_PKT_S5_iiiPKb
		.amdhsa_group_segment_fixed_size 0
		.amdhsa_private_segment_fixed_size 0
		.amdhsa_kernarg_size 304
		.amdhsa_user_sgpr_count 6
		.amdhsa_user_sgpr_private_segment_buffer 1
		.amdhsa_user_sgpr_dispatch_ptr 0
		.amdhsa_user_sgpr_queue_ptr 0
		.amdhsa_user_sgpr_kernarg_segment_ptr 1
		.amdhsa_user_sgpr_dispatch_id 0
		.amdhsa_user_sgpr_flat_scratch_init 0
		.amdhsa_user_sgpr_kernarg_preload_length 0
		.amdhsa_user_sgpr_kernarg_preload_offset 0
		.amdhsa_user_sgpr_private_segment_size 0
		.amdhsa_uses_dynamic_stack 0
		.amdhsa_system_sgpr_private_segment_wavefront_offset 0
		.amdhsa_system_sgpr_workgroup_id_x 1
		.amdhsa_system_sgpr_workgroup_id_y 0
		.amdhsa_system_sgpr_workgroup_id_z 0
		.amdhsa_system_sgpr_workgroup_info 0
		.amdhsa_system_vgpr_workitem_id 1
		.amdhsa_next_free_vgpr 39
		.amdhsa_next_free_sgpr 40
		.amdhsa_accum_offset 40
		.amdhsa_reserve_vcc 1
		.amdhsa_reserve_flat_scratch 0
		.amdhsa_float_round_mode_32 0
		.amdhsa_float_round_mode_16_64 0
		.amdhsa_float_denorm_mode_32 3
		.amdhsa_float_denorm_mode_16_64 3
		.amdhsa_dx10_clamp 1
		.amdhsa_ieee_mode 1
		.amdhsa_fp16_overflow 0
		.amdhsa_tg_split 0
		.amdhsa_exception_fp_ieee_invalid_op 0
		.amdhsa_exception_fp_denorm_src 0
		.amdhsa_exception_fp_ieee_div_zero 0
		.amdhsa_exception_fp_ieee_overflow 0
		.amdhsa_exception_fp_ieee_underflow 0
		.amdhsa_exception_fp_ieee_inexact 0
		.amdhsa_exception_int_div_zero 0
	.end_amdhsa_kernel
	.section	.text._ZN12_GLOBAL__N_121softmax_warp_backwardIfffLi9ELb0ELb0ELi32EEEvPT0_PKT_S5_iiiPKb,"axG",@progbits,_ZN12_GLOBAL__N_121softmax_warp_backwardIfffLi9ELb0ELb0ELi32EEEvPT0_PKT_S5_iiiPKb,comdat
.Lfunc_end565:
	.size	_ZN12_GLOBAL__N_121softmax_warp_backwardIfffLi9ELb0ELb0ELi32EEEvPT0_PKT_S5_iiiPKb, .Lfunc_end565-_ZN12_GLOBAL__N_121softmax_warp_backwardIfffLi9ELb0ELb0ELi32EEEvPT0_PKT_S5_iiiPKb
                                        ; -- End function
	.section	.AMDGPU.csdata,"",@progbits
; Kernel info:
; codeLenInByte = 2020
; NumSgprs: 44
; NumVgprs: 39
; NumAgprs: 0
; TotalNumVgprs: 39
; ScratchSize: 0
; MemoryBound: 0
; FloatMode: 240
; IeeeMode: 1
; LDSByteSize: 0 bytes/workgroup (compile time only)
; SGPRBlocks: 5
; VGPRBlocks: 4
; NumSGPRsForWavesPerEU: 44
; NumVGPRsForWavesPerEU: 39
; AccumOffset: 40
; Occupancy: 8
; WaveLimiterHint : 0
; COMPUTE_PGM_RSRC2:SCRATCH_EN: 0
; COMPUTE_PGM_RSRC2:USER_SGPR: 6
; COMPUTE_PGM_RSRC2:TRAP_HANDLER: 0
; COMPUTE_PGM_RSRC2:TGID_X_EN: 1
; COMPUTE_PGM_RSRC2:TGID_Y_EN: 0
; COMPUTE_PGM_RSRC2:TGID_Z_EN: 0
; COMPUTE_PGM_RSRC2:TIDIG_COMP_CNT: 1
; COMPUTE_PGM_RSRC3_GFX90A:ACCUM_OFFSET: 9
; COMPUTE_PGM_RSRC3_GFX90A:TG_SPLIT: 0
	.section	.text._ZN12_GLOBAL__N_121softmax_warp_backwardIfffLi10ELb0ELb0ELi64EEEvPT0_PKT_S5_iiiPKb,"axG",@progbits,_ZN12_GLOBAL__N_121softmax_warp_backwardIfffLi10ELb0ELb0ELi64EEEvPT0_PKT_S5_iiiPKb,comdat
	.globl	_ZN12_GLOBAL__N_121softmax_warp_backwardIfffLi10ELb0ELb0ELi64EEEvPT0_PKT_S5_iiiPKb ; -- Begin function _ZN12_GLOBAL__N_121softmax_warp_backwardIfffLi10ELb0ELb0ELi64EEEvPT0_PKT_S5_iiiPKb
	.p2align	8
	.type	_ZN12_GLOBAL__N_121softmax_warp_backwardIfffLi10ELb0ELb0ELi64EEEvPT0_PKT_S5_iiiPKb,@function
_ZN12_GLOBAL__N_121softmax_warp_backwardIfffLi10ELb0ELb0ELi64EEEvPT0_PKT_S5_iiiPKb: ; @_ZN12_GLOBAL__N_121softmax_warp_backwardIfffLi10ELb0ELb0ELi64EEEvPT0_PKT_S5_iiiPKb
; %bb.0:
	s_load_dword s2, s[4:5], 0x3c
	s_load_dwordx4 s[28:31], s[4:5], 0x18
	s_load_dwordx4 s[36:39], s[4:5], 0x0
	s_load_dwordx2 s[0:1], s[4:5], 0x10
	v_bfe_u32 v1, v0, 10, 10
	s_waitcnt lgkmcnt(0)
	s_lshr_b32 s2, s2, 16
	s_mul_i32 s6, s6, s2
	v_and_b32_e32 v25, 0x3ff, v0
	v_add_u32_e32 v1, s6, v1
	v_and_b32_e32 v6, 63, v25
	v_sub_u32_e32 v8, s28, v1
	v_mad_u64_u32 v[0:1], s[2:3], v1, s29, v[6:7]
	v_ashrrev_i32_e32 v1, 31, v0
	v_lshlrev_b64 v[0:1], 2, v[0:1]
	v_mov_b32_e32 v3, s39
	v_add_co_u32_e32 v2, vcc, s38, v0
	v_addc_co_u32_e32 v3, vcc, v3, v1, vcc
	v_mov_b32_e32 v5, s1
	v_add_co_u32_e32 v4, vcc, s0, v0
	v_addc_co_u32_e32 v5, vcc, v5, v1, vcc
	v_cmp_lt_i32_e64 s[18:19], 0, v8
	v_cmp_gt_i32_e32 vcc, s30, v6
	s_and_b64 s[2:3], s[18:19], vcc
	v_mov_b32_e32 v7, 0
	v_mov_b32_e32 v9, 0
	;; [unrolled: 1-line block ×3, first 2 shown]
	s_and_saveexec_b64 s[0:1], s[2:3]
	s_cbranch_execz .LBB566_2
; %bb.1:
	global_load_dword v9, v[2:3], off
	global_load_dword v10, v[4:5], off
.LBB566_2:
	s_or_b64 exec, exec, s[0:1]
	v_or_b32_e32 v11, 64, v6
	v_cmp_gt_i32_e64 s[0:1], s30, v11
	s_and_b64 s[4:5], s[18:19], s[0:1]
	v_mov_b32_e32 v12, 0
	s_and_saveexec_b64 s[2:3], s[4:5]
	s_cbranch_execz .LBB566_4
; %bb.3:
	global_load_dword v7, v[2:3], off offset:256
	global_load_dword v12, v[4:5], off offset:256
.LBB566_4:
	s_or_b64 exec, exec, s[2:3]
	v_or_b32_e32 v11, 0x80, v6
	v_cmp_gt_i32_e64 s[2:3], s30, v11
	s_and_b64 s[6:7], s[18:19], s[2:3]
	v_mov_b32_e32 v11, 0
	v_mov_b32_e32 v13, 0
	v_mov_b32_e32 v14, 0
	s_and_saveexec_b64 s[4:5], s[6:7]
	s_cbranch_execz .LBB566_6
; %bb.5:
	global_load_dword v13, v[2:3], off offset:512
	global_load_dword v14, v[4:5], off offset:512
.LBB566_6:
	s_or_b64 exec, exec, s[4:5]
	v_or_b32_e32 v15, 0xc0, v6
	v_cmp_gt_i32_e64 s[4:5], s30, v15
	s_and_b64 s[8:9], s[18:19], s[4:5]
	v_mov_b32_e32 v16, 0
	s_and_saveexec_b64 s[6:7], s[8:9]
	s_cbranch_execz .LBB566_8
; %bb.7:
	global_load_dword v11, v[2:3], off offset:768
	global_load_dword v16, v[4:5], off offset:768
.LBB566_8:
	s_or_b64 exec, exec, s[6:7]
	v_or_b32_e32 v15, 0x100, v6
	v_cmp_gt_i32_e64 s[6:7], s30, v15
	s_and_b64 s[10:11], s[18:19], s[6:7]
	v_mov_b32_e32 v15, 0
	v_mov_b32_e32 v17, 0
	v_mov_b32_e32 v18, 0
	s_and_saveexec_b64 s[8:9], s[10:11]
	s_cbranch_execz .LBB566_10
; %bb.9:
	global_load_dword v17, v[2:3], off offset:1024
	global_load_dword v18, v[4:5], off offset:1024
.LBB566_10:
	;; [unrolled: 24-line block ×7, first 2 shown]
	s_or_b64 exec, exec, s[34:35]
	v_or_b32_e32 v25, 0x3c0, v25
	v_cmp_gt_i32_e64 s[30:31], s30, v25
	s_and_b64 s[34:35], s[18:19], s[30:31]
	v_mov_b32_e32 v25, 0
	s_and_saveexec_b64 s[18:19], s[34:35]
	s_cbranch_execz .LBB566_32
; %bb.31:
	global_load_dword v6, v[2:3], off offset:3840
	global_load_dword v25, v[4:5], off offset:3840
.LBB566_32:
	s_or_b64 exec, exec, s[18:19]
	s_waitcnt vmcnt(1)
	v_add_f32_e32 v2, 0, v9
	v_add_f32_e32 v2, v2, v7
	;; [unrolled: 1-line block ×10, first 2 shown]
	v_mbcnt_lo_u32_b32 v3, -1, 0
	v_add_f32_e32 v2, v2, v30
	v_mbcnt_hi_u32_b32 v3, -1, v3
	v_add_f32_e32 v2, v2, v28
	v_and_b32_e32 v4, 64, v3
	v_add_f32_e32 v2, v2, v34
	v_add_u32_e32 v4, 64, v4
	v_xor_b32_e32 v5, 32, v3
	v_add_f32_e32 v2, v2, v32
	v_cmp_lt_i32_e64 s[18:19], v5, v4
	v_add_f32_e32 v2, v2, v37
	v_cndmask_b32_e64 v5, v3, v5, s[18:19]
	v_add_f32_e32 v2, v2, v6
	v_lshlrev_b32_e32 v5, 2, v5
	ds_bpermute_b32 v5, v5, v2
	s_waitcnt lgkmcnt(0)
	v_add_f32_e32 v2, v2, v5
	v_xor_b32_e32 v5, 16, v3
	v_cmp_lt_i32_e64 s[18:19], v5, v4
	v_cndmask_b32_e64 v5, v3, v5, s[18:19]
	v_lshlrev_b32_e32 v5, 2, v5
	ds_bpermute_b32 v5, v5, v2
	s_waitcnt lgkmcnt(0)
	v_add_f32_e32 v2, v2, v5
	v_xor_b32_e32 v5, 8, v3
	v_cmp_lt_i32_e64 s[18:19], v5, v4
	v_cndmask_b32_e64 v5, v3, v5, s[18:19]
	;; [unrolled: 7-line block ×5, first 2 shown]
	v_lshlrev_b32_e32 v3, 2, v3
	ds_bpermute_b32 v3, v3, v2
	v_cmp_lt_i32_e64 s[18:19], 0, v8
	s_and_saveexec_b64 s[34:35], s[18:19]
	s_cbranch_execz .LBB566_50
; %bb.33:
	v_mov_b32_e32 v4, s37
	v_add_co_u32_e64 v0, s[18:19], s36, v0
	v_addc_co_u32_e64 v1, s[18:19], v4, v1, s[18:19]
	s_waitcnt lgkmcnt(0)
	v_add_f32_e32 v2, v2, v3
	s_and_saveexec_b64 s[18:19], vcc
	s_cbranch_execnz .LBB566_51
; %bb.34:
	s_or_b64 exec, exec, s[18:19]
	s_and_saveexec_b64 s[18:19], s[0:1]
	s_cbranch_execnz .LBB566_52
.LBB566_35:
	s_or_b64 exec, exec, s[18:19]
	s_and_saveexec_b64 s[0:1], s[2:3]
	s_cbranch_execnz .LBB566_53
.LBB566_36:
	s_or_b64 exec, exec, s[0:1]
	s_and_saveexec_b64 s[0:1], s[4:5]
	s_cbranch_execnz .LBB566_54
.LBB566_37:
	s_or_b64 exec, exec, s[0:1]
	s_and_saveexec_b64 s[0:1], s[6:7]
	s_cbranch_execnz .LBB566_55
.LBB566_38:
	s_or_b64 exec, exec, s[0:1]
	s_and_saveexec_b64 s[0:1], s[8:9]
	s_cbranch_execnz .LBB566_56
.LBB566_39:
	s_or_b64 exec, exec, s[0:1]
	s_and_saveexec_b64 s[0:1], s[10:11]
	s_cbranch_execnz .LBB566_57
.LBB566_40:
	s_or_b64 exec, exec, s[0:1]
	s_and_saveexec_b64 s[0:1], s[12:13]
	s_cbranch_execnz .LBB566_58
.LBB566_41:
	s_or_b64 exec, exec, s[0:1]
	s_and_saveexec_b64 s[0:1], s[14:15]
	s_cbranch_execnz .LBB566_59
.LBB566_42:
	s_or_b64 exec, exec, s[0:1]
	s_and_saveexec_b64 s[0:1], s[16:17]
	s_cbranch_execnz .LBB566_60
.LBB566_43:
	s_or_b64 exec, exec, s[0:1]
	s_and_saveexec_b64 s[0:1], s[20:21]
	s_cbranch_execnz .LBB566_61
.LBB566_44:
	s_or_b64 exec, exec, s[0:1]
	s_and_saveexec_b64 s[0:1], s[22:23]
	s_cbranch_execnz .LBB566_62
.LBB566_45:
	s_or_b64 exec, exec, s[0:1]
	s_and_saveexec_b64 s[0:1], s[24:25]
	s_cbranch_execnz .LBB566_63
.LBB566_46:
	s_or_b64 exec, exec, s[0:1]
	s_and_saveexec_b64 s[0:1], s[26:27]
	s_cbranch_execnz .LBB566_64
.LBB566_47:
	s_or_b64 exec, exec, s[0:1]
	s_and_saveexec_b64 s[0:1], s[28:29]
	s_cbranch_execnz .LBB566_65
.LBB566_48:
	s_or_b64 exec, exec, s[0:1]
	s_and_b64 exec, exec, s[30:31]
	s_cbranch_execz .LBB566_50
.LBB566_49:
	s_waitcnt vmcnt(0)
	v_fma_f32 v2, -v2, v25, v6
	global_store_dword v[0:1], v2, off offset:3840
.LBB566_50:
	s_endpgm
.LBB566_51:
	s_waitcnt vmcnt(0)
	v_fma_f32 v3, -v2, v10, v9
	global_store_dword v[0:1], v3, off
	s_or_b64 exec, exec, s[18:19]
	s_and_saveexec_b64 s[18:19], s[0:1]
	s_cbranch_execz .LBB566_35
.LBB566_52:
	s_waitcnt vmcnt(0)
	v_fma_f32 v3, -v2, v12, v7
	global_store_dword v[0:1], v3, off offset:256
	s_or_b64 exec, exec, s[18:19]
	s_and_saveexec_b64 s[0:1], s[2:3]
	s_cbranch_execz .LBB566_36
.LBB566_53:
	s_waitcnt vmcnt(0)
	v_fma_f32 v3, -v2, v14, v13
	global_store_dword v[0:1], v3, off offset:512
	s_or_b64 exec, exec, s[0:1]
	s_and_saveexec_b64 s[0:1], s[4:5]
	s_cbranch_execz .LBB566_37
.LBB566_54:
	s_waitcnt vmcnt(0)
	v_fma_f32 v3, -v2, v16, v11
	global_store_dword v[0:1], v3, off offset:768
	s_or_b64 exec, exec, s[0:1]
	s_and_saveexec_b64 s[0:1], s[6:7]
	s_cbranch_execz .LBB566_38
.LBB566_55:
	s_waitcnt vmcnt(0)
	v_fma_f32 v3, -v2, v18, v17
	global_store_dword v[0:1], v3, off offset:1024
	s_or_b64 exec, exec, s[0:1]
	s_and_saveexec_b64 s[0:1], s[8:9]
	s_cbranch_execz .LBB566_39
.LBB566_56:
	s_waitcnt vmcnt(0)
	v_fma_f32 v3, -v2, v20, v15
	global_store_dword v[0:1], v3, off offset:1280
	s_or_b64 exec, exec, s[0:1]
	s_and_saveexec_b64 s[0:1], s[10:11]
	s_cbranch_execz .LBB566_40
.LBB566_57:
	s_waitcnt vmcnt(0)
	v_fma_f32 v3, -v2, v22, v21
	global_store_dword v[0:1], v3, off offset:1536
	s_or_b64 exec, exec, s[0:1]
	s_and_saveexec_b64 s[0:1], s[12:13]
	s_cbranch_execz .LBB566_41
.LBB566_58:
	s_waitcnt vmcnt(0)
	v_fma_f32 v3, -v2, v24, v19
	global_store_dword v[0:1], v3, off offset:1792
	s_or_b64 exec, exec, s[0:1]
	s_and_saveexec_b64 s[0:1], s[14:15]
	s_cbranch_execz .LBB566_42
.LBB566_59:
	s_waitcnt vmcnt(0)
	v_fma_f32 v3, -v2, v27, v26
	global_store_dword v[0:1], v3, off offset:2048
	s_or_b64 exec, exec, s[0:1]
	s_and_saveexec_b64 s[0:1], s[16:17]
	s_cbranch_execz .LBB566_43
.LBB566_60:
	s_waitcnt vmcnt(0)
	v_fma_f32 v3, -v2, v29, v23
	global_store_dword v[0:1], v3, off offset:2304
	s_or_b64 exec, exec, s[0:1]
	s_and_saveexec_b64 s[0:1], s[20:21]
	s_cbranch_execz .LBB566_44
.LBB566_61:
	s_waitcnt vmcnt(0)
	v_fma_f32 v3, -v2, v31, v30
	global_store_dword v[0:1], v3, off offset:2560
	s_or_b64 exec, exec, s[0:1]
	s_and_saveexec_b64 s[0:1], s[22:23]
	s_cbranch_execz .LBB566_45
.LBB566_62:
	s_waitcnt vmcnt(0)
	v_fma_f32 v3, -v2, v33, v28
	global_store_dword v[0:1], v3, off offset:2816
	s_or_b64 exec, exec, s[0:1]
	s_and_saveexec_b64 s[0:1], s[24:25]
	s_cbranch_execz .LBB566_46
.LBB566_63:
	s_waitcnt vmcnt(0)
	v_fma_f32 v3, -v2, v35, v34
	global_store_dword v[0:1], v3, off offset:3072
	s_or_b64 exec, exec, s[0:1]
	s_and_saveexec_b64 s[0:1], s[26:27]
	s_cbranch_execz .LBB566_47
.LBB566_64:
	s_waitcnt vmcnt(0)
	v_fma_f32 v3, -v2, v36, v32
	global_store_dword v[0:1], v3, off offset:3328
	s_or_b64 exec, exec, s[0:1]
	s_and_saveexec_b64 s[0:1], s[28:29]
	s_cbranch_execz .LBB566_48
.LBB566_65:
	s_waitcnt vmcnt(0)
	v_fma_f32 v3, -v2, v38, v37
	global_store_dword v[0:1], v3, off offset:3584
	s_or_b64 exec, exec, s[0:1]
	s_and_b64 exec, exec, s[30:31]
	s_cbranch_execnz .LBB566_49
	s_branch .LBB566_50
	.section	.rodata,"a",@progbits
	.p2align	6, 0x0
	.amdhsa_kernel _ZN12_GLOBAL__N_121softmax_warp_backwardIfffLi10ELb0ELb0ELi64EEEvPT0_PKT_S5_iiiPKb
		.amdhsa_group_segment_fixed_size 0
		.amdhsa_private_segment_fixed_size 0
		.amdhsa_kernarg_size 304
		.amdhsa_user_sgpr_count 6
		.amdhsa_user_sgpr_private_segment_buffer 1
		.amdhsa_user_sgpr_dispatch_ptr 0
		.amdhsa_user_sgpr_queue_ptr 0
		.amdhsa_user_sgpr_kernarg_segment_ptr 1
		.amdhsa_user_sgpr_dispatch_id 0
		.amdhsa_user_sgpr_flat_scratch_init 0
		.amdhsa_user_sgpr_kernarg_preload_length 0
		.amdhsa_user_sgpr_kernarg_preload_offset 0
		.amdhsa_user_sgpr_private_segment_size 0
		.amdhsa_uses_dynamic_stack 0
		.amdhsa_system_sgpr_private_segment_wavefront_offset 0
		.amdhsa_system_sgpr_workgroup_id_x 1
		.amdhsa_system_sgpr_workgroup_id_y 0
		.amdhsa_system_sgpr_workgroup_id_z 0
		.amdhsa_system_sgpr_workgroup_info 0
		.amdhsa_system_vgpr_workitem_id 1
		.amdhsa_next_free_vgpr 39
		.amdhsa_next_free_sgpr 40
		.amdhsa_accum_offset 40
		.amdhsa_reserve_vcc 1
		.amdhsa_reserve_flat_scratch 0
		.amdhsa_float_round_mode_32 0
		.amdhsa_float_round_mode_16_64 0
		.amdhsa_float_denorm_mode_32 3
		.amdhsa_float_denorm_mode_16_64 3
		.amdhsa_dx10_clamp 1
		.amdhsa_ieee_mode 1
		.amdhsa_fp16_overflow 0
		.amdhsa_tg_split 0
		.amdhsa_exception_fp_ieee_invalid_op 0
		.amdhsa_exception_fp_denorm_src 0
		.amdhsa_exception_fp_ieee_div_zero 0
		.amdhsa_exception_fp_ieee_overflow 0
		.amdhsa_exception_fp_ieee_underflow 0
		.amdhsa_exception_fp_ieee_inexact 0
		.amdhsa_exception_int_div_zero 0
	.end_amdhsa_kernel
	.section	.text._ZN12_GLOBAL__N_121softmax_warp_backwardIfffLi10ELb0ELb0ELi64EEEvPT0_PKT_S5_iiiPKb,"axG",@progbits,_ZN12_GLOBAL__N_121softmax_warp_backwardIfffLi10ELb0ELb0ELi64EEEvPT0_PKT_S5_iiiPKb,comdat
.Lfunc_end566:
	.size	_ZN12_GLOBAL__N_121softmax_warp_backwardIfffLi10ELb0ELb0ELi64EEEvPT0_PKT_S5_iiiPKb, .Lfunc_end566-_ZN12_GLOBAL__N_121softmax_warp_backwardIfffLi10ELb0ELb0ELi64EEEvPT0_PKT_S5_iiiPKb
                                        ; -- End function
	.section	.AMDGPU.csdata,"",@progbits
; Kernel info:
; codeLenInByte = 2068
; NumSgprs: 44
; NumVgprs: 39
; NumAgprs: 0
; TotalNumVgprs: 39
; ScratchSize: 0
; MemoryBound: 0
; FloatMode: 240
; IeeeMode: 1
; LDSByteSize: 0 bytes/workgroup (compile time only)
; SGPRBlocks: 5
; VGPRBlocks: 4
; NumSGPRsForWavesPerEU: 44
; NumVGPRsForWavesPerEU: 39
; AccumOffset: 40
; Occupancy: 8
; WaveLimiterHint : 0
; COMPUTE_PGM_RSRC2:SCRATCH_EN: 0
; COMPUTE_PGM_RSRC2:USER_SGPR: 6
; COMPUTE_PGM_RSRC2:TRAP_HANDLER: 0
; COMPUTE_PGM_RSRC2:TGID_X_EN: 1
; COMPUTE_PGM_RSRC2:TGID_Y_EN: 0
; COMPUTE_PGM_RSRC2:TGID_Z_EN: 0
; COMPUTE_PGM_RSRC2:TIDIG_COMP_CNT: 1
; COMPUTE_PGM_RSRC3_GFX90A:ACCUM_OFFSET: 9
; COMPUTE_PGM_RSRC3_GFX90A:TG_SPLIT: 0
	.section	.text._ZN12_GLOBAL__N_121softmax_warp_backwardIfffLi10ELb0ELb0ELi32EEEvPT0_PKT_S5_iiiPKb,"axG",@progbits,_ZN12_GLOBAL__N_121softmax_warp_backwardIfffLi10ELb0ELb0ELi32EEEvPT0_PKT_S5_iiiPKb,comdat
	.globl	_ZN12_GLOBAL__N_121softmax_warp_backwardIfffLi10ELb0ELb0ELi32EEEvPT0_PKT_S5_iiiPKb ; -- Begin function _ZN12_GLOBAL__N_121softmax_warp_backwardIfffLi10ELb0ELb0ELi32EEEvPT0_PKT_S5_iiiPKb
	.p2align	8
	.type	_ZN12_GLOBAL__N_121softmax_warp_backwardIfffLi10ELb0ELb0ELi32EEEvPT0_PKT_S5_iiiPKb,@function
_ZN12_GLOBAL__N_121softmax_warp_backwardIfffLi10ELb0ELb0ELi32EEEvPT0_PKT_S5_iiiPKb: ; @_ZN12_GLOBAL__N_121softmax_warp_backwardIfffLi10ELb0ELb0ELi32EEEvPT0_PKT_S5_iiiPKb
; %bb.0:
	s_load_dword s2, s[4:5], 0x3c
	s_load_dwordx4 s[64:67], s[4:5], 0x18
	s_load_dwordx4 s[68:71], s[4:5], 0x0
	s_load_dwordx2 s[0:1], s[4:5], 0x10
	v_bfe_u32 v1, v0, 10, 10
	s_waitcnt lgkmcnt(0)
	s_lshr_b32 s2, s2, 16
	s_mul_i32 s6, s6, s2
	v_and_b32_e32 v27, 0x3ff, v0
	v_add_u32_e32 v1, s6, v1
	v_and_b32_e32 v6, 31, v27
	v_sub_u32_e32 v8, s64, v1
	v_mad_u64_u32 v[0:1], s[2:3], v1, s65, v[6:7]
	v_ashrrev_i32_e32 v1, 31, v0
	v_lshlrev_b64 v[0:1], 2, v[0:1]
	v_mov_b32_e32 v3, s71
	v_add_co_u32_e32 v2, vcc, s70, v0
	v_addc_co_u32_e32 v3, vcc, v3, v1, vcc
	v_mov_b32_e32 v5, s1
	v_add_co_u32_e32 v4, vcc, s0, v0
	v_addc_co_u32_e32 v5, vcc, v5, v1, vcc
	v_cmp_lt_i32_e64 s[20:21], 0, v8
	v_cmp_gt_i32_e32 vcc, s66, v6
	s_and_b64 s[2:3], s[20:21], vcc
	v_mov_b32_e32 v7, 0
	v_mov_b32_e32 v9, 0
	;; [unrolled: 1-line block ×3, first 2 shown]
	s_and_saveexec_b64 s[0:1], s[2:3]
	s_cbranch_execz .LBB567_2
; %bb.1:
	global_load_dword v9, v[2:3], off
	global_load_dword v10, v[4:5], off
.LBB567_2:
	s_or_b64 exec, exec, s[0:1]
	v_or_b32_e32 v11, 32, v6
	v_cmp_gt_i32_e64 s[0:1], s66, v11
	s_and_b64 s[4:5], s[20:21], s[0:1]
	v_mov_b32_e32 v12, 0
	s_and_saveexec_b64 s[2:3], s[4:5]
	s_cbranch_execz .LBB567_4
; %bb.3:
	global_load_dword v7, v[2:3], off offset:128
	global_load_dword v12, v[4:5], off offset:128
.LBB567_4:
	s_or_b64 exec, exec, s[2:3]
	v_or_b32_e32 v11, 64, v6
	v_cmp_gt_i32_e64 s[2:3], s66, v11
	s_and_b64 s[6:7], s[20:21], s[2:3]
	v_mov_b32_e32 v11, 0
	v_mov_b32_e32 v13, 0
	v_mov_b32_e32 v14, 0
	s_and_saveexec_b64 s[4:5], s[6:7]
	s_cbranch_execz .LBB567_6
; %bb.5:
	global_load_dword v13, v[2:3], off offset:256
	global_load_dword v14, v[4:5], off offset:256
.LBB567_6:
	s_or_b64 exec, exec, s[4:5]
	v_or_b32_e32 v15, 0x60, v6
	v_cmp_gt_i32_e64 s[4:5], s66, v15
	s_and_b64 s[8:9], s[20:21], s[4:5]
	v_mov_b32_e32 v16, 0
	s_and_saveexec_b64 s[6:7], s[8:9]
	s_cbranch_execz .LBB567_8
; %bb.7:
	global_load_dword v11, v[2:3], off offset:384
	global_load_dword v16, v[4:5], off offset:384
.LBB567_8:
	s_or_b64 exec, exec, s[6:7]
	v_or_b32_e32 v15, 0x80, v6
	v_cmp_gt_i32_e64 s[6:7], s66, v15
	s_and_b64 s[10:11], s[20:21], s[6:7]
	v_mov_b32_e32 v15, 0
	v_mov_b32_e32 v17, 0
	v_mov_b32_e32 v18, 0
	s_and_saveexec_b64 s[8:9], s[10:11]
	s_cbranch_execz .LBB567_10
; %bb.9:
	global_load_dword v17, v[2:3], off offset:512
	global_load_dword v18, v[4:5], off offset:512
.LBB567_10:
	;; [unrolled: 24-line block ×15, first 2 shown]
	s_or_b64 exec, exec, s[64:65]
	v_or_b32_e32 v27, 0x3e0, v27
	v_cmp_gt_i32_e64 s[64:65], s66, v27
	s_and_b64 s[66:67], s[20:21], s[64:65]
	v_mov_b32_e32 v27, 0
	s_and_saveexec_b64 s[20:21], s[66:67]
	s_cbranch_execz .LBB567_64
; %bb.63:
	global_load_dword v6, v[2:3], off offset:3968
	global_load_dword v27, v[4:5], off offset:3968
.LBB567_64:
	s_or_b64 exec, exec, s[20:21]
	s_waitcnt vmcnt(1)
	v_add_f32_e32 v2, 0, v9
	v_add_f32_e32 v2, v2, v7
	;; [unrolled: 1-line block ×26, first 2 shown]
	v_mbcnt_lo_u32_b32 v3, -1, 0
	v_add_f32_e32 v2, v2, v62
	v_mbcnt_hi_u32_b32 v3, -1, v3
	v_add_f32_e32 v2, v2, v60
	v_and_b32_e32 v4, 0x60, v3
	v_add_f32_e32 v2, v2, v66
	v_add_u32_e32 v4, 32, v4
	v_xor_b32_e32 v5, 16, v3
	v_add_f32_e32 v2, v2, v64
	v_cmp_lt_i32_e64 s[20:21], v5, v4
	v_add_f32_e32 v2, v2, v69
	v_cndmask_b32_e64 v5, v3, v5, s[20:21]
	v_add_f32_e32 v2, v2, v6
	v_lshlrev_b32_e32 v5, 2, v5
	ds_bpermute_b32 v5, v5, v2
	s_waitcnt lgkmcnt(0)
	v_add_f32_e32 v2, v2, v5
	v_xor_b32_e32 v5, 8, v3
	v_cmp_lt_i32_e64 s[20:21], v5, v4
	v_cndmask_b32_e64 v5, v3, v5, s[20:21]
	v_lshlrev_b32_e32 v5, 2, v5
	ds_bpermute_b32 v5, v5, v2
	s_waitcnt lgkmcnt(0)
	v_add_f32_e32 v2, v2, v5
	v_xor_b32_e32 v5, 4, v3
	v_cmp_lt_i32_e64 s[20:21], v5, v4
	v_cndmask_b32_e64 v5, v3, v5, s[20:21]
	;; [unrolled: 7-line block ×4, first 2 shown]
	v_lshlrev_b32_e32 v3, 2, v3
	ds_bpermute_b32 v3, v3, v2
	v_cmp_lt_i32_e64 s[20:21], 0, v8
	s_and_saveexec_b64 s[66:67], s[20:21]
	s_cbranch_execz .LBB567_98
; %bb.65:
	v_mov_b32_e32 v4, s69
	v_add_co_u32_e64 v0, s[20:21], s68, v0
	v_addc_co_u32_e64 v1, s[20:21], v4, v1, s[20:21]
	s_waitcnt lgkmcnt(0)
	v_add_f32_e32 v2, v2, v3
	s_and_saveexec_b64 s[20:21], vcc
	s_cbranch_execnz .LBB567_99
; %bb.66:
	s_or_b64 exec, exec, s[20:21]
	s_and_saveexec_b64 s[20:21], s[0:1]
	s_cbranch_execnz .LBB567_100
.LBB567_67:
	s_or_b64 exec, exec, s[20:21]
	s_and_saveexec_b64 s[0:1], s[2:3]
	s_cbranch_execnz .LBB567_101
.LBB567_68:
	s_or_b64 exec, exec, s[0:1]
	s_and_saveexec_b64 s[0:1], s[4:5]
	s_cbranch_execnz .LBB567_102
.LBB567_69:
	s_or_b64 exec, exec, s[0:1]
	s_and_saveexec_b64 s[0:1], s[6:7]
	s_cbranch_execnz .LBB567_103
.LBB567_70:
	s_or_b64 exec, exec, s[0:1]
	s_and_saveexec_b64 s[0:1], s[8:9]
	s_cbranch_execnz .LBB567_104
.LBB567_71:
	s_or_b64 exec, exec, s[0:1]
	s_and_saveexec_b64 s[0:1], s[10:11]
	s_cbranch_execnz .LBB567_105
.LBB567_72:
	s_or_b64 exec, exec, s[0:1]
	s_and_saveexec_b64 s[0:1], s[12:13]
	s_cbranch_execnz .LBB567_106
.LBB567_73:
	s_or_b64 exec, exec, s[0:1]
	s_and_saveexec_b64 s[0:1], s[14:15]
	s_cbranch_execnz .LBB567_107
.LBB567_74:
	s_or_b64 exec, exec, s[0:1]
	s_and_saveexec_b64 s[0:1], s[16:17]
	s_cbranch_execnz .LBB567_108
.LBB567_75:
	s_or_b64 exec, exec, s[0:1]
	s_and_saveexec_b64 s[0:1], s[18:19]
	s_cbranch_execnz .LBB567_109
.LBB567_76:
	s_or_b64 exec, exec, s[0:1]
	s_and_saveexec_b64 s[0:1], s[22:23]
	s_cbranch_execnz .LBB567_110
.LBB567_77:
	s_or_b64 exec, exec, s[0:1]
	s_and_saveexec_b64 s[0:1], s[24:25]
	s_cbranch_execnz .LBB567_111
.LBB567_78:
	s_or_b64 exec, exec, s[0:1]
	s_and_saveexec_b64 s[0:1], s[26:27]
	s_cbranch_execnz .LBB567_112
.LBB567_79:
	s_or_b64 exec, exec, s[0:1]
	s_and_saveexec_b64 s[0:1], s[28:29]
	s_cbranch_execnz .LBB567_113
.LBB567_80:
	s_or_b64 exec, exec, s[0:1]
	s_and_saveexec_b64 s[0:1], s[30:31]
	s_cbranch_execnz .LBB567_114
.LBB567_81:
	s_or_b64 exec, exec, s[0:1]
	s_and_saveexec_b64 s[0:1], s[34:35]
	s_cbranch_execnz .LBB567_115
.LBB567_82:
	s_or_b64 exec, exec, s[0:1]
	s_and_saveexec_b64 s[0:1], s[36:37]
	s_cbranch_execnz .LBB567_116
.LBB567_83:
	s_or_b64 exec, exec, s[0:1]
	s_and_saveexec_b64 s[0:1], s[38:39]
	s_cbranch_execnz .LBB567_117
.LBB567_84:
	s_or_b64 exec, exec, s[0:1]
	s_and_saveexec_b64 s[0:1], s[40:41]
	s_cbranch_execnz .LBB567_118
.LBB567_85:
	s_or_b64 exec, exec, s[0:1]
	s_and_saveexec_b64 s[0:1], s[42:43]
	s_cbranch_execnz .LBB567_119
.LBB567_86:
	s_or_b64 exec, exec, s[0:1]
	s_and_saveexec_b64 s[0:1], s[44:45]
	s_cbranch_execnz .LBB567_120
.LBB567_87:
	s_or_b64 exec, exec, s[0:1]
	s_and_saveexec_b64 s[0:1], s[46:47]
	s_cbranch_execnz .LBB567_121
.LBB567_88:
	s_or_b64 exec, exec, s[0:1]
	s_and_saveexec_b64 s[0:1], s[48:49]
	s_cbranch_execnz .LBB567_122
.LBB567_89:
	s_or_b64 exec, exec, s[0:1]
	s_and_saveexec_b64 s[0:1], s[50:51]
	s_cbranch_execnz .LBB567_123
.LBB567_90:
	s_or_b64 exec, exec, s[0:1]
	s_and_saveexec_b64 s[0:1], s[52:53]
	s_cbranch_execnz .LBB567_124
.LBB567_91:
	s_or_b64 exec, exec, s[0:1]
	s_and_saveexec_b64 s[0:1], s[54:55]
	s_cbranch_execnz .LBB567_125
.LBB567_92:
	s_or_b64 exec, exec, s[0:1]
	s_and_saveexec_b64 s[0:1], s[56:57]
	s_cbranch_execnz .LBB567_126
.LBB567_93:
	s_or_b64 exec, exec, s[0:1]
	s_and_saveexec_b64 s[0:1], s[58:59]
	s_cbranch_execnz .LBB567_127
.LBB567_94:
	s_or_b64 exec, exec, s[0:1]
	s_and_saveexec_b64 s[0:1], s[60:61]
	s_cbranch_execnz .LBB567_128
.LBB567_95:
	s_or_b64 exec, exec, s[0:1]
	s_and_saveexec_b64 s[0:1], s[62:63]
	s_cbranch_execnz .LBB567_129
.LBB567_96:
	s_or_b64 exec, exec, s[0:1]
	s_and_b64 exec, exec, s[64:65]
	s_cbranch_execz .LBB567_98
.LBB567_97:
	s_waitcnt vmcnt(0)
	v_fma_f32 v2, -v2, v27, v6
	global_store_dword v[0:1], v2, off offset:3968
.LBB567_98:
	s_endpgm
.LBB567_99:
	s_waitcnt vmcnt(0)
	v_fma_f32 v3, -v2, v10, v9
	global_store_dword v[0:1], v3, off
	s_or_b64 exec, exec, s[20:21]
	s_and_saveexec_b64 s[20:21], s[0:1]
	s_cbranch_execz .LBB567_67
.LBB567_100:
	s_waitcnt vmcnt(0)
	v_fma_f32 v3, -v2, v12, v7
	global_store_dword v[0:1], v3, off offset:128
	s_or_b64 exec, exec, s[20:21]
	s_and_saveexec_b64 s[0:1], s[2:3]
	s_cbranch_execz .LBB567_68
.LBB567_101:
	s_waitcnt vmcnt(0)
	v_fma_f32 v3, -v2, v14, v13
	global_store_dword v[0:1], v3, off offset:256
	s_or_b64 exec, exec, s[0:1]
	s_and_saveexec_b64 s[0:1], s[4:5]
	s_cbranch_execz .LBB567_69
.LBB567_102:
	s_waitcnt vmcnt(0)
	v_fma_f32 v3, -v2, v16, v11
	global_store_dword v[0:1], v3, off offset:384
	s_or_b64 exec, exec, s[0:1]
	s_and_saveexec_b64 s[0:1], s[6:7]
	s_cbranch_execz .LBB567_70
.LBB567_103:
	s_waitcnt vmcnt(0)
	v_fma_f32 v3, -v2, v18, v17
	global_store_dword v[0:1], v3, off offset:512
	s_or_b64 exec, exec, s[0:1]
	s_and_saveexec_b64 s[0:1], s[8:9]
	s_cbranch_execz .LBB567_71
.LBB567_104:
	s_waitcnt vmcnt(0)
	v_fma_f32 v3, -v2, v20, v15
	global_store_dword v[0:1], v3, off offset:640
	s_or_b64 exec, exec, s[0:1]
	s_and_saveexec_b64 s[0:1], s[10:11]
	s_cbranch_execz .LBB567_72
.LBB567_105:
	s_waitcnt vmcnt(0)
	v_fma_f32 v3, -v2, v22, v21
	global_store_dword v[0:1], v3, off offset:768
	s_or_b64 exec, exec, s[0:1]
	s_and_saveexec_b64 s[0:1], s[12:13]
	s_cbranch_execz .LBB567_73
.LBB567_106:
	s_waitcnt vmcnt(0)
	v_fma_f32 v3, -v2, v24, v19
	global_store_dword v[0:1], v3, off offset:896
	s_or_b64 exec, exec, s[0:1]
	s_and_saveexec_b64 s[0:1], s[14:15]
	s_cbranch_execz .LBB567_74
.LBB567_107:
	s_waitcnt vmcnt(0)
	v_fma_f32 v3, -v2, v26, v25
	global_store_dword v[0:1], v3, off offset:1024
	s_or_b64 exec, exec, s[0:1]
	s_and_saveexec_b64 s[0:1], s[16:17]
	s_cbranch_execz .LBB567_75
.LBB567_108:
	s_waitcnt vmcnt(0)
	v_fma_f32 v3, -v2, v29, v23
	global_store_dword v[0:1], v3, off offset:1152
	s_or_b64 exec, exec, s[0:1]
	s_and_saveexec_b64 s[0:1], s[18:19]
	s_cbranch_execz .LBB567_76
.LBB567_109:
	s_waitcnt vmcnt(0)
	v_fma_f32 v3, -v2, v31, v30
	global_store_dword v[0:1], v3, off offset:1280
	s_or_b64 exec, exec, s[0:1]
	s_and_saveexec_b64 s[0:1], s[22:23]
	s_cbranch_execz .LBB567_77
.LBB567_110:
	s_waitcnt vmcnt(0)
	v_fma_f32 v3, -v2, v33, v28
	global_store_dword v[0:1], v3, off offset:1408
	s_or_b64 exec, exec, s[0:1]
	s_and_saveexec_b64 s[0:1], s[24:25]
	s_cbranch_execz .LBB567_78
.LBB567_111:
	s_waitcnt vmcnt(0)
	v_fma_f32 v3, -v2, v35, v34
	global_store_dword v[0:1], v3, off offset:1536
	s_or_b64 exec, exec, s[0:1]
	s_and_saveexec_b64 s[0:1], s[26:27]
	s_cbranch_execz .LBB567_79
.LBB567_112:
	s_waitcnt vmcnt(0)
	v_fma_f32 v3, -v2, v37, v32
	global_store_dword v[0:1], v3, off offset:1664
	s_or_b64 exec, exec, s[0:1]
	s_and_saveexec_b64 s[0:1], s[28:29]
	s_cbranch_execz .LBB567_80
.LBB567_113:
	s_waitcnt vmcnt(0)
	v_fma_f32 v3, -v2, v39, v38
	global_store_dword v[0:1], v3, off offset:1792
	s_or_b64 exec, exec, s[0:1]
	s_and_saveexec_b64 s[0:1], s[30:31]
	s_cbranch_execz .LBB567_81
.LBB567_114:
	s_waitcnt vmcnt(0)
	v_fma_f32 v3, -v2, v41, v36
	global_store_dword v[0:1], v3, off offset:1920
	s_or_b64 exec, exec, s[0:1]
	s_and_saveexec_b64 s[0:1], s[34:35]
	s_cbranch_execz .LBB567_82
.LBB567_115:
	s_waitcnt vmcnt(0)
	v_fma_f32 v3, -v2, v43, v42
	global_store_dword v[0:1], v3, off offset:2048
	s_or_b64 exec, exec, s[0:1]
	s_and_saveexec_b64 s[0:1], s[36:37]
	s_cbranch_execz .LBB567_83
.LBB567_116:
	s_waitcnt vmcnt(0)
	v_fma_f32 v3, -v2, v45, v40
	global_store_dword v[0:1], v3, off offset:2176
	s_or_b64 exec, exec, s[0:1]
	s_and_saveexec_b64 s[0:1], s[38:39]
	s_cbranch_execz .LBB567_84
.LBB567_117:
	s_waitcnt vmcnt(0)
	v_fma_f32 v3, -v2, v47, v46
	global_store_dword v[0:1], v3, off offset:2304
	s_or_b64 exec, exec, s[0:1]
	s_and_saveexec_b64 s[0:1], s[40:41]
	s_cbranch_execz .LBB567_85
.LBB567_118:
	s_waitcnt vmcnt(0)
	v_fma_f32 v3, -v2, v49, v44
	global_store_dword v[0:1], v3, off offset:2432
	s_or_b64 exec, exec, s[0:1]
	s_and_saveexec_b64 s[0:1], s[42:43]
	s_cbranch_execz .LBB567_86
.LBB567_119:
	s_waitcnt vmcnt(0)
	v_fma_f32 v3, -v2, v51, v50
	global_store_dword v[0:1], v3, off offset:2560
	s_or_b64 exec, exec, s[0:1]
	s_and_saveexec_b64 s[0:1], s[44:45]
	s_cbranch_execz .LBB567_87
.LBB567_120:
	s_waitcnt vmcnt(0)
	v_fma_f32 v3, -v2, v53, v48
	global_store_dword v[0:1], v3, off offset:2688
	s_or_b64 exec, exec, s[0:1]
	s_and_saveexec_b64 s[0:1], s[46:47]
	s_cbranch_execz .LBB567_88
.LBB567_121:
	s_waitcnt vmcnt(0)
	v_fma_f32 v3, -v2, v55, v54
	global_store_dword v[0:1], v3, off offset:2816
	s_or_b64 exec, exec, s[0:1]
	s_and_saveexec_b64 s[0:1], s[48:49]
	s_cbranch_execz .LBB567_89
.LBB567_122:
	s_waitcnt vmcnt(0)
	v_fma_f32 v3, -v2, v57, v52
	global_store_dword v[0:1], v3, off offset:2944
	s_or_b64 exec, exec, s[0:1]
	s_and_saveexec_b64 s[0:1], s[50:51]
	s_cbranch_execz .LBB567_90
.LBB567_123:
	s_waitcnt vmcnt(0)
	v_fma_f32 v3, -v2, v59, v58
	global_store_dword v[0:1], v3, off offset:3072
	s_or_b64 exec, exec, s[0:1]
	s_and_saveexec_b64 s[0:1], s[52:53]
	s_cbranch_execz .LBB567_91
.LBB567_124:
	s_waitcnt vmcnt(0)
	v_fma_f32 v3, -v2, v61, v56
	global_store_dword v[0:1], v3, off offset:3200
	s_or_b64 exec, exec, s[0:1]
	s_and_saveexec_b64 s[0:1], s[54:55]
	s_cbranch_execz .LBB567_92
.LBB567_125:
	s_waitcnt vmcnt(0)
	v_fma_f32 v3, -v2, v63, v62
	global_store_dword v[0:1], v3, off offset:3328
	s_or_b64 exec, exec, s[0:1]
	s_and_saveexec_b64 s[0:1], s[56:57]
	s_cbranch_execz .LBB567_93
.LBB567_126:
	s_waitcnt vmcnt(0)
	v_fma_f32 v3, -v2, v65, v60
	global_store_dword v[0:1], v3, off offset:3456
	s_or_b64 exec, exec, s[0:1]
	s_and_saveexec_b64 s[0:1], s[58:59]
	s_cbranch_execz .LBB567_94
.LBB567_127:
	s_waitcnt vmcnt(0)
	v_fma_f32 v3, -v2, v67, v66
	global_store_dword v[0:1], v3, off offset:3584
	s_or_b64 exec, exec, s[0:1]
	s_and_saveexec_b64 s[0:1], s[60:61]
	s_cbranch_execz .LBB567_95
.LBB567_128:
	s_waitcnt vmcnt(0)
	v_fma_f32 v3, -v2, v68, v64
	global_store_dword v[0:1], v3, off offset:3712
	s_or_b64 exec, exec, s[0:1]
	s_and_saveexec_b64 s[0:1], s[62:63]
	s_cbranch_execz .LBB567_96
.LBB567_129:
	s_waitcnt vmcnt(0)
	v_fma_f32 v3, -v2, v70, v69
	global_store_dword v[0:1], v3, off offset:3840
	s_or_b64 exec, exec, s[0:1]
	s_and_b64 exec, exec, s[64:65]
	s_cbranch_execnz .LBB567_97
	s_branch .LBB567_98
	.section	.rodata,"a",@progbits
	.p2align	6, 0x0
	.amdhsa_kernel _ZN12_GLOBAL__N_121softmax_warp_backwardIfffLi10ELb0ELb0ELi32EEEvPT0_PKT_S5_iiiPKb
		.amdhsa_group_segment_fixed_size 0
		.amdhsa_private_segment_fixed_size 0
		.amdhsa_kernarg_size 304
		.amdhsa_user_sgpr_count 6
		.amdhsa_user_sgpr_private_segment_buffer 1
		.amdhsa_user_sgpr_dispatch_ptr 0
		.amdhsa_user_sgpr_queue_ptr 0
		.amdhsa_user_sgpr_kernarg_segment_ptr 1
		.amdhsa_user_sgpr_dispatch_id 0
		.amdhsa_user_sgpr_flat_scratch_init 0
		.amdhsa_user_sgpr_kernarg_preload_length 0
		.amdhsa_user_sgpr_kernarg_preload_offset 0
		.amdhsa_user_sgpr_private_segment_size 0
		.amdhsa_uses_dynamic_stack 0
		.amdhsa_system_sgpr_private_segment_wavefront_offset 0
		.amdhsa_system_sgpr_workgroup_id_x 1
		.amdhsa_system_sgpr_workgroup_id_y 0
		.amdhsa_system_sgpr_workgroup_id_z 0
		.amdhsa_system_sgpr_workgroup_info 0
		.amdhsa_system_vgpr_workitem_id 1
		.amdhsa_next_free_vgpr 71
		.amdhsa_next_free_sgpr 72
		.amdhsa_accum_offset 72
		.amdhsa_reserve_vcc 1
		.amdhsa_reserve_flat_scratch 0
		.amdhsa_float_round_mode_32 0
		.amdhsa_float_round_mode_16_64 0
		.amdhsa_float_denorm_mode_32 3
		.amdhsa_float_denorm_mode_16_64 3
		.amdhsa_dx10_clamp 1
		.amdhsa_ieee_mode 1
		.amdhsa_fp16_overflow 0
		.amdhsa_tg_split 0
		.amdhsa_exception_fp_ieee_invalid_op 0
		.amdhsa_exception_fp_denorm_src 0
		.amdhsa_exception_fp_ieee_div_zero 0
		.amdhsa_exception_fp_ieee_overflow 0
		.amdhsa_exception_fp_ieee_underflow 0
		.amdhsa_exception_fp_ieee_inexact 0
		.amdhsa_exception_int_div_zero 0
	.end_amdhsa_kernel
	.section	.text._ZN12_GLOBAL__N_121softmax_warp_backwardIfffLi10ELb0ELb0ELi32EEEvPT0_PKT_S5_iiiPKb,"axG",@progbits,_ZN12_GLOBAL__N_121softmax_warp_backwardIfffLi10ELb0ELb0ELi32EEEvPT0_PKT_S5_iiiPKb,comdat
.Lfunc_end567:
	.size	_ZN12_GLOBAL__N_121softmax_warp_backwardIfffLi10ELb0ELb0ELi32EEEvPT0_PKT_S5_iiiPKb, .Lfunc_end567-_ZN12_GLOBAL__N_121softmax_warp_backwardIfffLi10ELb0ELb0ELi32EEEvPT0_PKT_S5_iiiPKb
                                        ; -- End function
	.section	.AMDGPU.csdata,"",@progbits
; Kernel info:
; codeLenInByte = 3692
; NumSgprs: 76
; NumVgprs: 71
; NumAgprs: 0
; TotalNumVgprs: 71
; ScratchSize: 0
; MemoryBound: 0
; FloatMode: 240
; IeeeMode: 1
; LDSByteSize: 0 bytes/workgroup (compile time only)
; SGPRBlocks: 9
; VGPRBlocks: 8
; NumSGPRsForWavesPerEU: 76
; NumVGPRsForWavesPerEU: 71
; AccumOffset: 72
; Occupancy: 7
; WaveLimiterHint : 0
; COMPUTE_PGM_RSRC2:SCRATCH_EN: 0
; COMPUTE_PGM_RSRC2:USER_SGPR: 6
; COMPUTE_PGM_RSRC2:TRAP_HANDLER: 0
; COMPUTE_PGM_RSRC2:TGID_X_EN: 1
; COMPUTE_PGM_RSRC2:TGID_Y_EN: 0
; COMPUTE_PGM_RSRC2:TGID_Z_EN: 0
; COMPUTE_PGM_RSRC2:TIDIG_COMP_CNT: 1
; COMPUTE_PGM_RSRC3_GFX90A:ACCUM_OFFSET: 17
; COMPUTE_PGM_RSRC3_GFX90A:TG_SPLIT: 0
	.section	.text._ZN2at6native12_GLOBAL__N_124cunn_SoftMaxBackwardSmemILi4EfffNS1_23SoftMaxBackwardEpilogueEEEvPT0_PKT2_S8_l,"axG",@progbits,_ZN2at6native12_GLOBAL__N_124cunn_SoftMaxBackwardSmemILi4EfffNS1_23SoftMaxBackwardEpilogueEEEvPT0_PKT2_S8_l,comdat
	.globl	_ZN2at6native12_GLOBAL__N_124cunn_SoftMaxBackwardSmemILi4EfffNS1_23SoftMaxBackwardEpilogueEEEvPT0_PKT2_S8_l ; -- Begin function _ZN2at6native12_GLOBAL__N_124cunn_SoftMaxBackwardSmemILi4EfffNS1_23SoftMaxBackwardEpilogueEEEvPT0_PKT2_S8_l
	.p2align	8
	.type	_ZN2at6native12_GLOBAL__N_124cunn_SoftMaxBackwardSmemILi4EfffNS1_23SoftMaxBackwardEpilogueEEEvPT0_PKT2_S8_l,@function
_ZN2at6native12_GLOBAL__N_124cunn_SoftMaxBackwardSmemILi4EfffNS1_23SoftMaxBackwardEpilogueEEEvPT0_PKT2_S8_l: ; @_ZN2at6native12_GLOBAL__N_124cunn_SoftMaxBackwardSmemILi4EfffNS1_23SoftMaxBackwardEpilogueEEEvPT0_PKT2_S8_l
; %bb.0:
	s_load_dwordx8 s[8:15], s[4:5], 0x0
	v_lshlrev_b32_e32 v2, 2, v0
	v_mov_b32_e32 v3, 0
	v_lshl_add_u32 v8, v0, 4, 0
	s_waitcnt lgkmcnt(0)
	s_mul_i32 s0, s6, s15
	s_mul_hi_u32 s1, s6, s14
	s_mul_i32 s2, s6, s14
	s_add_i32 s3, s1, s0
	v_cmp_gt_i64_e32 vcc, s[14:15], v[2:3]
	s_and_saveexec_b64 s[6:7], vcc
	s_cbranch_execz .LBB568_4
; %bb.1:
	s_load_dword s17, s[4:5], 0x2c
	s_lshl_b64 s[0:1], s[2:3], 2
	s_add_u32 s16, s12, s0
	s_addc_u32 s0, s13, s1
	v_lshl_add_u32 v1, v0, 4, 0
	s_waitcnt lgkmcnt(0)
	s_and_b32 s17, s17, 0xffff
	v_add_lshl_u32 v4, v0, s17, 2
	s_lshl_b32 s18, s17, 2
	s_lshl_b32 s19, s17, 4
	s_mov_b64 s[12:13], 0
	v_mov_b32_e32 v3, 0
	v_mov_b32_e32 v2, s0
	;; [unrolled: 1-line block ×3, first 2 shown]
.LBB568_2:                              ; =>This Inner Loop Header: Depth=1
	v_ashrrev_i32_e32 v7, 31, v6
	v_lshlrev_b64 v[10:11], 4, v[6:7]
	v_add_co_u32_e64 v10, s[0:1], s16, v10
	v_addc_co_u32_e64 v11, s[0:1], v2, v11, s[0:1]
	global_load_dwordx4 v[10:13], v[10:11], off
	v_ashrrev_i32_e32 v5, 31, v4
	v_cmp_le_i64_e64 s[0:1], s[14:15], v[4:5]
	v_add_u32_e32 v6, s17, v6
	v_add_u32_e32 v4, s18, v4
	s_or_b64 s[12:13], s[0:1], s[12:13]
	s_waitcnt vmcnt(0)
	v_add_f32_e32 v3, v3, v10
	v_add_f32_e32 v3, v3, v11
	v_add_f32_e32 v3, v3, v12
	ds_write_b128 v1, v[10:13]
	v_add_u32_e32 v1, s19, v1
	v_add_f32_e32 v3, v3, v13
	s_andn2_b64 exec, exec, s[12:13]
	s_cbranch_execnz .LBB568_2
; %bb.3:
	s_or_b64 exec, exec, s[12:13]
.LBB568_4:
	s_or_b64 exec, exec, s[6:7]
	v_mbcnt_lo_u32_b32 v1, -1, 0
	v_mbcnt_hi_u32_b32 v6, -1, v1
	v_and_b32_e32 v10, 63, v6
	v_cmp_gt_u32_e64 s[0:1], 32, v10
	v_cndmask_b32_e64 v1, 0, 1, s[0:1]
	v_lshlrev_b32_e32 v1, 5, v1
	v_add_lshl_u32 v1, v1, v6, 2
	ds_bpermute_b32 v2, v1, v3
	v_cmp_gt_u32_e64 s[0:1], 48, v10
	v_cndmask_b32_e64 v4, 0, 1, s[0:1]
	v_lshlrev_b32_e32 v4, 4, v4
	v_cmp_gt_u32_e64 s[0:1], 56, v10
	s_waitcnt lgkmcnt(0)
	v_add_f32_e32 v3, v3, v2
	v_add_lshl_u32 v2, v4, v6, 2
	ds_bpermute_b32 v4, v2, v3
	v_cndmask_b32_e64 v5, 0, 1, s[0:1]
	v_lshlrev_b32_e32 v5, 3, v5
	v_cmp_gt_u32_e64 s[0:1], 60, v10
	v_cndmask_b32_e64 v7, 0, 1, s[0:1]
	s_waitcnt lgkmcnt(0)
	v_add_f32_e32 v4, v3, v4
	v_add_lshl_u32 v3, v5, v6, 2
	ds_bpermute_b32 v5, v3, v4
	v_lshlrev_b32_e32 v7, 2, v7
	v_cmp_gt_u32_e64 s[0:1], 62, v10
	v_cndmask_b32_e64 v9, 0, 1, s[0:1]
	v_lshlrev_b32_e32 v9, 1, v9
	s_waitcnt lgkmcnt(0)
	v_add_f32_e32 v5, v4, v5
	v_add_lshl_u32 v4, v7, v6, 2
	ds_bpermute_b32 v7, v4, v5
	s_lshl_b32 s0, s14, 2
	s_add_i32 s12, s0, 0
	v_cmp_ne_u32_e64 s[0:1], 63, v10
	s_waitcnt lgkmcnt(0)
	v_add_f32_e32 v11, v5, v7
	v_add_lshl_u32 v5, v9, v6, 2
	ds_bpermute_b32 v9, v5, v11
	v_addc_co_u32_e64 v6, s[0:1], 0, v6, s[0:1]
	v_lshlrev_b32_e32 v6, 2, v6
	v_and_b32_e32 v7, 63, v0
	s_waitcnt lgkmcnt(0)
	v_add_f32_e32 v9, v11, v9
	ds_bpermute_b32 v10, v6, v9
	v_cmp_eq_u32_e64 s[0:1], 0, v7
	s_barrier
	s_waitcnt lgkmcnt(0)
	s_and_saveexec_b64 s[6:7], s[0:1]
	s_cbranch_execz .LBB568_6
; %bb.5:
	v_lshrrev_b32_e32 v11, 4, v0
	v_add_u32_e32 v11, s12, v11
	v_add_f32_e32 v9, v9, v10
	ds_write_b32 v11, v9
.LBB568_6:
	s_or_b64 exec, exec, s[6:7]
	s_waitcnt lgkmcnt(0)
	s_barrier
	s_load_dword s6, s[4:5], 0x2c
	v_mov_b32_e32 v9, 0
	s_waitcnt lgkmcnt(0)
	s_bfe_u32 s0, s6, 0xa0006
	v_cmp_gt_u32_e64 s[0:1], s0, v0
	s_and_saveexec_b64 s[4:5], s[0:1]
	s_cbranch_execnz .LBB568_14
; %bb.7:
	s_or_b64 exec, exec, s[4:5]
	v_cmp_gt_u32_e64 s[0:1], 64, v0
	s_and_saveexec_b64 s[4:5], s[0:1]
	s_cbranch_execnz .LBB568_15
.LBB568_8:
	s_or_b64 exec, exec, s[4:5]
	v_cmp_eq_u32_e64 s[0:1], 0, v0
	s_and_saveexec_b64 s[4:5], s[0:1]
	s_cbranch_execz .LBB568_10
.LBB568_9:
	v_mov_b32_e32 v1, s12
	s_waitcnt lgkmcnt(0)
	ds_write_b32 v1, v9
.LBB568_10:
	s_or_b64 exec, exec, s[4:5]
	s_waitcnt lgkmcnt(0)
	s_barrier
	s_and_saveexec_b64 s[0:1], vcc
	s_cbranch_execz .LBB568_13
; %bb.11:
	v_mov_b32_e32 v1, s12
	s_and_b32 s4, s6, 0xffff
	s_lshl_b64 s[0:1], s[2:3], 2
	ds_read_b32 v2, v1
	s_add_u32 s5, s8, s0
	s_addc_u32 s9, s9, s1
	s_add_u32 s6, s10, s0
	s_addc_u32 s0, s11, s1
	s_waitcnt lgkmcnt(0)
	v_mov_b32_e32 v3, v2
	v_add_lshl_u32 v4, v0, s4, 2
	s_lshl_b32 s7, s4, 2
	s_lshl_b32 s8, s4, 4
	s_mov_b64 s[2:3], 0
	v_mov_b32_e32 v6, s0
	v_mov_b32_e32 v7, s9
.LBB568_12:                             ; =>This Inner Loop Header: Depth=1
	v_ashrrev_i32_e32 v1, 31, v0
	v_lshlrev_b64 v[18:19], 4, v[0:1]
	v_add_co_u32_e32 v10, vcc, s6, v18
	v_addc_co_u32_e32 v11, vcc, v6, v19, vcc
	global_load_dwordx4 v[10:13], v[10:11], off
	ds_read_b128 v[14:17], v8
	v_ashrrev_i32_e32 v5, 31, v4
	v_cmp_le_i64_e32 vcc, s[14:15], v[4:5]
	v_add_co_u32_e64 v18, s[0:1], s5, v18
	v_add_u32_e32 v8, s8, v8
	v_add_u32_e32 v0, s4, v0
	;; [unrolled: 1-line block ×3, first 2 shown]
	v_addc_co_u32_e64 v19, s[0:1], v7, v19, s[0:1]
	s_or_b64 s[2:3], vcc, s[2:3]
	s_waitcnt vmcnt(0) lgkmcnt(0)
	v_pk_fma_f32 v[10:11], v[2:3], v[10:11], v[14:15] neg_lo:[1,0,0] neg_hi:[1,0,0]
	v_pk_fma_f32 v[12:13], v[2:3], v[12:13], v[16:17] neg_lo:[1,0,0] neg_hi:[1,0,0]
	global_store_dwordx4 v[18:19], v[10:13], off
	s_andn2_b64 exec, exec, s[2:3]
	s_cbranch_execnz .LBB568_12
.LBB568_13:
	s_endpgm
.LBB568_14:
	v_lshl_add_u32 v7, v7, 2, s12
	ds_read_b32 v9, v7
	s_or_b64 exec, exec, s[4:5]
	v_cmp_gt_u32_e64 s[0:1], 64, v0
	s_and_saveexec_b64 s[4:5], s[0:1]
	s_cbranch_execz .LBB568_8
.LBB568_15:
	s_waitcnt lgkmcnt(0)
	ds_bpermute_b32 v1, v1, v9
	s_waitcnt lgkmcnt(0)
	v_add_f32_e32 v1, v9, v1
	ds_bpermute_b32 v2, v2, v1
	s_waitcnt lgkmcnt(0)
	v_add_f32_e32 v1, v1, v2
	;; [unrolled: 3-line block ×6, first 2 shown]
	s_or_b64 exec, exec, s[4:5]
	v_cmp_eq_u32_e64 s[0:1], 0, v0
	s_and_saveexec_b64 s[4:5], s[0:1]
	s_cbranch_execnz .LBB568_9
	s_branch .LBB568_10
	.section	.rodata,"a",@progbits
	.p2align	6, 0x0
	.amdhsa_kernel _ZN2at6native12_GLOBAL__N_124cunn_SoftMaxBackwardSmemILi4EfffNS1_23SoftMaxBackwardEpilogueEEEvPT0_PKT2_S8_l
		.amdhsa_group_segment_fixed_size 0
		.amdhsa_private_segment_fixed_size 0
		.amdhsa_kernarg_size 288
		.amdhsa_user_sgpr_count 6
		.amdhsa_user_sgpr_private_segment_buffer 1
		.amdhsa_user_sgpr_dispatch_ptr 0
		.amdhsa_user_sgpr_queue_ptr 0
		.amdhsa_user_sgpr_kernarg_segment_ptr 1
		.amdhsa_user_sgpr_dispatch_id 0
		.amdhsa_user_sgpr_flat_scratch_init 0
		.amdhsa_user_sgpr_kernarg_preload_length 0
		.amdhsa_user_sgpr_kernarg_preload_offset 0
		.amdhsa_user_sgpr_private_segment_size 0
		.amdhsa_uses_dynamic_stack 0
		.amdhsa_system_sgpr_private_segment_wavefront_offset 0
		.amdhsa_system_sgpr_workgroup_id_x 1
		.amdhsa_system_sgpr_workgroup_id_y 0
		.amdhsa_system_sgpr_workgroup_id_z 0
		.amdhsa_system_sgpr_workgroup_info 0
		.amdhsa_system_vgpr_workitem_id 0
		.amdhsa_next_free_vgpr 20
		.amdhsa_next_free_sgpr 20
		.amdhsa_accum_offset 20
		.amdhsa_reserve_vcc 1
		.amdhsa_reserve_flat_scratch 0
		.amdhsa_float_round_mode_32 0
		.amdhsa_float_round_mode_16_64 0
		.amdhsa_float_denorm_mode_32 3
		.amdhsa_float_denorm_mode_16_64 3
		.amdhsa_dx10_clamp 1
		.amdhsa_ieee_mode 1
		.amdhsa_fp16_overflow 0
		.amdhsa_tg_split 0
		.amdhsa_exception_fp_ieee_invalid_op 0
		.amdhsa_exception_fp_denorm_src 0
		.amdhsa_exception_fp_ieee_div_zero 0
		.amdhsa_exception_fp_ieee_overflow 0
		.amdhsa_exception_fp_ieee_underflow 0
		.amdhsa_exception_fp_ieee_inexact 0
		.amdhsa_exception_int_div_zero 0
	.end_amdhsa_kernel
	.section	.text._ZN2at6native12_GLOBAL__N_124cunn_SoftMaxBackwardSmemILi4EfffNS1_23SoftMaxBackwardEpilogueEEEvPT0_PKT2_S8_l,"axG",@progbits,_ZN2at6native12_GLOBAL__N_124cunn_SoftMaxBackwardSmemILi4EfffNS1_23SoftMaxBackwardEpilogueEEEvPT0_PKT2_S8_l,comdat
.Lfunc_end568:
	.size	_ZN2at6native12_GLOBAL__N_124cunn_SoftMaxBackwardSmemILi4EfffNS1_23SoftMaxBackwardEpilogueEEEvPT0_PKT2_S8_l, .Lfunc_end568-_ZN2at6native12_GLOBAL__N_124cunn_SoftMaxBackwardSmemILi4EfffNS1_23SoftMaxBackwardEpilogueEEEvPT0_PKT2_S8_l
                                        ; -- End function
	.section	.AMDGPU.csdata,"",@progbits
; Kernel info:
; codeLenInByte = 1040
; NumSgprs: 24
; NumVgprs: 20
; NumAgprs: 0
; TotalNumVgprs: 20
; ScratchSize: 0
; MemoryBound: 0
; FloatMode: 240
; IeeeMode: 1
; LDSByteSize: 0 bytes/workgroup (compile time only)
; SGPRBlocks: 2
; VGPRBlocks: 2
; NumSGPRsForWavesPerEU: 24
; NumVGPRsForWavesPerEU: 20
; AccumOffset: 20
; Occupancy: 8
; WaveLimiterHint : 0
; COMPUTE_PGM_RSRC2:SCRATCH_EN: 0
; COMPUTE_PGM_RSRC2:USER_SGPR: 6
; COMPUTE_PGM_RSRC2:TRAP_HANDLER: 0
; COMPUTE_PGM_RSRC2:TGID_X_EN: 1
; COMPUTE_PGM_RSRC2:TGID_Y_EN: 0
; COMPUTE_PGM_RSRC2:TGID_Z_EN: 0
; COMPUTE_PGM_RSRC2:TIDIG_COMP_CNT: 0
; COMPUTE_PGM_RSRC3_GFX90A:ACCUM_OFFSET: 4
; COMPUTE_PGM_RSRC3_GFX90A:TG_SPLIT: 0
	.section	.text._ZN2at6native12_GLOBAL__N_120cunn_SoftMaxBackwardILi4EfffNS1_23SoftMaxBackwardEpilogueEEEvPT0_PKT2_S8_l,"axG",@progbits,_ZN2at6native12_GLOBAL__N_120cunn_SoftMaxBackwardILi4EfffNS1_23SoftMaxBackwardEpilogueEEEvPT0_PKT2_S8_l,comdat
	.globl	_ZN2at6native12_GLOBAL__N_120cunn_SoftMaxBackwardILi4EfffNS1_23SoftMaxBackwardEpilogueEEEvPT0_PKT2_S8_l ; -- Begin function _ZN2at6native12_GLOBAL__N_120cunn_SoftMaxBackwardILi4EfffNS1_23SoftMaxBackwardEpilogueEEEvPT0_PKT2_S8_l
	.p2align	8
	.type	_ZN2at6native12_GLOBAL__N_120cunn_SoftMaxBackwardILi4EfffNS1_23SoftMaxBackwardEpilogueEEEvPT0_PKT2_S8_l,@function
_ZN2at6native12_GLOBAL__N_120cunn_SoftMaxBackwardILi4EfffNS1_23SoftMaxBackwardEpilogueEEEvPT0_PKT2_S8_l: ; @_ZN2at6native12_GLOBAL__N_120cunn_SoftMaxBackwardILi4EfffNS1_23SoftMaxBackwardEpilogueEEEvPT0_PKT2_S8_l
; %bb.0:
	s_load_dwordx8 s[20:27], s[4:5], 0x0
	v_mov_b32_e32 v2, 0x7ffffffe
	v_mov_b32_e32 v3, 0
	s_mov_b32 s9, 0
	s_waitcnt lgkmcnt(0)
	s_mul_i32 s1, s6, s27
	s_mul_hi_u32 s2, s6, s26
	s_mul_i32 s0, s6, s26
	s_add_i32 s1, s2, s1
	s_lshl_b64 s[36:37], s[0:1], 2
	s_add_u32 s18, s24, s36
	s_addc_u32 s19, s25, s37
	s_bfe_u32 s8, s18, 0x20002
	v_cmp_gt_i64_e64 s[0:1], s[26:27], v[2:3]
	s_cmp_lg_u32 s8, 0
	s_cselect_b64 s[2:3], -1, 0
	s_and_b64 vcc, exec, s[0:1]
	s_cbranch_vccz .LBB569_16
; %bb.1:
	v_mov_b32_e32 v1, 0
	s_and_b64 vcc, exec, s[2:3]
	s_cbranch_vccz .LBB569_39
; %bb.2:
	s_lshl_b32 s7, s8, 2
	s_sub_u32 s12, s18, s7
	s_subb_u32 s13, s19, 0
	v_cmp_le_u64_e32 vcc, s[8:9], v[0:1]
	v_mov_b32_e32 v8, v1
	s_and_saveexec_b64 s[10:11], vcc
	s_cbranch_execz .LBB569_4
; %bb.3:
	v_lshlrev_b32_e32 v2, 2, v0
	global_load_dword v2, v2, s[12:13]
	s_waitcnt vmcnt(0)
	v_add_f32_e32 v8, 0, v2
.LBB569_4:
	s_or_b64 exec, exec, s[10:11]
	s_load_dword s7, s[4:5], 0x2c
	s_add_u32 s10, s8, s26
	s_addc_u32 s11, 0, s27
	s_add_u32 s14, s4, 32
	s_addc_u32 s15, s5, 0
	s_waitcnt lgkmcnt(0)
	s_and_b32 s7, s7, 0xffff
	s_sub_u32 s10, s10, s7
	s_subb_u32 s11, s11, 0
	s_lshl_b32 s7, s7, 2
	s_add_u32 s12, s12, s7
	s_addc_u32 s13, s13, 0
	s_branch .LBB569_6
.LBB569_5:
	s_add_u32 s14, s4, 32
	s_addc_u32 s15, s5, 0
	v_mov_b32_e32 v8, 0
	s_mov_b64 s[10:11], s[26:27]
	s_mov_b64 s[12:13], s[18:19]
.LBB569_6:
	s_load_dword s7, s[14:15], 0x0
	v_mov_b32_e32 v2, 0
	s_waitcnt lgkmcnt(0)
	s_cmp_lt_u32 s6, s7
	s_cselect_b32 s7, 12, 18
	s_add_u32 s14, s14, s7
	s_addc_u32 s15, s15, 0
	global_load_ushort v2, v2, s[14:15]
	s_mov_b32 s14, 0
	s_mov_b32 s15, s11
	s_waitcnt vmcnt(0)
	v_readfirstlane_b32 s7, v2
	s_and_b32 s7, 0xffff, s7
	s_lshl_b32 s7, s7, 2
	s_cmp_lg_u64 s[14:15], 0
	v_and_b32_e32 v9, 0xffff, v2
	s_cbranch_scc0 .LBB569_40
; %bb.7:
	v_cvt_f32_u32_e32 v2, s7
	v_mov_b32_e32 v3, 0x4f800000
	s_sub_u32 s16, 0, s7
	s_subb_u32 s17, 0, 0
	v_mac_f32_e32 v2, 0, v3
	v_rcp_f32_e32 v2, v2
	v_mul_f32_e32 v2, 0x5f7ffffc, v2
	v_mul_f32_e32 v3, 0x2f800000, v2
	v_trunc_f32_e32 v3, v3
	v_madmk_f32 v2, v3, 0xcf800000, v2
	v_cvt_u32_f32_e32 v3, v3
	v_cvt_u32_f32_e32 v2, v2
	v_readfirstlane_b32 s28, v3
	v_readfirstlane_b32 s29, v2
	s_mul_i32 s30, s16, s28
	s_mul_hi_u32 s33, s16, s29
	s_mul_i32 s31, s17, s29
	s_add_i32 s30, s33, s30
	s_add_i32 s30, s30, s31
	s_mul_i32 s34, s16, s29
	s_mul_hi_u32 s31, s29, s30
	s_mul_i32 s33, s29, s30
	s_mul_hi_u32 s29, s29, s34
	s_add_u32 s29, s29, s33
	s_addc_u32 s31, 0, s31
	s_mul_hi_u32 s35, s28, s34
	s_mul_i32 s34, s28, s34
	s_add_u32 s29, s29, s34
	s_mul_hi_u32 s33, s28, s30
	s_addc_u32 s29, s31, s35
	s_addc_u32 s31, s33, 0
	s_mul_i32 s30, s28, s30
	s_add_u32 s29, s29, s30
	s_addc_u32 s30, 0, s31
	v_add_co_u32_e32 v2, vcc, s29, v2
	s_cmp_lg_u64 vcc, 0
	s_addc_u32 s28, s28, s30
	v_readfirstlane_b32 s30, v2
	s_mul_i32 s29, s16, s28
	s_mul_hi_u32 s31, s16, s30
	s_add_i32 s29, s31, s29
	s_mul_i32 s17, s17, s30
	s_add_i32 s29, s29, s17
	s_mul_i32 s16, s16, s30
	s_mul_hi_u32 s31, s28, s16
	s_mul_i32 s33, s28, s16
	s_mul_i32 s35, s30, s29
	s_mul_hi_u32 s16, s30, s16
	s_mul_hi_u32 s34, s30, s29
	s_add_u32 s16, s16, s35
	s_addc_u32 s30, 0, s34
	s_add_u32 s16, s16, s33
	s_mul_hi_u32 s17, s28, s29
	s_addc_u32 s16, s30, s31
	s_addc_u32 s17, s17, 0
	s_mul_i32 s29, s28, s29
	s_add_u32 s16, s16, s29
	s_addc_u32 s17, 0, s17
	v_add_co_u32_e32 v2, vcc, s16, v2
	s_cmp_lg_u64 vcc, 0
	s_addc_u32 s16, s28, s17
	v_readfirstlane_b32 s29, v2
	s_mul_i32 s28, s10, s16
	s_mul_hi_u32 s30, s10, s29
	s_mul_hi_u32 s17, s10, s16
	s_add_u32 s28, s30, s28
	s_addc_u32 s17, 0, s17
	s_mul_hi_u32 s31, s11, s29
	s_mul_i32 s29, s11, s29
	s_add_u32 s28, s28, s29
	s_mul_hi_u32 s30, s11, s16
	s_addc_u32 s17, s17, s31
	s_addc_u32 s28, s30, 0
	s_mul_i32 s16, s11, s16
	s_add_u32 s16, s17, s16
	s_addc_u32 s17, 0, s28
	s_mul_hi_u32 s28, s7, s16
	s_mul_i32 s16, s7, s16
	s_mul_i32 s17, s7, s17
	v_mov_b32_e32 v2, s16
	s_add_i32 s28, s28, s17
	v_sub_co_u32_e32 v2, vcc, s10, v2
	s_cmp_lg_u64 vcc, 0
	s_subb_u32 s16, s11, s28
	v_subrev_co_u32_e32 v3, vcc, s7, v2
	s_cmp_lg_u64 vcc, 0
	s_subb_u32 s17, s16, 0
	v_subrev_co_u32_e32 v4, vcc, s7, v3
	s_cmp_lg_u64 vcc, 0
	s_subb_u32 s28, s17, 0
	v_cmp_le_u32_e32 vcc, s7, v3
	s_cmp_eq_u32 s17, 0
	v_cndmask_b32_e64 v5, 0, -1, vcc
	s_cselect_b64 vcc, -1, 0
	v_cndmask_b32_e32 v5, -1, v5, vcc
	v_mov_b32_e32 v6, s17
	v_mov_b32_e32 v7, s28
	v_cmp_ne_u32_e32 vcc, 0, v5
	v_cndmask_b32_e32 v5, v6, v7, vcc
	v_cndmask_b32_e32 v4, v3, v4, vcc
	v_cmp_le_u32_e32 vcc, s7, v2
	s_cmp_eq_u32 s16, 0
	v_cndmask_b32_e64 v3, 0, -1, vcc
	s_cselect_b64 vcc, -1, 0
	v_cndmask_b32_e32 v3, -1, v3, vcc
	v_mov_b32_e32 v6, s16
	v_cmp_ne_u32_e32 vcc, 0, v3
	v_cndmask_b32_e32 v3, v6, v5, vcc
	v_cndmask_b32_e32 v2, v2, v4, vcc
	s_cbranch_execnz .LBB569_9
.LBB569_8:
	v_cvt_f32_u32_e32 v2, s7
	s_sub_i32 s14, 0, s7
	v_rcp_iflag_f32_e32 v2, v2
	v_mul_f32_e32 v2, 0x4f7ffffe, v2
	v_cvt_u32_f32_e32 v2, v2
	v_mul_lo_u32 v3, s14, v2
	v_mul_hi_u32 v3, v2, v3
	v_add_u32_e32 v2, v2, v3
	v_mul_hi_u32 v2, s10, v2
	v_mul_lo_u32 v2, v2, s7
	v_sub_u32_e32 v2, s10, v2
	v_subrev_u32_e32 v3, s7, v2
	v_cmp_le_u32_e32 vcc, s7, v2
	v_cndmask_b32_e32 v2, v2, v3, vcc
	v_subrev_u32_e32 v3, s7, v2
	v_cmp_le_u32_e32 vcc, s7, v2
	v_cndmask_b32_e32 v2, v2, v3, vcc
	v_mov_b32_e32 v3, 0
.LBB569_9:
	v_mov_b32_e32 v4, s11
	v_sub_co_u32_e32 v2, vcc, s10, v2
	v_subb_co_u32_e32 v3, vcc, v4, v3, vcc
	v_lshlrev_b32_e32 v4, 4, v0
	v_mov_b32_e32 v5, s13
	v_add_co_u32_e32 v4, vcc, s12, v4
	v_addc_co_u32_e32 v5, vcc, 0, v5, vcc
	v_add_co_u32_e32 v4, vcc, 8, v4
	v_addc_co_u32_e32 v5, vcc, 0, v5, vcc
	v_lshlrev_b32_e32 v10, 4, v9
	s_mov_b64 s[14:15], 0
	v_pk_mov_b32 v[6:7], v[0:1], v[0:1] op_sel:[0,1]
.LBB569_10:                             ; =>This Inner Loop Header: Depth=1
	global_load_dwordx4 v[12:15], v[4:5], off offset:-8
	v_add_co_u32_e32 v6, vcc, v6, v9
	v_addc_co_u32_e32 v7, vcc, 0, v7, vcc
	v_add_co_u32_e32 v4, vcc, v4, v10
	v_addc_co_u32_e32 v5, vcc, 0, v5, vcc
	v_lshlrev_b64 v[16:17], 2, v[6:7]
	v_cmp_ge_i64_e32 vcc, v[16:17], v[2:3]
	s_or_b64 s[14:15], vcc, s[14:15]
	s_waitcnt vmcnt(0)
	v_add_f32_e32 v1, v8, v12
	v_add_f32_e32 v1, v1, v13
	;; [unrolled: 1-line block ×4, first 2 shown]
	s_andn2_b64 exec, exec, s[14:15]
	s_cbranch_execnz .LBB569_10
; %bb.11:
	s_or_b64 exec, exec, s[14:15]
	v_add_co_u32_e32 v2, vcc, v2, v0
	v_addc_co_u32_e32 v3, vcc, 0, v3, vcc
	v_cmp_gt_i64_e32 vcc, s[10:11], v[2:3]
	s_and_saveexec_b64 s[14:15], vcc
	s_cbranch_execz .LBB569_15
; %bb.12:
	s_mov_b64 s[16:17], 0
	v_mov_b32_e32 v1, s13
.LBB569_13:                             ; =>This Inner Loop Header: Depth=1
	v_lshlrev_b64 v[4:5], 2, v[2:3]
	v_add_co_u32_e32 v4, vcc, s12, v4
	v_addc_co_u32_e32 v5, vcc, v1, v5, vcc
	global_load_dword v4, v[4:5], off
	v_add_co_u32_e32 v2, vcc, v2, v9
	v_addc_co_u32_e32 v3, vcc, 0, v3, vcc
	v_cmp_le_i64_e32 vcc, s[10:11], v[2:3]
	s_or_b64 s[16:17], vcc, s[16:17]
	s_waitcnt vmcnt(0)
	v_add_f32_e32 v8, v8, v4
	s_andn2_b64 exec, exec, s[16:17]
	s_cbranch_execnz .LBB569_13
; %bb.14:
	s_or_b64 exec, exec, s[16:17]
.LBB569_15:
	s_or_b64 exec, exec, s[14:15]
	s_branch .LBB569_31
.LBB569_16:
                                        ; implicit-def: $vgpr8
	s_cbranch_execz .LBB569_31
; %bb.17:
	s_and_b64 vcc, exec, s[2:3]
	s_cbranch_vccz .LBB569_41
; %bb.18:
	s_lshl_b64 s[2:3], s[8:9], 2
	s_sub_u32 s12, s18, s2
	s_subb_u32 s13, s19, s3
	s_add_i32 s7, s8, s26
	v_cmp_le_u32_e32 vcc, s8, v0
	v_cmp_gt_i32_e64 s[2:3], s7, v0
	s_and_b64 s[10:11], vcc, s[2:3]
	v_mov_b32_e32 v8, 0
	s_and_saveexec_b64 s[2:3], s[10:11]
	s_cbranch_execz .LBB569_20
; %bb.19:
	v_lshlrev_b32_e32 v1, 2, v0
	global_load_dword v1, v1, s[12:13]
	s_waitcnt vmcnt(0)
	v_add_f32_e32 v8, 0, v1
.LBB569_20:
	s_or_b64 exec, exec, s[2:3]
	s_load_dword s2, s[4:5], 0x2c
	s_add_u32 s10, s4, 32
	s_addc_u32 s11, s5, 0
	s_waitcnt lgkmcnt(0)
	s_and_b32 s2, s2, 0xffff
	v_mov_b32_e32 v1, s2
	s_lshl_b32 s2, s2, 2
	v_sub_u32_e64 v1, s7, v1 clamp
	s_add_u32 s2, s12, s2
	v_readfirstlane_b32 s7, v1
	s_addc_u32 s3, s13, 0
	s_branch .LBB569_22
.LBB569_21:
	s_add_u32 s10, s4, 32
	s_addc_u32 s11, s5, 0
	v_mov_b32_e32 v8, 0
	s_mov_b32 s7, s26
	s_mov_b64 s[2:3], s[18:19]
.LBB569_22:
	s_load_dword s12, s[10:11], 0x0
	v_mov_b32_e32 v1, 0
	s_waitcnt lgkmcnt(0)
	s_cmp_lt_u32 s6, s12
	s_cselect_b32 s12, 12, 18
	s_add_u32 s10, s10, s12
	s_addc_u32 s11, s11, 0
	global_load_ushort v1, v1, s[10:11]
	s_waitcnt vmcnt(0)
	v_readfirstlane_b32 s10, v1
	s_lshl_b32 s10, s10, 2
	v_cvt_f32_u32_e32 v2, s10
	s_sub_i32 s11, 0, s10
	v_rcp_iflag_f32_e32 v2, v2
	v_mul_f32_e32 v2, 0x4f7ffffe, v2
	v_cvt_u32_f32_e32 v2, v2
	v_readfirstlane_b32 s12, v2
	s_mul_i32 s11, s11, s12
	s_mul_hi_u32 s11, s12, s11
	s_add_i32 s12, s12, s11
	s_mul_hi_u32 s11, s7, s12
	s_mul_i32 s11, s11, s10
	s_sub_i32 s11, s7, s11
	s_sub_i32 s12, s11, s10
	s_cmp_ge_u32 s11, s10
	s_cselect_b32 s11, s12, s11
	s_sub_i32 s12, s11, s10
	s_cmp_ge_u32 s11, s10
	s_cselect_b32 s10, s12, s11
	s_sub_i32 s14, s7, s10
	v_lshlrev_b32_e32 v2, 2, v0
	v_cmp_gt_i32_e32 vcc, s14, v2
	s_and_saveexec_b64 s[10:11], vcc
	s_cbranch_execz .LBB569_26
; %bb.23:
	s_mov_b64 s[12:13], 0
	v_mov_b32_e32 v4, s3
	v_mov_b32_e32 v2, v0
.LBB569_24:                             ; =>This Inner Loop Header: Depth=1
	v_ashrrev_i32_e32 v3, 31, v2
	v_lshlrev_b64 v[6:7], 4, v[2:3]
	v_add_co_u32_e32 v6, vcc, s2, v6
	v_addc_co_u32_e32 v7, vcc, v4, v7, vcc
	global_load_dwordx4 v[10:13], v[6:7], off
	v_add_u32_e32 v2, v2, v1
	v_lshlrev_b32_e32 v3, 2, v2
	v_cmp_le_i32_e32 vcc, s14, v3
	s_or_b64 s[12:13], vcc, s[12:13]
	s_waitcnt vmcnt(0)
	v_add_f32_e32 v3, v8, v10
	v_add_f32_e32 v3, v3, v11
	;; [unrolled: 1-line block ×4, first 2 shown]
	s_andn2_b64 exec, exec, s[12:13]
	s_cbranch_execnz .LBB569_24
; %bb.25:
	s_or_b64 exec, exec, s[12:13]
.LBB569_26:
	s_or_b64 exec, exec, s[10:11]
	v_add_u32_e32 v2, s14, v0
	v_cmp_gt_i32_e32 vcc, s7, v2
	s_and_saveexec_b64 s[10:11], vcc
	s_cbranch_execz .LBB569_30
; %bb.27:
	s_mov_b64 s[12:13], 0
	v_mov_b32_e32 v4, s3
.LBB569_28:                             ; =>This Inner Loop Header: Depth=1
	v_ashrrev_i32_e32 v3, 31, v2
	v_lshlrev_b64 v[6:7], 2, v[2:3]
	v_add_co_u32_e32 v6, vcc, s2, v6
	v_addc_co_u32_e32 v7, vcc, v4, v7, vcc
	global_load_dword v3, v[6:7], off
	v_add_u32_e32 v2, v2, v1
	v_cmp_le_i32_e32 vcc, s7, v2
	s_or_b64 s[12:13], vcc, s[12:13]
	s_waitcnt vmcnt(0)
	v_add_f32_e32 v8, v8, v3
	s_andn2_b64 exec, exec, s[12:13]
	s_cbranch_execnz .LBB569_28
; %bb.29:
	s_or_b64 exec, exec, s[12:13]
.LBB569_30:
	s_or_b64 exec, exec, s[10:11]
.LBB569_31:
	v_lshl_add_u32 v1, v0, 2, 0
	s_barrier
	ds_write_b32 v1, v8
	s_waitcnt lgkmcnt(0)
	s_barrier
	s_load_dword s7, s[4:5], 0x2c
	s_add_u32 s28, s4, 32
	s_addc_u32 s29, s5, 0
	s_waitcnt lgkmcnt(0)
	s_bfe_u32 s4, s7, 0xa0006
	s_min_u32 s2, s4, 64
	v_cmp_gt_u32_e32 vcc, s2, v0
	s_and_saveexec_b64 s[2:3], vcc
	s_cbranch_execz .LBB569_33
; %bb.32:
	s_movk_i32 s5, 0xfc
	v_mad_u32_u24 v10, v0, s5, v1
	ds_read2_b32 v[2:3], v10 offset1:1
	ds_read2_b32 v[4:5], v10 offset0:2 offset1:3
	ds_read2_b32 v[6:7], v10 offset0:4 offset1:5
	ds_read2_b32 v[8:9], v10 offset0:6 offset1:7
	s_waitcnt lgkmcnt(3)
	v_add_f32_e32 v2, 0, v2
	v_add_f32_e32 v2, v2, v3
	s_waitcnt lgkmcnt(2)
	v_add_f32_e32 v2, v2, v4
	v_add_f32_e32 v2, v2, v5
	s_waitcnt lgkmcnt(1)
	v_add_f32_e32 v2, v2, v6
	v_add_f32_e32 v2, v2, v7
	s_waitcnt lgkmcnt(0)
	v_add_f32_e32 v4, v2, v8
	ds_read2_b32 v[2:3], v10 offset0:8 offset1:9
	v_add_f32_e32 v11, v4, v9
	ds_read2_b32 v[4:5], v10 offset0:10 offset1:11
	ds_read2_b32 v[6:7], v10 offset0:12 offset1:13
	ds_read2_b32 v[8:9], v10 offset0:14 offset1:15
	s_waitcnt lgkmcnt(3)
	v_add_f32_e32 v2, v11, v2
	v_add_f32_e32 v2, v2, v3
	s_waitcnt lgkmcnt(2)
	v_add_f32_e32 v2, v2, v4
	v_add_f32_e32 v2, v2, v5
	s_waitcnt lgkmcnt(1)
	v_add_f32_e32 v2, v2, v6
	v_add_f32_e32 v2, v2, v7
	s_waitcnt lgkmcnt(0)
	v_add_f32_e32 v4, v2, v8
	ds_read2_b32 v[2:3], v10 offset0:16 offset1:17
	v_add_f32_e32 v11, v4, v9
	;; [unrolled: 16-line block ×7, first 2 shown]
	ds_read2_b32 v[4:5], v10 offset0:58 offset1:59
	ds_read2_b32 v[6:7], v10 offset0:60 offset1:61
	;; [unrolled: 1-line block ×3, first 2 shown]
	s_waitcnt lgkmcnt(3)
	v_add_f32_e32 v2, v11, v2
	v_add_f32_e32 v2, v2, v3
	s_waitcnt lgkmcnt(2)
	v_add_f32_e32 v2, v2, v4
	v_add_f32_e32 v2, v2, v5
	;; [unrolled: 3-line block ×4, first 2 shown]
	ds_write_b32 v1, v2
.LBB569_33:
	s_or_b64 exec, exec, s[2:3]
	s_and_b32 s30, s7, 0xffff
	v_cmp_eq_u32_e32 vcc, 0, v0
	s_waitcnt lgkmcnt(0)
	s_barrier
	s_and_saveexec_b64 s[2:3], vcc
	s_cbranch_execz .LBB569_46
; %bb.34:
	s_cmp_lt_u32 s30, 64
	v_mov_b32_e32 v1, 0
	s_cbranch_scc1 .LBB569_45
; %bb.35:
	s_add_i32 s5, s4, -1
	s_cmp_lt_u32 s5, 7
	s_cbranch_scc1 .LBB569_42
; %bb.36:
	s_and_b32 s5, s4, 0x3f8
	s_mov_b32 s7, 0
	s_mov_b32 s10, 0
	v_mov_b32_e32 v1, 0
.LBB569_37:                             ; =>This Inner Loop Header: Depth=1
	v_mov_b32_e32 v8, s10
	ds_read2_b32 v[2:3], v8 offset1:1
	ds_read2_b32 v[4:5], v8 offset0:2 offset1:3
	ds_read2_b32 v[6:7], v8 offset0:4 offset1:5
	;; [unrolled: 1-line block ×3, first 2 shown]
	s_add_i32 s7, s7, 8
	s_waitcnt lgkmcnt(3)
	v_add_f32_e32 v1, v1, v2
	v_add_f32_e32 v1, v1, v3
	s_waitcnt lgkmcnt(2)
	v_add_f32_e32 v1, v1, v4
	v_add_f32_e32 v1, v1, v5
	s_waitcnt lgkmcnt(1)
	v_add_f32_e32 v1, v1, v6
	v_add_f32_e32 v1, v1, v7
	s_add_i32 s10, s10, 32
	s_waitcnt lgkmcnt(0)
	v_add_f32_e32 v1, v1, v8
	s_cmp_eq_u32 s5, s7
	v_add_f32_e32 v1, v1, v9
	s_cbranch_scc0 .LBB569_37
; %bb.38:
	s_and_b32 s4, s4, 7
	s_cmp_eq_u32 s4, 0
	s_cbranch_scc0 .LBB569_43
	s_branch .LBB569_45
.LBB569_39:
                                        ; implicit-def: $sgpr12_sgpr13
                                        ; implicit-def: $sgpr10_sgpr11
                                        ; implicit-def: $vgpr8
                                        ; implicit-def: $sgpr14_sgpr15
	s_cbranch_execnz .LBB569_5
	s_branch .LBB569_6
.LBB569_40:
                                        ; implicit-def: $vgpr2_vgpr3
	s_branch .LBB569_8
.LBB569_41:
                                        ; implicit-def: $sgpr2_sgpr3
                                        ; implicit-def: $sgpr7
                                        ; implicit-def: $vgpr8
                                        ; implicit-def: $sgpr10_sgpr11
	s_cbranch_execnz .LBB569_21
	s_branch .LBB569_22
.LBB569_42:
	s_mov_b32 s5, 0
	v_mov_b32_e32 v1, 0
	s_and_b32 s4, s4, 7
	s_cmp_eq_u32 s4, 0
	s_cbranch_scc1 .LBB569_45
.LBB569_43:
	s_lshl_b32 s5, s5, 2
	s_add_i32 s5, s5, 0
.LBB569_44:                             ; =>This Inner Loop Header: Depth=1
	v_mov_b32_e32 v2, s5
	ds_read_b32 v2, v2
	s_add_i32 s5, s5, 4
	s_add_i32 s4, s4, -1
	s_cmp_lg_u32 s4, 0
	s_waitcnt lgkmcnt(0)
	v_add_f32_e32 v1, v1, v2
	s_cbranch_scc1 .LBB569_44
.LBB569_45:
	v_mov_b32_e32 v2, 0
	ds_write_b32 v2, v1
.LBB569_46:
	s_or_b64 exec, exec, s[2:3]
	s_add_u32 s34, s20, s36
	s_addc_u32 s35, s21, s37
	s_add_u32 s38, s22, s36
	s_mov_b32 s41, 0
	s_addc_u32 s39, s23, s37
	s_bfe_u32 s40, s34, 0x20002
	s_bfe_u32 s2, s38, 0x20002
	s_mov_b32 s3, s41
	v_mov_b32_e32 v1, 0
	s_waitcnt lgkmcnt(0)
	s_barrier
	ds_read_b32 v2, v1
	s_cmp_eq_u64 s[40:41], s[2:3]
	s_cselect_b64 s[2:3], -1, 0
	s_cmp_eq_u64 s[40:41], s[8:9]
	s_cselect_b64 s[4:5], -1, 0
	s_and_b64 s[2:3], s[2:3], s[4:5]
	s_andn2_b64 vcc, exec, s[2:3]
	s_mov_b64 s[2:3], -1
	s_cbranch_vccz .LBB569_65
; %bb.47:
	s_and_b64 vcc, exec, s[0:1]
	s_cbranch_vccz .LBB569_56
; %bb.48:
	s_lshl_b32 s7, s30, 2
	v_cvt_f32_u32_e32 v1, s7
	s_sub_i32 s3, 0, s7
	s_mov_b32 s2, 0
	v_rcp_iflag_f32_e32 v1, v1
	v_mul_f32_e32 v1, 0x4f7ffffe, v1
	v_cvt_u32_f32_e32 v3, v1
	v_mov_b32_e32 v1, 0
	v_pk_mov_b32 v[4:5], v[0:1], v[0:1] op_sel:[0,1]
	v_readfirstlane_b32 s4, v3
	s_mul_i32 s3, s3, s4
	s_mul_hi_u32 s3, s4, s3
	s_add_i32 s4, s4, s3
	s_mul_hi_u32 s3, s26, s4
	s_mul_i32 s3, s3, s7
	s_sub_i32 s3, s26, s3
	s_sub_i32 s4, s3, s7
	s_cmp_ge_u32 s3, s7
	s_cselect_b32 s3, s4, s3
	s_sub_i32 s4, s3, s7
	s_cmp_ge_u32 s3, s7
	s_cselect_b32 s3, s4, s3
	s_bfe_i64 s[42:43], s[26:27], 0x200000
	s_sub_u32 s44, s42, s3
	s_subb_u32 s45, s43, 0
	v_cmp_gt_i64_e32 vcc, s[44:45], v[0:1]
	s_and_saveexec_b64 s[46:47], vcc
	s_cbranch_execz .LBB569_52
; %bb.49:
	s_lshl_b32 s31, s30, 4
	s_add_u32 s3, s36, s7
	s_addc_u32 s4, s37, 0
	s_add_u32 s33, s22, s3
	s_addc_u32 s56, s23, s4
	s_lshl_b32 s5, s30, 3
	s_add_u32 s5, s36, s5
	s_addc_u32 s8, s37, 0
	s_add_u32 s57, s22, s5
	s_addc_u32 s58, s23, s8
	s_mul_i32 s9, s30, 12
	s_add_u32 s9, s36, s9
	s_addc_u32 s10, s37, 0
	s_add_u32 s59, s22, s9
	s_addc_u32 s60, s23, s10
	;; [unrolled: 2-line block ×7, first 2 shown]
	s_add_u32 s71, s20, s9
	v_lshlrev_b64 v[6:7], 2, v[0:1]
	s_addc_u32 s72, s21, s10
	s_mov_b64 s[48:49], 0
	v_mov_b32_e32 v3, s2
	s_mov_b64 s[50:51], s[34:35]
	s_mov_b64 s[52:53], s[18:19]
	;; [unrolled: 1-line block ×3, first 2 shown]
	v_pk_mov_b32 v[4:5], v[0:1], v[0:1] op_sel:[0,1]
.LBB569_50:                             ; =>This Inner Loop Header: Depth=1
	v_mov_b32_e32 v1, s55
	v_mov_b32_e32 v9, s53
	v_add_co_u32_e32 v8, vcc, s52, v6
	v_mov_b32_e32 v17, s64
	v_add_co_u32_e64 v16, s[10:11], s63, v6
	v_add_co_u32_e64 v22, s[16:17], s54, v6
	v_mov_b32_e32 v11, s56
	v_add_co_u32_e64 v10, s[2:3], s33, v6
	v_mov_b32_e32 v13, s62
	;; [unrolled: 2-line block ×5, first 2 shown]
	v_add_co_u32_e64 v20, s[14:15], s65, v6
	v_addc_co_u32_e64 v23, s[16:17], v1, v7, s[16:17]
	v_addc_co_u32_e32 v9, vcc, v9, v7, vcc
	v_addc_co_u32_e64 v17, vcc, v17, v7, s[10:11]
	v_addc_co_u32_e64 v11, vcc, v11, v7, s[2:3]
	;; [unrolled: 1-line block ×6, first 2 shown]
	global_load_dword v1, v[22:23], off
	s_nop 0
	global_load_dword v22, v[8:9], off
	global_load_dword v23, v[10:11], off
	;; [unrolled: 1-line block ×4, first 2 shown]
	s_nop 0
	global_load_dword v16, v[16:17], off
	s_nop 0
	global_load_dword v17, v[18:19], off
	;; [unrolled: 2-line block ×3, first 2 shown]
	s_add_u32 s54, s54, s31
	s_addc_u32 s55, s55, 0
	s_add_u32 s33, s33, s31
	s_addc_u32 s56, s56, 0
	s_add_u32 s57, s57, s31
	s_addc_u32 s58, s58, 0
	s_add_u32 s59, s59, s31
	s_addc_u32 s60, s60, 0
	s_add_u32 s52, s52, s31
	s_addc_u32 s53, s53, 0
	s_add_u32 s61, s61, s31
	s_addc_u32 s62, s62, 0
	s_add_u32 s63, s63, s31
	s_addc_u32 s64, s64, 0
	v_add_co_u32_e64 v4, s[8:9], s7, v4
	s_add_u32 s65, s65, s31
	v_addc_co_u32_e64 v5, s[8:9], v5, v3, s[8:9]
	s_addc_u32 s66, s66, 0
	v_add_co_u32_e64 v14, s[8:9], s50, v6
	s_add_u32 s50, s50, s31
	v_mov_b32_e32 v9, s51
	s_addc_u32 s51, s51, 0
	v_add_co_u32_e32 v8, vcc, s67, v6
	s_add_u32 s67, s67, s31
	v_mov_b32_e32 v11, s68
	s_addc_u32 s68, s68, 0
	v_add_co_u32_e64 v10, s[2:3], s69, v6
	s_add_u32 s69, s69, s31
	v_mov_b32_e32 v13, s70
	v_mov_b32_e32 v19, s72
	v_add_co_u32_e64 v12, s[4:5], s71, v6
	s_addc_u32 s70, s70, 0
	v_addc_co_u32_e64 v15, s[8:9], v9, v7, s[8:9]
	v_addc_co_u32_e32 v9, vcc, v11, v7, vcc
	v_addc_co_u32_e64 v11, vcc, v13, v7, s[2:3]
	v_addc_co_u32_e64 v13, vcc, v19, v7, s[4:5]
	s_add_u32 s71, s71, s31
	v_cmp_le_i64_e32 vcc, s[44:45], v[4:5]
	s_addc_u32 s72, s72, 0
	s_or_b64 s[48:49], vcc, s[48:49]
	s_waitcnt vmcnt(6) lgkmcnt(0)
	v_fma_f32 v1, -v2, v1, v22
	s_waitcnt vmcnt(4)
	v_fma_f32 v19, -v2, v23, v24
	s_waitcnt vmcnt(2)
	;; [unrolled: 2-line block ×3, first 2 shown]
	v_fma_f32 v17, -v2, v17, v18
	global_store_dword v[14:15], v1, off
	global_store_dword v[8:9], v19, off
	;; [unrolled: 1-line block ×4, first 2 shown]
	s_andn2_b64 exec, exec, s[48:49]
	s_cbranch_execnz .LBB569_50
; %bb.51:
	s_or_b64 exec, exec, s[48:49]
.LBB569_52:
	s_or_b64 exec, exec, s[46:47]
	v_cmp_gt_i64_e32 vcc, s[42:43], v[4:5]
	s_and_saveexec_b64 s[2:3], vcc
	s_cbranch_execz .LBB569_55
; %bb.53:
	v_lshlrev_b64 v[6:7], 2, v[4:5]
	s_mov_b32 s8, 0
	v_mov_b32_e32 v1, s37
	v_add_co_u32_e32 v6, vcc, s36, v6
	v_addc_co_u32_e32 v1, vcc, v1, v7, vcc
	s_mov_b64 s[4:5], 0
	v_mov_b32_e32 v3, s25
	v_mov_b32_e32 v7, s23
	;; [unrolled: 1-line block ×5, first 2 shown]
.LBB569_54:                             ; =>This Inner Loop Header: Depth=1
	v_add_co_u32_e32 v12, vcc, s24, v6
	v_addc_co_u32_e32 v13, vcc, v3, v1, vcc
	v_add_co_u32_e32 v14, vcc, s22, v6
	v_addc_co_u32_e32 v15, vcc, v7, v1, vcc
	global_load_dword v11, v[12:13], off
	global_load_dword v16, v[14:15], off
	v_add_co_u32_e32 v12, vcc, s20, v6
	v_addc_co_u32_e32 v13, vcc, v8, v1, vcc
	v_add_co_u32_e32 v4, vcc, s30, v4
	v_addc_co_u32_e32 v5, vcc, v5, v9, vcc
	;; [unrolled: 2-line block ×3, first 2 shown]
	v_cmp_le_i64_e32 vcc, s[42:43], v[4:5]
	s_or_b64 s[4:5], vcc, s[4:5]
	s_waitcnt vmcnt(0) lgkmcnt(0)
	v_fma_f32 v11, -v2, v16, v11
	global_store_dword v[12:13], v11, off
	s_andn2_b64 exec, exec, s[4:5]
	s_cbranch_execnz .LBB569_54
.LBB569_55:
	s_or_b64 exec, exec, s[2:3]
	s_mov_b64 s[2:3], 0
.LBB569_56:
	s_and_b64 vcc, exec, s[2:3]
	s_cbranch_vccz .LBB569_92
; %bb.57:
	s_lshl_b32 s2, s30, 2
	v_cvt_f32_u32_e32 v1, s2
	s_sub_i32 s3, 0, s2
	v_mov_b32_e32 v4, v0
	v_rcp_iflag_f32_e32 v1, v1
	v_mul_f32_e32 v1, 0x4f7ffffe, v1
	v_cvt_u32_f32_e32 v1, v1
	v_readfirstlane_b32 s4, v1
	s_mul_i32 s3, s3, s4
	s_mul_hi_u32 s3, s4, s3
	s_add_i32 s4, s4, s3
	s_mul_hi_u32 s3, s26, s4
	s_mul_i32 s3, s3, s2
	s_sub_i32 s3, s26, s3
	s_sub_i32 s4, s3, s2
	s_cmp_ge_u32 s3, s2
	s_cselect_b32 s3, s4, s3
	s_sub_i32 s4, s3, s2
	s_cmp_ge_u32 s3, s2
	s_cselect_b32 s2, s4, s3
	s_sub_i32 s7, s26, s2
	v_cmp_gt_i32_e32 vcc, s7, v0
	s_and_saveexec_b64 s[2:3], vcc
	s_cbranch_execz .LBB569_61
; %bb.58:
	s_add_i32 s10, s30, s30
	s_lshl_b32 s8, s30, 1
	s_mul_i32 s9, s30, 3
	s_mov_b64 s[4:5], 0
	v_mov_b32_e32 v1, s39
	v_mov_b32_e32 v3, s19
	;; [unrolled: 1-line block ×3, first 2 shown]
	s_add_i32 s10, s10, s30
	v_mov_b32_e32 v5, 0
	v_mov_b32_e32 v4, v0
.LBB569_59:                             ; =>This Inner Loop Header: Depth=1
	v_lshlrev_b64 v[8:9], 2, v[4:5]
	v_add_co_u32_e32 v14, vcc, s38, v8
	v_addc_co_u32_e32 v15, vcc, v1, v9, vcc
	v_add_u32_e32 v10, s30, v4
	v_mov_b32_e32 v11, v5
	v_add_co_u32_e32 v16, vcc, s18, v8
	v_addc_co_u32_e32 v17, vcc, v3, v9, vcc
	v_lshlrev_b64 v[18:19], 2, v[10:11]
	global_load_dword v7, v[14:15], off
	global_load_dword v30, v[16:17], off
	v_add_co_u32_e32 v14, vcc, s38, v18
	v_addc_co_u32_e32 v15, vcc, v1, v19, vcc
	v_add_u32_e32 v12, s8, v4
	v_mov_b32_e32 v13, v5
	v_add_co_u32_e32 v16, vcc, s18, v18
	v_lshlrev_b64 v[12:13], 2, v[12:13]
	v_addc_co_u32_e32 v17, vcc, v3, v19, vcc
	v_add_co_u32_e32 v22, vcc, s38, v12
	v_addc_co_u32_e32 v23, vcc, v1, v13, vcc
	v_add_u32_e32 v4, s9, v4
	v_add_co_u32_e32 v24, vcc, s18, v12
	v_lshlrev_b64 v[20:21], 2, v[4:5]
	v_addc_co_u32_e32 v25, vcc, v3, v13, vcc
	v_add_co_u32_e32 v26, vcc, s38, v20
	v_addc_co_u32_e32 v27, vcc, v1, v21, vcc
	v_add_co_u32_e32 v28, vcc, s18, v20
	v_addc_co_u32_e32 v29, vcc, v3, v21, vcc
	global_load_dword v31, v[14:15], off
	global_load_dword v32, v[16:17], off
	;; [unrolled: 1-line block ×6, first 2 shown]
	v_add_co_u32_e32 v8, vcc, s34, v8
	v_addc_co_u32_e32 v9, vcc, v6, v9, vcc
	v_add_u32_e32 v4, s10, v10
	v_add_co_u32_e32 v10, vcc, s34, v18
	v_addc_co_u32_e32 v11, vcc, v6, v19, vcc
	v_add_co_u32_e32 v12, vcc, s34, v12
	v_addc_co_u32_e32 v13, vcc, v6, v13, vcc
	;; [unrolled: 2-line block ×3, first 2 shown]
	v_cmp_le_i32_e32 vcc, s7, v4
	s_or_b64 s[4:5], vcc, s[4:5]
	s_waitcnt vmcnt(6) lgkmcnt(0)
	v_fma_f32 v7, -v2, v7, v30
	global_store_dword v[8:9], v7, off
	s_waitcnt vmcnt(5)
	v_fma_f32 v7, -v2, v31, v32
	s_waitcnt vmcnt(3)
	v_fma_f32 v8, -v2, v33, v34
	;; [unrolled: 2-line block ×3, first 2 shown]
	global_store_dword v[10:11], v7, off
	global_store_dword v[12:13], v8, off
	;; [unrolled: 1-line block ×3, first 2 shown]
	s_andn2_b64 exec, exec, s[4:5]
	s_cbranch_execnz .LBB569_59
; %bb.60:
	s_or_b64 exec, exec, s[4:5]
.LBB569_61:
	s_or_b64 exec, exec, s[2:3]
	v_cmp_gt_i32_e32 vcc, s26, v4
	s_and_saveexec_b64 s[2:3], vcc
	s_cbranch_execz .LBB569_64
; %bb.62:
	s_mov_b64 s[4:5], 0
	v_mov_b32_e32 v1, s19
	v_mov_b32_e32 v3, s39
	;; [unrolled: 1-line block ×3, first 2 shown]
.LBB569_63:                             ; =>This Inner Loop Header: Depth=1
	v_ashrrev_i32_e32 v5, 31, v4
	v_lshlrev_b64 v[8:9], 2, v[4:5]
	v_add_co_u32_e32 v10, vcc, s18, v8
	v_addc_co_u32_e32 v11, vcc, v1, v9, vcc
	global_load_dword v5, v[10:11], off
	v_add_co_u32_e32 v10, vcc, s38, v8
	v_addc_co_u32_e32 v11, vcc, v3, v9, vcc
	global_load_dword v7, v[10:11], off
	v_add_co_u32_e32 v8, vcc, s34, v8
	v_add_u32_e32 v4, s30, v4
	v_addc_co_u32_e32 v9, vcc, v6, v9, vcc
	v_cmp_le_i32_e32 vcc, s26, v4
	s_or_b64 s[4:5], vcc, s[4:5]
	s_waitcnt vmcnt(0) lgkmcnt(0)
	v_fma_f32 v5, -v2, v7, v5
	global_store_dword v[8:9], v5, off
	s_andn2_b64 exec, exec, s[4:5]
	s_cbranch_execnz .LBB569_63
.LBB569_64:
	s_or_b64 exec, exec, s[2:3]
	s_mov_b64 s[2:3], 0
.LBB569_65:
	s_andn2_b64 vcc, exec, s[2:3]
	s_cbranch_vccnz .LBB569_93
.LBB569_66:
	s_cmp_lg_u64 s[40:41], 0
	s_cselect_b64 s[4:5], -1, 0
	v_cndmask_b32_e64 v1, 0, 1, s[4:5]
	s_mov_b64 s[2:3], -1
	s_and_b64 vcc, exec, s[0:1]
	v_cmp_ne_u32_e64 s[0:1], 1, v1
	s_cbranch_vccz .LBB569_81
; %bb.67:
	v_mov_b32_e32 v1, 0
	s_and_b64 vcc, exec, s[0:1]
	s_mov_b64 s[2:3], s[26:27]
	s_mov_b64 s[4:5], s[34:35]
	;; [unrolled: 1-line block ×4, first 2 shown]
	s_cbranch_vccnz .LBB569_71
; %bb.68:
	s_lshl_b32 s2, s40, 2
	s_sub_u32 s4, s34, s2
	s_subb_u32 s5, s35, 0
	s_sub_u32 s8, s38, s2
	s_subb_u32 s9, s39, 0
	s_sub_u32 s7, s18, s2
	s_mov_b32 s31, 0
	s_subb_u32 s11, s19, 0
	v_cmp_le_u64_e32 vcc, s[40:41], v[0:1]
	s_and_saveexec_b64 s[2:3], vcc
	s_cbranch_execz .LBB569_70
; %bb.69:
	v_lshlrev_b64 v[4:5], 2, v[0:1]
	v_mov_b32_e32 v3, s11
	v_add_co_u32_e32 v6, vcc, s7, v4
	v_addc_co_u32_e32 v7, vcc, v3, v5, vcc
	global_load_dword v3, v[6:7], off
	v_mov_b32_e32 v7, s9
	v_add_co_u32_e32 v6, vcc, s8, v4
	v_addc_co_u32_e32 v7, vcc, v7, v5, vcc
	global_load_dword v6, v[6:7], off
	v_mov_b32_e32 v7, s5
	v_add_co_u32_e32 v4, vcc, s4, v4
	v_addc_co_u32_e32 v5, vcc, v7, v5, vcc
	s_waitcnt vmcnt(0) lgkmcnt(0)
	v_fma_f32 v3, -v2, v6, v3
	global_store_dword v[4:5], v3, off
.LBB569_70:
	s_or_b64 exec, exec, s[2:3]
	s_add_u32 s2, s40, s26
	s_addc_u32 s3, 0, s27
	v_pk_mov_b32 v[4:5], s[30:31], s[30:31] op_sel:[0,1]
	v_cmp_lt_i64_e32 vcc, s[2:3], v[4:5]
	s_and_b64 s[12:13], vcc, exec
	s_cselect_b32 s12, s2, s30
	s_cselect_b32 s10, s3, 0
	s_sub_u32 s2, s2, s12
	s_subb_u32 s3, s3, s10
	s_lshl_b32 s10, s30, 2
	s_add_u32 s4, s4, s10
	s_addc_u32 s5, s5, 0
	s_add_u32 s8, s8, s10
	s_addc_u32 s9, s9, 0
	;; [unrolled: 2-line block ×3, first 2 shown]
.LBB569_71:
	s_load_dword s7, s[28:29], 0x0
	v_mov_b32_e32 v3, 0
	s_waitcnt lgkmcnt(0)
	s_cmp_lt_u32 s6, s7
	s_cselect_b32 s7, 12, 18
	s_add_u32 s12, s28, s7
	s_addc_u32 s13, s29, 0
	global_load_ushort v3, v3, s[12:13]
	s_mov_b32 s12, 0
	s_mov_b32 s13, s3
	s_waitcnt vmcnt(0)
	v_readfirstlane_b32 s7, v3
	s_and_b32 s7, 0xffff, s7
	s_lshl_b32 s7, s7, 2
	s_cmp_lg_u64 s[12:13], 0
	s_cbranch_scc0 .LBB569_94
; %bb.72:
	v_cvt_f32_u32_e32 v4, s7
	v_cvt_f32_ubyte0_e32 v5, 0
	s_sub_u32 s14, 0, s7
	s_subb_u32 s15, 0, 0
	v_madmk_f32 v4, v5, 0x4f800000, v4
	v_rcp_f32_e32 v4, v4
	v_mul_f32_e32 v4, 0x5f7ffffc, v4
	v_mul_f32_e32 v5, 0x2f800000, v4
	v_trunc_f32_e32 v5, v5
	v_madmk_f32 v4, v5, 0xcf800000, v4
	v_cvt_u32_f32_e32 v5, v5
	v_cvt_u32_f32_e32 v4, v4
	v_readfirstlane_b32 s16, v5
	v_readfirstlane_b32 s17, v4
	s_mul_i32 s20, s14, s16
	s_mul_hi_u32 s22, s14, s17
	s_mul_i32 s21, s15, s17
	s_add_i32 s20, s22, s20
	s_add_i32 s20, s20, s21
	s_mul_i32 s23, s14, s17
	s_mul_hi_u32 s21, s17, s20
	s_mul_i32 s22, s17, s20
	s_mul_hi_u32 s17, s17, s23
	s_add_u32 s17, s17, s22
	s_addc_u32 s21, 0, s21
	s_mul_hi_u32 s24, s16, s23
	s_mul_i32 s23, s16, s23
	s_add_u32 s17, s17, s23
	s_mul_hi_u32 s22, s16, s20
	s_addc_u32 s17, s21, s24
	s_addc_u32 s21, s22, 0
	s_mul_i32 s20, s16, s20
	s_add_u32 s17, s17, s20
	s_addc_u32 s20, 0, s21
	v_add_co_u32_e32 v4, vcc, s17, v4
	s_cmp_lg_u64 vcc, 0
	s_addc_u32 s16, s16, s20
	v_readfirstlane_b32 s20, v4
	s_mul_i32 s17, s14, s16
	s_mul_hi_u32 s21, s14, s20
	s_add_i32 s17, s21, s17
	s_mul_i32 s15, s15, s20
	s_add_i32 s17, s17, s15
	s_mul_i32 s14, s14, s20
	s_mul_hi_u32 s21, s16, s14
	s_mul_i32 s22, s16, s14
	s_mul_i32 s24, s20, s17
	s_mul_hi_u32 s14, s20, s14
	s_mul_hi_u32 s23, s20, s17
	s_add_u32 s14, s14, s24
	s_addc_u32 s20, 0, s23
	s_add_u32 s14, s14, s22
	s_mul_hi_u32 s15, s16, s17
	s_addc_u32 s14, s20, s21
	s_addc_u32 s15, s15, 0
	s_mul_i32 s17, s16, s17
	s_add_u32 s14, s14, s17
	s_addc_u32 s15, 0, s15
	v_add_co_u32_e32 v4, vcc, s14, v4
	s_cmp_lg_u64 vcc, 0
	s_addc_u32 s20, s16, s15
	s_ashr_i32 s14, s3, 31
	s_add_u32 s16, s2, s14
	s_mov_b32 s15, s14
	s_addc_u32 s17, s3, s14
	s_xor_b64 s[16:17], s[16:17], s[14:15]
	v_readfirstlane_b32 s22, v4
	s_mul_i32 s21, s16, s20
	s_mul_hi_u32 s23, s16, s22
	s_mul_hi_u32 s15, s16, s20
	s_add_u32 s21, s23, s21
	s_addc_u32 s15, 0, s15
	s_mul_hi_u32 s24, s17, s22
	s_mul_i32 s22, s17, s22
	s_add_u32 s21, s21, s22
	s_mul_hi_u32 s23, s17, s20
	s_addc_u32 s15, s15, s24
	s_addc_u32 s21, s23, 0
	s_mul_i32 s20, s17, s20
	s_add_u32 s15, s15, s20
	s_addc_u32 s20, 0, s21
	s_mul_hi_u32 s21, s7, s15
	s_mul_i32 s15, s7, s15
	s_mul_i32 s20, s7, s20
	v_mov_b32_e32 v4, s15
	s_add_i32 s21, s21, s20
	v_sub_co_u32_e32 v4, vcc, s16, v4
	s_cmp_lg_u64 vcc, 0
	s_subb_u32 s15, s17, s21
	v_subrev_co_u32_e32 v5, vcc, s7, v4
	s_cmp_lg_u64 vcc, 0
	s_subb_u32 s16, s15, 0
	v_subrev_co_u32_e32 v6, vcc, s7, v5
	s_cmp_lg_u64 vcc, 0
	s_subb_u32 s17, s16, 0
	v_cmp_le_u32_e32 vcc, s7, v5
	s_cmp_eq_u32 s16, 0
	v_cndmask_b32_e64 v7, 0, -1, vcc
	s_cselect_b64 vcc, -1, 0
	v_cndmask_b32_e32 v7, -1, v7, vcc
	v_mov_b32_e32 v8, s16
	v_mov_b32_e32 v9, s17
	v_cmp_ne_u32_e32 vcc, 0, v7
	v_cndmask_b32_e32 v7, v8, v9, vcc
	v_cndmask_b32_e32 v5, v5, v6, vcc
	v_cmp_le_u32_e32 vcc, s7, v4
	s_cmp_eq_u32 s15, 0
	v_cndmask_b32_e64 v6, 0, -1, vcc
	s_cselect_b64 vcc, -1, 0
	v_cndmask_b32_e32 v6, -1, v6, vcc
	v_cmp_ne_u32_e32 vcc, 0, v6
	v_mov_b32_e32 v8, s15
	v_cndmask_b32_e32 v4, v4, v5, vcc
	v_cndmask_b32_e32 v6, v8, v7, vcc
	v_xor_b32_e32 v4, s14, v4
	v_xor_b32_e32 v5, s14, v6
	v_mov_b32_e32 v6, s14
	v_subrev_co_u32_e32 v4, vcc, s14, v4
	v_subb_co_u32_e32 v5, vcc, v5, v6, vcc
	v_and_b32_e32 v10, 0xffff, v3
	s_cbranch_execnz .LBB569_74
.LBB569_73:
	v_cvt_f32_u32_e32 v3, s7
	s_sub_i32 s12, 0, s7
	v_mov_b32_e32 v5, 0
	v_rcp_iflag_f32_e32 v3, v3
	v_mul_f32_e32 v3, 0x4f7ffffe, v3
	v_cvt_u32_f32_e32 v3, v3
	v_mul_lo_u32 v4, s12, v3
	v_mul_hi_u32 v4, v3, v4
	v_add_u32_e32 v3, v3, v4
	v_mul_hi_u32 v3, s2, v3
	v_mul_lo_u32 v3, v3, s7
	v_sub_u32_e32 v3, s2, v3
	v_subrev_u32_e32 v4, s7, v3
	v_cmp_le_u32_e32 vcc, s7, v3
	v_cndmask_b32_e32 v3, v3, v4, vcc
	v_subrev_u32_e32 v4, s7, v3
	v_cmp_le_u32_e32 vcc, s7, v3
	v_cndmask_b32_e32 v4, v3, v4, vcc
.LBB569_74:
	v_mov_b32_e32 v3, s3
	v_sub_co_u32_e32 v4, vcc, s2, v4
	v_subb_co_u32_e32 v5, vcc, v3, v5, vcc
	v_lshlrev_b64 v[6:7], 2, v[0:1]
	v_cmp_lt_i64_e32 vcc, v[6:7], v[4:5]
	s_and_saveexec_b64 s[12:13], vcc
	s_cbranch_execz .LBB569_77
; %bb.75:
	v_lshlrev_b64 v[6:7], 4, v[0:1]
	v_mov_b32_e32 v3, v2
	v_or_b32_e32 v6, 8, v6
	v_lshlrev_b32_e32 v11, 4, v10
	s_mov_b64 s[14:15], 0
	v_mov_b32_e32 v12, s9
	v_mov_b32_e32 v13, s11
	;; [unrolled: 1-line block ×3, first 2 shown]
	v_pk_mov_b32 v[8:9], v[0:1], v[0:1] op_sel:[0,1]
.LBB569_76:                             ; =>This Inner Loop Header: Depth=1
	v_add_co_u32_e32 v24, vcc, s8, v6
	v_addc_co_u32_e32 v25, vcc, v12, v7, vcc
	v_add_co_u32_e32 v26, vcc, s10, v6
	v_addc_co_u32_e32 v27, vcc, v13, v7, vcc
	global_load_dwordx4 v[16:19], v[24:25], off offset:-8
	global_load_dwordx4 v[20:23], v[26:27], off offset:-8
	v_add_co_u32_e32 v24, vcc, s4, v6
	v_addc_co_u32_e32 v25, vcc, v14, v7, vcc
	v_add_co_u32_e32 v8, vcc, v8, v10
	v_addc_co_u32_e32 v9, vcc, 0, v9, vcc
	;; [unrolled: 2-line block ×3, first 2 shown]
	v_lshlrev_b64 v[26:27], 2, v[8:9]
	v_cmp_ge_i64_e32 vcc, v[26:27], v[4:5]
	s_or_b64 s[14:15], vcc, s[14:15]
	s_waitcnt vmcnt(0)
	v_pk_fma_f32 v[16:17], v[2:3], v[16:17], v[20:21] neg_lo:[1,0,0] neg_hi:[1,0,0]
	v_pk_fma_f32 v[18:19], v[2:3], v[18:19], v[22:23] neg_lo:[1,0,0] neg_hi:[1,0,0]
	global_store_dwordx4 v[24:25], v[16:19], off offset:-8
	s_andn2_b64 exec, exec, s[14:15]
	s_cbranch_execnz .LBB569_76
.LBB569_77:
	s_or_b64 exec, exec, s[12:13]
	v_add_co_u32_e32 v4, vcc, v4, v0
	v_addc_co_u32_e32 v5, vcc, 0, v5, vcc
	v_cmp_gt_i64_e32 vcc, s[2:3], v[4:5]
	s_and_saveexec_b64 s[12:13], vcc
	s_cbranch_execz .LBB569_80
; %bb.78:
	v_lshlrev_b64 v[6:7], 2, v[4:5]
	s_mov_b64 s[14:15], 0
	v_mov_b32_e32 v1, s11
	v_mov_b32_e32 v3, s9
	;; [unrolled: 1-line block ×3, first 2 shown]
.LBB569_79:                             ; =>This Inner Loop Header: Depth=1
	v_add_co_u32_e32 v12, vcc, s10, v6
	v_addc_co_u32_e32 v13, vcc, v1, v7, vcc
	v_add_co_u32_e32 v14, vcc, s8, v6
	v_addc_co_u32_e32 v15, vcc, v3, v7, vcc
	global_load_dword v9, v[12:13], off
	global_load_dword v11, v[14:15], off
	v_add_co_u32_e32 v12, vcc, s4, v6
	v_addc_co_u32_e32 v13, vcc, v8, v7, vcc
	v_add_co_u32_e32 v4, vcc, v4, v10
	v_addc_co_u32_e32 v5, vcc, 0, v5, vcc
	;; [unrolled: 2-line block ×3, first 2 shown]
	v_cmp_le_i64_e32 vcc, s[2:3], v[4:5]
	s_or_b64 s[14:15], vcc, s[14:15]
	s_waitcnt vmcnt(0)
	v_fma_f32 v9, -v2, v11, v9
	global_store_dword v[12:13], v9, off
	s_andn2_b64 exec, exec, s[14:15]
	s_cbranch_execnz .LBB569_79
.LBB569_80:
	s_or_b64 exec, exec, s[12:13]
	s_mov_b64 s[2:3], 0
.LBB569_81:
	s_and_b64 vcc, exec, s[2:3]
	s_cbranch_vccz .LBB569_93
; %bb.82:
	s_and_b64 vcc, exec, s[0:1]
	s_cbranch_vccnz .LBB569_86
; %bb.83:
	s_lshl_b32 s0, s40, 2
	s_sub_u32 s7, s34, s0
	s_subb_u32 s8, s35, 0
	s_sub_u32 s4, s38, s0
	s_subb_u32 s5, s39, 0
	s_sub_u32 s2, s18, s0
	s_subb_u32 s3, s19, 0
	v_cmp_le_u32_e32 vcc, s40, v0
	s_and_saveexec_b64 s[0:1], vcc
	s_cbranch_execz .LBB569_85
; %bb.84:
	v_mov_b32_e32 v1, 0
	v_lshlrev_b64 v[4:5], 2, v[0:1]
	v_mov_b32_e32 v1, s3
	v_add_co_u32_e32 v6, vcc, s2, v4
	v_addc_co_u32_e32 v7, vcc, v1, v5, vcc
	global_load_dword v1, v[6:7], off
	v_mov_b32_e32 v3, s5
	v_add_co_u32_e32 v6, vcc, s4, v4
	v_addc_co_u32_e32 v7, vcc, v3, v5, vcc
	global_load_dword v3, v[6:7], off
	v_mov_b32_e32 v6, s8
	v_add_co_u32_e32 v4, vcc, s7, v4
	v_addc_co_u32_e32 v5, vcc, v6, v5, vcc
	s_waitcnt vmcnt(0) lgkmcnt(0)
	v_fma_f32 v1, -v2, v3, v1
	global_store_dword v[4:5], v1, off
.LBB569_85:
	s_or_b64 exec, exec, s[0:1]
	s_add_i32 s0, s40, s26
	v_mov_b32_e32 v1, s30
	v_sub_u32_e64 v1, s0, v1 clamp
	s_lshl_b32 s0, s30, 2
	s_add_u32 s34, s7, s0
	s_addc_u32 s35, s8, 0
	s_add_u32 s38, s4, s0
	s_addc_u32 s39, s5, 0
	s_add_u32 s18, s2, s0
	v_readfirstlane_b32 s26, v1
	s_addc_u32 s19, s3, 0
.LBB569_86:
	s_load_dword s0, s[28:29], 0x0
	v_mov_b32_e32 v1, 0
	s_waitcnt lgkmcnt(0)
	s_cmp_lt_u32 s6, s0
	s_cselect_b32 s0, 12, 18
	s_add_u32 s0, s28, s0
	s_addc_u32 s1, s29, 0
	global_load_ushort v6, v1, s[0:1]
	s_waitcnt vmcnt(0)
	v_readfirstlane_b32 s0, v6
	s_lshl_b32 s0, s0, 2
	v_cvt_f32_u32_e32 v1, s0
	s_sub_i32 s1, 0, s0
	v_rcp_iflag_f32_e32 v1, v1
	v_mul_f32_e32 v1, 0x4f7ffffe, v1
	v_cvt_u32_f32_e32 v1, v1
	v_readfirstlane_b32 s2, v1
	s_mul_i32 s1, s1, s2
	s_mul_hi_u32 s1, s2, s1
	s_add_i32 s2, s2, s1
	s_mul_hi_u32 s1, s26, s2
	s_mul_i32 s1, s1, s0
	s_sub_i32 s1, s26, s1
	s_sub_i32 s2, s1, s0
	s_cmp_ge_u32 s1, s0
	s_cselect_b32 s1, s2, s1
	s_sub_i32 s2, s1, s0
	s_cmp_ge_u32 s1, s0
	s_cselect_b32 s0, s2, s1
	s_sub_i32 s4, s26, s0
	v_lshlrev_b32_e32 v1, 2, v0
	v_cmp_gt_i32_e32 vcc, s4, v1
	s_and_saveexec_b64 s[0:1], vcc
	s_cbranch_execz .LBB569_89
; %bb.87:
	v_mov_b32_e32 v3, v2
	s_mov_b64 s[2:3], 0
	v_mov_b32_e32 v1, s39
	v_mov_b32_e32 v7, s19
	;; [unrolled: 1-line block ×4, first 2 shown]
.LBB569_88:                             ; =>This Inner Loop Header: Depth=1
	v_ashrrev_i32_e32 v5, 31, v4
	v_lshlrev_b64 v[18:19], 4, v[4:5]
	v_add_co_u32_e32 v20, vcc, s38, v18
	v_addc_co_u32_e32 v21, vcc, v1, v19, vcc
	v_add_co_u32_e32 v22, vcc, s18, v18
	v_addc_co_u32_e32 v23, vcc, v7, v19, vcc
	global_load_dwordx4 v[10:13], v[20:21], off
	global_load_dwordx4 v[14:17], v[22:23], off
	v_add_u32_e32 v4, v4, v6
	v_add_co_u32_e32 v18, vcc, s34, v18
	v_addc_co_u32_e32 v19, vcc, v8, v19, vcc
	v_lshlrev_b32_e32 v5, 2, v4
	v_cmp_le_i32_e32 vcc, s4, v5
	s_or_b64 s[2:3], vcc, s[2:3]
	s_waitcnt vmcnt(0)
	v_pk_fma_f32 v[10:11], v[2:3], v[10:11], v[14:15] neg_lo:[1,0,0] neg_hi:[1,0,0]
	v_pk_fma_f32 v[12:13], v[2:3], v[12:13], v[16:17] neg_lo:[1,0,0] neg_hi:[1,0,0]
	global_store_dwordx4 v[18:19], v[10:13], off
	s_andn2_b64 exec, exec, s[2:3]
	s_cbranch_execnz .LBB569_88
.LBB569_89:
	s_or_b64 exec, exec, s[0:1]
	v_add_u32_e32 v0, s4, v0
	v_cmp_gt_i32_e32 vcc, s26, v0
	s_and_saveexec_b64 s[0:1], vcc
	s_cbranch_execz .LBB569_93
; %bb.90:
	s_mov_b64 s[0:1], 0
	v_mov_b32_e32 v3, s19
	v_mov_b32_e32 v4, s39
	;; [unrolled: 1-line block ×3, first 2 shown]
.LBB569_91:                             ; =>This Inner Loop Header: Depth=1
	v_ashrrev_i32_e32 v1, 31, v0
	v_lshlrev_b64 v[8:9], 2, v[0:1]
	v_add_co_u32_e32 v10, vcc, s18, v8
	v_addc_co_u32_e32 v11, vcc, v3, v9, vcc
	global_load_dword v1, v[10:11], off
	v_add_co_u32_e32 v10, vcc, s38, v8
	v_addc_co_u32_e32 v11, vcc, v4, v9, vcc
	global_load_dword v7, v[10:11], off
	v_add_co_u32_e32 v8, vcc, s34, v8
	v_add_u32_e32 v0, v0, v6
	v_addc_co_u32_e32 v9, vcc, v5, v9, vcc
	v_cmp_le_i32_e32 vcc, s26, v0
	s_or_b64 s[0:1], vcc, s[0:1]
	s_waitcnt vmcnt(0)
	v_fma_f32 v1, -v2, v7, v1
	global_store_dword v[8:9], v1, off
	s_andn2_b64 exec, exec, s[0:1]
	s_cbranch_execnz .LBB569_91
	s_branch .LBB569_93
.LBB569_92:
	s_cbranch_execz .LBB569_66
.LBB569_93:
	s_endpgm
.LBB569_94:
                                        ; implicit-def: $vgpr4_vgpr5
	v_and_b32_e32 v10, 0xffff, v3
	s_branch .LBB569_73
	.section	.rodata,"a",@progbits
	.p2align	6, 0x0
	.amdhsa_kernel _ZN2at6native12_GLOBAL__N_120cunn_SoftMaxBackwardILi4EfffNS1_23SoftMaxBackwardEpilogueEEEvPT0_PKT2_S8_l
		.amdhsa_group_segment_fixed_size 0
		.amdhsa_private_segment_fixed_size 0
		.amdhsa_kernarg_size 288
		.amdhsa_user_sgpr_count 6
		.amdhsa_user_sgpr_private_segment_buffer 1
		.amdhsa_user_sgpr_dispatch_ptr 0
		.amdhsa_user_sgpr_queue_ptr 0
		.amdhsa_user_sgpr_kernarg_segment_ptr 1
		.amdhsa_user_sgpr_dispatch_id 0
		.amdhsa_user_sgpr_flat_scratch_init 0
		.amdhsa_user_sgpr_kernarg_preload_length 0
		.amdhsa_user_sgpr_kernarg_preload_offset 0
		.amdhsa_user_sgpr_private_segment_size 0
		.amdhsa_uses_dynamic_stack 0
		.amdhsa_system_sgpr_private_segment_wavefront_offset 0
		.amdhsa_system_sgpr_workgroup_id_x 1
		.amdhsa_system_sgpr_workgroup_id_y 0
		.amdhsa_system_sgpr_workgroup_id_z 0
		.amdhsa_system_sgpr_workgroup_info 0
		.amdhsa_system_vgpr_workitem_id 0
		.amdhsa_next_free_vgpr 37
		.amdhsa_next_free_sgpr 73
		.amdhsa_accum_offset 40
		.amdhsa_reserve_vcc 1
		.amdhsa_reserve_flat_scratch 0
		.amdhsa_float_round_mode_32 0
		.amdhsa_float_round_mode_16_64 0
		.amdhsa_float_denorm_mode_32 3
		.amdhsa_float_denorm_mode_16_64 3
		.amdhsa_dx10_clamp 1
		.amdhsa_ieee_mode 1
		.amdhsa_fp16_overflow 0
		.amdhsa_tg_split 0
		.amdhsa_exception_fp_ieee_invalid_op 0
		.amdhsa_exception_fp_denorm_src 0
		.amdhsa_exception_fp_ieee_div_zero 0
		.amdhsa_exception_fp_ieee_overflow 0
		.amdhsa_exception_fp_ieee_underflow 0
		.amdhsa_exception_fp_ieee_inexact 0
		.amdhsa_exception_int_div_zero 0
	.end_amdhsa_kernel
	.section	.text._ZN2at6native12_GLOBAL__N_120cunn_SoftMaxBackwardILi4EfffNS1_23SoftMaxBackwardEpilogueEEEvPT0_PKT2_S8_l,"axG",@progbits,_ZN2at6native12_GLOBAL__N_120cunn_SoftMaxBackwardILi4EfffNS1_23SoftMaxBackwardEpilogueEEEvPT0_PKT2_S8_l,comdat
.Lfunc_end569:
	.size	_ZN2at6native12_GLOBAL__N_120cunn_SoftMaxBackwardILi4EfffNS1_23SoftMaxBackwardEpilogueEEEvPT0_PKT2_S8_l, .Lfunc_end569-_ZN2at6native12_GLOBAL__N_120cunn_SoftMaxBackwardILi4EfffNS1_23SoftMaxBackwardEpilogueEEEvPT0_PKT2_S8_l
                                        ; -- End function
	.section	.AMDGPU.csdata,"",@progbits
; Kernel info:
; codeLenInByte = 6160
; NumSgprs: 77
; NumVgprs: 37
; NumAgprs: 0
; TotalNumVgprs: 37
; ScratchSize: 0
; MemoryBound: 0
; FloatMode: 240
; IeeeMode: 1
; LDSByteSize: 0 bytes/workgroup (compile time only)
; SGPRBlocks: 9
; VGPRBlocks: 4
; NumSGPRsForWavesPerEU: 77
; NumVGPRsForWavesPerEU: 37
; AccumOffset: 40
; Occupancy: 8
; WaveLimiterHint : 0
; COMPUTE_PGM_RSRC2:SCRATCH_EN: 0
; COMPUTE_PGM_RSRC2:USER_SGPR: 6
; COMPUTE_PGM_RSRC2:TRAP_HANDLER: 0
; COMPUTE_PGM_RSRC2:TGID_X_EN: 1
; COMPUTE_PGM_RSRC2:TGID_Y_EN: 0
; COMPUTE_PGM_RSRC2:TGID_Z_EN: 0
; COMPUTE_PGM_RSRC2:TIDIG_COMP_CNT: 0
; COMPUTE_PGM_RSRC3_GFX90A:ACCUM_OFFSET: 9
; COMPUTE_PGM_RSRC3_GFX90A:TG_SPLIT: 0
	.section	.text._ZN12_GLOBAL__N_121softmax_warp_backwardIN3c104HalfES2_fLi0ELb0ELb0ELi64EEEvPT0_PKT_S7_iiiPKb,"axG",@progbits,_ZN12_GLOBAL__N_121softmax_warp_backwardIN3c104HalfES2_fLi0ELb0ELb0ELi64EEEvPT0_PKT_S7_iiiPKb,comdat
	.globl	_ZN12_GLOBAL__N_121softmax_warp_backwardIN3c104HalfES2_fLi0ELb0ELb0ELi64EEEvPT0_PKT_S7_iiiPKb ; -- Begin function _ZN12_GLOBAL__N_121softmax_warp_backwardIN3c104HalfES2_fLi0ELb0ELb0ELi64EEEvPT0_PKT_S7_iiiPKb
	.p2align	8
	.type	_ZN12_GLOBAL__N_121softmax_warp_backwardIN3c104HalfES2_fLi0ELb0ELb0ELi64EEEvPT0_PKT_S7_iiiPKb,@function
_ZN12_GLOBAL__N_121softmax_warp_backwardIN3c104HalfES2_fLi0ELb0ELb0ELi64EEEvPT0_PKT_S7_iiiPKb: ; @_ZN12_GLOBAL__N_121softmax_warp_backwardIN3c104HalfES2_fLi0ELb0ELb0ELi64EEEvPT0_PKT_S7_iiiPKb
; %bb.0:
	s_load_dword s2, s[4:5], 0x3c
	s_load_dwordx4 s[8:11], s[4:5], 0x18
	s_load_dwordx4 s[12:15], s[4:5], 0x0
	s_load_dwordx2 s[0:1], s[4:5], 0x10
	v_bfe_u32 v0, v0, 10, 10
	s_waitcnt lgkmcnt(0)
	s_lshr_b32 s2, s2, 16
	s_mul_i32 s6, s6, s2
	v_add_lshl_u32 v0, s6, v0, 1
	v_sub_u32_e32 v6, s8, v0
	v_mul_lo_u32 v0, v0, s9
	v_ashrrev_i32_e32 v1, 31, v0
	v_lshlrev_b64 v[0:1], 1, v[0:1]
	v_mov_b32_e32 v3, s15
	v_add_co_u32_e32 v2, vcc, s14, v0
	v_addc_co_u32_e32 v3, vcc, v3, v1, vcc
	v_mov_b32_e32 v5, s1
	v_add_co_u32_e32 v4, vcc, s0, v0
	v_addc_co_u32_e32 v5, vcc, v5, v1, vcc
	s_cmp_gt_i32 s10, 0
	s_cselect_b64 s[2:3], -1, 0
	v_cmp_lt_i32_e32 vcc, 0, v6
	s_and_b64 s[4:5], s[2:3], vcc
	v_mov_b32_e32 v7, 0
	v_mov_b32_e32 v8, 0
	;; [unrolled: 1-line block ×3, first 2 shown]
	s_and_saveexec_b64 s[0:1], s[4:5]
	s_cbranch_execz .LBB570_2
; %bb.1:
	global_load_ushort v8, v[2:3], off
	global_load_ushort v9, v[4:5], off
	s_waitcnt vmcnt(1)
	v_cvt_f32_f16_e32 v8, v8
	s_waitcnt vmcnt(0)
	v_cvt_f32_f16_e32 v9, v9
.LBB570_2:
	s_or_b64 exec, exec, s[0:1]
	v_cmp_lt_i32_e64 s[0:1], 1, v6
	s_and_b64 s[0:1], s[2:3], s[0:1]
	s_mov_b32 s11, 0
	v_mov_b32_e32 v10, 0
	s_and_saveexec_b64 s[4:5], s[0:1]
	s_cbranch_execz .LBB570_4
; %bb.3:
	s_lshl_b64 s[6:7], s[10:11], 1
	v_mov_b32_e32 v7, s7
	v_add_co_u32_e64 v2, s[0:1], s6, v2
	v_addc_co_u32_e64 v3, s[0:1], v3, v7, s[0:1]
	global_load_ushort v10, v[2:3], off
	v_add_co_u32_e64 v2, s[0:1], s6, v4
	v_addc_co_u32_e64 v3, s[0:1], v5, v7, s[0:1]
	global_load_ushort v2, v[2:3], off
	s_waitcnt vmcnt(1)
	v_cvt_f32_f16_e32 v7, v10
	s_waitcnt vmcnt(0)
	v_cvt_f32_f16_e32 v10, v2
.LBB570_4:
	s_or_b64 exec, exec, s[4:5]
	s_and_saveexec_b64 s[0:1], vcc
	s_cbranch_execz .LBB570_10
; %bb.5:
	v_mov_b32_e32 v2, s13
	v_cndmask_b32_e64 v3, 0, 1, s[2:3]
	s_andn2_b64 vcc, exec, s[2:3]
	v_add_co_u32_e64 v0, s[2:3], s12, v0
	v_cmp_ne_u32_e64 s[0:1], 1, v3
	v_addc_co_u32_e64 v1, s[2:3], v2, v1, s[2:3]
	s_cbranch_vccnz .LBB570_7
; %bb.6:
	v_add_f32_e32 v2, 0, v8
	v_fma_mixlo_f16 v2, -v2, v9, v8
	global_store_short v[0:1], v2, off
.LBB570_7:
	v_cmp_ne_u32_e32 vcc, 1, v6
	s_and_b64 exec, exec, vcc
	s_cbranch_execz .LBB570_10
; %bb.8:
	s_and_b64 vcc, exec, s[0:1]
	s_cbranch_vccnz .LBB570_10
; %bb.9:
	s_lshl_b64 s[0:1], s[10:11], 1
	v_add_f32_e32 v2, 0, v7
	v_mov_b32_e32 v3, s1
	v_add_co_u32_e32 v0, vcc, s0, v0
	v_fma_mixlo_f16 v2, -v2, v10, v7
	v_addc_co_u32_e32 v1, vcc, v1, v3, vcc
	global_store_short v[0:1], v2, off
.LBB570_10:
	s_endpgm
	.section	.rodata,"a",@progbits
	.p2align	6, 0x0
	.amdhsa_kernel _ZN12_GLOBAL__N_121softmax_warp_backwardIN3c104HalfES2_fLi0ELb0ELb0ELi64EEEvPT0_PKT_S7_iiiPKb
		.amdhsa_group_segment_fixed_size 0
		.amdhsa_private_segment_fixed_size 0
		.amdhsa_kernarg_size 304
		.amdhsa_user_sgpr_count 6
		.amdhsa_user_sgpr_private_segment_buffer 1
		.amdhsa_user_sgpr_dispatch_ptr 0
		.amdhsa_user_sgpr_queue_ptr 0
		.amdhsa_user_sgpr_kernarg_segment_ptr 1
		.amdhsa_user_sgpr_dispatch_id 0
		.amdhsa_user_sgpr_flat_scratch_init 0
		.amdhsa_user_sgpr_kernarg_preload_length 0
		.amdhsa_user_sgpr_kernarg_preload_offset 0
		.amdhsa_user_sgpr_private_segment_size 0
		.amdhsa_uses_dynamic_stack 0
		.amdhsa_system_sgpr_private_segment_wavefront_offset 0
		.amdhsa_system_sgpr_workgroup_id_x 1
		.amdhsa_system_sgpr_workgroup_id_y 0
		.amdhsa_system_sgpr_workgroup_id_z 0
		.amdhsa_system_sgpr_workgroup_info 0
		.amdhsa_system_vgpr_workitem_id 1
		.amdhsa_next_free_vgpr 11
		.amdhsa_next_free_sgpr 16
		.amdhsa_accum_offset 12
		.amdhsa_reserve_vcc 1
		.amdhsa_reserve_flat_scratch 0
		.amdhsa_float_round_mode_32 0
		.amdhsa_float_round_mode_16_64 0
		.amdhsa_float_denorm_mode_32 3
		.amdhsa_float_denorm_mode_16_64 3
		.amdhsa_dx10_clamp 1
		.amdhsa_ieee_mode 1
		.amdhsa_fp16_overflow 0
		.amdhsa_tg_split 0
		.amdhsa_exception_fp_ieee_invalid_op 0
		.amdhsa_exception_fp_denorm_src 0
		.amdhsa_exception_fp_ieee_div_zero 0
		.amdhsa_exception_fp_ieee_overflow 0
		.amdhsa_exception_fp_ieee_underflow 0
		.amdhsa_exception_fp_ieee_inexact 0
		.amdhsa_exception_int_div_zero 0
	.end_amdhsa_kernel
	.section	.text._ZN12_GLOBAL__N_121softmax_warp_backwardIN3c104HalfES2_fLi0ELb0ELb0ELi64EEEvPT0_PKT_S7_iiiPKb,"axG",@progbits,_ZN12_GLOBAL__N_121softmax_warp_backwardIN3c104HalfES2_fLi0ELb0ELb0ELi64EEEvPT0_PKT_S7_iiiPKb,comdat
.Lfunc_end570:
	.size	_ZN12_GLOBAL__N_121softmax_warp_backwardIN3c104HalfES2_fLi0ELb0ELb0ELi64EEEvPT0_PKT_S7_iiiPKb, .Lfunc_end570-_ZN12_GLOBAL__N_121softmax_warp_backwardIN3c104HalfES2_fLi0ELb0ELb0ELi64EEEvPT0_PKT_S7_iiiPKb
                                        ; -- End function
	.section	.AMDGPU.csdata,"",@progbits
; Kernel info:
; codeLenInByte = 416
; NumSgprs: 20
; NumVgprs: 11
; NumAgprs: 0
; TotalNumVgprs: 11
; ScratchSize: 0
; MemoryBound: 0
; FloatMode: 240
; IeeeMode: 1
; LDSByteSize: 0 bytes/workgroup (compile time only)
; SGPRBlocks: 2
; VGPRBlocks: 1
; NumSGPRsForWavesPerEU: 20
; NumVGPRsForWavesPerEU: 11
; AccumOffset: 12
; Occupancy: 8
; WaveLimiterHint : 0
; COMPUTE_PGM_RSRC2:SCRATCH_EN: 0
; COMPUTE_PGM_RSRC2:USER_SGPR: 6
; COMPUTE_PGM_RSRC2:TRAP_HANDLER: 0
; COMPUTE_PGM_RSRC2:TGID_X_EN: 1
; COMPUTE_PGM_RSRC2:TGID_Y_EN: 0
; COMPUTE_PGM_RSRC2:TGID_Z_EN: 0
; COMPUTE_PGM_RSRC2:TIDIG_COMP_CNT: 1
; COMPUTE_PGM_RSRC3_GFX90A:ACCUM_OFFSET: 2
; COMPUTE_PGM_RSRC3_GFX90A:TG_SPLIT: 0
	.section	.text._ZN12_GLOBAL__N_121softmax_warp_backwardIN3c104HalfES2_fLi0ELb0ELb0ELi32EEEvPT0_PKT_S7_iiiPKb,"axG",@progbits,_ZN12_GLOBAL__N_121softmax_warp_backwardIN3c104HalfES2_fLi0ELb0ELb0ELi32EEEvPT0_PKT_S7_iiiPKb,comdat
	.globl	_ZN12_GLOBAL__N_121softmax_warp_backwardIN3c104HalfES2_fLi0ELb0ELb0ELi32EEEvPT0_PKT_S7_iiiPKb ; -- Begin function _ZN12_GLOBAL__N_121softmax_warp_backwardIN3c104HalfES2_fLi0ELb0ELb0ELi32EEEvPT0_PKT_S7_iiiPKb
	.p2align	8
	.type	_ZN12_GLOBAL__N_121softmax_warp_backwardIN3c104HalfES2_fLi0ELb0ELb0ELi32EEEvPT0_PKT_S7_iiiPKb,@function
_ZN12_GLOBAL__N_121softmax_warp_backwardIN3c104HalfES2_fLi0ELb0ELb0ELi32EEEvPT0_PKT_S7_iiiPKb: ; @_ZN12_GLOBAL__N_121softmax_warp_backwardIN3c104HalfES2_fLi0ELb0ELb0ELi32EEEvPT0_PKT_S7_iiiPKb
; %bb.0:
	s_load_dword s2, s[4:5], 0x3c
	s_load_dwordx4 s[8:11], s[4:5], 0x18
	s_load_dwordx4 s[12:15], s[4:5], 0x0
	s_load_dwordx2 s[0:1], s[4:5], 0x10
	v_bfe_u32 v0, v0, 10, 10
	s_waitcnt lgkmcnt(0)
	s_lshr_b32 s2, s2, 16
	s_mul_i32 s6, s6, s2
	v_add_lshl_u32 v0, s6, v0, 1
	v_sub_u32_e32 v6, s8, v0
	v_mul_lo_u32 v0, v0, s9
	v_ashrrev_i32_e32 v1, 31, v0
	v_lshlrev_b64 v[0:1], 1, v[0:1]
	v_mov_b32_e32 v3, s15
	v_add_co_u32_e32 v2, vcc, s14, v0
	v_addc_co_u32_e32 v3, vcc, v3, v1, vcc
	v_mov_b32_e32 v5, s1
	v_add_co_u32_e32 v4, vcc, s0, v0
	v_addc_co_u32_e32 v5, vcc, v5, v1, vcc
	s_cmp_gt_i32 s10, 0
	s_cselect_b64 s[2:3], -1, 0
	v_cmp_lt_i32_e32 vcc, 0, v6
	s_and_b64 s[4:5], s[2:3], vcc
	v_mov_b32_e32 v7, 0
	v_mov_b32_e32 v8, 0
	;; [unrolled: 1-line block ×3, first 2 shown]
	s_and_saveexec_b64 s[0:1], s[4:5]
	s_cbranch_execz .LBB571_2
; %bb.1:
	global_load_ushort v8, v[2:3], off
	global_load_ushort v9, v[4:5], off
	s_waitcnt vmcnt(1)
	v_cvt_f32_f16_e32 v8, v8
	s_waitcnt vmcnt(0)
	v_cvt_f32_f16_e32 v9, v9
.LBB571_2:
	s_or_b64 exec, exec, s[0:1]
	v_cmp_lt_i32_e64 s[0:1], 1, v6
	s_and_b64 s[0:1], s[2:3], s[0:1]
	s_mov_b32 s11, 0
	v_mov_b32_e32 v10, 0
	s_and_saveexec_b64 s[4:5], s[0:1]
	s_cbranch_execz .LBB571_4
; %bb.3:
	s_lshl_b64 s[6:7], s[10:11], 1
	v_mov_b32_e32 v7, s7
	v_add_co_u32_e64 v2, s[0:1], s6, v2
	v_addc_co_u32_e64 v3, s[0:1], v3, v7, s[0:1]
	global_load_ushort v10, v[2:3], off
	v_add_co_u32_e64 v2, s[0:1], s6, v4
	v_addc_co_u32_e64 v3, s[0:1], v5, v7, s[0:1]
	global_load_ushort v2, v[2:3], off
	s_waitcnt vmcnt(1)
	v_cvt_f32_f16_e32 v7, v10
	s_waitcnt vmcnt(0)
	v_cvt_f32_f16_e32 v10, v2
.LBB571_4:
	s_or_b64 exec, exec, s[4:5]
	s_and_saveexec_b64 s[0:1], vcc
	s_cbranch_execz .LBB571_10
; %bb.5:
	v_mov_b32_e32 v2, s13
	v_cndmask_b32_e64 v3, 0, 1, s[2:3]
	s_andn2_b64 vcc, exec, s[2:3]
	v_add_co_u32_e64 v0, s[2:3], s12, v0
	v_cmp_ne_u32_e64 s[0:1], 1, v3
	v_addc_co_u32_e64 v1, s[2:3], v2, v1, s[2:3]
	s_cbranch_vccnz .LBB571_7
; %bb.6:
	v_add_f32_e32 v2, 0, v8
	v_fma_mixlo_f16 v2, -v2, v9, v8
	global_store_short v[0:1], v2, off
.LBB571_7:
	v_cmp_ne_u32_e32 vcc, 1, v6
	s_and_b64 exec, exec, vcc
	s_cbranch_execz .LBB571_10
; %bb.8:
	s_and_b64 vcc, exec, s[0:1]
	s_cbranch_vccnz .LBB571_10
; %bb.9:
	s_lshl_b64 s[0:1], s[10:11], 1
	v_add_f32_e32 v2, 0, v7
	v_mov_b32_e32 v3, s1
	v_add_co_u32_e32 v0, vcc, s0, v0
	v_fma_mixlo_f16 v2, -v2, v10, v7
	v_addc_co_u32_e32 v1, vcc, v1, v3, vcc
	global_store_short v[0:1], v2, off
.LBB571_10:
	s_endpgm
	.section	.rodata,"a",@progbits
	.p2align	6, 0x0
	.amdhsa_kernel _ZN12_GLOBAL__N_121softmax_warp_backwardIN3c104HalfES2_fLi0ELb0ELb0ELi32EEEvPT0_PKT_S7_iiiPKb
		.amdhsa_group_segment_fixed_size 0
		.amdhsa_private_segment_fixed_size 0
		.amdhsa_kernarg_size 304
		.amdhsa_user_sgpr_count 6
		.amdhsa_user_sgpr_private_segment_buffer 1
		.amdhsa_user_sgpr_dispatch_ptr 0
		.amdhsa_user_sgpr_queue_ptr 0
		.amdhsa_user_sgpr_kernarg_segment_ptr 1
		.amdhsa_user_sgpr_dispatch_id 0
		.amdhsa_user_sgpr_flat_scratch_init 0
		.amdhsa_user_sgpr_kernarg_preload_length 0
		.amdhsa_user_sgpr_kernarg_preload_offset 0
		.amdhsa_user_sgpr_private_segment_size 0
		.amdhsa_uses_dynamic_stack 0
		.amdhsa_system_sgpr_private_segment_wavefront_offset 0
		.amdhsa_system_sgpr_workgroup_id_x 1
		.amdhsa_system_sgpr_workgroup_id_y 0
		.amdhsa_system_sgpr_workgroup_id_z 0
		.amdhsa_system_sgpr_workgroup_info 0
		.amdhsa_system_vgpr_workitem_id 1
		.amdhsa_next_free_vgpr 11
		.amdhsa_next_free_sgpr 16
		.amdhsa_accum_offset 12
		.amdhsa_reserve_vcc 1
		.amdhsa_reserve_flat_scratch 0
		.amdhsa_float_round_mode_32 0
		.amdhsa_float_round_mode_16_64 0
		.amdhsa_float_denorm_mode_32 3
		.amdhsa_float_denorm_mode_16_64 3
		.amdhsa_dx10_clamp 1
		.amdhsa_ieee_mode 1
		.amdhsa_fp16_overflow 0
		.amdhsa_tg_split 0
		.amdhsa_exception_fp_ieee_invalid_op 0
		.amdhsa_exception_fp_denorm_src 0
		.amdhsa_exception_fp_ieee_div_zero 0
		.amdhsa_exception_fp_ieee_overflow 0
		.amdhsa_exception_fp_ieee_underflow 0
		.amdhsa_exception_fp_ieee_inexact 0
		.amdhsa_exception_int_div_zero 0
	.end_amdhsa_kernel
	.section	.text._ZN12_GLOBAL__N_121softmax_warp_backwardIN3c104HalfES2_fLi0ELb0ELb0ELi32EEEvPT0_PKT_S7_iiiPKb,"axG",@progbits,_ZN12_GLOBAL__N_121softmax_warp_backwardIN3c104HalfES2_fLi0ELb0ELb0ELi32EEEvPT0_PKT_S7_iiiPKb,comdat
.Lfunc_end571:
	.size	_ZN12_GLOBAL__N_121softmax_warp_backwardIN3c104HalfES2_fLi0ELb0ELb0ELi32EEEvPT0_PKT_S7_iiiPKb, .Lfunc_end571-_ZN12_GLOBAL__N_121softmax_warp_backwardIN3c104HalfES2_fLi0ELb0ELb0ELi32EEEvPT0_PKT_S7_iiiPKb
                                        ; -- End function
	.section	.AMDGPU.csdata,"",@progbits
; Kernel info:
; codeLenInByte = 416
; NumSgprs: 20
; NumVgprs: 11
; NumAgprs: 0
; TotalNumVgprs: 11
; ScratchSize: 0
; MemoryBound: 0
; FloatMode: 240
; IeeeMode: 1
; LDSByteSize: 0 bytes/workgroup (compile time only)
; SGPRBlocks: 2
; VGPRBlocks: 1
; NumSGPRsForWavesPerEU: 20
; NumVGPRsForWavesPerEU: 11
; AccumOffset: 12
; Occupancy: 8
; WaveLimiterHint : 0
; COMPUTE_PGM_RSRC2:SCRATCH_EN: 0
; COMPUTE_PGM_RSRC2:USER_SGPR: 6
; COMPUTE_PGM_RSRC2:TRAP_HANDLER: 0
; COMPUTE_PGM_RSRC2:TGID_X_EN: 1
; COMPUTE_PGM_RSRC2:TGID_Y_EN: 0
; COMPUTE_PGM_RSRC2:TGID_Z_EN: 0
; COMPUTE_PGM_RSRC2:TIDIG_COMP_CNT: 1
; COMPUTE_PGM_RSRC3_GFX90A:ACCUM_OFFSET: 2
; COMPUTE_PGM_RSRC3_GFX90A:TG_SPLIT: 0
	.section	.text._ZN12_GLOBAL__N_121softmax_warp_backwardIN3c104HalfES2_fLi1ELb0ELb0ELi64EEEvPT0_PKT_S7_iiiPKb,"axG",@progbits,_ZN12_GLOBAL__N_121softmax_warp_backwardIN3c104HalfES2_fLi1ELb0ELb0ELi64EEEvPT0_PKT_S7_iiiPKb,comdat
	.globl	_ZN12_GLOBAL__N_121softmax_warp_backwardIN3c104HalfES2_fLi1ELb0ELb0ELi64EEEvPT0_PKT_S7_iiiPKb ; -- Begin function _ZN12_GLOBAL__N_121softmax_warp_backwardIN3c104HalfES2_fLi1ELb0ELb0ELi64EEEvPT0_PKT_S7_iiiPKb
	.p2align	8
	.type	_ZN12_GLOBAL__N_121softmax_warp_backwardIN3c104HalfES2_fLi1ELb0ELb0ELi64EEEvPT0_PKT_S7_iiiPKb,@function
_ZN12_GLOBAL__N_121softmax_warp_backwardIN3c104HalfES2_fLi1ELb0ELb0ELi64EEEvPT0_PKT_S7_iiiPKb: ; @_ZN12_GLOBAL__N_121softmax_warp_backwardIN3c104HalfES2_fLi1ELb0ELb0ELi64EEEvPT0_PKT_S7_iiiPKb
; %bb.0:
	s_load_dword s2, s[4:5], 0x3c
	s_load_dwordx4 s[8:11], s[4:5], 0x18
	s_load_dwordx4 s[12:15], s[4:5], 0x0
	s_load_dwordx2 s[0:1], s[4:5], 0x10
	v_bfe_u32 v1, v0, 10, 10
	s_waitcnt lgkmcnt(0)
	s_lshr_b32 s2, s2, 16
	s_mul_i32 s6, s6, s2
	v_add_lshl_u32 v1, s6, v1, 1
	v_sub_u32_e32 v8, s8, v1
	v_mul_lo_u32 v1, v1, s9
	v_and_b32_e32 v9, 1, v0
	v_or_b32_e32 v0, v1, v9
	v_ashrrev_i32_e32 v1, 31, v0
	v_lshlrev_b64 v[2:3], 1, v[0:1]
	v_mov_b32_e32 v0, s15
	v_add_co_u32_e32 v4, vcc, s14, v2
	v_addc_co_u32_e32 v5, vcc, v0, v3, vcc
	v_mov_b32_e32 v0, s1
	v_add_co_u32_e32 v6, vcc, s0, v2
	v_addc_co_u32_e32 v7, vcc, v0, v3, vcc
	v_cmp_gt_i32_e32 vcc, s10, v9
	v_cmp_lt_i32_e64 s[0:1], 0, v8
	s_and_b64 s[4:5], vcc, s[0:1]
	v_mov_b32_e32 v1, 0
	v_mov_b32_e32 v0, 0
	v_mov_b32_e32 v9, 0
	s_and_saveexec_b64 s[2:3], s[4:5]
	s_cbranch_execz .LBB572_2
; %bb.1:
	global_load_ushort v0, v[4:5], off
	global_load_ushort v9, v[6:7], off
	s_waitcnt vmcnt(1)
	v_cvt_f32_f16_e32 v0, v0
	s_waitcnt vmcnt(0)
	v_cvt_f32_f16_e32 v9, v9
.LBB572_2:
	s_or_b64 exec, exec, s[2:3]
	v_cmp_lt_i32_e64 s[2:3], 1, v8
	s_and_b64 s[2:3], vcc, s[2:3]
	s_mov_b32 s11, 0
	v_mov_b32_e32 v10, 0
	s_and_saveexec_b64 s[4:5], s[2:3]
	s_cbranch_execz .LBB572_4
; %bb.3:
	s_lshl_b64 s[6:7], s[10:11], 1
	v_mov_b32_e32 v1, s7
	v_add_co_u32_e64 v4, s[2:3], s6, v4
	v_addc_co_u32_e64 v5, s[2:3], v5, v1, s[2:3]
	global_load_ushort v10, v[4:5], off
	v_add_co_u32_e64 v4, s[2:3], s6, v6
	v_addc_co_u32_e64 v5, s[2:3], v7, v1, s[2:3]
	global_load_ushort v4, v[4:5], off
	s_waitcnt vmcnt(1)
	v_cvt_f32_f16_e32 v1, v10
	s_waitcnt vmcnt(0)
	v_cvt_f32_f16_e32 v10, v4
.LBB572_4:
	s_or_b64 exec, exec, s[4:5]
	v_mbcnt_lo_u32_b32 v6, -1, 0
	v_mbcnt_hi_u32_b32 v6, -1, v6
	v_and_b32_e32 v11, 0x7e, v6
	v_xor_b32_e32 v7, 1, v6
	v_add_u32_e32 v11, 2, v11
	v_cmp_lt_i32_e64 s[2:3], v7, v11
	v_cndmask_b32_e64 v6, v6, v7, s[2:3]
	v_pk_add_f32 v[4:5], v[0:1], 0 op_sel_hi:[1,0]
	v_lshlrev_b32_e32 v7, 2, v6
	ds_bpermute_b32 v6, v7, v4
	ds_bpermute_b32 v7, v7, v5
	s_and_saveexec_b64 s[2:3], s[0:1]
	s_cbranch_execz .LBB572_10
; %bb.5:
	v_mov_b32_e32 v11, s13
	v_add_co_u32_e64 v2, s[0:1], s12, v2
	v_addc_co_u32_e64 v3, s[0:1], v11, v3, s[0:1]
	s_waitcnt lgkmcnt(0)
	v_pk_add_f32 v[4:5], v[4:5], v[6:7]
	s_and_saveexec_b64 s[0:1], vcc
	s_cbranch_execz .LBB572_7
; %bb.6:
	v_fma_mixlo_f16 v0, -v4, v9, v0
	global_store_short v[2:3], v0, off
.LBB572_7:
	s_or_b64 exec, exec, s[0:1]
	v_cmp_ne_u32_e64 s[0:1], 1, v8
	s_and_b64 exec, exec, s[0:1]
	s_cbranch_execz .LBB572_10
; %bb.8:
	s_and_b64 exec, exec, vcc
	s_cbranch_execz .LBB572_10
; %bb.9:
	s_lshl_b64 s[0:1], s[10:11], 1
	v_fma_mixlo_f16 v4, -v5, v10, v1
	v_mov_b32_e32 v1, s1
	v_add_co_u32_e32 v0, vcc, s0, v2
	v_addc_co_u32_e32 v1, vcc, v3, v1, vcc
	global_store_short v[0:1], v4, off
.LBB572_10:
	s_endpgm
	.section	.rodata,"a",@progbits
	.p2align	6, 0x0
	.amdhsa_kernel _ZN12_GLOBAL__N_121softmax_warp_backwardIN3c104HalfES2_fLi1ELb0ELb0ELi64EEEvPT0_PKT_S7_iiiPKb
		.amdhsa_group_segment_fixed_size 0
		.amdhsa_private_segment_fixed_size 0
		.amdhsa_kernarg_size 304
		.amdhsa_user_sgpr_count 6
		.amdhsa_user_sgpr_private_segment_buffer 1
		.amdhsa_user_sgpr_dispatch_ptr 0
		.amdhsa_user_sgpr_queue_ptr 0
		.amdhsa_user_sgpr_kernarg_segment_ptr 1
		.amdhsa_user_sgpr_dispatch_id 0
		.amdhsa_user_sgpr_flat_scratch_init 0
		.amdhsa_user_sgpr_kernarg_preload_length 0
		.amdhsa_user_sgpr_kernarg_preload_offset 0
		.amdhsa_user_sgpr_private_segment_size 0
		.amdhsa_uses_dynamic_stack 0
		.amdhsa_system_sgpr_private_segment_wavefront_offset 0
		.amdhsa_system_sgpr_workgroup_id_x 1
		.amdhsa_system_sgpr_workgroup_id_y 0
		.amdhsa_system_sgpr_workgroup_id_z 0
		.amdhsa_system_sgpr_workgroup_info 0
		.amdhsa_system_vgpr_workitem_id 1
		.amdhsa_next_free_vgpr 12
		.amdhsa_next_free_sgpr 16
		.amdhsa_accum_offset 12
		.amdhsa_reserve_vcc 1
		.amdhsa_reserve_flat_scratch 0
		.amdhsa_float_round_mode_32 0
		.amdhsa_float_round_mode_16_64 0
		.amdhsa_float_denorm_mode_32 3
		.amdhsa_float_denorm_mode_16_64 3
		.amdhsa_dx10_clamp 1
		.amdhsa_ieee_mode 1
		.amdhsa_fp16_overflow 0
		.amdhsa_tg_split 0
		.amdhsa_exception_fp_ieee_invalid_op 0
		.amdhsa_exception_fp_denorm_src 0
		.amdhsa_exception_fp_ieee_div_zero 0
		.amdhsa_exception_fp_ieee_overflow 0
		.amdhsa_exception_fp_ieee_underflow 0
		.amdhsa_exception_fp_ieee_inexact 0
		.amdhsa_exception_int_div_zero 0
	.end_amdhsa_kernel
	.section	.text._ZN12_GLOBAL__N_121softmax_warp_backwardIN3c104HalfES2_fLi1ELb0ELb0ELi64EEEvPT0_PKT_S7_iiiPKb,"axG",@progbits,_ZN12_GLOBAL__N_121softmax_warp_backwardIN3c104HalfES2_fLi1ELb0ELb0ELi64EEEvPT0_PKT_S7_iiiPKb,comdat
.Lfunc_end572:
	.size	_ZN12_GLOBAL__N_121softmax_warp_backwardIN3c104HalfES2_fLi1ELb0ELb0ELi64EEEvPT0_PKT_S7_iiiPKb, .Lfunc_end572-_ZN12_GLOBAL__N_121softmax_warp_backwardIN3c104HalfES2_fLi1ELb0ELb0ELi64EEEvPT0_PKT_S7_iiiPKb
                                        ; -- End function
	.section	.AMDGPU.csdata,"",@progbits
; Kernel info:
; codeLenInByte = 496
; NumSgprs: 20
; NumVgprs: 12
; NumAgprs: 0
; TotalNumVgprs: 12
; ScratchSize: 0
; MemoryBound: 0
; FloatMode: 240
; IeeeMode: 1
; LDSByteSize: 0 bytes/workgroup (compile time only)
; SGPRBlocks: 2
; VGPRBlocks: 1
; NumSGPRsForWavesPerEU: 20
; NumVGPRsForWavesPerEU: 12
; AccumOffset: 12
; Occupancy: 8
; WaveLimiterHint : 0
; COMPUTE_PGM_RSRC2:SCRATCH_EN: 0
; COMPUTE_PGM_RSRC2:USER_SGPR: 6
; COMPUTE_PGM_RSRC2:TRAP_HANDLER: 0
; COMPUTE_PGM_RSRC2:TGID_X_EN: 1
; COMPUTE_PGM_RSRC2:TGID_Y_EN: 0
; COMPUTE_PGM_RSRC2:TGID_Z_EN: 0
; COMPUTE_PGM_RSRC2:TIDIG_COMP_CNT: 1
; COMPUTE_PGM_RSRC3_GFX90A:ACCUM_OFFSET: 2
; COMPUTE_PGM_RSRC3_GFX90A:TG_SPLIT: 0
	.section	.text._ZN12_GLOBAL__N_121softmax_warp_backwardIN3c104HalfES2_fLi1ELb0ELb0ELi32EEEvPT0_PKT_S7_iiiPKb,"axG",@progbits,_ZN12_GLOBAL__N_121softmax_warp_backwardIN3c104HalfES2_fLi1ELb0ELb0ELi32EEEvPT0_PKT_S7_iiiPKb,comdat
	.globl	_ZN12_GLOBAL__N_121softmax_warp_backwardIN3c104HalfES2_fLi1ELb0ELb0ELi32EEEvPT0_PKT_S7_iiiPKb ; -- Begin function _ZN12_GLOBAL__N_121softmax_warp_backwardIN3c104HalfES2_fLi1ELb0ELb0ELi32EEEvPT0_PKT_S7_iiiPKb
	.p2align	8
	.type	_ZN12_GLOBAL__N_121softmax_warp_backwardIN3c104HalfES2_fLi1ELb0ELb0ELi32EEEvPT0_PKT_S7_iiiPKb,@function
_ZN12_GLOBAL__N_121softmax_warp_backwardIN3c104HalfES2_fLi1ELb0ELb0ELi32EEEvPT0_PKT_S7_iiiPKb: ; @_ZN12_GLOBAL__N_121softmax_warp_backwardIN3c104HalfES2_fLi1ELb0ELb0ELi32EEEvPT0_PKT_S7_iiiPKb
; %bb.0:
	s_load_dword s2, s[4:5], 0x3c
	s_load_dwordx4 s[8:11], s[4:5], 0x18
	s_load_dwordx4 s[12:15], s[4:5], 0x0
	s_load_dwordx2 s[0:1], s[4:5], 0x10
	v_bfe_u32 v1, v0, 10, 10
	s_waitcnt lgkmcnt(0)
	s_lshr_b32 s2, s2, 16
	s_mul_i32 s6, s6, s2
	v_add_lshl_u32 v1, s6, v1, 1
	v_sub_u32_e32 v8, s8, v1
	v_mul_lo_u32 v1, v1, s9
	v_and_b32_e32 v9, 1, v0
	v_or_b32_e32 v0, v1, v9
	v_ashrrev_i32_e32 v1, 31, v0
	v_lshlrev_b64 v[2:3], 1, v[0:1]
	v_mov_b32_e32 v0, s15
	v_add_co_u32_e32 v4, vcc, s14, v2
	v_addc_co_u32_e32 v5, vcc, v0, v3, vcc
	v_mov_b32_e32 v0, s1
	v_add_co_u32_e32 v6, vcc, s0, v2
	v_addc_co_u32_e32 v7, vcc, v0, v3, vcc
	v_cmp_gt_i32_e32 vcc, s10, v9
	v_cmp_lt_i32_e64 s[0:1], 0, v8
	s_and_b64 s[4:5], vcc, s[0:1]
	v_mov_b32_e32 v1, 0
	v_mov_b32_e32 v0, 0
	;; [unrolled: 1-line block ×3, first 2 shown]
	s_and_saveexec_b64 s[2:3], s[4:5]
	s_cbranch_execz .LBB573_2
; %bb.1:
	global_load_ushort v0, v[4:5], off
	global_load_ushort v9, v[6:7], off
	s_waitcnt vmcnt(1)
	v_cvt_f32_f16_e32 v0, v0
	s_waitcnt vmcnt(0)
	v_cvt_f32_f16_e32 v9, v9
.LBB573_2:
	s_or_b64 exec, exec, s[2:3]
	v_cmp_lt_i32_e64 s[2:3], 1, v8
	s_and_b64 s[2:3], vcc, s[2:3]
	s_mov_b32 s11, 0
	v_mov_b32_e32 v10, 0
	s_and_saveexec_b64 s[4:5], s[2:3]
	s_cbranch_execz .LBB573_4
; %bb.3:
	s_lshl_b64 s[6:7], s[10:11], 1
	v_mov_b32_e32 v1, s7
	v_add_co_u32_e64 v4, s[2:3], s6, v4
	v_addc_co_u32_e64 v5, s[2:3], v5, v1, s[2:3]
	global_load_ushort v10, v[4:5], off
	v_add_co_u32_e64 v4, s[2:3], s6, v6
	v_addc_co_u32_e64 v5, s[2:3], v7, v1, s[2:3]
	global_load_ushort v4, v[4:5], off
	s_waitcnt vmcnt(1)
	v_cvt_f32_f16_e32 v1, v10
	s_waitcnt vmcnt(0)
	v_cvt_f32_f16_e32 v10, v4
.LBB573_4:
	s_or_b64 exec, exec, s[4:5]
	v_mbcnt_lo_u32_b32 v6, -1, 0
	v_mbcnt_hi_u32_b32 v6, -1, v6
	v_and_b32_e32 v11, 0x7e, v6
	v_xor_b32_e32 v7, 1, v6
	v_add_u32_e32 v11, 2, v11
	v_cmp_lt_i32_e64 s[2:3], v7, v11
	v_cndmask_b32_e64 v6, v6, v7, s[2:3]
	v_pk_add_f32 v[4:5], v[0:1], 0 op_sel_hi:[1,0]
	v_lshlrev_b32_e32 v7, 2, v6
	ds_bpermute_b32 v6, v7, v4
	ds_bpermute_b32 v7, v7, v5
	s_and_saveexec_b64 s[2:3], s[0:1]
	s_cbranch_execz .LBB573_10
; %bb.5:
	v_mov_b32_e32 v11, s13
	v_add_co_u32_e64 v2, s[0:1], s12, v2
	v_addc_co_u32_e64 v3, s[0:1], v11, v3, s[0:1]
	s_waitcnt lgkmcnt(0)
	v_pk_add_f32 v[4:5], v[4:5], v[6:7]
	s_and_saveexec_b64 s[0:1], vcc
	s_cbranch_execz .LBB573_7
; %bb.6:
	v_fma_mixlo_f16 v0, -v4, v9, v0
	global_store_short v[2:3], v0, off
.LBB573_7:
	s_or_b64 exec, exec, s[0:1]
	v_cmp_ne_u32_e64 s[0:1], 1, v8
	s_and_b64 exec, exec, s[0:1]
	s_cbranch_execz .LBB573_10
; %bb.8:
	s_and_b64 exec, exec, vcc
	s_cbranch_execz .LBB573_10
; %bb.9:
	s_lshl_b64 s[0:1], s[10:11], 1
	v_fma_mixlo_f16 v4, -v5, v10, v1
	v_mov_b32_e32 v1, s1
	v_add_co_u32_e32 v0, vcc, s0, v2
	v_addc_co_u32_e32 v1, vcc, v3, v1, vcc
	global_store_short v[0:1], v4, off
.LBB573_10:
	s_endpgm
	.section	.rodata,"a",@progbits
	.p2align	6, 0x0
	.amdhsa_kernel _ZN12_GLOBAL__N_121softmax_warp_backwardIN3c104HalfES2_fLi1ELb0ELb0ELi32EEEvPT0_PKT_S7_iiiPKb
		.amdhsa_group_segment_fixed_size 0
		.amdhsa_private_segment_fixed_size 0
		.amdhsa_kernarg_size 304
		.amdhsa_user_sgpr_count 6
		.amdhsa_user_sgpr_private_segment_buffer 1
		.amdhsa_user_sgpr_dispatch_ptr 0
		.amdhsa_user_sgpr_queue_ptr 0
		.amdhsa_user_sgpr_kernarg_segment_ptr 1
		.amdhsa_user_sgpr_dispatch_id 0
		.amdhsa_user_sgpr_flat_scratch_init 0
		.amdhsa_user_sgpr_kernarg_preload_length 0
		.amdhsa_user_sgpr_kernarg_preload_offset 0
		.amdhsa_user_sgpr_private_segment_size 0
		.amdhsa_uses_dynamic_stack 0
		.amdhsa_system_sgpr_private_segment_wavefront_offset 0
		.amdhsa_system_sgpr_workgroup_id_x 1
		.amdhsa_system_sgpr_workgroup_id_y 0
		.amdhsa_system_sgpr_workgroup_id_z 0
		.amdhsa_system_sgpr_workgroup_info 0
		.amdhsa_system_vgpr_workitem_id 1
		.amdhsa_next_free_vgpr 12
		.amdhsa_next_free_sgpr 16
		.amdhsa_accum_offset 12
		.amdhsa_reserve_vcc 1
		.amdhsa_reserve_flat_scratch 0
		.amdhsa_float_round_mode_32 0
		.amdhsa_float_round_mode_16_64 0
		.amdhsa_float_denorm_mode_32 3
		.amdhsa_float_denorm_mode_16_64 3
		.amdhsa_dx10_clamp 1
		.amdhsa_ieee_mode 1
		.amdhsa_fp16_overflow 0
		.amdhsa_tg_split 0
		.amdhsa_exception_fp_ieee_invalid_op 0
		.amdhsa_exception_fp_denorm_src 0
		.amdhsa_exception_fp_ieee_div_zero 0
		.amdhsa_exception_fp_ieee_overflow 0
		.amdhsa_exception_fp_ieee_underflow 0
		.amdhsa_exception_fp_ieee_inexact 0
		.amdhsa_exception_int_div_zero 0
	.end_amdhsa_kernel
	.section	.text._ZN12_GLOBAL__N_121softmax_warp_backwardIN3c104HalfES2_fLi1ELb0ELb0ELi32EEEvPT0_PKT_S7_iiiPKb,"axG",@progbits,_ZN12_GLOBAL__N_121softmax_warp_backwardIN3c104HalfES2_fLi1ELb0ELb0ELi32EEEvPT0_PKT_S7_iiiPKb,comdat
.Lfunc_end573:
	.size	_ZN12_GLOBAL__N_121softmax_warp_backwardIN3c104HalfES2_fLi1ELb0ELb0ELi32EEEvPT0_PKT_S7_iiiPKb, .Lfunc_end573-_ZN12_GLOBAL__N_121softmax_warp_backwardIN3c104HalfES2_fLi1ELb0ELb0ELi32EEEvPT0_PKT_S7_iiiPKb
                                        ; -- End function
	.section	.AMDGPU.csdata,"",@progbits
; Kernel info:
; codeLenInByte = 496
; NumSgprs: 20
; NumVgprs: 12
; NumAgprs: 0
; TotalNumVgprs: 12
; ScratchSize: 0
; MemoryBound: 0
; FloatMode: 240
; IeeeMode: 1
; LDSByteSize: 0 bytes/workgroup (compile time only)
; SGPRBlocks: 2
; VGPRBlocks: 1
; NumSGPRsForWavesPerEU: 20
; NumVGPRsForWavesPerEU: 12
; AccumOffset: 12
; Occupancy: 8
; WaveLimiterHint : 0
; COMPUTE_PGM_RSRC2:SCRATCH_EN: 0
; COMPUTE_PGM_RSRC2:USER_SGPR: 6
; COMPUTE_PGM_RSRC2:TRAP_HANDLER: 0
; COMPUTE_PGM_RSRC2:TGID_X_EN: 1
; COMPUTE_PGM_RSRC2:TGID_Y_EN: 0
; COMPUTE_PGM_RSRC2:TGID_Z_EN: 0
; COMPUTE_PGM_RSRC2:TIDIG_COMP_CNT: 1
; COMPUTE_PGM_RSRC3_GFX90A:ACCUM_OFFSET: 2
; COMPUTE_PGM_RSRC3_GFX90A:TG_SPLIT: 0
	.section	.text._ZN12_GLOBAL__N_121softmax_warp_backwardIN3c104HalfES2_fLi2ELb0ELb0ELi64EEEvPT0_PKT_S7_iiiPKb,"axG",@progbits,_ZN12_GLOBAL__N_121softmax_warp_backwardIN3c104HalfES2_fLi2ELb0ELb0ELi64EEEvPT0_PKT_S7_iiiPKb,comdat
	.globl	_ZN12_GLOBAL__N_121softmax_warp_backwardIN3c104HalfES2_fLi2ELb0ELb0ELi64EEEvPT0_PKT_S7_iiiPKb ; -- Begin function _ZN12_GLOBAL__N_121softmax_warp_backwardIN3c104HalfES2_fLi2ELb0ELb0ELi64EEEvPT0_PKT_S7_iiiPKb
	.p2align	8
	.type	_ZN12_GLOBAL__N_121softmax_warp_backwardIN3c104HalfES2_fLi2ELb0ELb0ELi64EEEvPT0_PKT_S7_iiiPKb,@function
_ZN12_GLOBAL__N_121softmax_warp_backwardIN3c104HalfES2_fLi2ELb0ELb0ELi64EEEvPT0_PKT_S7_iiiPKb: ; @_ZN12_GLOBAL__N_121softmax_warp_backwardIN3c104HalfES2_fLi2ELb0ELb0ELi64EEEvPT0_PKT_S7_iiiPKb
; %bb.0:
	s_load_dword s2, s[4:5], 0x3c
	s_load_dwordx4 s[8:11], s[4:5], 0x18
	s_load_dwordx4 s[12:15], s[4:5], 0x0
	s_load_dwordx2 s[0:1], s[4:5], 0x10
	v_bfe_u32 v1, v0, 10, 10
	s_waitcnt lgkmcnt(0)
	s_lshr_b32 s2, s2, 16
	s_mul_i32 s6, s6, s2
	v_add_lshl_u32 v1, s6, v1, 1
	v_and_b32_e32 v0, 3, v0
	v_mad_u64_u32 v[2:3], s[2:3], v1, s9, v[0:1]
	v_ashrrev_i32_e32 v3, 31, v2
	v_lshlrev_b64 v[2:3], 1, v[2:3]
	v_sub_u32_e32 v8, s8, v1
	v_mov_b32_e32 v1, s15
	v_add_co_u32_e32 v4, vcc, s14, v2
	v_addc_co_u32_e32 v5, vcc, v1, v3, vcc
	v_mov_b32_e32 v1, s1
	v_add_co_u32_e32 v6, vcc, s0, v2
	v_addc_co_u32_e32 v7, vcc, v1, v3, vcc
	v_cmp_gt_i32_e32 vcc, s10, v0
	v_cmp_lt_i32_e64 s[0:1], 0, v8
	s_and_b64 s[4:5], vcc, s[0:1]
	v_mov_b32_e32 v1, 0
	v_mov_b32_e32 v0, 0
	;; [unrolled: 1-line block ×3, first 2 shown]
	s_and_saveexec_b64 s[2:3], s[4:5]
	s_cbranch_execz .LBB574_2
; %bb.1:
	global_load_ushort v0, v[4:5], off
	global_load_ushort v9, v[6:7], off
	s_waitcnt vmcnt(1)
	v_cvt_f32_f16_e32 v0, v0
	s_waitcnt vmcnt(0)
	v_cvt_f32_f16_e32 v9, v9
.LBB574_2:
	s_or_b64 exec, exec, s[2:3]
	v_cmp_lt_i32_e64 s[2:3], 1, v8
	s_and_b64 s[2:3], vcc, s[2:3]
	s_mov_b32 s11, 0
	v_mov_b32_e32 v10, 0
	s_and_saveexec_b64 s[4:5], s[2:3]
	s_cbranch_execz .LBB574_4
; %bb.3:
	s_lshl_b64 s[6:7], s[10:11], 1
	v_mov_b32_e32 v1, s7
	v_add_co_u32_e64 v4, s[2:3], s6, v4
	v_addc_co_u32_e64 v5, s[2:3], v5, v1, s[2:3]
	global_load_ushort v10, v[4:5], off
	v_add_co_u32_e64 v4, s[2:3], s6, v6
	v_addc_co_u32_e64 v5, s[2:3], v7, v1, s[2:3]
	global_load_ushort v4, v[4:5], off
	s_waitcnt vmcnt(1)
	v_cvt_f32_f16_e32 v1, v10
	s_waitcnt vmcnt(0)
	v_cvt_f32_f16_e32 v10, v4
.LBB574_4:
	s_or_b64 exec, exec, s[4:5]
	v_mbcnt_lo_u32_b32 v6, -1, 0
	v_mbcnt_hi_u32_b32 v11, -1, v6
	v_and_b32_e32 v6, 0x7c, v11
	v_add_u32_e32 v12, 4, v6
	v_xor_b32_e32 v6, 2, v11
	v_cmp_lt_i32_e64 s[2:3], v6, v12
	v_cndmask_b32_e64 v6, v11, v6, s[2:3]
	v_pk_add_f32 v[4:5], v[0:1], 0 op_sel_hi:[1,0]
	v_lshlrev_b32_e32 v7, 2, v6
	ds_bpermute_b32 v6, v7, v4
	ds_bpermute_b32 v7, v7, v5
	v_xor_b32_e32 v13, 1, v11
	v_cmp_lt_i32_e64 s[2:3], v13, v12
	v_cndmask_b32_e64 v11, v11, v13, s[2:3]
	v_lshlrev_b32_e32 v11, 2, v11
	s_waitcnt lgkmcnt(0)
	v_pk_add_f32 v[4:5], v[4:5], v[6:7]
	ds_bpermute_b32 v6, v11, v4
	ds_bpermute_b32 v7, v11, v5
	s_and_saveexec_b64 s[2:3], s[0:1]
	s_cbranch_execz .LBB574_10
; %bb.5:
	v_mov_b32_e32 v11, s13
	v_add_co_u32_e64 v2, s[0:1], s12, v2
	v_addc_co_u32_e64 v3, s[0:1], v11, v3, s[0:1]
	s_waitcnt lgkmcnt(0)
	v_pk_add_f32 v[4:5], v[4:5], v[6:7]
	s_and_saveexec_b64 s[0:1], vcc
	s_cbranch_execz .LBB574_7
; %bb.6:
	v_fma_mixlo_f16 v0, -v4, v9, v0
	global_store_short v[2:3], v0, off
.LBB574_7:
	s_or_b64 exec, exec, s[0:1]
	v_cmp_ne_u32_e64 s[0:1], 1, v8
	s_and_b64 exec, exec, s[0:1]
	s_cbranch_execz .LBB574_10
; %bb.8:
	s_and_b64 exec, exec, vcc
	s_cbranch_execz .LBB574_10
; %bb.9:
	s_lshl_b64 s[0:1], s[10:11], 1
	v_fma_mixlo_f16 v4, -v5, v10, v1
	v_mov_b32_e32 v1, s1
	v_add_co_u32_e32 v0, vcc, s0, v2
	v_addc_co_u32_e32 v1, vcc, v3, v1, vcc
	global_store_short v[0:1], v4, off
.LBB574_10:
	s_endpgm
	.section	.rodata,"a",@progbits
	.p2align	6, 0x0
	.amdhsa_kernel _ZN12_GLOBAL__N_121softmax_warp_backwardIN3c104HalfES2_fLi2ELb0ELb0ELi64EEEvPT0_PKT_S7_iiiPKb
		.amdhsa_group_segment_fixed_size 0
		.amdhsa_private_segment_fixed_size 0
		.amdhsa_kernarg_size 304
		.amdhsa_user_sgpr_count 6
		.amdhsa_user_sgpr_private_segment_buffer 1
		.amdhsa_user_sgpr_dispatch_ptr 0
		.amdhsa_user_sgpr_queue_ptr 0
		.amdhsa_user_sgpr_kernarg_segment_ptr 1
		.amdhsa_user_sgpr_dispatch_id 0
		.amdhsa_user_sgpr_flat_scratch_init 0
		.amdhsa_user_sgpr_kernarg_preload_length 0
		.amdhsa_user_sgpr_kernarg_preload_offset 0
		.amdhsa_user_sgpr_private_segment_size 0
		.amdhsa_uses_dynamic_stack 0
		.amdhsa_system_sgpr_private_segment_wavefront_offset 0
		.amdhsa_system_sgpr_workgroup_id_x 1
		.amdhsa_system_sgpr_workgroup_id_y 0
		.amdhsa_system_sgpr_workgroup_id_z 0
		.amdhsa_system_sgpr_workgroup_info 0
		.amdhsa_system_vgpr_workitem_id 1
		.amdhsa_next_free_vgpr 14
		.amdhsa_next_free_sgpr 16
		.amdhsa_accum_offset 16
		.amdhsa_reserve_vcc 1
		.amdhsa_reserve_flat_scratch 0
		.amdhsa_float_round_mode_32 0
		.amdhsa_float_round_mode_16_64 0
		.amdhsa_float_denorm_mode_32 3
		.amdhsa_float_denorm_mode_16_64 3
		.amdhsa_dx10_clamp 1
		.amdhsa_ieee_mode 1
		.amdhsa_fp16_overflow 0
		.amdhsa_tg_split 0
		.amdhsa_exception_fp_ieee_invalid_op 0
		.amdhsa_exception_fp_denorm_src 0
		.amdhsa_exception_fp_ieee_div_zero 0
		.amdhsa_exception_fp_ieee_overflow 0
		.amdhsa_exception_fp_ieee_underflow 0
		.amdhsa_exception_fp_ieee_inexact 0
		.amdhsa_exception_int_div_zero 0
	.end_amdhsa_kernel
	.section	.text._ZN12_GLOBAL__N_121softmax_warp_backwardIN3c104HalfES2_fLi2ELb0ELb0ELi64EEEvPT0_PKT_S7_iiiPKb,"axG",@progbits,_ZN12_GLOBAL__N_121softmax_warp_backwardIN3c104HalfES2_fLi2ELb0ELb0ELi64EEEvPT0_PKT_S7_iiiPKb,comdat
.Lfunc_end574:
	.size	_ZN12_GLOBAL__N_121softmax_warp_backwardIN3c104HalfES2_fLi2ELb0ELb0ELi64EEEvPT0_PKT_S7_iiiPKb, .Lfunc_end574-_ZN12_GLOBAL__N_121softmax_warp_backwardIN3c104HalfES2_fLi2ELb0ELb0ELi64EEEvPT0_PKT_S7_iiiPKb
                                        ; -- End function
	.section	.AMDGPU.csdata,"",@progbits
; Kernel info:
; codeLenInByte = 544
; NumSgprs: 20
; NumVgprs: 14
; NumAgprs: 0
; TotalNumVgprs: 14
; ScratchSize: 0
; MemoryBound: 0
; FloatMode: 240
; IeeeMode: 1
; LDSByteSize: 0 bytes/workgroup (compile time only)
; SGPRBlocks: 2
; VGPRBlocks: 1
; NumSGPRsForWavesPerEU: 20
; NumVGPRsForWavesPerEU: 14
; AccumOffset: 16
; Occupancy: 8
; WaveLimiterHint : 0
; COMPUTE_PGM_RSRC2:SCRATCH_EN: 0
; COMPUTE_PGM_RSRC2:USER_SGPR: 6
; COMPUTE_PGM_RSRC2:TRAP_HANDLER: 0
; COMPUTE_PGM_RSRC2:TGID_X_EN: 1
; COMPUTE_PGM_RSRC2:TGID_Y_EN: 0
; COMPUTE_PGM_RSRC2:TGID_Z_EN: 0
; COMPUTE_PGM_RSRC2:TIDIG_COMP_CNT: 1
; COMPUTE_PGM_RSRC3_GFX90A:ACCUM_OFFSET: 3
; COMPUTE_PGM_RSRC3_GFX90A:TG_SPLIT: 0
	.section	.text._ZN12_GLOBAL__N_121softmax_warp_backwardIN3c104HalfES2_fLi2ELb0ELb0ELi32EEEvPT0_PKT_S7_iiiPKb,"axG",@progbits,_ZN12_GLOBAL__N_121softmax_warp_backwardIN3c104HalfES2_fLi2ELb0ELb0ELi32EEEvPT0_PKT_S7_iiiPKb,comdat
	.globl	_ZN12_GLOBAL__N_121softmax_warp_backwardIN3c104HalfES2_fLi2ELb0ELb0ELi32EEEvPT0_PKT_S7_iiiPKb ; -- Begin function _ZN12_GLOBAL__N_121softmax_warp_backwardIN3c104HalfES2_fLi2ELb0ELb0ELi32EEEvPT0_PKT_S7_iiiPKb
	.p2align	8
	.type	_ZN12_GLOBAL__N_121softmax_warp_backwardIN3c104HalfES2_fLi2ELb0ELb0ELi32EEEvPT0_PKT_S7_iiiPKb,@function
_ZN12_GLOBAL__N_121softmax_warp_backwardIN3c104HalfES2_fLi2ELb0ELb0ELi32EEEvPT0_PKT_S7_iiiPKb: ; @_ZN12_GLOBAL__N_121softmax_warp_backwardIN3c104HalfES2_fLi2ELb0ELb0ELi32EEEvPT0_PKT_S7_iiiPKb
; %bb.0:
	s_load_dword s2, s[4:5], 0x3c
	s_load_dwordx4 s[8:11], s[4:5], 0x18
	s_load_dwordx4 s[12:15], s[4:5], 0x0
	s_load_dwordx2 s[0:1], s[4:5], 0x10
	v_bfe_u32 v1, v0, 10, 10
	s_waitcnt lgkmcnt(0)
	s_lshr_b32 s2, s2, 16
	s_mul_i32 s6, s6, s2
	v_add_lshl_u32 v1, s6, v1, 1
	v_and_b32_e32 v0, 3, v0
	v_mad_u64_u32 v[2:3], s[2:3], v1, s9, v[0:1]
	v_ashrrev_i32_e32 v3, 31, v2
	v_lshlrev_b64 v[2:3], 1, v[2:3]
	v_sub_u32_e32 v8, s8, v1
	v_mov_b32_e32 v1, s15
	v_add_co_u32_e32 v4, vcc, s14, v2
	v_addc_co_u32_e32 v5, vcc, v1, v3, vcc
	v_mov_b32_e32 v1, s1
	v_add_co_u32_e32 v6, vcc, s0, v2
	v_addc_co_u32_e32 v7, vcc, v1, v3, vcc
	v_cmp_gt_i32_e32 vcc, s10, v0
	v_cmp_lt_i32_e64 s[0:1], 0, v8
	s_and_b64 s[4:5], vcc, s[0:1]
	v_mov_b32_e32 v1, 0
	v_mov_b32_e32 v0, 0
	;; [unrolled: 1-line block ×3, first 2 shown]
	s_and_saveexec_b64 s[2:3], s[4:5]
	s_cbranch_execz .LBB575_2
; %bb.1:
	global_load_ushort v0, v[4:5], off
	global_load_ushort v9, v[6:7], off
	s_waitcnt vmcnt(1)
	v_cvt_f32_f16_e32 v0, v0
	s_waitcnt vmcnt(0)
	v_cvt_f32_f16_e32 v9, v9
.LBB575_2:
	s_or_b64 exec, exec, s[2:3]
	v_cmp_lt_i32_e64 s[2:3], 1, v8
	s_and_b64 s[2:3], vcc, s[2:3]
	s_mov_b32 s11, 0
	v_mov_b32_e32 v10, 0
	s_and_saveexec_b64 s[4:5], s[2:3]
	s_cbranch_execz .LBB575_4
; %bb.3:
	s_lshl_b64 s[6:7], s[10:11], 1
	v_mov_b32_e32 v1, s7
	v_add_co_u32_e64 v4, s[2:3], s6, v4
	v_addc_co_u32_e64 v5, s[2:3], v5, v1, s[2:3]
	global_load_ushort v10, v[4:5], off
	v_add_co_u32_e64 v4, s[2:3], s6, v6
	v_addc_co_u32_e64 v5, s[2:3], v7, v1, s[2:3]
	global_load_ushort v4, v[4:5], off
	s_waitcnt vmcnt(1)
	v_cvt_f32_f16_e32 v1, v10
	s_waitcnt vmcnt(0)
	v_cvt_f32_f16_e32 v10, v4
.LBB575_4:
	s_or_b64 exec, exec, s[4:5]
	v_mbcnt_lo_u32_b32 v6, -1, 0
	v_mbcnt_hi_u32_b32 v11, -1, v6
	v_and_b32_e32 v6, 0x7c, v11
	v_add_u32_e32 v12, 4, v6
	v_xor_b32_e32 v6, 2, v11
	v_cmp_lt_i32_e64 s[2:3], v6, v12
	v_cndmask_b32_e64 v6, v11, v6, s[2:3]
	v_pk_add_f32 v[4:5], v[0:1], 0 op_sel_hi:[1,0]
	v_lshlrev_b32_e32 v7, 2, v6
	ds_bpermute_b32 v6, v7, v4
	ds_bpermute_b32 v7, v7, v5
	v_xor_b32_e32 v13, 1, v11
	v_cmp_lt_i32_e64 s[2:3], v13, v12
	v_cndmask_b32_e64 v11, v11, v13, s[2:3]
	v_lshlrev_b32_e32 v11, 2, v11
	s_waitcnt lgkmcnt(0)
	v_pk_add_f32 v[4:5], v[4:5], v[6:7]
	ds_bpermute_b32 v6, v11, v4
	ds_bpermute_b32 v7, v11, v5
	s_and_saveexec_b64 s[2:3], s[0:1]
	s_cbranch_execz .LBB575_10
; %bb.5:
	v_mov_b32_e32 v11, s13
	v_add_co_u32_e64 v2, s[0:1], s12, v2
	v_addc_co_u32_e64 v3, s[0:1], v11, v3, s[0:1]
	s_waitcnt lgkmcnt(0)
	v_pk_add_f32 v[4:5], v[4:5], v[6:7]
	s_and_saveexec_b64 s[0:1], vcc
	s_cbranch_execz .LBB575_7
; %bb.6:
	v_fma_mixlo_f16 v0, -v4, v9, v0
	global_store_short v[2:3], v0, off
.LBB575_7:
	s_or_b64 exec, exec, s[0:1]
	v_cmp_ne_u32_e64 s[0:1], 1, v8
	s_and_b64 exec, exec, s[0:1]
	s_cbranch_execz .LBB575_10
; %bb.8:
	s_and_b64 exec, exec, vcc
	s_cbranch_execz .LBB575_10
; %bb.9:
	s_lshl_b64 s[0:1], s[10:11], 1
	v_fma_mixlo_f16 v4, -v5, v10, v1
	v_mov_b32_e32 v1, s1
	v_add_co_u32_e32 v0, vcc, s0, v2
	v_addc_co_u32_e32 v1, vcc, v3, v1, vcc
	global_store_short v[0:1], v4, off
.LBB575_10:
	s_endpgm
	.section	.rodata,"a",@progbits
	.p2align	6, 0x0
	.amdhsa_kernel _ZN12_GLOBAL__N_121softmax_warp_backwardIN3c104HalfES2_fLi2ELb0ELb0ELi32EEEvPT0_PKT_S7_iiiPKb
		.amdhsa_group_segment_fixed_size 0
		.amdhsa_private_segment_fixed_size 0
		.amdhsa_kernarg_size 304
		.amdhsa_user_sgpr_count 6
		.amdhsa_user_sgpr_private_segment_buffer 1
		.amdhsa_user_sgpr_dispatch_ptr 0
		.amdhsa_user_sgpr_queue_ptr 0
		.amdhsa_user_sgpr_kernarg_segment_ptr 1
		.amdhsa_user_sgpr_dispatch_id 0
		.amdhsa_user_sgpr_flat_scratch_init 0
		.amdhsa_user_sgpr_kernarg_preload_length 0
		.amdhsa_user_sgpr_kernarg_preload_offset 0
		.amdhsa_user_sgpr_private_segment_size 0
		.amdhsa_uses_dynamic_stack 0
		.amdhsa_system_sgpr_private_segment_wavefront_offset 0
		.amdhsa_system_sgpr_workgroup_id_x 1
		.amdhsa_system_sgpr_workgroup_id_y 0
		.amdhsa_system_sgpr_workgroup_id_z 0
		.amdhsa_system_sgpr_workgroup_info 0
		.amdhsa_system_vgpr_workitem_id 1
		.amdhsa_next_free_vgpr 14
		.amdhsa_next_free_sgpr 16
		.amdhsa_accum_offset 16
		.amdhsa_reserve_vcc 1
		.amdhsa_reserve_flat_scratch 0
		.amdhsa_float_round_mode_32 0
		.amdhsa_float_round_mode_16_64 0
		.amdhsa_float_denorm_mode_32 3
		.amdhsa_float_denorm_mode_16_64 3
		.amdhsa_dx10_clamp 1
		.amdhsa_ieee_mode 1
		.amdhsa_fp16_overflow 0
		.amdhsa_tg_split 0
		.amdhsa_exception_fp_ieee_invalid_op 0
		.amdhsa_exception_fp_denorm_src 0
		.amdhsa_exception_fp_ieee_div_zero 0
		.amdhsa_exception_fp_ieee_overflow 0
		.amdhsa_exception_fp_ieee_underflow 0
		.amdhsa_exception_fp_ieee_inexact 0
		.amdhsa_exception_int_div_zero 0
	.end_amdhsa_kernel
	.section	.text._ZN12_GLOBAL__N_121softmax_warp_backwardIN3c104HalfES2_fLi2ELb0ELb0ELi32EEEvPT0_PKT_S7_iiiPKb,"axG",@progbits,_ZN12_GLOBAL__N_121softmax_warp_backwardIN3c104HalfES2_fLi2ELb0ELb0ELi32EEEvPT0_PKT_S7_iiiPKb,comdat
.Lfunc_end575:
	.size	_ZN12_GLOBAL__N_121softmax_warp_backwardIN3c104HalfES2_fLi2ELb0ELb0ELi32EEEvPT0_PKT_S7_iiiPKb, .Lfunc_end575-_ZN12_GLOBAL__N_121softmax_warp_backwardIN3c104HalfES2_fLi2ELb0ELb0ELi32EEEvPT0_PKT_S7_iiiPKb
                                        ; -- End function
	.section	.AMDGPU.csdata,"",@progbits
; Kernel info:
; codeLenInByte = 544
; NumSgprs: 20
; NumVgprs: 14
; NumAgprs: 0
; TotalNumVgprs: 14
; ScratchSize: 0
; MemoryBound: 0
; FloatMode: 240
; IeeeMode: 1
; LDSByteSize: 0 bytes/workgroup (compile time only)
; SGPRBlocks: 2
; VGPRBlocks: 1
; NumSGPRsForWavesPerEU: 20
; NumVGPRsForWavesPerEU: 14
; AccumOffset: 16
; Occupancy: 8
; WaveLimiterHint : 0
; COMPUTE_PGM_RSRC2:SCRATCH_EN: 0
; COMPUTE_PGM_RSRC2:USER_SGPR: 6
; COMPUTE_PGM_RSRC2:TRAP_HANDLER: 0
; COMPUTE_PGM_RSRC2:TGID_X_EN: 1
; COMPUTE_PGM_RSRC2:TGID_Y_EN: 0
; COMPUTE_PGM_RSRC2:TGID_Z_EN: 0
; COMPUTE_PGM_RSRC2:TIDIG_COMP_CNT: 1
; COMPUTE_PGM_RSRC3_GFX90A:ACCUM_OFFSET: 3
; COMPUTE_PGM_RSRC3_GFX90A:TG_SPLIT: 0
	.section	.text._ZN12_GLOBAL__N_121softmax_warp_backwardIN3c104HalfES2_fLi3ELb0ELb0ELi64EEEvPT0_PKT_S7_iiiPKb,"axG",@progbits,_ZN12_GLOBAL__N_121softmax_warp_backwardIN3c104HalfES2_fLi3ELb0ELb0ELi64EEEvPT0_PKT_S7_iiiPKb,comdat
	.globl	_ZN12_GLOBAL__N_121softmax_warp_backwardIN3c104HalfES2_fLi3ELb0ELb0ELi64EEEvPT0_PKT_S7_iiiPKb ; -- Begin function _ZN12_GLOBAL__N_121softmax_warp_backwardIN3c104HalfES2_fLi3ELb0ELb0ELi64EEEvPT0_PKT_S7_iiiPKb
	.p2align	8
	.type	_ZN12_GLOBAL__N_121softmax_warp_backwardIN3c104HalfES2_fLi3ELb0ELb0ELi64EEEvPT0_PKT_S7_iiiPKb,@function
_ZN12_GLOBAL__N_121softmax_warp_backwardIN3c104HalfES2_fLi3ELb0ELb0ELi64EEEvPT0_PKT_S7_iiiPKb: ; @_ZN12_GLOBAL__N_121softmax_warp_backwardIN3c104HalfES2_fLi3ELb0ELb0ELi64EEEvPT0_PKT_S7_iiiPKb
; %bb.0:
	s_load_dword s2, s[4:5], 0x3c
	s_load_dwordx4 s[8:11], s[4:5], 0x18
	s_load_dwordx4 s[12:15], s[4:5], 0x0
	s_load_dwordx2 s[0:1], s[4:5], 0x10
	v_bfe_u32 v1, v0, 10, 10
	s_waitcnt lgkmcnt(0)
	s_lshr_b32 s2, s2, 16
	s_mul_i32 s6, s6, s2
	v_add_lshl_u32 v1, s6, v1, 1
	v_and_b32_e32 v0, 7, v0
	v_mad_u64_u32 v[2:3], s[2:3], v1, s9, v[0:1]
	v_ashrrev_i32_e32 v3, 31, v2
	v_lshlrev_b64 v[2:3], 1, v[2:3]
	v_sub_u32_e32 v8, s8, v1
	v_mov_b32_e32 v1, s15
	v_add_co_u32_e32 v4, vcc, s14, v2
	v_addc_co_u32_e32 v5, vcc, v1, v3, vcc
	v_mov_b32_e32 v1, s1
	v_add_co_u32_e32 v6, vcc, s0, v2
	v_addc_co_u32_e32 v7, vcc, v1, v3, vcc
	v_cmp_gt_i32_e32 vcc, s10, v0
	v_cmp_lt_i32_e64 s[0:1], 0, v8
	s_and_b64 s[4:5], vcc, s[0:1]
	v_mov_b32_e32 v1, 0
	v_mov_b32_e32 v0, 0
	;; [unrolled: 1-line block ×3, first 2 shown]
	s_and_saveexec_b64 s[2:3], s[4:5]
	s_cbranch_execz .LBB576_2
; %bb.1:
	global_load_ushort v0, v[4:5], off
	global_load_ushort v9, v[6:7], off
	s_waitcnt vmcnt(1)
	v_cvt_f32_f16_e32 v0, v0
	s_waitcnt vmcnt(0)
	v_cvt_f32_f16_e32 v9, v9
.LBB576_2:
	s_or_b64 exec, exec, s[2:3]
	v_cmp_lt_i32_e64 s[2:3], 1, v8
	s_and_b64 s[2:3], vcc, s[2:3]
	s_mov_b32 s11, 0
	v_mov_b32_e32 v10, 0
	s_and_saveexec_b64 s[4:5], s[2:3]
	s_cbranch_execz .LBB576_4
; %bb.3:
	s_lshl_b64 s[6:7], s[10:11], 1
	v_mov_b32_e32 v1, s7
	v_add_co_u32_e64 v4, s[2:3], s6, v4
	v_addc_co_u32_e64 v5, s[2:3], v5, v1, s[2:3]
	global_load_ushort v10, v[4:5], off
	v_add_co_u32_e64 v4, s[2:3], s6, v6
	v_addc_co_u32_e64 v5, s[2:3], v7, v1, s[2:3]
	global_load_ushort v4, v[4:5], off
	s_waitcnt vmcnt(1)
	v_cvt_f32_f16_e32 v1, v10
	s_waitcnt vmcnt(0)
	v_cvt_f32_f16_e32 v10, v4
.LBB576_4:
	s_or_b64 exec, exec, s[4:5]
	v_mbcnt_lo_u32_b32 v6, -1, 0
	v_mbcnt_hi_u32_b32 v11, -1, v6
	v_and_b32_e32 v6, 0x78, v11
	v_add_u32_e32 v12, 8, v6
	v_xor_b32_e32 v6, 4, v11
	v_cmp_lt_i32_e64 s[2:3], v6, v12
	v_cndmask_b32_e64 v6, v11, v6, s[2:3]
	v_pk_add_f32 v[4:5], v[0:1], 0 op_sel_hi:[1,0]
	v_lshlrev_b32_e32 v7, 2, v6
	ds_bpermute_b32 v6, v7, v4
	ds_bpermute_b32 v7, v7, v5
	v_xor_b32_e32 v13, 2, v11
	v_cmp_lt_i32_e64 s[2:3], v13, v12
	v_cndmask_b32_e64 v13, v11, v13, s[2:3]
	v_lshlrev_b32_e32 v13, 2, v13
	s_waitcnt lgkmcnt(0)
	v_pk_add_f32 v[4:5], v[4:5], v[6:7]
	ds_bpermute_b32 v6, v13, v4
	ds_bpermute_b32 v7, v13, v5
	v_xor_b32_e32 v13, 1, v11
	v_cmp_lt_i32_e64 s[2:3], v13, v12
	v_cndmask_b32_e64 v11, v11, v13, s[2:3]
	v_lshlrev_b32_e32 v11, 2, v11
	s_waitcnt lgkmcnt(0)
	v_pk_add_f32 v[4:5], v[4:5], v[6:7]
	ds_bpermute_b32 v6, v11, v4
	ds_bpermute_b32 v7, v11, v5
	s_and_saveexec_b64 s[2:3], s[0:1]
	s_cbranch_execz .LBB576_10
; %bb.5:
	v_mov_b32_e32 v11, s13
	v_add_co_u32_e64 v2, s[0:1], s12, v2
	v_addc_co_u32_e64 v3, s[0:1], v11, v3, s[0:1]
	s_waitcnt lgkmcnt(0)
	v_pk_add_f32 v[4:5], v[4:5], v[6:7]
	s_and_saveexec_b64 s[0:1], vcc
	s_cbranch_execz .LBB576_7
; %bb.6:
	v_fma_mixlo_f16 v0, -v4, v9, v0
	global_store_short v[2:3], v0, off
.LBB576_7:
	s_or_b64 exec, exec, s[0:1]
	v_cmp_ne_u32_e64 s[0:1], 1, v8
	s_and_b64 exec, exec, s[0:1]
	s_cbranch_execz .LBB576_10
; %bb.8:
	s_and_b64 exec, exec, vcc
	s_cbranch_execz .LBB576_10
; %bb.9:
	s_lshl_b64 s[0:1], s[10:11], 1
	v_fma_mixlo_f16 v4, -v5, v10, v1
	v_mov_b32_e32 v1, s1
	v_add_co_u32_e32 v0, vcc, s0, v2
	v_addc_co_u32_e32 v1, vcc, v3, v1, vcc
	global_store_short v[0:1], v4, off
.LBB576_10:
	s_endpgm
	.section	.rodata,"a",@progbits
	.p2align	6, 0x0
	.amdhsa_kernel _ZN12_GLOBAL__N_121softmax_warp_backwardIN3c104HalfES2_fLi3ELb0ELb0ELi64EEEvPT0_PKT_S7_iiiPKb
		.amdhsa_group_segment_fixed_size 0
		.amdhsa_private_segment_fixed_size 0
		.amdhsa_kernarg_size 304
		.amdhsa_user_sgpr_count 6
		.amdhsa_user_sgpr_private_segment_buffer 1
		.amdhsa_user_sgpr_dispatch_ptr 0
		.amdhsa_user_sgpr_queue_ptr 0
		.amdhsa_user_sgpr_kernarg_segment_ptr 1
		.amdhsa_user_sgpr_dispatch_id 0
		.amdhsa_user_sgpr_flat_scratch_init 0
		.amdhsa_user_sgpr_kernarg_preload_length 0
		.amdhsa_user_sgpr_kernarg_preload_offset 0
		.amdhsa_user_sgpr_private_segment_size 0
		.amdhsa_uses_dynamic_stack 0
		.amdhsa_system_sgpr_private_segment_wavefront_offset 0
		.amdhsa_system_sgpr_workgroup_id_x 1
		.amdhsa_system_sgpr_workgroup_id_y 0
		.amdhsa_system_sgpr_workgroup_id_z 0
		.amdhsa_system_sgpr_workgroup_info 0
		.amdhsa_system_vgpr_workitem_id 1
		.amdhsa_next_free_vgpr 14
		.amdhsa_next_free_sgpr 16
		.amdhsa_accum_offset 16
		.amdhsa_reserve_vcc 1
		.amdhsa_reserve_flat_scratch 0
		.amdhsa_float_round_mode_32 0
		.amdhsa_float_round_mode_16_64 0
		.amdhsa_float_denorm_mode_32 3
		.amdhsa_float_denorm_mode_16_64 3
		.amdhsa_dx10_clamp 1
		.amdhsa_ieee_mode 1
		.amdhsa_fp16_overflow 0
		.amdhsa_tg_split 0
		.amdhsa_exception_fp_ieee_invalid_op 0
		.amdhsa_exception_fp_denorm_src 0
		.amdhsa_exception_fp_ieee_div_zero 0
		.amdhsa_exception_fp_ieee_overflow 0
		.amdhsa_exception_fp_ieee_underflow 0
		.amdhsa_exception_fp_ieee_inexact 0
		.amdhsa_exception_int_div_zero 0
	.end_amdhsa_kernel
	.section	.text._ZN12_GLOBAL__N_121softmax_warp_backwardIN3c104HalfES2_fLi3ELb0ELb0ELi64EEEvPT0_PKT_S7_iiiPKb,"axG",@progbits,_ZN12_GLOBAL__N_121softmax_warp_backwardIN3c104HalfES2_fLi3ELb0ELb0ELi64EEEvPT0_PKT_S7_iiiPKb,comdat
.Lfunc_end576:
	.size	_ZN12_GLOBAL__N_121softmax_warp_backwardIN3c104HalfES2_fLi3ELb0ELb0ELi64EEEvPT0_PKT_S7_iiiPKb, .Lfunc_end576-_ZN12_GLOBAL__N_121softmax_warp_backwardIN3c104HalfES2_fLi3ELb0ELb0ELi64EEEvPT0_PKT_S7_iiiPKb
                                        ; -- End function
	.section	.AMDGPU.csdata,"",@progbits
; Kernel info:
; codeLenInByte = 596
; NumSgprs: 20
; NumVgprs: 14
; NumAgprs: 0
; TotalNumVgprs: 14
; ScratchSize: 0
; MemoryBound: 0
; FloatMode: 240
; IeeeMode: 1
; LDSByteSize: 0 bytes/workgroup (compile time only)
; SGPRBlocks: 2
; VGPRBlocks: 1
; NumSGPRsForWavesPerEU: 20
; NumVGPRsForWavesPerEU: 14
; AccumOffset: 16
; Occupancy: 8
; WaveLimiterHint : 0
; COMPUTE_PGM_RSRC2:SCRATCH_EN: 0
; COMPUTE_PGM_RSRC2:USER_SGPR: 6
; COMPUTE_PGM_RSRC2:TRAP_HANDLER: 0
; COMPUTE_PGM_RSRC2:TGID_X_EN: 1
; COMPUTE_PGM_RSRC2:TGID_Y_EN: 0
; COMPUTE_PGM_RSRC2:TGID_Z_EN: 0
; COMPUTE_PGM_RSRC2:TIDIG_COMP_CNT: 1
; COMPUTE_PGM_RSRC3_GFX90A:ACCUM_OFFSET: 3
; COMPUTE_PGM_RSRC3_GFX90A:TG_SPLIT: 0
	.section	.text._ZN12_GLOBAL__N_121softmax_warp_backwardIN3c104HalfES2_fLi3ELb0ELb0ELi32EEEvPT0_PKT_S7_iiiPKb,"axG",@progbits,_ZN12_GLOBAL__N_121softmax_warp_backwardIN3c104HalfES2_fLi3ELb0ELb0ELi32EEEvPT0_PKT_S7_iiiPKb,comdat
	.globl	_ZN12_GLOBAL__N_121softmax_warp_backwardIN3c104HalfES2_fLi3ELb0ELb0ELi32EEEvPT0_PKT_S7_iiiPKb ; -- Begin function _ZN12_GLOBAL__N_121softmax_warp_backwardIN3c104HalfES2_fLi3ELb0ELb0ELi32EEEvPT0_PKT_S7_iiiPKb
	.p2align	8
	.type	_ZN12_GLOBAL__N_121softmax_warp_backwardIN3c104HalfES2_fLi3ELb0ELb0ELi32EEEvPT0_PKT_S7_iiiPKb,@function
_ZN12_GLOBAL__N_121softmax_warp_backwardIN3c104HalfES2_fLi3ELb0ELb0ELi32EEEvPT0_PKT_S7_iiiPKb: ; @_ZN12_GLOBAL__N_121softmax_warp_backwardIN3c104HalfES2_fLi3ELb0ELb0ELi32EEEvPT0_PKT_S7_iiiPKb
; %bb.0:
	s_load_dword s2, s[4:5], 0x3c
	s_load_dwordx4 s[8:11], s[4:5], 0x18
	s_load_dwordx4 s[12:15], s[4:5], 0x0
	s_load_dwordx2 s[0:1], s[4:5], 0x10
	v_bfe_u32 v1, v0, 10, 10
	s_waitcnt lgkmcnt(0)
	s_lshr_b32 s2, s2, 16
	s_mul_i32 s6, s6, s2
	v_add_lshl_u32 v1, s6, v1, 1
	v_and_b32_e32 v0, 7, v0
	v_mad_u64_u32 v[2:3], s[2:3], v1, s9, v[0:1]
	v_ashrrev_i32_e32 v3, 31, v2
	v_lshlrev_b64 v[2:3], 1, v[2:3]
	v_sub_u32_e32 v8, s8, v1
	v_mov_b32_e32 v1, s15
	v_add_co_u32_e32 v4, vcc, s14, v2
	v_addc_co_u32_e32 v5, vcc, v1, v3, vcc
	v_mov_b32_e32 v1, s1
	v_add_co_u32_e32 v6, vcc, s0, v2
	v_addc_co_u32_e32 v7, vcc, v1, v3, vcc
	v_cmp_gt_i32_e32 vcc, s10, v0
	v_cmp_lt_i32_e64 s[0:1], 0, v8
	s_and_b64 s[4:5], vcc, s[0:1]
	v_mov_b32_e32 v1, 0
	v_mov_b32_e32 v0, 0
	;; [unrolled: 1-line block ×3, first 2 shown]
	s_and_saveexec_b64 s[2:3], s[4:5]
	s_cbranch_execz .LBB577_2
; %bb.1:
	global_load_ushort v0, v[4:5], off
	global_load_ushort v9, v[6:7], off
	s_waitcnt vmcnt(1)
	v_cvt_f32_f16_e32 v0, v0
	s_waitcnt vmcnt(0)
	v_cvt_f32_f16_e32 v9, v9
.LBB577_2:
	s_or_b64 exec, exec, s[2:3]
	v_cmp_lt_i32_e64 s[2:3], 1, v8
	s_and_b64 s[2:3], vcc, s[2:3]
	s_mov_b32 s11, 0
	v_mov_b32_e32 v10, 0
	s_and_saveexec_b64 s[4:5], s[2:3]
	s_cbranch_execz .LBB577_4
; %bb.3:
	s_lshl_b64 s[6:7], s[10:11], 1
	v_mov_b32_e32 v1, s7
	v_add_co_u32_e64 v4, s[2:3], s6, v4
	v_addc_co_u32_e64 v5, s[2:3], v5, v1, s[2:3]
	global_load_ushort v10, v[4:5], off
	v_add_co_u32_e64 v4, s[2:3], s6, v6
	v_addc_co_u32_e64 v5, s[2:3], v7, v1, s[2:3]
	global_load_ushort v4, v[4:5], off
	s_waitcnt vmcnt(1)
	v_cvt_f32_f16_e32 v1, v10
	s_waitcnt vmcnt(0)
	v_cvt_f32_f16_e32 v10, v4
.LBB577_4:
	s_or_b64 exec, exec, s[4:5]
	v_mbcnt_lo_u32_b32 v6, -1, 0
	v_mbcnt_hi_u32_b32 v11, -1, v6
	v_and_b32_e32 v6, 0x78, v11
	v_add_u32_e32 v12, 8, v6
	v_xor_b32_e32 v6, 4, v11
	v_cmp_lt_i32_e64 s[2:3], v6, v12
	v_cndmask_b32_e64 v6, v11, v6, s[2:3]
	v_pk_add_f32 v[4:5], v[0:1], 0 op_sel_hi:[1,0]
	v_lshlrev_b32_e32 v7, 2, v6
	ds_bpermute_b32 v6, v7, v4
	ds_bpermute_b32 v7, v7, v5
	v_xor_b32_e32 v13, 2, v11
	v_cmp_lt_i32_e64 s[2:3], v13, v12
	v_cndmask_b32_e64 v13, v11, v13, s[2:3]
	v_lshlrev_b32_e32 v13, 2, v13
	s_waitcnt lgkmcnt(0)
	v_pk_add_f32 v[4:5], v[4:5], v[6:7]
	ds_bpermute_b32 v6, v13, v4
	ds_bpermute_b32 v7, v13, v5
	v_xor_b32_e32 v13, 1, v11
	v_cmp_lt_i32_e64 s[2:3], v13, v12
	v_cndmask_b32_e64 v11, v11, v13, s[2:3]
	v_lshlrev_b32_e32 v11, 2, v11
	s_waitcnt lgkmcnt(0)
	v_pk_add_f32 v[4:5], v[4:5], v[6:7]
	ds_bpermute_b32 v6, v11, v4
	ds_bpermute_b32 v7, v11, v5
	s_and_saveexec_b64 s[2:3], s[0:1]
	s_cbranch_execz .LBB577_10
; %bb.5:
	v_mov_b32_e32 v11, s13
	v_add_co_u32_e64 v2, s[0:1], s12, v2
	v_addc_co_u32_e64 v3, s[0:1], v11, v3, s[0:1]
	s_waitcnt lgkmcnt(0)
	v_pk_add_f32 v[4:5], v[4:5], v[6:7]
	s_and_saveexec_b64 s[0:1], vcc
	s_cbranch_execz .LBB577_7
; %bb.6:
	v_fma_mixlo_f16 v0, -v4, v9, v0
	global_store_short v[2:3], v0, off
.LBB577_7:
	s_or_b64 exec, exec, s[0:1]
	v_cmp_ne_u32_e64 s[0:1], 1, v8
	s_and_b64 exec, exec, s[0:1]
	s_cbranch_execz .LBB577_10
; %bb.8:
	s_and_b64 exec, exec, vcc
	s_cbranch_execz .LBB577_10
; %bb.9:
	s_lshl_b64 s[0:1], s[10:11], 1
	v_fma_mixlo_f16 v4, -v5, v10, v1
	v_mov_b32_e32 v1, s1
	v_add_co_u32_e32 v0, vcc, s0, v2
	v_addc_co_u32_e32 v1, vcc, v3, v1, vcc
	global_store_short v[0:1], v4, off
.LBB577_10:
	s_endpgm
	.section	.rodata,"a",@progbits
	.p2align	6, 0x0
	.amdhsa_kernel _ZN12_GLOBAL__N_121softmax_warp_backwardIN3c104HalfES2_fLi3ELb0ELb0ELi32EEEvPT0_PKT_S7_iiiPKb
		.amdhsa_group_segment_fixed_size 0
		.amdhsa_private_segment_fixed_size 0
		.amdhsa_kernarg_size 304
		.amdhsa_user_sgpr_count 6
		.amdhsa_user_sgpr_private_segment_buffer 1
		.amdhsa_user_sgpr_dispatch_ptr 0
		.amdhsa_user_sgpr_queue_ptr 0
		.amdhsa_user_sgpr_kernarg_segment_ptr 1
		.amdhsa_user_sgpr_dispatch_id 0
		.amdhsa_user_sgpr_flat_scratch_init 0
		.amdhsa_user_sgpr_kernarg_preload_length 0
		.amdhsa_user_sgpr_kernarg_preload_offset 0
		.amdhsa_user_sgpr_private_segment_size 0
		.amdhsa_uses_dynamic_stack 0
		.amdhsa_system_sgpr_private_segment_wavefront_offset 0
		.amdhsa_system_sgpr_workgroup_id_x 1
		.amdhsa_system_sgpr_workgroup_id_y 0
		.amdhsa_system_sgpr_workgroup_id_z 0
		.amdhsa_system_sgpr_workgroup_info 0
		.amdhsa_system_vgpr_workitem_id 1
		.amdhsa_next_free_vgpr 14
		.amdhsa_next_free_sgpr 16
		.amdhsa_accum_offset 16
		.amdhsa_reserve_vcc 1
		.amdhsa_reserve_flat_scratch 0
		.amdhsa_float_round_mode_32 0
		.amdhsa_float_round_mode_16_64 0
		.amdhsa_float_denorm_mode_32 3
		.amdhsa_float_denorm_mode_16_64 3
		.amdhsa_dx10_clamp 1
		.amdhsa_ieee_mode 1
		.amdhsa_fp16_overflow 0
		.amdhsa_tg_split 0
		.amdhsa_exception_fp_ieee_invalid_op 0
		.amdhsa_exception_fp_denorm_src 0
		.amdhsa_exception_fp_ieee_div_zero 0
		.amdhsa_exception_fp_ieee_overflow 0
		.amdhsa_exception_fp_ieee_underflow 0
		.amdhsa_exception_fp_ieee_inexact 0
		.amdhsa_exception_int_div_zero 0
	.end_amdhsa_kernel
	.section	.text._ZN12_GLOBAL__N_121softmax_warp_backwardIN3c104HalfES2_fLi3ELb0ELb0ELi32EEEvPT0_PKT_S7_iiiPKb,"axG",@progbits,_ZN12_GLOBAL__N_121softmax_warp_backwardIN3c104HalfES2_fLi3ELb0ELb0ELi32EEEvPT0_PKT_S7_iiiPKb,comdat
.Lfunc_end577:
	.size	_ZN12_GLOBAL__N_121softmax_warp_backwardIN3c104HalfES2_fLi3ELb0ELb0ELi32EEEvPT0_PKT_S7_iiiPKb, .Lfunc_end577-_ZN12_GLOBAL__N_121softmax_warp_backwardIN3c104HalfES2_fLi3ELb0ELb0ELi32EEEvPT0_PKT_S7_iiiPKb
                                        ; -- End function
	.section	.AMDGPU.csdata,"",@progbits
; Kernel info:
; codeLenInByte = 596
; NumSgprs: 20
; NumVgprs: 14
; NumAgprs: 0
; TotalNumVgprs: 14
; ScratchSize: 0
; MemoryBound: 0
; FloatMode: 240
; IeeeMode: 1
; LDSByteSize: 0 bytes/workgroup (compile time only)
; SGPRBlocks: 2
; VGPRBlocks: 1
; NumSGPRsForWavesPerEU: 20
; NumVGPRsForWavesPerEU: 14
; AccumOffset: 16
; Occupancy: 8
; WaveLimiterHint : 0
; COMPUTE_PGM_RSRC2:SCRATCH_EN: 0
; COMPUTE_PGM_RSRC2:USER_SGPR: 6
; COMPUTE_PGM_RSRC2:TRAP_HANDLER: 0
; COMPUTE_PGM_RSRC2:TGID_X_EN: 1
; COMPUTE_PGM_RSRC2:TGID_Y_EN: 0
; COMPUTE_PGM_RSRC2:TGID_Z_EN: 0
; COMPUTE_PGM_RSRC2:TIDIG_COMP_CNT: 1
; COMPUTE_PGM_RSRC3_GFX90A:ACCUM_OFFSET: 3
; COMPUTE_PGM_RSRC3_GFX90A:TG_SPLIT: 0
	.section	.text._ZN12_GLOBAL__N_121softmax_warp_backwardIN3c104HalfES2_fLi4ELb0ELb0ELi64EEEvPT0_PKT_S7_iiiPKb,"axG",@progbits,_ZN12_GLOBAL__N_121softmax_warp_backwardIN3c104HalfES2_fLi4ELb0ELb0ELi64EEEvPT0_PKT_S7_iiiPKb,comdat
	.globl	_ZN12_GLOBAL__N_121softmax_warp_backwardIN3c104HalfES2_fLi4ELb0ELb0ELi64EEEvPT0_PKT_S7_iiiPKb ; -- Begin function _ZN12_GLOBAL__N_121softmax_warp_backwardIN3c104HalfES2_fLi4ELb0ELb0ELi64EEEvPT0_PKT_S7_iiiPKb
	.p2align	8
	.type	_ZN12_GLOBAL__N_121softmax_warp_backwardIN3c104HalfES2_fLi4ELb0ELb0ELi64EEEvPT0_PKT_S7_iiiPKb,@function
_ZN12_GLOBAL__N_121softmax_warp_backwardIN3c104HalfES2_fLi4ELb0ELb0ELi64EEEvPT0_PKT_S7_iiiPKb: ; @_ZN12_GLOBAL__N_121softmax_warp_backwardIN3c104HalfES2_fLi4ELb0ELb0ELi64EEEvPT0_PKT_S7_iiiPKb
; %bb.0:
	s_load_dword s2, s[4:5], 0x3c
	s_load_dwordx4 s[8:11], s[4:5], 0x18
	s_load_dwordx4 s[12:15], s[4:5], 0x0
	s_load_dwordx2 s[0:1], s[4:5], 0x10
	v_bfe_u32 v1, v0, 10, 10
	s_waitcnt lgkmcnt(0)
	s_lshr_b32 s2, s2, 16
	s_mul_i32 s6, s6, s2
	v_add_lshl_u32 v1, s6, v1, 1
	v_and_b32_e32 v0, 15, v0
	v_mad_u64_u32 v[2:3], s[2:3], v1, s9, v[0:1]
	v_ashrrev_i32_e32 v3, 31, v2
	v_lshlrev_b64 v[2:3], 1, v[2:3]
	v_sub_u32_e32 v8, s8, v1
	v_mov_b32_e32 v1, s15
	v_add_co_u32_e32 v4, vcc, s14, v2
	v_addc_co_u32_e32 v5, vcc, v1, v3, vcc
	v_mov_b32_e32 v1, s1
	v_add_co_u32_e32 v6, vcc, s0, v2
	v_addc_co_u32_e32 v7, vcc, v1, v3, vcc
	v_cmp_gt_i32_e32 vcc, s10, v0
	v_cmp_lt_i32_e64 s[0:1], 0, v8
	s_and_b64 s[4:5], vcc, s[0:1]
	v_mov_b32_e32 v1, 0
	v_mov_b32_e32 v0, 0
	;; [unrolled: 1-line block ×3, first 2 shown]
	s_and_saveexec_b64 s[2:3], s[4:5]
	s_cbranch_execz .LBB578_2
; %bb.1:
	global_load_ushort v0, v[4:5], off
	global_load_ushort v9, v[6:7], off
	s_waitcnt vmcnt(1)
	v_cvt_f32_f16_e32 v0, v0
	s_waitcnt vmcnt(0)
	v_cvt_f32_f16_e32 v9, v9
.LBB578_2:
	s_or_b64 exec, exec, s[2:3]
	v_cmp_lt_i32_e64 s[2:3], 1, v8
	s_and_b64 s[2:3], vcc, s[2:3]
	s_mov_b32 s11, 0
	v_mov_b32_e32 v10, 0
	s_and_saveexec_b64 s[4:5], s[2:3]
	s_cbranch_execz .LBB578_4
; %bb.3:
	s_lshl_b64 s[6:7], s[10:11], 1
	v_mov_b32_e32 v1, s7
	v_add_co_u32_e64 v4, s[2:3], s6, v4
	v_addc_co_u32_e64 v5, s[2:3], v5, v1, s[2:3]
	global_load_ushort v10, v[4:5], off
	v_add_co_u32_e64 v4, s[2:3], s6, v6
	v_addc_co_u32_e64 v5, s[2:3], v7, v1, s[2:3]
	global_load_ushort v4, v[4:5], off
	s_waitcnt vmcnt(1)
	v_cvt_f32_f16_e32 v1, v10
	s_waitcnt vmcnt(0)
	v_cvt_f32_f16_e32 v10, v4
.LBB578_4:
	s_or_b64 exec, exec, s[4:5]
	v_mbcnt_lo_u32_b32 v6, -1, 0
	v_mbcnt_hi_u32_b32 v11, -1, v6
	v_and_b32_e32 v6, 0x70, v11
	v_add_u32_e32 v12, 16, v6
	v_xor_b32_e32 v6, 8, v11
	v_cmp_lt_i32_e64 s[2:3], v6, v12
	v_cndmask_b32_e64 v6, v11, v6, s[2:3]
	v_pk_add_f32 v[4:5], v[0:1], 0 op_sel_hi:[1,0]
	v_lshlrev_b32_e32 v7, 2, v6
	ds_bpermute_b32 v6, v7, v4
	ds_bpermute_b32 v7, v7, v5
	v_xor_b32_e32 v13, 4, v11
	v_cmp_lt_i32_e64 s[2:3], v13, v12
	v_cndmask_b32_e64 v13, v11, v13, s[2:3]
	v_lshlrev_b32_e32 v13, 2, v13
	s_waitcnt lgkmcnt(0)
	v_pk_add_f32 v[4:5], v[4:5], v[6:7]
	ds_bpermute_b32 v6, v13, v4
	ds_bpermute_b32 v7, v13, v5
	v_xor_b32_e32 v13, 2, v11
	v_cmp_lt_i32_e64 s[2:3], v13, v12
	v_cndmask_b32_e64 v13, v11, v13, s[2:3]
	v_lshlrev_b32_e32 v13, 2, v13
	s_waitcnt lgkmcnt(0)
	v_pk_add_f32 v[4:5], v[4:5], v[6:7]
	;; [unrolled: 8-line block ×3, first 2 shown]
	ds_bpermute_b32 v6, v11, v4
	ds_bpermute_b32 v7, v11, v5
	s_and_saveexec_b64 s[2:3], s[0:1]
	s_cbranch_execz .LBB578_10
; %bb.5:
	v_mov_b32_e32 v11, s13
	v_add_co_u32_e64 v2, s[0:1], s12, v2
	v_addc_co_u32_e64 v3, s[0:1], v11, v3, s[0:1]
	s_waitcnt lgkmcnt(0)
	v_pk_add_f32 v[4:5], v[4:5], v[6:7]
	s_and_saveexec_b64 s[0:1], vcc
	s_cbranch_execz .LBB578_7
; %bb.6:
	v_fma_mixlo_f16 v0, -v4, v9, v0
	global_store_short v[2:3], v0, off
.LBB578_7:
	s_or_b64 exec, exec, s[0:1]
	v_cmp_ne_u32_e64 s[0:1], 1, v8
	s_and_b64 exec, exec, s[0:1]
	s_cbranch_execz .LBB578_10
; %bb.8:
	s_and_b64 exec, exec, vcc
	s_cbranch_execz .LBB578_10
; %bb.9:
	s_lshl_b64 s[0:1], s[10:11], 1
	v_fma_mixlo_f16 v4, -v5, v10, v1
	v_mov_b32_e32 v1, s1
	v_add_co_u32_e32 v0, vcc, s0, v2
	v_addc_co_u32_e32 v1, vcc, v3, v1, vcc
	global_store_short v[0:1], v4, off
.LBB578_10:
	s_endpgm
	.section	.rodata,"a",@progbits
	.p2align	6, 0x0
	.amdhsa_kernel _ZN12_GLOBAL__N_121softmax_warp_backwardIN3c104HalfES2_fLi4ELb0ELb0ELi64EEEvPT0_PKT_S7_iiiPKb
		.amdhsa_group_segment_fixed_size 0
		.amdhsa_private_segment_fixed_size 0
		.amdhsa_kernarg_size 304
		.amdhsa_user_sgpr_count 6
		.amdhsa_user_sgpr_private_segment_buffer 1
		.amdhsa_user_sgpr_dispatch_ptr 0
		.amdhsa_user_sgpr_queue_ptr 0
		.amdhsa_user_sgpr_kernarg_segment_ptr 1
		.amdhsa_user_sgpr_dispatch_id 0
		.amdhsa_user_sgpr_flat_scratch_init 0
		.amdhsa_user_sgpr_kernarg_preload_length 0
		.amdhsa_user_sgpr_kernarg_preload_offset 0
		.amdhsa_user_sgpr_private_segment_size 0
		.amdhsa_uses_dynamic_stack 0
		.amdhsa_system_sgpr_private_segment_wavefront_offset 0
		.amdhsa_system_sgpr_workgroup_id_x 1
		.amdhsa_system_sgpr_workgroup_id_y 0
		.amdhsa_system_sgpr_workgroup_id_z 0
		.amdhsa_system_sgpr_workgroup_info 0
		.amdhsa_system_vgpr_workitem_id 1
		.amdhsa_next_free_vgpr 14
		.amdhsa_next_free_sgpr 16
		.amdhsa_accum_offset 16
		.amdhsa_reserve_vcc 1
		.amdhsa_reserve_flat_scratch 0
		.amdhsa_float_round_mode_32 0
		.amdhsa_float_round_mode_16_64 0
		.amdhsa_float_denorm_mode_32 3
		.amdhsa_float_denorm_mode_16_64 3
		.amdhsa_dx10_clamp 1
		.amdhsa_ieee_mode 1
		.amdhsa_fp16_overflow 0
		.amdhsa_tg_split 0
		.amdhsa_exception_fp_ieee_invalid_op 0
		.amdhsa_exception_fp_denorm_src 0
		.amdhsa_exception_fp_ieee_div_zero 0
		.amdhsa_exception_fp_ieee_overflow 0
		.amdhsa_exception_fp_ieee_underflow 0
		.amdhsa_exception_fp_ieee_inexact 0
		.amdhsa_exception_int_div_zero 0
	.end_amdhsa_kernel
	.section	.text._ZN12_GLOBAL__N_121softmax_warp_backwardIN3c104HalfES2_fLi4ELb0ELb0ELi64EEEvPT0_PKT_S7_iiiPKb,"axG",@progbits,_ZN12_GLOBAL__N_121softmax_warp_backwardIN3c104HalfES2_fLi4ELb0ELb0ELi64EEEvPT0_PKT_S7_iiiPKb,comdat
.Lfunc_end578:
	.size	_ZN12_GLOBAL__N_121softmax_warp_backwardIN3c104HalfES2_fLi4ELb0ELb0ELi64EEEvPT0_PKT_S7_iiiPKb, .Lfunc_end578-_ZN12_GLOBAL__N_121softmax_warp_backwardIN3c104HalfES2_fLi4ELb0ELb0ELi64EEEvPT0_PKT_S7_iiiPKb
                                        ; -- End function
	.section	.AMDGPU.csdata,"",@progbits
; Kernel info:
; codeLenInByte = 648
; NumSgprs: 20
; NumVgprs: 14
; NumAgprs: 0
; TotalNumVgprs: 14
; ScratchSize: 0
; MemoryBound: 0
; FloatMode: 240
; IeeeMode: 1
; LDSByteSize: 0 bytes/workgroup (compile time only)
; SGPRBlocks: 2
; VGPRBlocks: 1
; NumSGPRsForWavesPerEU: 20
; NumVGPRsForWavesPerEU: 14
; AccumOffset: 16
; Occupancy: 8
; WaveLimiterHint : 0
; COMPUTE_PGM_RSRC2:SCRATCH_EN: 0
; COMPUTE_PGM_RSRC2:USER_SGPR: 6
; COMPUTE_PGM_RSRC2:TRAP_HANDLER: 0
; COMPUTE_PGM_RSRC2:TGID_X_EN: 1
; COMPUTE_PGM_RSRC2:TGID_Y_EN: 0
; COMPUTE_PGM_RSRC2:TGID_Z_EN: 0
; COMPUTE_PGM_RSRC2:TIDIG_COMP_CNT: 1
; COMPUTE_PGM_RSRC3_GFX90A:ACCUM_OFFSET: 3
; COMPUTE_PGM_RSRC3_GFX90A:TG_SPLIT: 0
	.section	.text._ZN12_GLOBAL__N_121softmax_warp_backwardIN3c104HalfES2_fLi4ELb0ELb0ELi32EEEvPT0_PKT_S7_iiiPKb,"axG",@progbits,_ZN12_GLOBAL__N_121softmax_warp_backwardIN3c104HalfES2_fLi4ELb0ELb0ELi32EEEvPT0_PKT_S7_iiiPKb,comdat
	.globl	_ZN12_GLOBAL__N_121softmax_warp_backwardIN3c104HalfES2_fLi4ELb0ELb0ELi32EEEvPT0_PKT_S7_iiiPKb ; -- Begin function _ZN12_GLOBAL__N_121softmax_warp_backwardIN3c104HalfES2_fLi4ELb0ELb0ELi32EEEvPT0_PKT_S7_iiiPKb
	.p2align	8
	.type	_ZN12_GLOBAL__N_121softmax_warp_backwardIN3c104HalfES2_fLi4ELb0ELb0ELi32EEEvPT0_PKT_S7_iiiPKb,@function
_ZN12_GLOBAL__N_121softmax_warp_backwardIN3c104HalfES2_fLi4ELb0ELb0ELi32EEEvPT0_PKT_S7_iiiPKb: ; @_ZN12_GLOBAL__N_121softmax_warp_backwardIN3c104HalfES2_fLi4ELb0ELb0ELi32EEEvPT0_PKT_S7_iiiPKb
; %bb.0:
	s_load_dword s2, s[4:5], 0x3c
	s_load_dwordx4 s[8:11], s[4:5], 0x18
	s_load_dwordx4 s[12:15], s[4:5], 0x0
	s_load_dwordx2 s[0:1], s[4:5], 0x10
	v_bfe_u32 v1, v0, 10, 10
	s_waitcnt lgkmcnt(0)
	s_lshr_b32 s2, s2, 16
	s_mul_i32 s6, s6, s2
	v_add_lshl_u32 v1, s6, v1, 1
	v_and_b32_e32 v0, 15, v0
	v_mad_u64_u32 v[2:3], s[2:3], v1, s9, v[0:1]
	v_ashrrev_i32_e32 v3, 31, v2
	v_lshlrev_b64 v[2:3], 1, v[2:3]
	v_sub_u32_e32 v8, s8, v1
	v_mov_b32_e32 v1, s15
	v_add_co_u32_e32 v4, vcc, s14, v2
	v_addc_co_u32_e32 v5, vcc, v1, v3, vcc
	v_mov_b32_e32 v1, s1
	v_add_co_u32_e32 v6, vcc, s0, v2
	v_addc_co_u32_e32 v7, vcc, v1, v3, vcc
	v_cmp_gt_i32_e32 vcc, s10, v0
	v_cmp_lt_i32_e64 s[0:1], 0, v8
	s_and_b64 s[4:5], vcc, s[0:1]
	v_mov_b32_e32 v1, 0
	v_mov_b32_e32 v0, 0
	;; [unrolled: 1-line block ×3, first 2 shown]
	s_and_saveexec_b64 s[2:3], s[4:5]
	s_cbranch_execz .LBB579_2
; %bb.1:
	global_load_ushort v0, v[4:5], off
	global_load_ushort v9, v[6:7], off
	s_waitcnt vmcnt(1)
	v_cvt_f32_f16_e32 v0, v0
	s_waitcnt vmcnt(0)
	v_cvt_f32_f16_e32 v9, v9
.LBB579_2:
	s_or_b64 exec, exec, s[2:3]
	v_cmp_lt_i32_e64 s[2:3], 1, v8
	s_and_b64 s[2:3], vcc, s[2:3]
	s_mov_b32 s11, 0
	v_mov_b32_e32 v10, 0
	s_and_saveexec_b64 s[4:5], s[2:3]
	s_cbranch_execz .LBB579_4
; %bb.3:
	s_lshl_b64 s[6:7], s[10:11], 1
	v_mov_b32_e32 v1, s7
	v_add_co_u32_e64 v4, s[2:3], s6, v4
	v_addc_co_u32_e64 v5, s[2:3], v5, v1, s[2:3]
	global_load_ushort v10, v[4:5], off
	v_add_co_u32_e64 v4, s[2:3], s6, v6
	v_addc_co_u32_e64 v5, s[2:3], v7, v1, s[2:3]
	global_load_ushort v4, v[4:5], off
	s_waitcnt vmcnt(1)
	v_cvt_f32_f16_e32 v1, v10
	s_waitcnt vmcnt(0)
	v_cvt_f32_f16_e32 v10, v4
.LBB579_4:
	s_or_b64 exec, exec, s[4:5]
	v_mbcnt_lo_u32_b32 v6, -1, 0
	v_mbcnt_hi_u32_b32 v11, -1, v6
	v_and_b32_e32 v6, 0x70, v11
	v_add_u32_e32 v12, 16, v6
	v_xor_b32_e32 v6, 8, v11
	v_cmp_lt_i32_e64 s[2:3], v6, v12
	v_cndmask_b32_e64 v6, v11, v6, s[2:3]
	v_pk_add_f32 v[4:5], v[0:1], 0 op_sel_hi:[1,0]
	v_lshlrev_b32_e32 v7, 2, v6
	ds_bpermute_b32 v6, v7, v4
	ds_bpermute_b32 v7, v7, v5
	v_xor_b32_e32 v13, 4, v11
	v_cmp_lt_i32_e64 s[2:3], v13, v12
	v_cndmask_b32_e64 v13, v11, v13, s[2:3]
	v_lshlrev_b32_e32 v13, 2, v13
	s_waitcnt lgkmcnt(0)
	v_pk_add_f32 v[4:5], v[4:5], v[6:7]
	ds_bpermute_b32 v6, v13, v4
	ds_bpermute_b32 v7, v13, v5
	v_xor_b32_e32 v13, 2, v11
	v_cmp_lt_i32_e64 s[2:3], v13, v12
	v_cndmask_b32_e64 v13, v11, v13, s[2:3]
	v_lshlrev_b32_e32 v13, 2, v13
	s_waitcnt lgkmcnt(0)
	v_pk_add_f32 v[4:5], v[4:5], v[6:7]
	;; [unrolled: 8-line block ×3, first 2 shown]
	ds_bpermute_b32 v6, v11, v4
	ds_bpermute_b32 v7, v11, v5
	s_and_saveexec_b64 s[2:3], s[0:1]
	s_cbranch_execz .LBB579_10
; %bb.5:
	v_mov_b32_e32 v11, s13
	v_add_co_u32_e64 v2, s[0:1], s12, v2
	v_addc_co_u32_e64 v3, s[0:1], v11, v3, s[0:1]
	s_waitcnt lgkmcnt(0)
	v_pk_add_f32 v[4:5], v[4:5], v[6:7]
	s_and_saveexec_b64 s[0:1], vcc
	s_cbranch_execz .LBB579_7
; %bb.6:
	v_fma_mixlo_f16 v0, -v4, v9, v0
	global_store_short v[2:3], v0, off
.LBB579_7:
	s_or_b64 exec, exec, s[0:1]
	v_cmp_ne_u32_e64 s[0:1], 1, v8
	s_and_b64 exec, exec, s[0:1]
	s_cbranch_execz .LBB579_10
; %bb.8:
	s_and_b64 exec, exec, vcc
	s_cbranch_execz .LBB579_10
; %bb.9:
	s_lshl_b64 s[0:1], s[10:11], 1
	v_fma_mixlo_f16 v4, -v5, v10, v1
	v_mov_b32_e32 v1, s1
	v_add_co_u32_e32 v0, vcc, s0, v2
	v_addc_co_u32_e32 v1, vcc, v3, v1, vcc
	global_store_short v[0:1], v4, off
.LBB579_10:
	s_endpgm
	.section	.rodata,"a",@progbits
	.p2align	6, 0x0
	.amdhsa_kernel _ZN12_GLOBAL__N_121softmax_warp_backwardIN3c104HalfES2_fLi4ELb0ELb0ELi32EEEvPT0_PKT_S7_iiiPKb
		.amdhsa_group_segment_fixed_size 0
		.amdhsa_private_segment_fixed_size 0
		.amdhsa_kernarg_size 304
		.amdhsa_user_sgpr_count 6
		.amdhsa_user_sgpr_private_segment_buffer 1
		.amdhsa_user_sgpr_dispatch_ptr 0
		.amdhsa_user_sgpr_queue_ptr 0
		.amdhsa_user_sgpr_kernarg_segment_ptr 1
		.amdhsa_user_sgpr_dispatch_id 0
		.amdhsa_user_sgpr_flat_scratch_init 0
		.amdhsa_user_sgpr_kernarg_preload_length 0
		.amdhsa_user_sgpr_kernarg_preload_offset 0
		.amdhsa_user_sgpr_private_segment_size 0
		.amdhsa_uses_dynamic_stack 0
		.amdhsa_system_sgpr_private_segment_wavefront_offset 0
		.amdhsa_system_sgpr_workgroup_id_x 1
		.amdhsa_system_sgpr_workgroup_id_y 0
		.amdhsa_system_sgpr_workgroup_id_z 0
		.amdhsa_system_sgpr_workgroup_info 0
		.amdhsa_system_vgpr_workitem_id 1
		.amdhsa_next_free_vgpr 14
		.amdhsa_next_free_sgpr 16
		.amdhsa_accum_offset 16
		.amdhsa_reserve_vcc 1
		.amdhsa_reserve_flat_scratch 0
		.amdhsa_float_round_mode_32 0
		.amdhsa_float_round_mode_16_64 0
		.amdhsa_float_denorm_mode_32 3
		.amdhsa_float_denorm_mode_16_64 3
		.amdhsa_dx10_clamp 1
		.amdhsa_ieee_mode 1
		.amdhsa_fp16_overflow 0
		.amdhsa_tg_split 0
		.amdhsa_exception_fp_ieee_invalid_op 0
		.amdhsa_exception_fp_denorm_src 0
		.amdhsa_exception_fp_ieee_div_zero 0
		.amdhsa_exception_fp_ieee_overflow 0
		.amdhsa_exception_fp_ieee_underflow 0
		.amdhsa_exception_fp_ieee_inexact 0
		.amdhsa_exception_int_div_zero 0
	.end_amdhsa_kernel
	.section	.text._ZN12_GLOBAL__N_121softmax_warp_backwardIN3c104HalfES2_fLi4ELb0ELb0ELi32EEEvPT0_PKT_S7_iiiPKb,"axG",@progbits,_ZN12_GLOBAL__N_121softmax_warp_backwardIN3c104HalfES2_fLi4ELb0ELb0ELi32EEEvPT0_PKT_S7_iiiPKb,comdat
.Lfunc_end579:
	.size	_ZN12_GLOBAL__N_121softmax_warp_backwardIN3c104HalfES2_fLi4ELb0ELb0ELi32EEEvPT0_PKT_S7_iiiPKb, .Lfunc_end579-_ZN12_GLOBAL__N_121softmax_warp_backwardIN3c104HalfES2_fLi4ELb0ELb0ELi32EEEvPT0_PKT_S7_iiiPKb
                                        ; -- End function
	.section	.AMDGPU.csdata,"",@progbits
; Kernel info:
; codeLenInByte = 648
; NumSgprs: 20
; NumVgprs: 14
; NumAgprs: 0
; TotalNumVgprs: 14
; ScratchSize: 0
; MemoryBound: 0
; FloatMode: 240
; IeeeMode: 1
; LDSByteSize: 0 bytes/workgroup (compile time only)
; SGPRBlocks: 2
; VGPRBlocks: 1
; NumSGPRsForWavesPerEU: 20
; NumVGPRsForWavesPerEU: 14
; AccumOffset: 16
; Occupancy: 8
; WaveLimiterHint : 0
; COMPUTE_PGM_RSRC2:SCRATCH_EN: 0
; COMPUTE_PGM_RSRC2:USER_SGPR: 6
; COMPUTE_PGM_RSRC2:TRAP_HANDLER: 0
; COMPUTE_PGM_RSRC2:TGID_X_EN: 1
; COMPUTE_PGM_RSRC2:TGID_Y_EN: 0
; COMPUTE_PGM_RSRC2:TGID_Z_EN: 0
; COMPUTE_PGM_RSRC2:TIDIG_COMP_CNT: 1
; COMPUTE_PGM_RSRC3_GFX90A:ACCUM_OFFSET: 3
; COMPUTE_PGM_RSRC3_GFX90A:TG_SPLIT: 0
	.section	.text._ZN12_GLOBAL__N_121softmax_warp_backwardIN3c104HalfES2_fLi5ELb0ELb0ELi64EEEvPT0_PKT_S7_iiiPKb,"axG",@progbits,_ZN12_GLOBAL__N_121softmax_warp_backwardIN3c104HalfES2_fLi5ELb0ELb0ELi64EEEvPT0_PKT_S7_iiiPKb,comdat
	.globl	_ZN12_GLOBAL__N_121softmax_warp_backwardIN3c104HalfES2_fLi5ELb0ELb0ELi64EEEvPT0_PKT_S7_iiiPKb ; -- Begin function _ZN12_GLOBAL__N_121softmax_warp_backwardIN3c104HalfES2_fLi5ELb0ELb0ELi64EEEvPT0_PKT_S7_iiiPKb
	.p2align	8
	.type	_ZN12_GLOBAL__N_121softmax_warp_backwardIN3c104HalfES2_fLi5ELb0ELb0ELi64EEEvPT0_PKT_S7_iiiPKb,@function
_ZN12_GLOBAL__N_121softmax_warp_backwardIN3c104HalfES2_fLi5ELb0ELb0ELi64EEEvPT0_PKT_S7_iiiPKb: ; @_ZN12_GLOBAL__N_121softmax_warp_backwardIN3c104HalfES2_fLi5ELb0ELb0ELi64EEEvPT0_PKT_S7_iiiPKb
; %bb.0:
	s_load_dword s2, s[4:5], 0x3c
	s_load_dwordx4 s[8:11], s[4:5], 0x18
	s_load_dwordx4 s[12:15], s[4:5], 0x0
	s_load_dwordx2 s[0:1], s[4:5], 0x10
	v_bfe_u32 v1, v0, 10, 10
	s_waitcnt lgkmcnt(0)
	s_lshr_b32 s2, s2, 16
	s_mul_i32 s6, s6, s2
	v_add_lshl_u32 v1, s6, v1, 1
	v_and_b32_e32 v0, 31, v0
	v_mad_u64_u32 v[2:3], s[2:3], v1, s9, v[0:1]
	v_ashrrev_i32_e32 v3, 31, v2
	v_lshlrev_b64 v[2:3], 1, v[2:3]
	v_sub_u32_e32 v8, s8, v1
	v_mov_b32_e32 v1, s15
	v_add_co_u32_e32 v4, vcc, s14, v2
	v_addc_co_u32_e32 v5, vcc, v1, v3, vcc
	v_mov_b32_e32 v1, s1
	v_add_co_u32_e32 v6, vcc, s0, v2
	v_addc_co_u32_e32 v7, vcc, v1, v3, vcc
	v_cmp_gt_i32_e32 vcc, s10, v0
	v_cmp_lt_i32_e64 s[0:1], 0, v8
	s_and_b64 s[4:5], vcc, s[0:1]
	v_mov_b32_e32 v1, 0
	v_mov_b32_e32 v0, 0
	;; [unrolled: 1-line block ×3, first 2 shown]
	s_and_saveexec_b64 s[2:3], s[4:5]
	s_cbranch_execz .LBB580_2
; %bb.1:
	global_load_ushort v0, v[4:5], off
	global_load_ushort v9, v[6:7], off
	s_waitcnt vmcnt(1)
	v_cvt_f32_f16_e32 v0, v0
	s_waitcnt vmcnt(0)
	v_cvt_f32_f16_e32 v9, v9
.LBB580_2:
	s_or_b64 exec, exec, s[2:3]
	v_cmp_lt_i32_e64 s[2:3], 1, v8
	s_and_b64 s[2:3], vcc, s[2:3]
	s_mov_b32 s11, 0
	v_mov_b32_e32 v10, 0
	s_and_saveexec_b64 s[4:5], s[2:3]
	s_cbranch_execz .LBB580_4
; %bb.3:
	s_lshl_b64 s[6:7], s[10:11], 1
	v_mov_b32_e32 v1, s7
	v_add_co_u32_e64 v4, s[2:3], s6, v4
	v_addc_co_u32_e64 v5, s[2:3], v5, v1, s[2:3]
	global_load_ushort v10, v[4:5], off
	v_add_co_u32_e64 v4, s[2:3], s6, v6
	v_addc_co_u32_e64 v5, s[2:3], v7, v1, s[2:3]
	global_load_ushort v4, v[4:5], off
	s_waitcnt vmcnt(1)
	v_cvt_f32_f16_e32 v1, v10
	s_waitcnt vmcnt(0)
	v_cvt_f32_f16_e32 v10, v4
.LBB580_4:
	s_or_b64 exec, exec, s[4:5]
	v_mbcnt_lo_u32_b32 v6, -1, 0
	v_mbcnt_hi_u32_b32 v11, -1, v6
	v_and_b32_e32 v6, 0x60, v11
	v_add_u32_e32 v12, 32, v6
	v_xor_b32_e32 v6, 16, v11
	v_cmp_lt_i32_e64 s[2:3], v6, v12
	v_cndmask_b32_e64 v6, v11, v6, s[2:3]
	v_pk_add_f32 v[4:5], v[0:1], 0 op_sel_hi:[1,0]
	v_lshlrev_b32_e32 v7, 2, v6
	ds_bpermute_b32 v6, v7, v4
	ds_bpermute_b32 v7, v7, v5
	v_xor_b32_e32 v13, 8, v11
	v_cmp_lt_i32_e64 s[2:3], v13, v12
	v_cndmask_b32_e64 v13, v11, v13, s[2:3]
	v_lshlrev_b32_e32 v13, 2, v13
	s_waitcnt lgkmcnt(0)
	v_pk_add_f32 v[4:5], v[4:5], v[6:7]
	ds_bpermute_b32 v6, v13, v4
	ds_bpermute_b32 v7, v13, v5
	v_xor_b32_e32 v13, 4, v11
	v_cmp_lt_i32_e64 s[2:3], v13, v12
	v_cndmask_b32_e64 v13, v11, v13, s[2:3]
	v_lshlrev_b32_e32 v13, 2, v13
	s_waitcnt lgkmcnt(0)
	v_pk_add_f32 v[4:5], v[4:5], v[6:7]
	;; [unrolled: 8-line block ×4, first 2 shown]
	ds_bpermute_b32 v6, v11, v4
	ds_bpermute_b32 v7, v11, v5
	s_and_saveexec_b64 s[2:3], s[0:1]
	s_cbranch_execz .LBB580_10
; %bb.5:
	v_mov_b32_e32 v11, s13
	v_add_co_u32_e64 v2, s[0:1], s12, v2
	v_addc_co_u32_e64 v3, s[0:1], v11, v3, s[0:1]
	s_waitcnt lgkmcnt(0)
	v_pk_add_f32 v[4:5], v[4:5], v[6:7]
	s_and_saveexec_b64 s[0:1], vcc
	s_cbranch_execz .LBB580_7
; %bb.6:
	v_fma_mixlo_f16 v0, -v4, v9, v0
	global_store_short v[2:3], v0, off
.LBB580_7:
	s_or_b64 exec, exec, s[0:1]
	v_cmp_ne_u32_e64 s[0:1], 1, v8
	s_and_b64 exec, exec, s[0:1]
	s_cbranch_execz .LBB580_10
; %bb.8:
	s_and_b64 exec, exec, vcc
	s_cbranch_execz .LBB580_10
; %bb.9:
	s_lshl_b64 s[0:1], s[10:11], 1
	v_fma_mixlo_f16 v4, -v5, v10, v1
	v_mov_b32_e32 v1, s1
	v_add_co_u32_e32 v0, vcc, s0, v2
	v_addc_co_u32_e32 v1, vcc, v3, v1, vcc
	global_store_short v[0:1], v4, off
.LBB580_10:
	s_endpgm
	.section	.rodata,"a",@progbits
	.p2align	6, 0x0
	.amdhsa_kernel _ZN12_GLOBAL__N_121softmax_warp_backwardIN3c104HalfES2_fLi5ELb0ELb0ELi64EEEvPT0_PKT_S7_iiiPKb
		.amdhsa_group_segment_fixed_size 0
		.amdhsa_private_segment_fixed_size 0
		.amdhsa_kernarg_size 304
		.amdhsa_user_sgpr_count 6
		.amdhsa_user_sgpr_private_segment_buffer 1
		.amdhsa_user_sgpr_dispatch_ptr 0
		.amdhsa_user_sgpr_queue_ptr 0
		.amdhsa_user_sgpr_kernarg_segment_ptr 1
		.amdhsa_user_sgpr_dispatch_id 0
		.amdhsa_user_sgpr_flat_scratch_init 0
		.amdhsa_user_sgpr_kernarg_preload_length 0
		.amdhsa_user_sgpr_kernarg_preload_offset 0
		.amdhsa_user_sgpr_private_segment_size 0
		.amdhsa_uses_dynamic_stack 0
		.amdhsa_system_sgpr_private_segment_wavefront_offset 0
		.amdhsa_system_sgpr_workgroup_id_x 1
		.amdhsa_system_sgpr_workgroup_id_y 0
		.amdhsa_system_sgpr_workgroup_id_z 0
		.amdhsa_system_sgpr_workgroup_info 0
		.amdhsa_system_vgpr_workitem_id 1
		.amdhsa_next_free_vgpr 14
		.amdhsa_next_free_sgpr 16
		.amdhsa_accum_offset 16
		.amdhsa_reserve_vcc 1
		.amdhsa_reserve_flat_scratch 0
		.amdhsa_float_round_mode_32 0
		.amdhsa_float_round_mode_16_64 0
		.amdhsa_float_denorm_mode_32 3
		.amdhsa_float_denorm_mode_16_64 3
		.amdhsa_dx10_clamp 1
		.amdhsa_ieee_mode 1
		.amdhsa_fp16_overflow 0
		.amdhsa_tg_split 0
		.amdhsa_exception_fp_ieee_invalid_op 0
		.amdhsa_exception_fp_denorm_src 0
		.amdhsa_exception_fp_ieee_div_zero 0
		.amdhsa_exception_fp_ieee_overflow 0
		.amdhsa_exception_fp_ieee_underflow 0
		.amdhsa_exception_fp_ieee_inexact 0
		.amdhsa_exception_int_div_zero 0
	.end_amdhsa_kernel
	.section	.text._ZN12_GLOBAL__N_121softmax_warp_backwardIN3c104HalfES2_fLi5ELb0ELb0ELi64EEEvPT0_PKT_S7_iiiPKb,"axG",@progbits,_ZN12_GLOBAL__N_121softmax_warp_backwardIN3c104HalfES2_fLi5ELb0ELb0ELi64EEEvPT0_PKT_S7_iiiPKb,comdat
.Lfunc_end580:
	.size	_ZN12_GLOBAL__N_121softmax_warp_backwardIN3c104HalfES2_fLi5ELb0ELb0ELi64EEEvPT0_PKT_S7_iiiPKb, .Lfunc_end580-_ZN12_GLOBAL__N_121softmax_warp_backwardIN3c104HalfES2_fLi5ELb0ELb0ELi64EEEvPT0_PKT_S7_iiiPKb
                                        ; -- End function
	.section	.AMDGPU.csdata,"",@progbits
; Kernel info:
; codeLenInByte = 700
; NumSgprs: 20
; NumVgprs: 14
; NumAgprs: 0
; TotalNumVgprs: 14
; ScratchSize: 0
; MemoryBound: 0
; FloatMode: 240
; IeeeMode: 1
; LDSByteSize: 0 bytes/workgroup (compile time only)
; SGPRBlocks: 2
; VGPRBlocks: 1
; NumSGPRsForWavesPerEU: 20
; NumVGPRsForWavesPerEU: 14
; AccumOffset: 16
; Occupancy: 8
; WaveLimiterHint : 0
; COMPUTE_PGM_RSRC2:SCRATCH_EN: 0
; COMPUTE_PGM_RSRC2:USER_SGPR: 6
; COMPUTE_PGM_RSRC2:TRAP_HANDLER: 0
; COMPUTE_PGM_RSRC2:TGID_X_EN: 1
; COMPUTE_PGM_RSRC2:TGID_Y_EN: 0
; COMPUTE_PGM_RSRC2:TGID_Z_EN: 0
; COMPUTE_PGM_RSRC2:TIDIG_COMP_CNT: 1
; COMPUTE_PGM_RSRC3_GFX90A:ACCUM_OFFSET: 3
; COMPUTE_PGM_RSRC3_GFX90A:TG_SPLIT: 0
	.section	.text._ZN12_GLOBAL__N_121softmax_warp_backwardIN3c104HalfES2_fLi5ELb0ELb0ELi32EEEvPT0_PKT_S7_iiiPKb,"axG",@progbits,_ZN12_GLOBAL__N_121softmax_warp_backwardIN3c104HalfES2_fLi5ELb0ELb0ELi32EEEvPT0_PKT_S7_iiiPKb,comdat
	.globl	_ZN12_GLOBAL__N_121softmax_warp_backwardIN3c104HalfES2_fLi5ELb0ELb0ELi32EEEvPT0_PKT_S7_iiiPKb ; -- Begin function _ZN12_GLOBAL__N_121softmax_warp_backwardIN3c104HalfES2_fLi5ELb0ELb0ELi32EEEvPT0_PKT_S7_iiiPKb
	.p2align	8
	.type	_ZN12_GLOBAL__N_121softmax_warp_backwardIN3c104HalfES2_fLi5ELb0ELb0ELi32EEEvPT0_PKT_S7_iiiPKb,@function
_ZN12_GLOBAL__N_121softmax_warp_backwardIN3c104HalfES2_fLi5ELb0ELb0ELi32EEEvPT0_PKT_S7_iiiPKb: ; @_ZN12_GLOBAL__N_121softmax_warp_backwardIN3c104HalfES2_fLi5ELb0ELb0ELi32EEEvPT0_PKT_S7_iiiPKb
; %bb.0:
	s_load_dword s2, s[4:5], 0x3c
	s_load_dwordx4 s[8:11], s[4:5], 0x18
	s_load_dwordx4 s[12:15], s[4:5], 0x0
	s_load_dwordx2 s[0:1], s[4:5], 0x10
	v_bfe_u32 v1, v0, 10, 10
	s_waitcnt lgkmcnt(0)
	s_lshr_b32 s2, s2, 16
	s_mul_i32 s6, s6, s2
	v_add_lshl_u32 v1, s6, v1, 1
	v_and_b32_e32 v0, 31, v0
	v_mad_u64_u32 v[2:3], s[2:3], v1, s9, v[0:1]
	v_ashrrev_i32_e32 v3, 31, v2
	v_lshlrev_b64 v[2:3], 1, v[2:3]
	v_sub_u32_e32 v8, s8, v1
	v_mov_b32_e32 v1, s15
	v_add_co_u32_e32 v4, vcc, s14, v2
	v_addc_co_u32_e32 v5, vcc, v1, v3, vcc
	v_mov_b32_e32 v1, s1
	v_add_co_u32_e32 v6, vcc, s0, v2
	v_addc_co_u32_e32 v7, vcc, v1, v3, vcc
	v_cmp_gt_i32_e32 vcc, s10, v0
	v_cmp_lt_i32_e64 s[0:1], 0, v8
	s_and_b64 s[4:5], vcc, s[0:1]
	v_mov_b32_e32 v1, 0
	v_mov_b32_e32 v0, 0
	;; [unrolled: 1-line block ×3, first 2 shown]
	s_and_saveexec_b64 s[2:3], s[4:5]
	s_cbranch_execz .LBB581_2
; %bb.1:
	global_load_ushort v0, v[4:5], off
	global_load_ushort v9, v[6:7], off
	s_waitcnt vmcnt(1)
	v_cvt_f32_f16_e32 v0, v0
	s_waitcnt vmcnt(0)
	v_cvt_f32_f16_e32 v9, v9
.LBB581_2:
	s_or_b64 exec, exec, s[2:3]
	v_cmp_lt_i32_e64 s[2:3], 1, v8
	s_and_b64 s[2:3], vcc, s[2:3]
	s_mov_b32 s11, 0
	v_mov_b32_e32 v10, 0
	s_and_saveexec_b64 s[4:5], s[2:3]
	s_cbranch_execz .LBB581_4
; %bb.3:
	s_lshl_b64 s[6:7], s[10:11], 1
	v_mov_b32_e32 v1, s7
	v_add_co_u32_e64 v4, s[2:3], s6, v4
	v_addc_co_u32_e64 v5, s[2:3], v5, v1, s[2:3]
	global_load_ushort v10, v[4:5], off
	v_add_co_u32_e64 v4, s[2:3], s6, v6
	v_addc_co_u32_e64 v5, s[2:3], v7, v1, s[2:3]
	global_load_ushort v4, v[4:5], off
	s_waitcnt vmcnt(1)
	v_cvt_f32_f16_e32 v1, v10
	s_waitcnt vmcnt(0)
	v_cvt_f32_f16_e32 v10, v4
.LBB581_4:
	s_or_b64 exec, exec, s[4:5]
	v_mbcnt_lo_u32_b32 v6, -1, 0
	v_mbcnt_hi_u32_b32 v11, -1, v6
	v_and_b32_e32 v6, 0x60, v11
	v_add_u32_e32 v12, 32, v6
	v_xor_b32_e32 v6, 16, v11
	v_cmp_lt_i32_e64 s[2:3], v6, v12
	v_cndmask_b32_e64 v6, v11, v6, s[2:3]
	v_pk_add_f32 v[4:5], v[0:1], 0 op_sel_hi:[1,0]
	v_lshlrev_b32_e32 v7, 2, v6
	ds_bpermute_b32 v6, v7, v4
	ds_bpermute_b32 v7, v7, v5
	v_xor_b32_e32 v13, 8, v11
	v_cmp_lt_i32_e64 s[2:3], v13, v12
	v_cndmask_b32_e64 v13, v11, v13, s[2:3]
	v_lshlrev_b32_e32 v13, 2, v13
	s_waitcnt lgkmcnt(0)
	v_pk_add_f32 v[4:5], v[4:5], v[6:7]
	ds_bpermute_b32 v6, v13, v4
	ds_bpermute_b32 v7, v13, v5
	v_xor_b32_e32 v13, 4, v11
	v_cmp_lt_i32_e64 s[2:3], v13, v12
	v_cndmask_b32_e64 v13, v11, v13, s[2:3]
	v_lshlrev_b32_e32 v13, 2, v13
	s_waitcnt lgkmcnt(0)
	v_pk_add_f32 v[4:5], v[4:5], v[6:7]
	;; [unrolled: 8-line block ×4, first 2 shown]
	ds_bpermute_b32 v6, v11, v4
	ds_bpermute_b32 v7, v11, v5
	s_and_saveexec_b64 s[2:3], s[0:1]
	s_cbranch_execz .LBB581_10
; %bb.5:
	v_mov_b32_e32 v11, s13
	v_add_co_u32_e64 v2, s[0:1], s12, v2
	v_addc_co_u32_e64 v3, s[0:1], v11, v3, s[0:1]
	s_waitcnt lgkmcnt(0)
	v_pk_add_f32 v[4:5], v[4:5], v[6:7]
	s_and_saveexec_b64 s[0:1], vcc
	s_cbranch_execz .LBB581_7
; %bb.6:
	v_fma_mixlo_f16 v0, -v4, v9, v0
	global_store_short v[2:3], v0, off
.LBB581_7:
	s_or_b64 exec, exec, s[0:1]
	v_cmp_ne_u32_e64 s[0:1], 1, v8
	s_and_b64 exec, exec, s[0:1]
	s_cbranch_execz .LBB581_10
; %bb.8:
	s_and_b64 exec, exec, vcc
	s_cbranch_execz .LBB581_10
; %bb.9:
	s_lshl_b64 s[0:1], s[10:11], 1
	v_fma_mixlo_f16 v4, -v5, v10, v1
	v_mov_b32_e32 v1, s1
	v_add_co_u32_e32 v0, vcc, s0, v2
	v_addc_co_u32_e32 v1, vcc, v3, v1, vcc
	global_store_short v[0:1], v4, off
.LBB581_10:
	s_endpgm
	.section	.rodata,"a",@progbits
	.p2align	6, 0x0
	.amdhsa_kernel _ZN12_GLOBAL__N_121softmax_warp_backwardIN3c104HalfES2_fLi5ELb0ELb0ELi32EEEvPT0_PKT_S7_iiiPKb
		.amdhsa_group_segment_fixed_size 0
		.amdhsa_private_segment_fixed_size 0
		.amdhsa_kernarg_size 304
		.amdhsa_user_sgpr_count 6
		.amdhsa_user_sgpr_private_segment_buffer 1
		.amdhsa_user_sgpr_dispatch_ptr 0
		.amdhsa_user_sgpr_queue_ptr 0
		.amdhsa_user_sgpr_kernarg_segment_ptr 1
		.amdhsa_user_sgpr_dispatch_id 0
		.amdhsa_user_sgpr_flat_scratch_init 0
		.amdhsa_user_sgpr_kernarg_preload_length 0
		.amdhsa_user_sgpr_kernarg_preload_offset 0
		.amdhsa_user_sgpr_private_segment_size 0
		.amdhsa_uses_dynamic_stack 0
		.amdhsa_system_sgpr_private_segment_wavefront_offset 0
		.amdhsa_system_sgpr_workgroup_id_x 1
		.amdhsa_system_sgpr_workgroup_id_y 0
		.amdhsa_system_sgpr_workgroup_id_z 0
		.amdhsa_system_sgpr_workgroup_info 0
		.amdhsa_system_vgpr_workitem_id 1
		.amdhsa_next_free_vgpr 14
		.amdhsa_next_free_sgpr 16
		.amdhsa_accum_offset 16
		.amdhsa_reserve_vcc 1
		.amdhsa_reserve_flat_scratch 0
		.amdhsa_float_round_mode_32 0
		.amdhsa_float_round_mode_16_64 0
		.amdhsa_float_denorm_mode_32 3
		.amdhsa_float_denorm_mode_16_64 3
		.amdhsa_dx10_clamp 1
		.amdhsa_ieee_mode 1
		.amdhsa_fp16_overflow 0
		.amdhsa_tg_split 0
		.amdhsa_exception_fp_ieee_invalid_op 0
		.amdhsa_exception_fp_denorm_src 0
		.amdhsa_exception_fp_ieee_div_zero 0
		.amdhsa_exception_fp_ieee_overflow 0
		.amdhsa_exception_fp_ieee_underflow 0
		.amdhsa_exception_fp_ieee_inexact 0
		.amdhsa_exception_int_div_zero 0
	.end_amdhsa_kernel
	.section	.text._ZN12_GLOBAL__N_121softmax_warp_backwardIN3c104HalfES2_fLi5ELb0ELb0ELi32EEEvPT0_PKT_S7_iiiPKb,"axG",@progbits,_ZN12_GLOBAL__N_121softmax_warp_backwardIN3c104HalfES2_fLi5ELb0ELb0ELi32EEEvPT0_PKT_S7_iiiPKb,comdat
.Lfunc_end581:
	.size	_ZN12_GLOBAL__N_121softmax_warp_backwardIN3c104HalfES2_fLi5ELb0ELb0ELi32EEEvPT0_PKT_S7_iiiPKb, .Lfunc_end581-_ZN12_GLOBAL__N_121softmax_warp_backwardIN3c104HalfES2_fLi5ELb0ELb0ELi32EEEvPT0_PKT_S7_iiiPKb
                                        ; -- End function
	.section	.AMDGPU.csdata,"",@progbits
; Kernel info:
; codeLenInByte = 700
; NumSgprs: 20
; NumVgprs: 14
; NumAgprs: 0
; TotalNumVgprs: 14
; ScratchSize: 0
; MemoryBound: 0
; FloatMode: 240
; IeeeMode: 1
; LDSByteSize: 0 bytes/workgroup (compile time only)
; SGPRBlocks: 2
; VGPRBlocks: 1
; NumSGPRsForWavesPerEU: 20
; NumVGPRsForWavesPerEU: 14
; AccumOffset: 16
; Occupancy: 8
; WaveLimiterHint : 0
; COMPUTE_PGM_RSRC2:SCRATCH_EN: 0
; COMPUTE_PGM_RSRC2:USER_SGPR: 6
; COMPUTE_PGM_RSRC2:TRAP_HANDLER: 0
; COMPUTE_PGM_RSRC2:TGID_X_EN: 1
; COMPUTE_PGM_RSRC2:TGID_Y_EN: 0
; COMPUTE_PGM_RSRC2:TGID_Z_EN: 0
; COMPUTE_PGM_RSRC2:TIDIG_COMP_CNT: 1
; COMPUTE_PGM_RSRC3_GFX90A:ACCUM_OFFSET: 3
; COMPUTE_PGM_RSRC3_GFX90A:TG_SPLIT: 0
	.section	.text._ZN12_GLOBAL__N_121softmax_warp_backwardIN3c104HalfES2_fLi6ELb0ELb0ELi64EEEvPT0_PKT_S7_iiiPKb,"axG",@progbits,_ZN12_GLOBAL__N_121softmax_warp_backwardIN3c104HalfES2_fLi6ELb0ELb0ELi64EEEvPT0_PKT_S7_iiiPKb,comdat
	.globl	_ZN12_GLOBAL__N_121softmax_warp_backwardIN3c104HalfES2_fLi6ELb0ELb0ELi64EEEvPT0_PKT_S7_iiiPKb ; -- Begin function _ZN12_GLOBAL__N_121softmax_warp_backwardIN3c104HalfES2_fLi6ELb0ELb0ELi64EEEvPT0_PKT_S7_iiiPKb
	.p2align	8
	.type	_ZN12_GLOBAL__N_121softmax_warp_backwardIN3c104HalfES2_fLi6ELb0ELb0ELi64EEEvPT0_PKT_S7_iiiPKb,@function
_ZN12_GLOBAL__N_121softmax_warp_backwardIN3c104HalfES2_fLi6ELb0ELb0ELi64EEEvPT0_PKT_S7_iiiPKb: ; @_ZN12_GLOBAL__N_121softmax_warp_backwardIN3c104HalfES2_fLi6ELb0ELb0ELi64EEEvPT0_PKT_S7_iiiPKb
; %bb.0:
	s_load_dword s2, s[4:5], 0x3c
	s_load_dwordx4 s[8:11], s[4:5], 0x18
	s_load_dwordx4 s[12:15], s[4:5], 0x0
	s_load_dwordx2 s[0:1], s[4:5], 0x10
	v_bfe_u32 v1, v0, 10, 10
	s_waitcnt lgkmcnt(0)
	s_lshr_b32 s2, s2, 16
	s_mul_i32 s6, s6, s2
	v_add_lshl_u32 v1, s6, v1, 1
	v_and_b32_e32 v0, 63, v0
	v_mad_u64_u32 v[2:3], s[2:3], v1, s9, v[0:1]
	v_ashrrev_i32_e32 v3, 31, v2
	v_lshlrev_b64 v[2:3], 1, v[2:3]
	v_sub_u32_e32 v8, s8, v1
	v_mov_b32_e32 v1, s15
	v_add_co_u32_e32 v4, vcc, s14, v2
	v_addc_co_u32_e32 v5, vcc, v1, v3, vcc
	v_mov_b32_e32 v1, s1
	v_add_co_u32_e32 v6, vcc, s0, v2
	v_addc_co_u32_e32 v7, vcc, v1, v3, vcc
	v_cmp_gt_i32_e32 vcc, s10, v0
	v_cmp_lt_i32_e64 s[0:1], 0, v8
	s_and_b64 s[4:5], vcc, s[0:1]
	v_mov_b32_e32 v1, 0
	v_mov_b32_e32 v0, 0
	v_mov_b32_e32 v9, 0
	s_and_saveexec_b64 s[2:3], s[4:5]
	s_cbranch_execz .LBB582_2
; %bb.1:
	global_load_ushort v0, v[4:5], off
	global_load_ushort v9, v[6:7], off
	s_waitcnt vmcnt(1)
	v_cvt_f32_f16_e32 v0, v0
	s_waitcnt vmcnt(0)
	v_cvt_f32_f16_e32 v9, v9
.LBB582_2:
	s_or_b64 exec, exec, s[2:3]
	v_cmp_lt_i32_e64 s[2:3], 1, v8
	s_and_b64 s[2:3], vcc, s[2:3]
	s_mov_b32 s11, 0
	v_mov_b32_e32 v10, 0
	s_and_saveexec_b64 s[4:5], s[2:3]
	s_cbranch_execz .LBB582_4
; %bb.3:
	s_lshl_b64 s[6:7], s[10:11], 1
	v_mov_b32_e32 v1, s7
	v_add_co_u32_e64 v4, s[2:3], s6, v4
	v_addc_co_u32_e64 v5, s[2:3], v5, v1, s[2:3]
	global_load_ushort v10, v[4:5], off
	v_add_co_u32_e64 v4, s[2:3], s6, v6
	v_addc_co_u32_e64 v5, s[2:3], v7, v1, s[2:3]
	global_load_ushort v4, v[4:5], off
	s_waitcnt vmcnt(1)
	v_cvt_f32_f16_e32 v1, v10
	s_waitcnt vmcnt(0)
	v_cvt_f32_f16_e32 v10, v4
.LBB582_4:
	s_or_b64 exec, exec, s[4:5]
	v_mbcnt_lo_u32_b32 v6, -1, 0
	v_mbcnt_hi_u32_b32 v11, -1, v6
	v_and_b32_e32 v6, 64, v11
	v_add_u32_e32 v12, 64, v6
	v_xor_b32_e32 v6, 32, v11
	v_cmp_lt_i32_e64 s[2:3], v6, v12
	v_cndmask_b32_e64 v6, v11, v6, s[2:3]
	v_pk_add_f32 v[4:5], v[0:1], 0 op_sel_hi:[1,0]
	v_lshlrev_b32_e32 v7, 2, v6
	ds_bpermute_b32 v6, v7, v4
	ds_bpermute_b32 v7, v7, v5
	v_xor_b32_e32 v13, 16, v11
	v_cmp_lt_i32_e64 s[2:3], v13, v12
	v_cndmask_b32_e64 v13, v11, v13, s[2:3]
	v_lshlrev_b32_e32 v13, 2, v13
	s_waitcnt lgkmcnt(0)
	v_pk_add_f32 v[4:5], v[4:5], v[6:7]
	ds_bpermute_b32 v6, v13, v4
	ds_bpermute_b32 v7, v13, v5
	v_xor_b32_e32 v13, 8, v11
	v_cmp_lt_i32_e64 s[2:3], v13, v12
	v_cndmask_b32_e64 v13, v11, v13, s[2:3]
	v_lshlrev_b32_e32 v13, 2, v13
	s_waitcnt lgkmcnt(0)
	v_pk_add_f32 v[4:5], v[4:5], v[6:7]
	;; [unrolled: 8-line block ×5, first 2 shown]
	ds_bpermute_b32 v6, v11, v4
	ds_bpermute_b32 v7, v11, v5
	s_and_saveexec_b64 s[2:3], s[0:1]
	s_cbranch_execz .LBB582_10
; %bb.5:
	v_mov_b32_e32 v11, s13
	v_add_co_u32_e64 v2, s[0:1], s12, v2
	v_addc_co_u32_e64 v3, s[0:1], v11, v3, s[0:1]
	s_waitcnt lgkmcnt(0)
	v_pk_add_f32 v[4:5], v[4:5], v[6:7]
	s_and_saveexec_b64 s[0:1], vcc
	s_cbranch_execz .LBB582_7
; %bb.6:
	v_fma_mixlo_f16 v0, -v4, v9, v0
	global_store_short v[2:3], v0, off
.LBB582_7:
	s_or_b64 exec, exec, s[0:1]
	v_cmp_ne_u32_e64 s[0:1], 1, v8
	s_and_b64 exec, exec, s[0:1]
	s_cbranch_execz .LBB582_10
; %bb.8:
	s_and_b64 exec, exec, vcc
	s_cbranch_execz .LBB582_10
; %bb.9:
	s_lshl_b64 s[0:1], s[10:11], 1
	v_fma_mixlo_f16 v4, -v5, v10, v1
	v_mov_b32_e32 v1, s1
	v_add_co_u32_e32 v0, vcc, s0, v2
	v_addc_co_u32_e32 v1, vcc, v3, v1, vcc
	global_store_short v[0:1], v4, off
.LBB582_10:
	s_endpgm
	.section	.rodata,"a",@progbits
	.p2align	6, 0x0
	.amdhsa_kernel _ZN12_GLOBAL__N_121softmax_warp_backwardIN3c104HalfES2_fLi6ELb0ELb0ELi64EEEvPT0_PKT_S7_iiiPKb
		.amdhsa_group_segment_fixed_size 0
		.amdhsa_private_segment_fixed_size 0
		.amdhsa_kernarg_size 304
		.amdhsa_user_sgpr_count 6
		.amdhsa_user_sgpr_private_segment_buffer 1
		.amdhsa_user_sgpr_dispatch_ptr 0
		.amdhsa_user_sgpr_queue_ptr 0
		.amdhsa_user_sgpr_kernarg_segment_ptr 1
		.amdhsa_user_sgpr_dispatch_id 0
		.amdhsa_user_sgpr_flat_scratch_init 0
		.amdhsa_user_sgpr_kernarg_preload_length 0
		.amdhsa_user_sgpr_kernarg_preload_offset 0
		.amdhsa_user_sgpr_private_segment_size 0
		.amdhsa_uses_dynamic_stack 0
		.amdhsa_system_sgpr_private_segment_wavefront_offset 0
		.amdhsa_system_sgpr_workgroup_id_x 1
		.amdhsa_system_sgpr_workgroup_id_y 0
		.amdhsa_system_sgpr_workgroup_id_z 0
		.amdhsa_system_sgpr_workgroup_info 0
		.amdhsa_system_vgpr_workitem_id 1
		.amdhsa_next_free_vgpr 14
		.amdhsa_next_free_sgpr 16
		.amdhsa_accum_offset 16
		.amdhsa_reserve_vcc 1
		.amdhsa_reserve_flat_scratch 0
		.amdhsa_float_round_mode_32 0
		.amdhsa_float_round_mode_16_64 0
		.amdhsa_float_denorm_mode_32 3
		.amdhsa_float_denorm_mode_16_64 3
		.amdhsa_dx10_clamp 1
		.amdhsa_ieee_mode 1
		.amdhsa_fp16_overflow 0
		.amdhsa_tg_split 0
		.amdhsa_exception_fp_ieee_invalid_op 0
		.amdhsa_exception_fp_denorm_src 0
		.amdhsa_exception_fp_ieee_div_zero 0
		.amdhsa_exception_fp_ieee_overflow 0
		.amdhsa_exception_fp_ieee_underflow 0
		.amdhsa_exception_fp_ieee_inexact 0
		.amdhsa_exception_int_div_zero 0
	.end_amdhsa_kernel
	.section	.text._ZN12_GLOBAL__N_121softmax_warp_backwardIN3c104HalfES2_fLi6ELb0ELb0ELi64EEEvPT0_PKT_S7_iiiPKb,"axG",@progbits,_ZN12_GLOBAL__N_121softmax_warp_backwardIN3c104HalfES2_fLi6ELb0ELb0ELi64EEEvPT0_PKT_S7_iiiPKb,comdat
.Lfunc_end582:
	.size	_ZN12_GLOBAL__N_121softmax_warp_backwardIN3c104HalfES2_fLi6ELb0ELb0ELi64EEEvPT0_PKT_S7_iiiPKb, .Lfunc_end582-_ZN12_GLOBAL__N_121softmax_warp_backwardIN3c104HalfES2_fLi6ELb0ELb0ELi64EEEvPT0_PKT_S7_iiiPKb
                                        ; -- End function
	.section	.AMDGPU.csdata,"",@progbits
; Kernel info:
; codeLenInByte = 748
; NumSgprs: 20
; NumVgprs: 14
; NumAgprs: 0
; TotalNumVgprs: 14
; ScratchSize: 0
; MemoryBound: 0
; FloatMode: 240
; IeeeMode: 1
; LDSByteSize: 0 bytes/workgroup (compile time only)
; SGPRBlocks: 2
; VGPRBlocks: 1
; NumSGPRsForWavesPerEU: 20
; NumVGPRsForWavesPerEU: 14
; AccumOffset: 16
; Occupancy: 8
; WaveLimiterHint : 0
; COMPUTE_PGM_RSRC2:SCRATCH_EN: 0
; COMPUTE_PGM_RSRC2:USER_SGPR: 6
; COMPUTE_PGM_RSRC2:TRAP_HANDLER: 0
; COMPUTE_PGM_RSRC2:TGID_X_EN: 1
; COMPUTE_PGM_RSRC2:TGID_Y_EN: 0
; COMPUTE_PGM_RSRC2:TGID_Z_EN: 0
; COMPUTE_PGM_RSRC2:TIDIG_COMP_CNT: 1
; COMPUTE_PGM_RSRC3_GFX90A:ACCUM_OFFSET: 3
; COMPUTE_PGM_RSRC3_GFX90A:TG_SPLIT: 0
	.section	.text._ZN12_GLOBAL__N_121softmax_warp_backwardIN3c104HalfES2_fLi6ELb0ELb0ELi32EEEvPT0_PKT_S7_iiiPKb,"axG",@progbits,_ZN12_GLOBAL__N_121softmax_warp_backwardIN3c104HalfES2_fLi6ELb0ELb0ELi32EEEvPT0_PKT_S7_iiiPKb,comdat
	.globl	_ZN12_GLOBAL__N_121softmax_warp_backwardIN3c104HalfES2_fLi6ELb0ELb0ELi32EEEvPT0_PKT_S7_iiiPKb ; -- Begin function _ZN12_GLOBAL__N_121softmax_warp_backwardIN3c104HalfES2_fLi6ELb0ELb0ELi32EEEvPT0_PKT_S7_iiiPKb
	.p2align	8
	.type	_ZN12_GLOBAL__N_121softmax_warp_backwardIN3c104HalfES2_fLi6ELb0ELb0ELi32EEEvPT0_PKT_S7_iiiPKb,@function
_ZN12_GLOBAL__N_121softmax_warp_backwardIN3c104HalfES2_fLi6ELb0ELb0ELi32EEEvPT0_PKT_S7_iiiPKb: ; @_ZN12_GLOBAL__N_121softmax_warp_backwardIN3c104HalfES2_fLi6ELb0ELb0ELi32EEEvPT0_PKT_S7_iiiPKb
; %bb.0:
	s_load_dword s2, s[4:5], 0x3c
	s_load_dwordx4 s[8:11], s[4:5], 0x18
	s_load_dwordx4 s[12:15], s[4:5], 0x0
	s_load_dwordx2 s[0:1], s[4:5], 0x10
	v_bfe_u32 v1, v0, 10, 10
	s_waitcnt lgkmcnt(0)
	s_lshr_b32 s2, s2, 16
	s_mul_i32 s6, s6, s2
	v_add_lshl_u32 v1, s6, v1, 1
	v_sub_u32_e32 v11, s8, v1
	v_and_b32_e32 v10, 31, v0
	v_mad_u64_u32 v[0:1], s[2:3], v1, s9, v[10:11]
	v_ashrrev_i32_e32 v1, 31, v0
	v_lshlrev_b64 v[4:5], 1, v[0:1]
	v_mov_b32_e32 v0, s15
	v_add_co_u32_e32 v6, vcc, s14, v4
	v_addc_co_u32_e32 v7, vcc, v0, v5, vcc
	v_mov_b32_e32 v0, s1
	v_add_co_u32_e32 v8, vcc, s0, v4
	v_addc_co_u32_e32 v9, vcc, v0, v5, vcc
	v_cmp_lt_i32_e64 s[2:3], 0, v11
	v_cmp_gt_i32_e32 vcc, s10, v10
	s_and_b64 s[4:5], s[2:3], vcc
	v_mov_b32_e32 v0, 0
	v_mov_b32_e32 v2, 0
	;; [unrolled: 1-line block ×3, first 2 shown]
	s_and_saveexec_b64 s[0:1], s[4:5]
	s_cbranch_execz .LBB583_2
; %bb.1:
	global_load_ushort v1, v[6:7], off
	global_load_ushort v3, v[8:9], off
	s_waitcnt vmcnt(1)
	v_cvt_f32_f16_e32 v2, v1
	s_waitcnt vmcnt(0)
	v_cvt_f32_f16_e32 v12, v3
.LBB583_2:
	s_or_b64 exec, exec, s[0:1]
	v_or_b32_e32 v1, 32, v10
	v_cmp_gt_i32_e64 s[0:1], s10, v1
	s_and_b64 s[6:7], s[2:3], s[0:1]
	v_mov_b32_e32 v10, 0
	s_and_saveexec_b64 s[4:5], s[6:7]
	s_cbranch_execz .LBB583_4
; %bb.3:
	global_load_ushort v0, v[6:7], off offset:64
	global_load_ushort v1, v[8:9], off offset:64
	s_waitcnt vmcnt(1)
	v_cvt_f32_f16_e32 v0, v0
	s_waitcnt vmcnt(0)
	v_cvt_f32_f16_e32 v10, v1
.LBB583_4:
	s_or_b64 exec, exec, s[4:5]
	v_cmp_lt_i32_e64 s[4:5], 1, v11
	s_and_b64 s[6:7], s[4:5], vcc
	s_mov_b32 s11, 0
	v_mov_b32_e32 v1, 0
	v_mov_b32_e32 v3, 0
	v_mov_b32_e32 v13, 0
	s_and_saveexec_b64 s[8:9], s[6:7]
	s_cbranch_execz .LBB583_6
; %bb.5:
	s_lshl_b64 s[14:15], s[10:11], 1
	v_mov_b32_e32 v3, s15
	v_add_co_u32_e64 v14, s[6:7], s14, v6
	v_addc_co_u32_e64 v15, s[6:7], v7, v3, s[6:7]
	global_load_ushort v13, v[14:15], off
	v_add_co_u32_e64 v14, s[6:7], s14, v8
	v_addc_co_u32_e64 v15, s[6:7], v9, v3, s[6:7]
	global_load_ushort v14, v[14:15], off
	s_waitcnt vmcnt(1)
	v_cvt_f32_f16_e32 v3, v13
	s_waitcnt vmcnt(0)
	v_cvt_f32_f16_e32 v13, v14
.LBB583_6:
	s_or_b64 exec, exec, s[8:9]
	s_and_b64 s[4:5], s[4:5], s[0:1]
	v_mov_b32_e32 v14, 0
	s_and_saveexec_b64 s[6:7], s[4:5]
	s_cbranch_execz .LBB583_8
; %bb.7:
	s_lshl_b64 s[8:9], s[10:11], 1
	v_mov_b32_e32 v1, s9
	v_add_co_u32_e64 v6, s[4:5], s8, v6
	v_addc_co_u32_e64 v7, s[4:5], v7, v1, s[4:5]
	global_load_ushort v14, v[6:7], off offset:64
	v_add_co_u32_e64 v6, s[4:5], s8, v8
	v_addc_co_u32_e64 v7, s[4:5], v9, v1, s[4:5]
	global_load_ushort v6, v[6:7], off offset:64
	s_waitcnt vmcnt(1)
	v_cvt_f32_f16_e32 v1, v14
	s_waitcnt vmcnt(0)
	v_cvt_f32_f16_e32 v14, v6
.LBB583_8:
	s_or_b64 exec, exec, s[6:7]
	v_mbcnt_lo_u32_b32 v8, -1, 0
	v_mbcnt_hi_u32_b32 v15, -1, v8
	v_and_b32_e32 v8, 0x60, v15
	v_add_u32_e32 v16, 32, v8
	v_xor_b32_e32 v8, 16, v15
	v_cmp_lt_i32_e64 s[4:5], v8, v16
	v_pk_add_f32 v[6:7], v[2:3], 0 op_sel_hi:[1,0]
	v_cndmask_b32_e64 v8, v15, v8, s[4:5]
	v_lshlrev_b32_e32 v9, 2, v8
	v_pk_add_f32 v[6:7], v[6:7], v[0:1]
	ds_bpermute_b32 v8, v9, v6
	ds_bpermute_b32 v9, v9, v7
	v_xor_b32_e32 v17, 8, v15
	v_cmp_lt_i32_e64 s[4:5], v17, v16
	v_cndmask_b32_e64 v17, v15, v17, s[4:5]
	v_lshlrev_b32_e32 v17, 2, v17
	s_waitcnt lgkmcnt(0)
	v_pk_add_f32 v[6:7], v[6:7], v[8:9]
	ds_bpermute_b32 v8, v17, v6
	ds_bpermute_b32 v9, v17, v7
	v_xor_b32_e32 v17, 4, v15
	v_cmp_lt_i32_e64 s[4:5], v17, v16
	v_cndmask_b32_e64 v17, v15, v17, s[4:5]
	v_lshlrev_b32_e32 v17, 2, v17
	s_waitcnt lgkmcnt(0)
	;; [unrolled: 8-line block ×4, first 2 shown]
	v_pk_add_f32 v[6:7], v[6:7], v[8:9]
	ds_bpermute_b32 v8, v15, v6
	ds_bpermute_b32 v9, v15, v7
	s_and_saveexec_b64 s[4:5], s[2:3]
	s_cbranch_execz .LBB583_12
; %bb.9:
	v_mov_b32_e32 v15, s13
	v_add_co_u32_e64 v4, s[2:3], s12, v4
	v_addc_co_u32_e64 v5, s[2:3], v15, v5, s[2:3]
	s_waitcnt lgkmcnt(0)
	v_pk_add_f32 v[6:7], v[6:7], v[8:9]
	s_and_saveexec_b64 s[2:3], vcc
	s_cbranch_execnz .LBB583_13
; %bb.10:
	s_or_b64 exec, exec, s[2:3]
	s_and_saveexec_b64 s[2:3], s[0:1]
	s_cbranch_execnz .LBB583_14
.LBB583_11:
	s_or_b64 exec, exec, s[2:3]
	v_cmp_ne_u32_e64 s[2:3], 1, v11
	s_and_b64 exec, exec, s[2:3]
	s_cbranch_execnz .LBB583_15
.LBB583_12:
	s_endpgm
.LBB583_13:
	v_fma_mixlo_f16 v2, -v6, v12, v2
	global_store_short v[4:5], v2, off
	s_or_b64 exec, exec, s[2:3]
	s_and_saveexec_b64 s[2:3], s[0:1]
	s_cbranch_execz .LBB583_11
.LBB583_14:
	v_fma_mixlo_f16 v0, -v6, v10, v0
	global_store_short v[4:5], v0, off offset:64
	s_or_b64 exec, exec, s[2:3]
	v_cmp_ne_u32_e64 s[2:3], 1, v11
	s_and_b64 exec, exec, s[2:3]
	s_cbranch_execz .LBB583_12
.LBB583_15:
	s_and_saveexec_b64 s[2:3], vcc
	s_cbranch_execz .LBB583_17
; %bb.16:
	s_lshl_b64 s[4:5], s[10:11], 1
	v_fma_mixlo_f16 v0, -v7, v13, v3
	v_mov_b32_e32 v3, s5
	v_add_co_u32_e32 v2, vcc, s4, v4
	v_addc_co_u32_e32 v3, vcc, v5, v3, vcc
	global_store_short v[2:3], v0, off
.LBB583_17:
	s_or_b64 exec, exec, s[2:3]
	s_and_b64 exec, exec, s[0:1]
	s_cbranch_execz .LBB583_12
; %bb.18:
	s_ashr_i32 s11, s10, 31
	s_lshl_b64 s[0:1], s[10:11], 1
	v_fma_mixlo_f16 v2, -v7, v14, v1
	v_mov_b32_e32 v1, s1
	v_add_co_u32_e32 v0, vcc, s0, v4
	v_addc_co_u32_e32 v1, vcc, v5, v1, vcc
	global_store_short v[0:1], v2, off offset:64
	s_endpgm
	.section	.rodata,"a",@progbits
	.p2align	6, 0x0
	.amdhsa_kernel _ZN12_GLOBAL__N_121softmax_warp_backwardIN3c104HalfES2_fLi6ELb0ELb0ELi32EEEvPT0_PKT_S7_iiiPKb
		.amdhsa_group_segment_fixed_size 0
		.amdhsa_private_segment_fixed_size 0
		.amdhsa_kernarg_size 304
		.amdhsa_user_sgpr_count 6
		.amdhsa_user_sgpr_private_segment_buffer 1
		.amdhsa_user_sgpr_dispatch_ptr 0
		.amdhsa_user_sgpr_queue_ptr 0
		.amdhsa_user_sgpr_kernarg_segment_ptr 1
		.amdhsa_user_sgpr_dispatch_id 0
		.amdhsa_user_sgpr_flat_scratch_init 0
		.amdhsa_user_sgpr_kernarg_preload_length 0
		.amdhsa_user_sgpr_kernarg_preload_offset 0
		.amdhsa_user_sgpr_private_segment_size 0
		.amdhsa_uses_dynamic_stack 0
		.amdhsa_system_sgpr_private_segment_wavefront_offset 0
		.amdhsa_system_sgpr_workgroup_id_x 1
		.amdhsa_system_sgpr_workgroup_id_y 0
		.amdhsa_system_sgpr_workgroup_id_z 0
		.amdhsa_system_sgpr_workgroup_info 0
		.amdhsa_system_vgpr_workitem_id 1
		.amdhsa_next_free_vgpr 18
		.amdhsa_next_free_sgpr 16
		.amdhsa_accum_offset 20
		.amdhsa_reserve_vcc 1
		.amdhsa_reserve_flat_scratch 0
		.amdhsa_float_round_mode_32 0
		.amdhsa_float_round_mode_16_64 0
		.amdhsa_float_denorm_mode_32 3
		.amdhsa_float_denorm_mode_16_64 3
		.amdhsa_dx10_clamp 1
		.amdhsa_ieee_mode 1
		.amdhsa_fp16_overflow 0
		.amdhsa_tg_split 0
		.amdhsa_exception_fp_ieee_invalid_op 0
		.amdhsa_exception_fp_denorm_src 0
		.amdhsa_exception_fp_ieee_div_zero 0
		.amdhsa_exception_fp_ieee_overflow 0
		.amdhsa_exception_fp_ieee_underflow 0
		.amdhsa_exception_fp_ieee_inexact 0
		.amdhsa_exception_int_div_zero 0
	.end_amdhsa_kernel
	.section	.text._ZN12_GLOBAL__N_121softmax_warp_backwardIN3c104HalfES2_fLi6ELb0ELb0ELi32EEEvPT0_PKT_S7_iiiPKb,"axG",@progbits,_ZN12_GLOBAL__N_121softmax_warp_backwardIN3c104HalfES2_fLi6ELb0ELb0ELi32EEEvPT0_PKT_S7_iiiPKb,comdat
.Lfunc_end583:
	.size	_ZN12_GLOBAL__N_121softmax_warp_backwardIN3c104HalfES2_fLi6ELb0ELb0ELi32EEEvPT0_PKT_S7_iiiPKb, .Lfunc_end583-_ZN12_GLOBAL__N_121softmax_warp_backwardIN3c104HalfES2_fLi6ELb0ELb0ELi32EEEvPT0_PKT_S7_iiiPKb
                                        ; -- End function
	.section	.AMDGPU.csdata,"",@progbits
; Kernel info:
; codeLenInByte = 984
; NumSgprs: 20
; NumVgprs: 18
; NumAgprs: 0
; TotalNumVgprs: 18
; ScratchSize: 0
; MemoryBound: 0
; FloatMode: 240
; IeeeMode: 1
; LDSByteSize: 0 bytes/workgroup (compile time only)
; SGPRBlocks: 2
; VGPRBlocks: 2
; NumSGPRsForWavesPerEU: 20
; NumVGPRsForWavesPerEU: 18
; AccumOffset: 20
; Occupancy: 8
; WaveLimiterHint : 0
; COMPUTE_PGM_RSRC2:SCRATCH_EN: 0
; COMPUTE_PGM_RSRC2:USER_SGPR: 6
; COMPUTE_PGM_RSRC2:TRAP_HANDLER: 0
; COMPUTE_PGM_RSRC2:TGID_X_EN: 1
; COMPUTE_PGM_RSRC2:TGID_Y_EN: 0
; COMPUTE_PGM_RSRC2:TGID_Z_EN: 0
; COMPUTE_PGM_RSRC2:TIDIG_COMP_CNT: 1
; COMPUTE_PGM_RSRC3_GFX90A:ACCUM_OFFSET: 4
; COMPUTE_PGM_RSRC3_GFX90A:TG_SPLIT: 0
	.section	.text._ZN12_GLOBAL__N_121softmax_warp_backwardIN3c104HalfES2_fLi7ELb0ELb0ELi64EEEvPT0_PKT_S7_iiiPKb,"axG",@progbits,_ZN12_GLOBAL__N_121softmax_warp_backwardIN3c104HalfES2_fLi7ELb0ELb0ELi64EEEvPT0_PKT_S7_iiiPKb,comdat
	.globl	_ZN12_GLOBAL__N_121softmax_warp_backwardIN3c104HalfES2_fLi7ELb0ELb0ELi64EEEvPT0_PKT_S7_iiiPKb ; -- Begin function _ZN12_GLOBAL__N_121softmax_warp_backwardIN3c104HalfES2_fLi7ELb0ELb0ELi64EEEvPT0_PKT_S7_iiiPKb
	.p2align	8
	.type	_ZN12_GLOBAL__N_121softmax_warp_backwardIN3c104HalfES2_fLi7ELb0ELb0ELi64EEEvPT0_PKT_S7_iiiPKb,@function
_ZN12_GLOBAL__N_121softmax_warp_backwardIN3c104HalfES2_fLi7ELb0ELb0ELi64EEEvPT0_PKT_S7_iiiPKb: ; @_ZN12_GLOBAL__N_121softmax_warp_backwardIN3c104HalfES2_fLi7ELb0ELb0ELi64EEEvPT0_PKT_S7_iiiPKb
; %bb.0:
	s_load_dword s2, s[4:5], 0x3c
	s_load_dwordx4 s[8:11], s[4:5], 0x18
	s_load_dwordx4 s[12:15], s[4:5], 0x0
	s_load_dwordx2 s[0:1], s[4:5], 0x10
	v_bfe_u32 v1, v0, 10, 10
	s_waitcnt lgkmcnt(0)
	s_lshr_b32 s2, s2, 16
	s_mul_i32 s6, s6, s2
	v_add_lshl_u32 v1, s6, v1, 1
	v_sub_u32_e32 v11, s8, v1
	v_and_b32_e32 v10, 63, v0
	v_mad_u64_u32 v[0:1], s[2:3], v1, s9, v[10:11]
	v_ashrrev_i32_e32 v1, 31, v0
	v_lshlrev_b64 v[4:5], 1, v[0:1]
	v_mov_b32_e32 v0, s15
	v_add_co_u32_e32 v6, vcc, s14, v4
	v_addc_co_u32_e32 v7, vcc, v0, v5, vcc
	v_mov_b32_e32 v0, s1
	v_add_co_u32_e32 v8, vcc, s0, v4
	v_addc_co_u32_e32 v9, vcc, v0, v5, vcc
	v_cmp_lt_i32_e64 s[2:3], 0, v11
	v_cmp_gt_i32_e32 vcc, s10, v10
	s_and_b64 s[4:5], s[2:3], vcc
	v_mov_b32_e32 v0, 0
	v_mov_b32_e32 v2, 0
	v_mov_b32_e32 v12, 0
	s_and_saveexec_b64 s[0:1], s[4:5]
	s_cbranch_execz .LBB584_2
; %bb.1:
	global_load_ushort v1, v[6:7], off
	global_load_ushort v3, v[8:9], off
	s_waitcnt vmcnt(1)
	v_cvt_f32_f16_e32 v2, v1
	s_waitcnt vmcnt(0)
	v_cvt_f32_f16_e32 v12, v3
.LBB584_2:
	s_or_b64 exec, exec, s[0:1]
	v_or_b32_e32 v1, 64, v10
	v_cmp_gt_i32_e64 s[0:1], s10, v1
	s_and_b64 s[6:7], s[2:3], s[0:1]
	v_mov_b32_e32 v10, 0
	s_and_saveexec_b64 s[4:5], s[6:7]
	s_cbranch_execz .LBB584_4
; %bb.3:
	global_load_ushort v0, v[6:7], off offset:128
	global_load_ushort v1, v[8:9], off offset:128
	s_waitcnt vmcnt(1)
	v_cvt_f32_f16_e32 v0, v0
	s_waitcnt vmcnt(0)
	v_cvt_f32_f16_e32 v10, v1
.LBB584_4:
	s_or_b64 exec, exec, s[4:5]
	v_cmp_lt_i32_e64 s[4:5], 1, v11
	s_and_b64 s[6:7], s[4:5], vcc
	s_mov_b32 s11, 0
	v_mov_b32_e32 v1, 0
	v_mov_b32_e32 v3, 0
	;; [unrolled: 1-line block ×3, first 2 shown]
	s_and_saveexec_b64 s[8:9], s[6:7]
	s_cbranch_execz .LBB584_6
; %bb.5:
	s_lshl_b64 s[14:15], s[10:11], 1
	v_mov_b32_e32 v3, s15
	v_add_co_u32_e64 v14, s[6:7], s14, v6
	v_addc_co_u32_e64 v15, s[6:7], v7, v3, s[6:7]
	global_load_ushort v13, v[14:15], off
	v_add_co_u32_e64 v14, s[6:7], s14, v8
	v_addc_co_u32_e64 v15, s[6:7], v9, v3, s[6:7]
	global_load_ushort v14, v[14:15], off
	s_waitcnt vmcnt(1)
	v_cvt_f32_f16_e32 v3, v13
	s_waitcnt vmcnt(0)
	v_cvt_f32_f16_e32 v13, v14
.LBB584_6:
	s_or_b64 exec, exec, s[8:9]
	s_and_b64 s[4:5], s[4:5], s[0:1]
	v_mov_b32_e32 v14, 0
	s_and_saveexec_b64 s[6:7], s[4:5]
	s_cbranch_execz .LBB584_8
; %bb.7:
	s_lshl_b64 s[8:9], s[10:11], 1
	v_mov_b32_e32 v1, s9
	v_add_co_u32_e64 v6, s[4:5], s8, v6
	v_addc_co_u32_e64 v7, s[4:5], v7, v1, s[4:5]
	global_load_ushort v14, v[6:7], off offset:128
	v_add_co_u32_e64 v6, s[4:5], s8, v8
	v_addc_co_u32_e64 v7, s[4:5], v9, v1, s[4:5]
	global_load_ushort v6, v[6:7], off offset:128
	s_waitcnt vmcnt(1)
	v_cvt_f32_f16_e32 v1, v14
	s_waitcnt vmcnt(0)
	v_cvt_f32_f16_e32 v14, v6
.LBB584_8:
	s_or_b64 exec, exec, s[6:7]
	v_mbcnt_lo_u32_b32 v8, -1, 0
	v_mbcnt_hi_u32_b32 v15, -1, v8
	v_and_b32_e32 v8, 64, v15
	v_add_u32_e32 v16, 64, v8
	v_xor_b32_e32 v8, 32, v15
	v_cmp_lt_i32_e64 s[4:5], v8, v16
	v_pk_add_f32 v[6:7], v[2:3], 0 op_sel_hi:[1,0]
	v_cndmask_b32_e64 v8, v15, v8, s[4:5]
	v_lshlrev_b32_e32 v9, 2, v8
	v_pk_add_f32 v[6:7], v[6:7], v[0:1]
	ds_bpermute_b32 v8, v9, v6
	ds_bpermute_b32 v9, v9, v7
	v_xor_b32_e32 v17, 16, v15
	v_cmp_lt_i32_e64 s[4:5], v17, v16
	v_cndmask_b32_e64 v17, v15, v17, s[4:5]
	v_lshlrev_b32_e32 v17, 2, v17
	s_waitcnt lgkmcnt(0)
	v_pk_add_f32 v[6:7], v[6:7], v[8:9]
	ds_bpermute_b32 v8, v17, v6
	ds_bpermute_b32 v9, v17, v7
	v_xor_b32_e32 v17, 8, v15
	v_cmp_lt_i32_e64 s[4:5], v17, v16
	v_cndmask_b32_e64 v17, v15, v17, s[4:5]
	v_lshlrev_b32_e32 v17, 2, v17
	s_waitcnt lgkmcnt(0)
	;; [unrolled: 8-line block ×5, first 2 shown]
	v_pk_add_f32 v[6:7], v[6:7], v[8:9]
	ds_bpermute_b32 v8, v15, v6
	ds_bpermute_b32 v9, v15, v7
	s_and_saveexec_b64 s[4:5], s[2:3]
	s_cbranch_execz .LBB584_12
; %bb.9:
	v_mov_b32_e32 v15, s13
	v_add_co_u32_e64 v4, s[2:3], s12, v4
	v_addc_co_u32_e64 v5, s[2:3], v15, v5, s[2:3]
	s_waitcnt lgkmcnt(0)
	v_pk_add_f32 v[6:7], v[6:7], v[8:9]
	s_and_saveexec_b64 s[2:3], vcc
	s_cbranch_execnz .LBB584_13
; %bb.10:
	s_or_b64 exec, exec, s[2:3]
	s_and_saveexec_b64 s[2:3], s[0:1]
	s_cbranch_execnz .LBB584_14
.LBB584_11:
	s_or_b64 exec, exec, s[2:3]
	v_cmp_ne_u32_e64 s[2:3], 1, v11
	s_and_b64 exec, exec, s[2:3]
	s_cbranch_execnz .LBB584_15
.LBB584_12:
	s_endpgm
.LBB584_13:
	v_fma_mixlo_f16 v2, -v6, v12, v2
	global_store_short v[4:5], v2, off
	s_or_b64 exec, exec, s[2:3]
	s_and_saveexec_b64 s[2:3], s[0:1]
	s_cbranch_execz .LBB584_11
.LBB584_14:
	v_fma_mixlo_f16 v0, -v6, v10, v0
	global_store_short v[4:5], v0, off offset:128
	s_or_b64 exec, exec, s[2:3]
	v_cmp_ne_u32_e64 s[2:3], 1, v11
	s_and_b64 exec, exec, s[2:3]
	s_cbranch_execz .LBB584_12
.LBB584_15:
	s_and_saveexec_b64 s[2:3], vcc
	s_cbranch_execz .LBB584_17
; %bb.16:
	s_lshl_b64 s[4:5], s[10:11], 1
	v_fma_mixlo_f16 v0, -v7, v13, v3
	v_mov_b32_e32 v3, s5
	v_add_co_u32_e32 v2, vcc, s4, v4
	v_addc_co_u32_e32 v3, vcc, v5, v3, vcc
	global_store_short v[2:3], v0, off
.LBB584_17:
	s_or_b64 exec, exec, s[2:3]
	s_and_b64 exec, exec, s[0:1]
	s_cbranch_execz .LBB584_12
; %bb.18:
	s_ashr_i32 s11, s10, 31
	s_lshl_b64 s[0:1], s[10:11], 1
	v_fma_mixlo_f16 v2, -v7, v14, v1
	v_mov_b32_e32 v1, s1
	v_add_co_u32_e32 v0, vcc, s0, v4
	v_addc_co_u32_e32 v1, vcc, v5, v1, vcc
	global_store_short v[0:1], v2, off offset:128
	s_endpgm
	.section	.rodata,"a",@progbits
	.p2align	6, 0x0
	.amdhsa_kernel _ZN12_GLOBAL__N_121softmax_warp_backwardIN3c104HalfES2_fLi7ELb0ELb0ELi64EEEvPT0_PKT_S7_iiiPKb
		.amdhsa_group_segment_fixed_size 0
		.amdhsa_private_segment_fixed_size 0
		.amdhsa_kernarg_size 304
		.amdhsa_user_sgpr_count 6
		.amdhsa_user_sgpr_private_segment_buffer 1
		.amdhsa_user_sgpr_dispatch_ptr 0
		.amdhsa_user_sgpr_queue_ptr 0
		.amdhsa_user_sgpr_kernarg_segment_ptr 1
		.amdhsa_user_sgpr_dispatch_id 0
		.amdhsa_user_sgpr_flat_scratch_init 0
		.amdhsa_user_sgpr_kernarg_preload_length 0
		.amdhsa_user_sgpr_kernarg_preload_offset 0
		.amdhsa_user_sgpr_private_segment_size 0
		.amdhsa_uses_dynamic_stack 0
		.amdhsa_system_sgpr_private_segment_wavefront_offset 0
		.amdhsa_system_sgpr_workgroup_id_x 1
		.amdhsa_system_sgpr_workgroup_id_y 0
		.amdhsa_system_sgpr_workgroup_id_z 0
		.amdhsa_system_sgpr_workgroup_info 0
		.amdhsa_system_vgpr_workitem_id 1
		.amdhsa_next_free_vgpr 18
		.amdhsa_next_free_sgpr 16
		.amdhsa_accum_offset 20
		.amdhsa_reserve_vcc 1
		.amdhsa_reserve_flat_scratch 0
		.amdhsa_float_round_mode_32 0
		.amdhsa_float_round_mode_16_64 0
		.amdhsa_float_denorm_mode_32 3
		.amdhsa_float_denorm_mode_16_64 3
		.amdhsa_dx10_clamp 1
		.amdhsa_ieee_mode 1
		.amdhsa_fp16_overflow 0
		.amdhsa_tg_split 0
		.amdhsa_exception_fp_ieee_invalid_op 0
		.amdhsa_exception_fp_denorm_src 0
		.amdhsa_exception_fp_ieee_div_zero 0
		.amdhsa_exception_fp_ieee_overflow 0
		.amdhsa_exception_fp_ieee_underflow 0
		.amdhsa_exception_fp_ieee_inexact 0
		.amdhsa_exception_int_div_zero 0
	.end_amdhsa_kernel
	.section	.text._ZN12_GLOBAL__N_121softmax_warp_backwardIN3c104HalfES2_fLi7ELb0ELb0ELi64EEEvPT0_PKT_S7_iiiPKb,"axG",@progbits,_ZN12_GLOBAL__N_121softmax_warp_backwardIN3c104HalfES2_fLi7ELb0ELb0ELi64EEEvPT0_PKT_S7_iiiPKb,comdat
.Lfunc_end584:
	.size	_ZN12_GLOBAL__N_121softmax_warp_backwardIN3c104HalfES2_fLi7ELb0ELb0ELi64EEEvPT0_PKT_S7_iiiPKb, .Lfunc_end584-_ZN12_GLOBAL__N_121softmax_warp_backwardIN3c104HalfES2_fLi7ELb0ELb0ELi64EEEvPT0_PKT_S7_iiiPKb
                                        ; -- End function
	.section	.AMDGPU.csdata,"",@progbits
; Kernel info:
; codeLenInByte = 1032
; NumSgprs: 20
; NumVgprs: 18
; NumAgprs: 0
; TotalNumVgprs: 18
; ScratchSize: 0
; MemoryBound: 0
; FloatMode: 240
; IeeeMode: 1
; LDSByteSize: 0 bytes/workgroup (compile time only)
; SGPRBlocks: 2
; VGPRBlocks: 2
; NumSGPRsForWavesPerEU: 20
; NumVGPRsForWavesPerEU: 18
; AccumOffset: 20
; Occupancy: 8
; WaveLimiterHint : 0
; COMPUTE_PGM_RSRC2:SCRATCH_EN: 0
; COMPUTE_PGM_RSRC2:USER_SGPR: 6
; COMPUTE_PGM_RSRC2:TRAP_HANDLER: 0
; COMPUTE_PGM_RSRC2:TGID_X_EN: 1
; COMPUTE_PGM_RSRC2:TGID_Y_EN: 0
; COMPUTE_PGM_RSRC2:TGID_Z_EN: 0
; COMPUTE_PGM_RSRC2:TIDIG_COMP_CNT: 1
; COMPUTE_PGM_RSRC3_GFX90A:ACCUM_OFFSET: 4
; COMPUTE_PGM_RSRC3_GFX90A:TG_SPLIT: 0
	.section	.text._ZN12_GLOBAL__N_121softmax_warp_backwardIN3c104HalfES2_fLi7ELb0ELb0ELi32EEEvPT0_PKT_S7_iiiPKb,"axG",@progbits,_ZN12_GLOBAL__N_121softmax_warp_backwardIN3c104HalfES2_fLi7ELb0ELb0ELi32EEEvPT0_PKT_S7_iiiPKb,comdat
	.globl	_ZN12_GLOBAL__N_121softmax_warp_backwardIN3c104HalfES2_fLi7ELb0ELb0ELi32EEEvPT0_PKT_S7_iiiPKb ; -- Begin function _ZN12_GLOBAL__N_121softmax_warp_backwardIN3c104HalfES2_fLi7ELb0ELb0ELi32EEEvPT0_PKT_S7_iiiPKb
	.p2align	8
	.type	_ZN12_GLOBAL__N_121softmax_warp_backwardIN3c104HalfES2_fLi7ELb0ELb0ELi32EEEvPT0_PKT_S7_iiiPKb,@function
_ZN12_GLOBAL__N_121softmax_warp_backwardIN3c104HalfES2_fLi7ELb0ELb0ELi32EEEvPT0_PKT_S7_iiiPKb: ; @_ZN12_GLOBAL__N_121softmax_warp_backwardIN3c104HalfES2_fLi7ELb0ELb0ELi32EEEvPT0_PKT_S7_iiiPKb
; %bb.0:
	s_load_dword s2, s[4:5], 0x3c
	s_load_dwordx4 s[12:15], s[4:5], 0x18
	s_load_dwordx4 s[16:19], s[4:5], 0x0
	s_load_dwordx2 s[0:1], s[4:5], 0x10
	v_bfe_u32 v1, v0, 10, 10
	s_waitcnt lgkmcnt(0)
	s_lshr_b32 s2, s2, 16
	s_mul_i32 s6, s6, s2
	v_add_lshl_u32 v1, s6, v1, 1
	v_and_b32_e32 v14, 31, v0
	v_sub_u32_e32 v16, s12, v1
	v_mad_u64_u32 v[0:1], s[2:3], v1, s13, v[14:15]
	v_ashrrev_i32_e32 v1, 31, v0
	v_lshlrev_b64 v[8:9], 1, v[0:1]
	v_mov_b32_e32 v0, s19
	v_add_co_u32_e32 v10, vcc, s18, v8
	v_addc_co_u32_e32 v11, vcc, v0, v9, vcc
	v_mov_b32_e32 v0, s1
	v_add_co_u32_e32 v12, vcc, s0, v8
	v_addc_co_u32_e32 v13, vcc, v0, v9, vcc
	v_cmp_lt_i32_e64 s[6:7], 0, v16
	v_cmp_gt_i32_e32 vcc, s14, v14
	s_and_b64 s[2:3], s[6:7], vcc
	v_mov_b32_e32 v0, 0
	v_mov_b32_e32 v2, 0
	;; [unrolled: 1-line block ×3, first 2 shown]
	s_and_saveexec_b64 s[0:1], s[2:3]
	s_cbranch_execz .LBB585_2
; %bb.1:
	global_load_ushort v1, v[10:11], off
	global_load_ushort v3, v[12:13], off
	s_waitcnt vmcnt(1)
	v_cvt_f32_f16_e32 v2, v1
	s_waitcnt vmcnt(0)
	v_cvt_f32_f16_e32 v17, v3
.LBB585_2:
	s_or_b64 exec, exec, s[0:1]
	v_or_b32_e32 v1, 32, v14
	v_cmp_gt_i32_e64 s[0:1], s14, v1
	s_and_b64 s[4:5], s[6:7], s[0:1]
	v_mov_b32_e32 v18, 0
	s_and_saveexec_b64 s[2:3], s[4:5]
	s_cbranch_execz .LBB585_4
; %bb.3:
	global_load_ushort v0, v[10:11], off offset:64
	global_load_ushort v1, v[12:13], off offset:64
	s_waitcnt vmcnt(1)
	v_cvt_f32_f16_e32 v0, v0
	s_waitcnt vmcnt(0)
	v_cvt_f32_f16_e32 v18, v1
.LBB585_4:
	s_or_b64 exec, exec, s[2:3]
	v_or_b32_e32 v1, 64, v14
	v_cmp_gt_i32_e64 s[2:3], s14, v1
	s_and_b64 s[8:9], s[6:7], s[2:3]
	v_mov_b32_e32 v4, 0
	v_mov_b32_e32 v6, 0
	;; [unrolled: 1-line block ×3, first 2 shown]
	s_and_saveexec_b64 s[4:5], s[8:9]
	s_cbranch_execz .LBB585_6
; %bb.5:
	global_load_ushort v1, v[10:11], off offset:128
	global_load_ushort v3, v[12:13], off offset:128
	s_waitcnt vmcnt(1)
	v_cvt_f32_f16_e32 v6, v1
	s_waitcnt vmcnt(0)
	v_cvt_f32_f16_e32 v19, v3
.LBB585_6:
	s_or_b64 exec, exec, s[4:5]
	v_or_b32_e32 v1, 0x60, v14
	v_cmp_gt_i32_e64 s[4:5], s14, v1
	s_and_b64 s[10:11], s[6:7], s[4:5]
	v_mov_b32_e32 v20, 0
	s_and_saveexec_b64 s[8:9], s[10:11]
	s_cbranch_execz .LBB585_8
; %bb.7:
	global_load_ushort v1, v[10:11], off offset:192
	global_load_ushort v3, v[12:13], off offset:192
	s_waitcnt vmcnt(1)
	v_cvt_f32_f16_e32 v4, v1
	s_waitcnt vmcnt(0)
	v_cvt_f32_f16_e32 v20, v3
.LBB585_8:
	s_or_b64 exec, exec, s[8:9]
	v_cmp_lt_i32_e64 s[8:9], 1, v16
	s_and_b64 s[10:11], s[8:9], vcc
	s_mov_b32 s15, 0
	v_mov_b32_e32 v1, 0
	v_mov_b32_e32 v3, 0
	;; [unrolled: 1-line block ×3, first 2 shown]
	s_and_saveexec_b64 s[12:13], s[10:11]
	s_cbranch_execz .LBB585_10
; %bb.9:
	s_lshl_b64 s[18:19], s[14:15], 1
	v_mov_b32_e32 v3, s19
	v_add_co_u32_e64 v14, s[10:11], s18, v10
	v_addc_co_u32_e64 v15, s[10:11], v11, v3, s[10:11]
	global_load_ushort v5, v[14:15], off
	v_add_co_u32_e64 v14, s[10:11], s18, v12
	v_addc_co_u32_e64 v15, s[10:11], v13, v3, s[10:11]
	global_load_ushort v7, v[14:15], off
	s_waitcnt vmcnt(1)
	v_cvt_f32_f16_e32 v3, v5
	s_waitcnt vmcnt(0)
	v_cvt_f32_f16_e32 v21, v7
.LBB585_10:
	s_or_b64 exec, exec, s[12:13]
	s_and_b64 s[10:11], s[8:9], s[0:1]
	v_mov_b32_e32 v22, 0
	s_and_saveexec_b64 s[12:13], s[10:11]
	s_cbranch_execz .LBB585_12
; %bb.11:
	s_lshl_b64 s[18:19], s[14:15], 1
	v_mov_b32_e32 v1, s19
	v_add_co_u32_e64 v14, s[10:11], s18, v10
	v_addc_co_u32_e64 v15, s[10:11], v11, v1, s[10:11]
	global_load_ushort v5, v[14:15], off offset:64
	v_add_co_u32_e64 v14, s[10:11], s18, v12
	v_addc_co_u32_e64 v15, s[10:11], v13, v1, s[10:11]
	global_load_ushort v7, v[14:15], off offset:64
	s_waitcnt vmcnt(1)
	v_cvt_f32_f16_e32 v1, v5
	s_waitcnt vmcnt(0)
	v_cvt_f32_f16_e32 v22, v7
.LBB585_12:
	s_or_b64 exec, exec, s[12:13]
	s_and_b64 s[10:11], s[8:9], s[2:3]
	v_mov_b32_e32 v5, 0
	v_mov_b32_e32 v7, 0
	v_mov_b32_e32 v23, 0
	s_and_saveexec_b64 s[12:13], s[10:11]
	s_cbranch_execz .LBB585_14
; %bb.13:
	s_lshl_b64 s[18:19], s[14:15], 1
	v_mov_b32_e32 v7, s19
	v_add_co_u32_e64 v14, s[10:11], s18, v10
	v_addc_co_u32_e64 v15, s[10:11], v11, v7, s[10:11]
	global_load_ushort v23, v[14:15], off offset:128
	v_add_co_u32_e64 v14, s[10:11], s18, v12
	v_addc_co_u32_e64 v15, s[10:11], v13, v7, s[10:11]
	global_load_ushort v14, v[14:15], off offset:128
	s_waitcnt vmcnt(1)
	v_cvt_f32_f16_e32 v7, v23
	s_waitcnt vmcnt(0)
	v_cvt_f32_f16_e32 v23, v14
.LBB585_14:
	s_or_b64 exec, exec, s[12:13]
	s_and_b64 s[8:9], s[8:9], s[4:5]
	v_mov_b32_e32 v24, 0
	s_and_saveexec_b64 s[10:11], s[8:9]
	s_cbranch_execz .LBB585_16
; %bb.15:
	s_lshl_b64 s[12:13], s[14:15], 1
	v_mov_b32_e32 v5, s13
	v_add_co_u32_e64 v10, s[8:9], s12, v10
	v_addc_co_u32_e64 v11, s[8:9], v11, v5, s[8:9]
	global_load_ushort v14, v[10:11], off offset:192
	v_add_co_u32_e64 v10, s[8:9], s12, v12
	v_addc_co_u32_e64 v11, s[8:9], v13, v5, s[8:9]
	global_load_ushort v10, v[10:11], off offset:192
	s_waitcnt vmcnt(1)
	v_cvt_f32_f16_e32 v5, v14
	s_waitcnt vmcnt(0)
	v_cvt_f32_f16_e32 v24, v10
.LBB585_16:
	s_or_b64 exec, exec, s[10:11]
	v_mbcnt_lo_u32_b32 v12, -1, 0
	v_mbcnt_hi_u32_b32 v14, -1, v12
	v_and_b32_e32 v12, 0x60, v14
	v_pk_add_f32 v[10:11], v[2:3], 0 op_sel_hi:[1,0]
	v_add_u32_e32 v15, 32, v12
	v_xor_b32_e32 v12, 16, v14
	v_cmp_lt_i32_e64 s[8:9], v12, v15
	v_pk_add_f32 v[10:11], v[10:11], v[0:1]
	v_cndmask_b32_e64 v12, v14, v12, s[8:9]
	v_pk_add_f32 v[10:11], v[10:11], v[6:7]
	v_lshlrev_b32_e32 v13, 2, v12
	v_pk_add_f32 v[10:11], v[10:11], v[4:5]
	ds_bpermute_b32 v12, v13, v10
	ds_bpermute_b32 v13, v13, v11
	v_xor_b32_e32 v25, 8, v14
	v_cmp_lt_i32_e64 s[8:9], v25, v15
	v_cndmask_b32_e64 v25, v14, v25, s[8:9]
	v_lshlrev_b32_e32 v25, 2, v25
	s_waitcnt lgkmcnt(0)
	v_pk_add_f32 v[10:11], v[10:11], v[12:13]
	ds_bpermute_b32 v12, v25, v10
	ds_bpermute_b32 v13, v25, v11
	v_xor_b32_e32 v25, 4, v14
	v_cmp_lt_i32_e64 s[8:9], v25, v15
	v_cndmask_b32_e64 v25, v14, v25, s[8:9]
	v_lshlrev_b32_e32 v25, 2, v25
	s_waitcnt lgkmcnt(0)
	;; [unrolled: 8-line block ×4, first 2 shown]
	v_pk_add_f32 v[12:13], v[10:11], v[12:13]
	ds_bpermute_b32 v14, v15, v12
	ds_bpermute_b32 v15, v15, v13
	s_and_saveexec_b64 s[8:9], s[6:7]
	s_cbranch_execz .LBB585_22
; %bb.17:
	v_mov_b32_e32 v11, s17
	v_add_co_u32_e64 v10, s[6:7], s16, v8
	v_addc_co_u32_e64 v11, s[6:7], v11, v9, s[6:7]
	s_waitcnt lgkmcnt(0)
	v_pk_add_f32 v[8:9], v[12:13], v[14:15]
	s_and_saveexec_b64 s[6:7], vcc
	s_cbranch_execnz .LBB585_23
; %bb.18:
	s_or_b64 exec, exec, s[6:7]
	s_and_saveexec_b64 s[6:7], s[0:1]
	s_cbranch_execnz .LBB585_24
.LBB585_19:
	s_or_b64 exec, exec, s[6:7]
	s_and_saveexec_b64 s[6:7], s[2:3]
	s_cbranch_execnz .LBB585_25
.LBB585_20:
	s_or_b64 exec, exec, s[6:7]
	s_and_saveexec_b64 s[6:7], s[4:5]
	s_cbranch_execnz .LBB585_26
.LBB585_21:
	s_or_b64 exec, exec, s[6:7]
	v_cmp_ne_u32_e64 s[6:7], 1, v16
	s_and_b64 exec, exec, s[6:7]
	s_cbranch_execnz .LBB585_27
.LBB585_22:
	s_endpgm
.LBB585_23:
	v_fma_mixlo_f16 v2, -v8, v17, v2
	global_store_short v[10:11], v2, off
	s_or_b64 exec, exec, s[6:7]
	s_and_saveexec_b64 s[6:7], s[0:1]
	s_cbranch_execz .LBB585_19
.LBB585_24:
	v_fma_mixlo_f16 v0, -v8, v18, v0
	global_store_short v[10:11], v0, off offset:64
	s_or_b64 exec, exec, s[6:7]
	s_and_saveexec_b64 s[6:7], s[2:3]
	s_cbranch_execz .LBB585_20
.LBB585_25:
	v_fma_mixlo_f16 v0, -v8, v19, v6
	global_store_short v[10:11], v0, off offset:128
	s_or_b64 exec, exec, s[6:7]
	s_and_saveexec_b64 s[6:7], s[4:5]
	s_cbranch_execz .LBB585_21
.LBB585_26:
	v_fma_mixlo_f16 v0, -v8, v20, v4
	global_store_short v[10:11], v0, off offset:192
	s_or_b64 exec, exec, s[6:7]
	v_cmp_ne_u32_e64 s[6:7], 1, v16
	s_and_b64 exec, exec, s[6:7]
	s_cbranch_execz .LBB585_22
.LBB585_27:
	s_ashr_i32 s15, s14, 31
	s_lshl_b64 s[6:7], s[14:15], 1
	v_mov_b32_e32 v0, s7
	v_add_co_u32_e64 v10, s[6:7], s6, v10
	v_addc_co_u32_e64 v11, s[6:7], v11, v0, s[6:7]
	s_and_saveexec_b64 s[6:7], vcc
	s_cbranch_execnz .LBB585_31
; %bb.28:
	s_or_b64 exec, exec, s[6:7]
	s_and_saveexec_b64 s[6:7], s[0:1]
	s_cbranch_execnz .LBB585_32
.LBB585_29:
	s_or_b64 exec, exec, s[6:7]
	s_and_saveexec_b64 s[0:1], s[2:3]
	s_cbranch_execnz .LBB585_33
.LBB585_30:
	s_or_b64 exec, exec, s[0:1]
	s_and_b64 exec, exec, s[4:5]
	s_cbranch_execz .LBB585_22
	s_branch .LBB585_34
.LBB585_31:
	v_fma_mixlo_f16 v0, -v9, v21, v3
	global_store_short v[10:11], v0, off
	s_or_b64 exec, exec, s[6:7]
	s_and_saveexec_b64 s[6:7], s[0:1]
	s_cbranch_execz .LBB585_29
.LBB585_32:
	v_fma_mixlo_f16 v0, -v9, v22, v1
	global_store_short v[10:11], v0, off offset:64
	s_or_b64 exec, exec, s[6:7]
	s_and_saveexec_b64 s[0:1], s[2:3]
	s_cbranch_execz .LBB585_30
.LBB585_33:
	v_fma_mixlo_f16 v0, -v9, v23, v7
	global_store_short v[10:11], v0, off offset:128
	s_or_b64 exec, exec, s[0:1]
	s_and_b64 exec, exec, s[4:5]
	s_cbranch_execz .LBB585_22
.LBB585_34:
	v_fma_mixlo_f16 v0, -v9, v24, v5
	global_store_short v[10:11], v0, off offset:192
	s_endpgm
	.section	.rodata,"a",@progbits
	.p2align	6, 0x0
	.amdhsa_kernel _ZN12_GLOBAL__N_121softmax_warp_backwardIN3c104HalfES2_fLi7ELb0ELb0ELi32EEEvPT0_PKT_S7_iiiPKb
		.amdhsa_group_segment_fixed_size 0
		.amdhsa_private_segment_fixed_size 0
		.amdhsa_kernarg_size 304
		.amdhsa_user_sgpr_count 6
		.amdhsa_user_sgpr_private_segment_buffer 1
		.amdhsa_user_sgpr_dispatch_ptr 0
		.amdhsa_user_sgpr_queue_ptr 0
		.amdhsa_user_sgpr_kernarg_segment_ptr 1
		.amdhsa_user_sgpr_dispatch_id 0
		.amdhsa_user_sgpr_flat_scratch_init 0
		.amdhsa_user_sgpr_kernarg_preload_length 0
		.amdhsa_user_sgpr_kernarg_preload_offset 0
		.amdhsa_user_sgpr_private_segment_size 0
		.amdhsa_uses_dynamic_stack 0
		.amdhsa_system_sgpr_private_segment_wavefront_offset 0
		.amdhsa_system_sgpr_workgroup_id_x 1
		.amdhsa_system_sgpr_workgroup_id_y 0
		.amdhsa_system_sgpr_workgroup_id_z 0
		.amdhsa_system_sgpr_workgroup_info 0
		.amdhsa_system_vgpr_workitem_id 1
		.amdhsa_next_free_vgpr 26
		.amdhsa_next_free_sgpr 20
		.amdhsa_accum_offset 28
		.amdhsa_reserve_vcc 1
		.amdhsa_reserve_flat_scratch 0
		.amdhsa_float_round_mode_32 0
		.amdhsa_float_round_mode_16_64 0
		.amdhsa_float_denorm_mode_32 3
		.amdhsa_float_denorm_mode_16_64 3
		.amdhsa_dx10_clamp 1
		.amdhsa_ieee_mode 1
		.amdhsa_fp16_overflow 0
		.amdhsa_tg_split 0
		.amdhsa_exception_fp_ieee_invalid_op 0
		.amdhsa_exception_fp_denorm_src 0
		.amdhsa_exception_fp_ieee_div_zero 0
		.amdhsa_exception_fp_ieee_overflow 0
		.amdhsa_exception_fp_ieee_underflow 0
		.amdhsa_exception_fp_ieee_inexact 0
		.amdhsa_exception_int_div_zero 0
	.end_amdhsa_kernel
	.section	.text._ZN12_GLOBAL__N_121softmax_warp_backwardIN3c104HalfES2_fLi7ELb0ELb0ELi32EEEvPT0_PKT_S7_iiiPKb,"axG",@progbits,_ZN12_GLOBAL__N_121softmax_warp_backwardIN3c104HalfES2_fLi7ELb0ELb0ELi32EEEvPT0_PKT_S7_iiiPKb,comdat
.Lfunc_end585:
	.size	_ZN12_GLOBAL__N_121softmax_warp_backwardIN3c104HalfES2_fLi7ELb0ELb0ELi32EEEvPT0_PKT_S7_iiiPKb, .Lfunc_end585-_ZN12_GLOBAL__N_121softmax_warp_backwardIN3c104HalfES2_fLi7ELb0ELb0ELi32EEEvPT0_PKT_S7_iiiPKb
                                        ; -- End function
	.section	.AMDGPU.csdata,"",@progbits
; Kernel info:
; codeLenInByte = 1500
; NumSgprs: 24
; NumVgprs: 26
; NumAgprs: 0
; TotalNumVgprs: 26
; ScratchSize: 0
; MemoryBound: 0
; FloatMode: 240
; IeeeMode: 1
; LDSByteSize: 0 bytes/workgroup (compile time only)
; SGPRBlocks: 2
; VGPRBlocks: 3
; NumSGPRsForWavesPerEU: 24
; NumVGPRsForWavesPerEU: 26
; AccumOffset: 28
; Occupancy: 8
; WaveLimiterHint : 0
; COMPUTE_PGM_RSRC2:SCRATCH_EN: 0
; COMPUTE_PGM_RSRC2:USER_SGPR: 6
; COMPUTE_PGM_RSRC2:TRAP_HANDLER: 0
; COMPUTE_PGM_RSRC2:TGID_X_EN: 1
; COMPUTE_PGM_RSRC2:TGID_Y_EN: 0
; COMPUTE_PGM_RSRC2:TGID_Z_EN: 0
; COMPUTE_PGM_RSRC2:TIDIG_COMP_CNT: 1
; COMPUTE_PGM_RSRC3_GFX90A:ACCUM_OFFSET: 6
; COMPUTE_PGM_RSRC3_GFX90A:TG_SPLIT: 0
	.section	.text._ZN12_GLOBAL__N_121softmax_warp_backwardIN3c104HalfES2_fLi8ELb0ELb0ELi64EEEvPT0_PKT_S7_iiiPKb,"axG",@progbits,_ZN12_GLOBAL__N_121softmax_warp_backwardIN3c104HalfES2_fLi8ELb0ELb0ELi64EEEvPT0_PKT_S7_iiiPKb,comdat
	.globl	_ZN12_GLOBAL__N_121softmax_warp_backwardIN3c104HalfES2_fLi8ELb0ELb0ELi64EEEvPT0_PKT_S7_iiiPKb ; -- Begin function _ZN12_GLOBAL__N_121softmax_warp_backwardIN3c104HalfES2_fLi8ELb0ELb0ELi64EEEvPT0_PKT_S7_iiiPKb
	.p2align	8
	.type	_ZN12_GLOBAL__N_121softmax_warp_backwardIN3c104HalfES2_fLi8ELb0ELb0ELi64EEEvPT0_PKT_S7_iiiPKb,@function
_ZN12_GLOBAL__N_121softmax_warp_backwardIN3c104HalfES2_fLi8ELb0ELb0ELi64EEEvPT0_PKT_S7_iiiPKb: ; @_ZN12_GLOBAL__N_121softmax_warp_backwardIN3c104HalfES2_fLi8ELb0ELb0ELi64EEEvPT0_PKT_S7_iiiPKb
; %bb.0:
	s_load_dword s2, s[4:5], 0x3c
	s_load_dwordx4 s[12:15], s[4:5], 0x18
	s_load_dwordx4 s[8:11], s[4:5], 0x0
	s_load_dwordx2 s[0:1], s[4:5], 0x10
	v_bfe_u32 v1, v0, 10, 10
	s_waitcnt lgkmcnt(0)
	s_lshr_b32 s2, s2, 16
	s_mul_i32 s6, s6, s2
	v_add_u32_e32 v1, s6, v1
	v_and_b32_e32 v6, 63, v0
	v_sub_u32_e32 v8, s12, v1
	v_mad_u64_u32 v[0:1], s[2:3], v1, s13, v[6:7]
	v_ashrrev_i32_e32 v1, 31, v0
	v_lshlrev_b64 v[0:1], 1, v[0:1]
	v_mov_b32_e32 v3, s11
	v_add_co_u32_e32 v2, vcc, s10, v0
	v_addc_co_u32_e32 v3, vcc, v3, v1, vcc
	v_mov_b32_e32 v5, s1
	v_add_co_u32_e32 v4, vcc, s0, v0
	v_addc_co_u32_e32 v5, vcc, v5, v1, vcc
	v_cmp_lt_i32_e64 s[6:7], 0, v8
	v_cmp_gt_i32_e32 vcc, s14, v6
	s_and_b64 s[2:3], s[6:7], vcc
	v_mov_b32_e32 v7, 0
	v_mov_b32_e32 v9, 0
	;; [unrolled: 1-line block ×3, first 2 shown]
	s_and_saveexec_b64 s[0:1], s[2:3]
	s_cbranch_execz .LBB586_2
; %bb.1:
	global_load_ushort v9, v[2:3], off
	global_load_ushort v10, v[4:5], off
	s_waitcnt vmcnt(1)
	v_cvt_f32_f16_e32 v9, v9
	s_waitcnt vmcnt(0)
	v_cvt_f32_f16_e32 v10, v10
.LBB586_2:
	s_or_b64 exec, exec, s[0:1]
	v_or_b32_e32 v11, 64, v6
	v_cmp_gt_i32_e64 s[0:1], s14, v11
	s_and_b64 s[4:5], s[6:7], s[0:1]
	v_mov_b32_e32 v11, 0
	s_and_saveexec_b64 s[2:3], s[4:5]
	s_cbranch_execz .LBB586_4
; %bb.3:
	global_load_ushort v7, v[2:3], off offset:128
	global_load_ushort v11, v[4:5], off offset:128
	s_waitcnt vmcnt(1)
	v_cvt_f32_f16_e32 v7, v7
	s_waitcnt vmcnt(0)
	v_cvt_f32_f16_e32 v11, v11
.LBB586_4:
	s_or_b64 exec, exec, s[2:3]
	v_or_b32_e32 v12, 0x80, v6
	v_cmp_gt_i32_e64 s[2:3], s14, v12
	s_and_b64 s[10:11], s[6:7], s[2:3]
	v_mov_b32_e32 v12, 0
	v_mov_b32_e32 v13, 0
	;; [unrolled: 1-line block ×3, first 2 shown]
	s_and_saveexec_b64 s[4:5], s[10:11]
	s_cbranch_execz .LBB586_6
; %bb.5:
	global_load_ushort v13, v[2:3], off offset:256
	global_load_ushort v14, v[4:5], off offset:256
	s_waitcnt vmcnt(1)
	v_cvt_f32_f16_e32 v13, v13
	s_waitcnt vmcnt(0)
	v_cvt_f32_f16_e32 v14, v14
.LBB586_6:
	s_or_b64 exec, exec, s[4:5]
	v_or_b32_e32 v6, 0xc0, v6
	v_cmp_gt_i32_e64 s[4:5], s14, v6
	s_and_b64 s[10:11], s[6:7], s[4:5]
	v_mov_b32_e32 v6, 0
	s_and_saveexec_b64 s[6:7], s[10:11]
	s_cbranch_execz .LBB586_8
; %bb.7:
	global_load_ushort v6, v[2:3], off offset:384
	global_load_ushort v15, v[4:5], off offset:384
	s_waitcnt vmcnt(1)
	v_cvt_f32_f16_e32 v12, v6
	s_waitcnt vmcnt(0)
	v_cvt_f32_f16_e32 v6, v15
.LBB586_8:
	s_or_b64 exec, exec, s[6:7]
	v_mbcnt_lo_u32_b32 v3, -1, 0
	v_mbcnt_hi_u32_b32 v3, -1, v3
	v_and_b32_e32 v4, 64, v3
	v_add_f32_e32 v2, 0, v9
	v_add_u32_e32 v4, 64, v4
	v_xor_b32_e32 v5, 32, v3
	v_add_f32_e32 v2, v2, v7
	v_cmp_lt_i32_e64 s[6:7], v5, v4
	v_add_f32_e32 v2, v2, v13
	v_cndmask_b32_e64 v5, v3, v5, s[6:7]
	v_add_f32_e32 v2, v2, v12
	v_lshlrev_b32_e32 v5, 2, v5
	ds_bpermute_b32 v5, v5, v2
	s_waitcnt lgkmcnt(0)
	v_add_f32_e32 v2, v2, v5
	v_xor_b32_e32 v5, 16, v3
	v_cmp_lt_i32_e64 s[6:7], v5, v4
	v_cndmask_b32_e64 v5, v3, v5, s[6:7]
	v_lshlrev_b32_e32 v5, 2, v5
	ds_bpermute_b32 v5, v5, v2
	s_waitcnt lgkmcnt(0)
	v_add_f32_e32 v2, v2, v5
	v_xor_b32_e32 v5, 8, v3
	v_cmp_lt_i32_e64 s[6:7], v5, v4
	v_cndmask_b32_e64 v5, v3, v5, s[6:7]
	;; [unrolled: 7-line block ×5, first 2 shown]
	v_lshlrev_b32_e32 v3, 2, v3
	ds_bpermute_b32 v3, v3, v2
	v_cmp_lt_i32_e64 s[6:7], 0, v8
	s_and_saveexec_b64 s[10:11], s[6:7]
	s_cbranch_execz .LBB586_14
; %bb.9:
	v_mov_b32_e32 v4, s9
	v_add_co_u32_e64 v0, s[6:7], s8, v0
	v_addc_co_u32_e64 v1, s[6:7], v4, v1, s[6:7]
	s_waitcnt lgkmcnt(0)
	v_add_f32_e32 v2, v2, v3
	s_and_saveexec_b64 s[6:7], vcc
	s_cbranch_execnz .LBB586_15
; %bb.10:
	s_or_b64 exec, exec, s[6:7]
	s_and_saveexec_b64 s[6:7], s[0:1]
	s_cbranch_execnz .LBB586_16
.LBB586_11:
	s_or_b64 exec, exec, s[6:7]
	s_and_saveexec_b64 s[0:1], s[2:3]
	s_cbranch_execnz .LBB586_17
.LBB586_12:
	s_or_b64 exec, exec, s[0:1]
	s_and_b64 exec, exec, s[4:5]
	s_cbranch_execz .LBB586_14
.LBB586_13:
	v_fma_mixlo_f16 v2, -v2, v6, v12
	global_store_short v[0:1], v2, off offset:384
.LBB586_14:
	s_endpgm
.LBB586_15:
	v_fma_mixlo_f16 v3, -v2, v10, v9
	global_store_short v[0:1], v3, off
	s_or_b64 exec, exec, s[6:7]
	s_and_saveexec_b64 s[6:7], s[0:1]
	s_cbranch_execz .LBB586_11
.LBB586_16:
	v_fma_mixlo_f16 v3, -v2, v11, v7
	global_store_short v[0:1], v3, off offset:128
	s_or_b64 exec, exec, s[6:7]
	s_and_saveexec_b64 s[0:1], s[2:3]
	s_cbranch_execz .LBB586_12
.LBB586_17:
	v_fma_mixlo_f16 v3, -v2, v14, v13
	global_store_short v[0:1], v3, off offset:256
	s_or_b64 exec, exec, s[0:1]
	s_and_b64 exec, exec, s[4:5]
	s_cbranch_execnz .LBB586_13
	s_branch .LBB586_14
	.section	.rodata,"a",@progbits
	.p2align	6, 0x0
	.amdhsa_kernel _ZN12_GLOBAL__N_121softmax_warp_backwardIN3c104HalfES2_fLi8ELb0ELb0ELi64EEEvPT0_PKT_S7_iiiPKb
		.amdhsa_group_segment_fixed_size 0
		.amdhsa_private_segment_fixed_size 0
		.amdhsa_kernarg_size 304
		.amdhsa_user_sgpr_count 6
		.amdhsa_user_sgpr_private_segment_buffer 1
		.amdhsa_user_sgpr_dispatch_ptr 0
		.amdhsa_user_sgpr_queue_ptr 0
		.amdhsa_user_sgpr_kernarg_segment_ptr 1
		.amdhsa_user_sgpr_dispatch_id 0
		.amdhsa_user_sgpr_flat_scratch_init 0
		.amdhsa_user_sgpr_kernarg_preload_length 0
		.amdhsa_user_sgpr_kernarg_preload_offset 0
		.amdhsa_user_sgpr_private_segment_size 0
		.amdhsa_uses_dynamic_stack 0
		.amdhsa_system_sgpr_private_segment_wavefront_offset 0
		.amdhsa_system_sgpr_workgroup_id_x 1
		.amdhsa_system_sgpr_workgroup_id_y 0
		.amdhsa_system_sgpr_workgroup_id_z 0
		.amdhsa_system_sgpr_workgroup_info 0
		.amdhsa_system_vgpr_workitem_id 1
		.amdhsa_next_free_vgpr 16
		.amdhsa_next_free_sgpr 16
		.amdhsa_accum_offset 16
		.amdhsa_reserve_vcc 1
		.amdhsa_reserve_flat_scratch 0
		.amdhsa_float_round_mode_32 0
		.amdhsa_float_round_mode_16_64 0
		.amdhsa_float_denorm_mode_32 3
		.amdhsa_float_denorm_mode_16_64 3
		.amdhsa_dx10_clamp 1
		.amdhsa_ieee_mode 1
		.amdhsa_fp16_overflow 0
		.amdhsa_tg_split 0
		.amdhsa_exception_fp_ieee_invalid_op 0
		.amdhsa_exception_fp_denorm_src 0
		.amdhsa_exception_fp_ieee_div_zero 0
		.amdhsa_exception_fp_ieee_overflow 0
		.amdhsa_exception_fp_ieee_underflow 0
		.amdhsa_exception_fp_ieee_inexact 0
		.amdhsa_exception_int_div_zero 0
	.end_amdhsa_kernel
	.section	.text._ZN12_GLOBAL__N_121softmax_warp_backwardIN3c104HalfES2_fLi8ELb0ELb0ELi64EEEvPT0_PKT_S7_iiiPKb,"axG",@progbits,_ZN12_GLOBAL__N_121softmax_warp_backwardIN3c104HalfES2_fLi8ELb0ELb0ELi64EEEvPT0_PKT_S7_iiiPKb,comdat
.Lfunc_end586:
	.size	_ZN12_GLOBAL__N_121softmax_warp_backwardIN3c104HalfES2_fLi8ELb0ELb0ELi64EEEvPT0_PKT_S7_iiiPKb, .Lfunc_end586-_ZN12_GLOBAL__N_121softmax_warp_backwardIN3c104HalfES2_fLi8ELb0ELb0ELi64EEEvPT0_PKT_S7_iiiPKb
                                        ; -- End function
	.section	.AMDGPU.csdata,"",@progbits
; Kernel info:
; codeLenInByte = 856
; NumSgprs: 20
; NumVgprs: 16
; NumAgprs: 0
; TotalNumVgprs: 16
; ScratchSize: 0
; MemoryBound: 0
; FloatMode: 240
; IeeeMode: 1
; LDSByteSize: 0 bytes/workgroup (compile time only)
; SGPRBlocks: 2
; VGPRBlocks: 1
; NumSGPRsForWavesPerEU: 20
; NumVGPRsForWavesPerEU: 16
; AccumOffset: 16
; Occupancy: 8
; WaveLimiterHint : 0
; COMPUTE_PGM_RSRC2:SCRATCH_EN: 0
; COMPUTE_PGM_RSRC2:USER_SGPR: 6
; COMPUTE_PGM_RSRC2:TRAP_HANDLER: 0
; COMPUTE_PGM_RSRC2:TGID_X_EN: 1
; COMPUTE_PGM_RSRC2:TGID_Y_EN: 0
; COMPUTE_PGM_RSRC2:TGID_Z_EN: 0
; COMPUTE_PGM_RSRC2:TIDIG_COMP_CNT: 1
; COMPUTE_PGM_RSRC3_GFX90A:ACCUM_OFFSET: 3
; COMPUTE_PGM_RSRC3_GFX90A:TG_SPLIT: 0
	.section	.text._ZN12_GLOBAL__N_121softmax_warp_backwardIN3c104HalfES2_fLi8ELb0ELb0ELi32EEEvPT0_PKT_S7_iiiPKb,"axG",@progbits,_ZN12_GLOBAL__N_121softmax_warp_backwardIN3c104HalfES2_fLi8ELb0ELb0ELi32EEEvPT0_PKT_S7_iiiPKb,comdat
	.globl	_ZN12_GLOBAL__N_121softmax_warp_backwardIN3c104HalfES2_fLi8ELb0ELb0ELi32EEEvPT0_PKT_S7_iiiPKb ; -- Begin function _ZN12_GLOBAL__N_121softmax_warp_backwardIN3c104HalfES2_fLi8ELb0ELb0ELi32EEEvPT0_PKT_S7_iiiPKb
	.p2align	8
	.type	_ZN12_GLOBAL__N_121softmax_warp_backwardIN3c104HalfES2_fLi8ELb0ELb0ELi32EEEvPT0_PKT_S7_iiiPKb,@function
_ZN12_GLOBAL__N_121softmax_warp_backwardIN3c104HalfES2_fLi8ELb0ELb0ELi32EEEvPT0_PKT_S7_iiiPKb: ; @_ZN12_GLOBAL__N_121softmax_warp_backwardIN3c104HalfES2_fLi8ELb0ELb0ELi32EEEvPT0_PKT_S7_iiiPKb
; %bb.0:
	s_load_dword s2, s[4:5], 0x3c
	s_load_dwordx4 s[12:15], s[4:5], 0x18
	s_load_dwordx4 s[16:19], s[4:5], 0x0
	s_load_dwordx2 s[0:1], s[4:5], 0x10
	v_bfe_u32 v1, v0, 10, 10
	s_waitcnt lgkmcnt(0)
	s_lshr_b32 s2, s2, 16
	s_mul_i32 s6, s6, s2
	v_add_u32_e32 v1, s6, v1
	v_and_b32_e32 v6, 31, v0
	v_sub_u32_e32 v8, s12, v1
	v_mad_u64_u32 v[0:1], s[2:3], v1, s13, v[6:7]
	v_ashrrev_i32_e32 v1, 31, v0
	v_lshlrev_b64 v[0:1], 1, v[0:1]
	v_mov_b32_e32 v3, s19
	v_add_co_u32_e32 v2, vcc, s18, v0
	v_addc_co_u32_e32 v3, vcc, v3, v1, vcc
	v_mov_b32_e32 v5, s1
	v_add_co_u32_e32 v4, vcc, s0, v0
	v_addc_co_u32_e32 v5, vcc, v5, v1, vcc
	v_cmp_lt_i32_e64 s[12:13], 0, v8
	v_cmp_gt_i32_e32 vcc, s14, v6
	s_and_b64 s[2:3], s[12:13], vcc
	v_mov_b32_e32 v7, 0
	v_mov_b32_e32 v9, 0
	;; [unrolled: 1-line block ×3, first 2 shown]
	s_and_saveexec_b64 s[0:1], s[2:3]
	s_cbranch_execz .LBB587_2
; %bb.1:
	global_load_ushort v9, v[2:3], off
	global_load_ushort v10, v[4:5], off
	s_waitcnt vmcnt(1)
	v_cvt_f32_f16_e32 v9, v9
	s_waitcnt vmcnt(0)
	v_cvt_f32_f16_e32 v10, v10
.LBB587_2:
	s_or_b64 exec, exec, s[0:1]
	v_or_b32_e32 v11, 32, v6
	v_cmp_gt_i32_e64 s[0:1], s14, v11
	s_and_b64 s[4:5], s[12:13], s[0:1]
	v_mov_b32_e32 v11, 0
	s_and_saveexec_b64 s[2:3], s[4:5]
	s_cbranch_execz .LBB587_4
; %bb.3:
	global_load_ushort v7, v[2:3], off offset:64
	global_load_ushort v11, v[4:5], off offset:64
	s_waitcnt vmcnt(1)
	v_cvt_f32_f16_e32 v7, v7
	s_waitcnt vmcnt(0)
	v_cvt_f32_f16_e32 v11, v11
.LBB587_4:
	s_or_b64 exec, exec, s[2:3]
	v_or_b32_e32 v12, 64, v6
	v_cmp_gt_i32_e64 s[2:3], s14, v12
	s_and_b64 s[6:7], s[12:13], s[2:3]
	v_mov_b32_e32 v12, 0
	v_mov_b32_e32 v13, 0
	v_mov_b32_e32 v14, 0
	s_and_saveexec_b64 s[4:5], s[6:7]
	s_cbranch_execz .LBB587_6
; %bb.5:
	global_load_ushort v13, v[2:3], off offset:128
	global_load_ushort v14, v[4:5], off offset:128
	s_waitcnt vmcnt(1)
	v_cvt_f32_f16_e32 v13, v13
	s_waitcnt vmcnt(0)
	v_cvt_f32_f16_e32 v14, v14
.LBB587_6:
	s_or_b64 exec, exec, s[4:5]
	v_or_b32_e32 v15, 0x60, v6
	v_cmp_gt_i32_e64 s[4:5], s14, v15
	s_and_b64 s[8:9], s[12:13], s[4:5]
	v_mov_b32_e32 v15, 0
	s_and_saveexec_b64 s[6:7], s[8:9]
	s_cbranch_execz .LBB587_8
; %bb.7:
	global_load_ushort v12, v[2:3], off offset:192
	global_load_ushort v15, v[4:5], off offset:192
	s_waitcnt vmcnt(1)
	v_cvt_f32_f16_e32 v12, v12
	s_waitcnt vmcnt(0)
	v_cvt_f32_f16_e32 v15, v15
.LBB587_8:
	s_or_b64 exec, exec, s[6:7]
	v_or_b32_e32 v16, 0x80, v6
	v_cmp_gt_i32_e64 s[6:7], s14, v16
	s_and_b64 s[10:11], s[12:13], s[6:7]
	v_mov_b32_e32 v16, 0
	v_mov_b32_e32 v17, 0
	v_mov_b32_e32 v18, 0
	s_and_saveexec_b64 s[8:9], s[10:11]
	s_cbranch_execz .LBB587_10
; %bb.9:
	global_load_ushort v17, v[2:3], off offset:256
	global_load_ushort v18, v[4:5], off offset:256
	s_waitcnt vmcnt(1)
	v_cvt_f32_f16_e32 v17, v17
	s_waitcnt vmcnt(0)
	v_cvt_f32_f16_e32 v18, v18
.LBB587_10:
	;; [unrolled: 32-line block ×3, first 2 shown]
	s_or_b64 exec, exec, s[18:19]
	v_or_b32_e32 v6, 0xe0, v6
	v_cmp_gt_i32_e64 s[14:15], s14, v6
	s_and_b64 s[18:19], s[12:13], s[14:15]
	v_mov_b32_e32 v6, 0
	s_and_saveexec_b64 s[12:13], s[18:19]
	s_cbranch_execz .LBB587_16
; %bb.15:
	global_load_ushort v6, v[2:3], off offset:448
	global_load_ushort v23, v[4:5], off offset:448
	s_waitcnt vmcnt(1)
	v_cvt_f32_f16_e32 v20, v6
	s_waitcnt vmcnt(0)
	v_cvt_f32_f16_e32 v6, v23
.LBB587_16:
	s_or_b64 exec, exec, s[12:13]
	v_add_f32_e32 v2, 0, v9
	v_add_f32_e32 v2, v2, v7
	v_mbcnt_lo_u32_b32 v3, -1, 0
	v_add_f32_e32 v2, v2, v13
	v_mbcnt_hi_u32_b32 v3, -1, v3
	v_add_f32_e32 v2, v2, v12
	v_and_b32_e32 v4, 0x60, v3
	v_add_f32_e32 v2, v2, v17
	v_add_u32_e32 v4, 32, v4
	v_xor_b32_e32 v5, 16, v3
	v_add_f32_e32 v2, v2, v16
	v_cmp_lt_i32_e64 s[12:13], v5, v4
	v_add_f32_e32 v2, v2, v21
	v_cndmask_b32_e64 v5, v3, v5, s[12:13]
	v_add_f32_e32 v2, v2, v20
	v_lshlrev_b32_e32 v5, 2, v5
	ds_bpermute_b32 v5, v5, v2
	s_waitcnt lgkmcnt(0)
	v_add_f32_e32 v2, v2, v5
	v_xor_b32_e32 v5, 8, v3
	v_cmp_lt_i32_e64 s[12:13], v5, v4
	v_cndmask_b32_e64 v5, v3, v5, s[12:13]
	v_lshlrev_b32_e32 v5, 2, v5
	ds_bpermute_b32 v5, v5, v2
	s_waitcnt lgkmcnt(0)
	v_add_f32_e32 v2, v2, v5
	v_xor_b32_e32 v5, 4, v3
	v_cmp_lt_i32_e64 s[12:13], v5, v4
	v_cndmask_b32_e64 v5, v3, v5, s[12:13]
	;; [unrolled: 7-line block ×4, first 2 shown]
	v_lshlrev_b32_e32 v3, 2, v3
	ds_bpermute_b32 v3, v3, v2
	v_cmp_lt_i32_e64 s[12:13], 0, v8
	s_and_saveexec_b64 s[18:19], s[12:13]
	s_cbranch_execz .LBB587_26
; %bb.17:
	v_mov_b32_e32 v4, s17
	v_add_co_u32_e64 v0, s[12:13], s16, v0
	v_addc_co_u32_e64 v1, s[12:13], v4, v1, s[12:13]
	s_waitcnt lgkmcnt(0)
	v_add_f32_e32 v2, v2, v3
	s_and_saveexec_b64 s[12:13], vcc
	s_cbranch_execnz .LBB587_27
; %bb.18:
	s_or_b64 exec, exec, s[12:13]
	s_and_saveexec_b64 s[12:13], s[0:1]
	s_cbranch_execnz .LBB587_28
.LBB587_19:
	s_or_b64 exec, exec, s[12:13]
	s_and_saveexec_b64 s[0:1], s[2:3]
	s_cbranch_execnz .LBB587_29
.LBB587_20:
	s_or_b64 exec, exec, s[0:1]
	s_and_saveexec_b64 s[0:1], s[4:5]
	s_cbranch_execnz .LBB587_30
.LBB587_21:
	s_or_b64 exec, exec, s[0:1]
	s_and_saveexec_b64 s[0:1], s[6:7]
	s_cbranch_execnz .LBB587_31
.LBB587_22:
	s_or_b64 exec, exec, s[0:1]
	s_and_saveexec_b64 s[0:1], s[8:9]
	s_cbranch_execnz .LBB587_32
.LBB587_23:
	s_or_b64 exec, exec, s[0:1]
	s_and_saveexec_b64 s[0:1], s[10:11]
	s_cbranch_execnz .LBB587_33
.LBB587_24:
	s_or_b64 exec, exec, s[0:1]
	s_and_b64 exec, exec, s[14:15]
	s_cbranch_execz .LBB587_26
.LBB587_25:
	v_fma_mixlo_f16 v2, -v2, v6, v20
	global_store_short v[0:1], v2, off offset:448
.LBB587_26:
	s_endpgm
.LBB587_27:
	v_fma_mixlo_f16 v3, -v2, v10, v9
	global_store_short v[0:1], v3, off
	s_or_b64 exec, exec, s[12:13]
	s_and_saveexec_b64 s[12:13], s[0:1]
	s_cbranch_execz .LBB587_19
.LBB587_28:
	v_fma_mixlo_f16 v3, -v2, v11, v7
	global_store_short v[0:1], v3, off offset:64
	s_or_b64 exec, exec, s[12:13]
	s_and_saveexec_b64 s[0:1], s[2:3]
	s_cbranch_execz .LBB587_20
.LBB587_29:
	v_fma_mixlo_f16 v3, -v2, v14, v13
	global_store_short v[0:1], v3, off offset:128
	s_or_b64 exec, exec, s[0:1]
	s_and_saveexec_b64 s[0:1], s[4:5]
	s_cbranch_execz .LBB587_21
.LBB587_30:
	v_fma_mixlo_f16 v3, -v2, v15, v12
	global_store_short v[0:1], v3, off offset:192
	s_or_b64 exec, exec, s[0:1]
	s_and_saveexec_b64 s[0:1], s[6:7]
	s_cbranch_execz .LBB587_22
.LBB587_31:
	v_fma_mixlo_f16 v3, -v2, v18, v17
	global_store_short v[0:1], v3, off offset:256
	s_or_b64 exec, exec, s[0:1]
	s_and_saveexec_b64 s[0:1], s[8:9]
	s_cbranch_execz .LBB587_23
.LBB587_32:
	v_fma_mixlo_f16 v3, -v2, v19, v16
	global_store_short v[0:1], v3, off offset:320
	s_or_b64 exec, exec, s[0:1]
	s_and_saveexec_b64 s[0:1], s[10:11]
	s_cbranch_execz .LBB587_24
.LBB587_33:
	v_fma_mixlo_f16 v3, -v2, v22, v21
	global_store_short v[0:1], v3, off offset:384
	s_or_b64 exec, exec, s[0:1]
	s_and_b64 exec, exec, s[14:15]
	s_cbranch_execnz .LBB587_25
	s_branch .LBB587_26
	.section	.rodata,"a",@progbits
	.p2align	6, 0x0
	.amdhsa_kernel _ZN12_GLOBAL__N_121softmax_warp_backwardIN3c104HalfES2_fLi8ELb0ELb0ELi32EEEvPT0_PKT_S7_iiiPKb
		.amdhsa_group_segment_fixed_size 0
		.amdhsa_private_segment_fixed_size 0
		.amdhsa_kernarg_size 304
		.amdhsa_user_sgpr_count 6
		.amdhsa_user_sgpr_private_segment_buffer 1
		.amdhsa_user_sgpr_dispatch_ptr 0
		.amdhsa_user_sgpr_queue_ptr 0
		.amdhsa_user_sgpr_kernarg_segment_ptr 1
		.amdhsa_user_sgpr_dispatch_id 0
		.amdhsa_user_sgpr_flat_scratch_init 0
		.amdhsa_user_sgpr_kernarg_preload_length 0
		.amdhsa_user_sgpr_kernarg_preload_offset 0
		.amdhsa_user_sgpr_private_segment_size 0
		.amdhsa_uses_dynamic_stack 0
		.amdhsa_system_sgpr_private_segment_wavefront_offset 0
		.amdhsa_system_sgpr_workgroup_id_x 1
		.amdhsa_system_sgpr_workgroup_id_y 0
		.amdhsa_system_sgpr_workgroup_id_z 0
		.amdhsa_system_sgpr_workgroup_info 0
		.amdhsa_system_vgpr_workitem_id 1
		.amdhsa_next_free_vgpr 24
		.amdhsa_next_free_sgpr 22
		.amdhsa_accum_offset 24
		.amdhsa_reserve_vcc 1
		.amdhsa_reserve_flat_scratch 0
		.amdhsa_float_round_mode_32 0
		.amdhsa_float_round_mode_16_64 0
		.amdhsa_float_denorm_mode_32 3
		.amdhsa_float_denorm_mode_16_64 3
		.amdhsa_dx10_clamp 1
		.amdhsa_ieee_mode 1
		.amdhsa_fp16_overflow 0
		.amdhsa_tg_split 0
		.amdhsa_exception_fp_ieee_invalid_op 0
		.amdhsa_exception_fp_denorm_src 0
		.amdhsa_exception_fp_ieee_div_zero 0
		.amdhsa_exception_fp_ieee_overflow 0
		.amdhsa_exception_fp_ieee_underflow 0
		.amdhsa_exception_fp_ieee_inexact 0
		.amdhsa_exception_int_div_zero 0
	.end_amdhsa_kernel
	.section	.text._ZN12_GLOBAL__N_121softmax_warp_backwardIN3c104HalfES2_fLi8ELb0ELb0ELi32EEEvPT0_PKT_S7_iiiPKb,"axG",@progbits,_ZN12_GLOBAL__N_121softmax_warp_backwardIN3c104HalfES2_fLi8ELb0ELb0ELi32EEEvPT0_PKT_S7_iiiPKb,comdat
.Lfunc_end587:
	.size	_ZN12_GLOBAL__N_121softmax_warp_backwardIN3c104HalfES2_fLi8ELb0ELb0ELi32EEEvPT0_PKT_S7_iiiPKb, .Lfunc_end587-_ZN12_GLOBAL__N_121softmax_warp_backwardIN3c104HalfES2_fLi8ELb0ELb0ELi32EEEvPT0_PKT_S7_iiiPKb
                                        ; -- End function
	.section	.AMDGPU.csdata,"",@progbits
; Kernel info:
; codeLenInByte = 1280
; NumSgprs: 26
; NumVgprs: 24
; NumAgprs: 0
; TotalNumVgprs: 24
; ScratchSize: 0
; MemoryBound: 0
; FloatMode: 240
; IeeeMode: 1
; LDSByteSize: 0 bytes/workgroup (compile time only)
; SGPRBlocks: 3
; VGPRBlocks: 2
; NumSGPRsForWavesPerEU: 26
; NumVGPRsForWavesPerEU: 24
; AccumOffset: 24
; Occupancy: 8
; WaveLimiterHint : 0
; COMPUTE_PGM_RSRC2:SCRATCH_EN: 0
; COMPUTE_PGM_RSRC2:USER_SGPR: 6
; COMPUTE_PGM_RSRC2:TRAP_HANDLER: 0
; COMPUTE_PGM_RSRC2:TGID_X_EN: 1
; COMPUTE_PGM_RSRC2:TGID_Y_EN: 0
; COMPUTE_PGM_RSRC2:TGID_Z_EN: 0
; COMPUTE_PGM_RSRC2:TIDIG_COMP_CNT: 1
; COMPUTE_PGM_RSRC3_GFX90A:ACCUM_OFFSET: 5
; COMPUTE_PGM_RSRC3_GFX90A:TG_SPLIT: 0
	.section	.text._ZN12_GLOBAL__N_121softmax_warp_backwardIN3c104HalfES2_fLi9ELb0ELb0ELi64EEEvPT0_PKT_S7_iiiPKb,"axG",@progbits,_ZN12_GLOBAL__N_121softmax_warp_backwardIN3c104HalfES2_fLi9ELb0ELb0ELi64EEEvPT0_PKT_S7_iiiPKb,comdat
	.globl	_ZN12_GLOBAL__N_121softmax_warp_backwardIN3c104HalfES2_fLi9ELb0ELb0ELi64EEEvPT0_PKT_S7_iiiPKb ; -- Begin function _ZN12_GLOBAL__N_121softmax_warp_backwardIN3c104HalfES2_fLi9ELb0ELb0ELi64EEEvPT0_PKT_S7_iiiPKb
	.p2align	8
	.type	_ZN12_GLOBAL__N_121softmax_warp_backwardIN3c104HalfES2_fLi9ELb0ELb0ELi64EEEvPT0_PKT_S7_iiiPKb,@function
_ZN12_GLOBAL__N_121softmax_warp_backwardIN3c104HalfES2_fLi9ELb0ELb0ELi64EEEvPT0_PKT_S7_iiiPKb: ; @_ZN12_GLOBAL__N_121softmax_warp_backwardIN3c104HalfES2_fLi9ELb0ELb0ELi64EEEvPT0_PKT_S7_iiiPKb
; %bb.0:
	s_load_dword s2, s[4:5], 0x3c
	s_load_dwordx4 s[12:15], s[4:5], 0x18
	s_load_dwordx4 s[16:19], s[4:5], 0x0
	s_load_dwordx2 s[0:1], s[4:5], 0x10
	v_bfe_u32 v1, v0, 10, 10
	s_waitcnt lgkmcnt(0)
	s_lshr_b32 s2, s2, 16
	s_mul_i32 s6, s6, s2
	v_add_u32_e32 v1, s6, v1
	v_and_b32_e32 v6, 63, v0
	v_sub_u32_e32 v8, s12, v1
	v_mad_u64_u32 v[0:1], s[2:3], v1, s13, v[6:7]
	v_ashrrev_i32_e32 v1, 31, v0
	v_lshlrev_b64 v[0:1], 1, v[0:1]
	v_mov_b32_e32 v3, s19
	v_add_co_u32_e32 v2, vcc, s18, v0
	v_addc_co_u32_e32 v3, vcc, v3, v1, vcc
	v_mov_b32_e32 v5, s1
	v_add_co_u32_e32 v4, vcc, s0, v0
	v_addc_co_u32_e32 v5, vcc, v5, v1, vcc
	v_cmp_lt_i32_e64 s[12:13], 0, v8
	v_cmp_gt_i32_e32 vcc, s14, v6
	s_and_b64 s[2:3], s[12:13], vcc
	v_mov_b32_e32 v7, 0
	v_mov_b32_e32 v9, 0
	;; [unrolled: 1-line block ×3, first 2 shown]
	s_and_saveexec_b64 s[0:1], s[2:3]
	s_cbranch_execz .LBB588_2
; %bb.1:
	global_load_ushort v9, v[2:3], off
	global_load_ushort v10, v[4:5], off
	s_waitcnt vmcnt(1)
	v_cvt_f32_f16_e32 v9, v9
	s_waitcnt vmcnt(0)
	v_cvt_f32_f16_e32 v10, v10
.LBB588_2:
	s_or_b64 exec, exec, s[0:1]
	v_or_b32_e32 v11, 64, v6
	v_cmp_gt_i32_e64 s[0:1], s14, v11
	s_and_b64 s[4:5], s[12:13], s[0:1]
	v_mov_b32_e32 v11, 0
	s_and_saveexec_b64 s[2:3], s[4:5]
	s_cbranch_execz .LBB588_4
; %bb.3:
	global_load_ushort v7, v[2:3], off offset:128
	global_load_ushort v11, v[4:5], off offset:128
	s_waitcnt vmcnt(1)
	v_cvt_f32_f16_e32 v7, v7
	s_waitcnt vmcnt(0)
	v_cvt_f32_f16_e32 v11, v11
.LBB588_4:
	s_or_b64 exec, exec, s[2:3]
	v_or_b32_e32 v12, 0x80, v6
	v_cmp_gt_i32_e64 s[2:3], s14, v12
	s_and_b64 s[6:7], s[12:13], s[2:3]
	v_mov_b32_e32 v12, 0
	v_mov_b32_e32 v13, 0
	v_mov_b32_e32 v14, 0
	s_and_saveexec_b64 s[4:5], s[6:7]
	s_cbranch_execz .LBB588_6
; %bb.5:
	global_load_ushort v13, v[2:3], off offset:256
	global_load_ushort v14, v[4:5], off offset:256
	s_waitcnt vmcnt(1)
	v_cvt_f32_f16_e32 v13, v13
	s_waitcnt vmcnt(0)
	v_cvt_f32_f16_e32 v14, v14
.LBB588_6:
	s_or_b64 exec, exec, s[4:5]
	v_or_b32_e32 v15, 0xc0, v6
	v_cmp_gt_i32_e64 s[4:5], s14, v15
	s_and_b64 s[8:9], s[12:13], s[4:5]
	v_mov_b32_e32 v15, 0
	s_and_saveexec_b64 s[6:7], s[8:9]
	s_cbranch_execz .LBB588_8
; %bb.7:
	global_load_ushort v12, v[2:3], off offset:384
	global_load_ushort v15, v[4:5], off offset:384
	s_waitcnt vmcnt(1)
	v_cvt_f32_f16_e32 v12, v12
	s_waitcnt vmcnt(0)
	v_cvt_f32_f16_e32 v15, v15
.LBB588_8:
	s_or_b64 exec, exec, s[6:7]
	v_or_b32_e32 v16, 0x100, v6
	v_cmp_gt_i32_e64 s[6:7], s14, v16
	s_and_b64 s[10:11], s[12:13], s[6:7]
	v_mov_b32_e32 v16, 0
	v_mov_b32_e32 v17, 0
	v_mov_b32_e32 v18, 0
	s_and_saveexec_b64 s[8:9], s[10:11]
	s_cbranch_execz .LBB588_10
; %bb.9:
	global_load_ushort v17, v[2:3], off offset:512
	global_load_ushort v18, v[4:5], off offset:512
	s_waitcnt vmcnt(1)
	v_cvt_f32_f16_e32 v17, v17
	s_waitcnt vmcnt(0)
	v_cvt_f32_f16_e32 v18, v18
.LBB588_10:
	;; [unrolled: 32-line block ×3, first 2 shown]
	s_or_b64 exec, exec, s[18:19]
	v_or_b32_e32 v6, 0x1c0, v6
	v_cmp_gt_i32_e64 s[14:15], s14, v6
	s_and_b64 s[18:19], s[12:13], s[14:15]
	v_mov_b32_e32 v6, 0
	s_and_saveexec_b64 s[12:13], s[18:19]
	s_cbranch_execz .LBB588_16
; %bb.15:
	global_load_ushort v6, v[2:3], off offset:896
	global_load_ushort v23, v[4:5], off offset:896
	s_waitcnt vmcnt(1)
	v_cvt_f32_f16_e32 v20, v6
	s_waitcnt vmcnt(0)
	v_cvt_f32_f16_e32 v6, v23
.LBB588_16:
	s_or_b64 exec, exec, s[12:13]
	v_add_f32_e32 v2, 0, v9
	v_add_f32_e32 v2, v2, v7
	v_mbcnt_lo_u32_b32 v3, -1, 0
	v_add_f32_e32 v2, v2, v13
	v_mbcnt_hi_u32_b32 v3, -1, v3
	v_add_f32_e32 v2, v2, v12
	v_and_b32_e32 v4, 64, v3
	v_add_f32_e32 v2, v2, v17
	v_add_u32_e32 v4, 64, v4
	v_xor_b32_e32 v5, 32, v3
	v_add_f32_e32 v2, v2, v16
	v_cmp_lt_i32_e64 s[12:13], v5, v4
	v_add_f32_e32 v2, v2, v21
	v_cndmask_b32_e64 v5, v3, v5, s[12:13]
	v_add_f32_e32 v2, v2, v20
	v_lshlrev_b32_e32 v5, 2, v5
	ds_bpermute_b32 v5, v5, v2
	s_waitcnt lgkmcnt(0)
	v_add_f32_e32 v2, v2, v5
	v_xor_b32_e32 v5, 16, v3
	v_cmp_lt_i32_e64 s[12:13], v5, v4
	v_cndmask_b32_e64 v5, v3, v5, s[12:13]
	v_lshlrev_b32_e32 v5, 2, v5
	ds_bpermute_b32 v5, v5, v2
	s_waitcnt lgkmcnt(0)
	v_add_f32_e32 v2, v2, v5
	v_xor_b32_e32 v5, 8, v3
	v_cmp_lt_i32_e64 s[12:13], v5, v4
	v_cndmask_b32_e64 v5, v3, v5, s[12:13]
	;; [unrolled: 7-line block ×5, first 2 shown]
	v_lshlrev_b32_e32 v3, 2, v3
	ds_bpermute_b32 v3, v3, v2
	v_cmp_lt_i32_e64 s[12:13], 0, v8
	s_and_saveexec_b64 s[18:19], s[12:13]
	s_cbranch_execz .LBB588_26
; %bb.17:
	v_mov_b32_e32 v4, s17
	v_add_co_u32_e64 v0, s[12:13], s16, v0
	v_addc_co_u32_e64 v1, s[12:13], v4, v1, s[12:13]
	s_waitcnt lgkmcnt(0)
	v_add_f32_e32 v2, v2, v3
	s_and_saveexec_b64 s[12:13], vcc
	s_cbranch_execnz .LBB588_27
; %bb.18:
	s_or_b64 exec, exec, s[12:13]
	s_and_saveexec_b64 s[12:13], s[0:1]
	s_cbranch_execnz .LBB588_28
.LBB588_19:
	s_or_b64 exec, exec, s[12:13]
	s_and_saveexec_b64 s[0:1], s[2:3]
	s_cbranch_execnz .LBB588_29
.LBB588_20:
	s_or_b64 exec, exec, s[0:1]
	s_and_saveexec_b64 s[0:1], s[4:5]
	s_cbranch_execnz .LBB588_30
.LBB588_21:
	s_or_b64 exec, exec, s[0:1]
	s_and_saveexec_b64 s[0:1], s[6:7]
	s_cbranch_execnz .LBB588_31
.LBB588_22:
	s_or_b64 exec, exec, s[0:1]
	s_and_saveexec_b64 s[0:1], s[8:9]
	s_cbranch_execnz .LBB588_32
.LBB588_23:
	s_or_b64 exec, exec, s[0:1]
	s_and_saveexec_b64 s[0:1], s[10:11]
	s_cbranch_execnz .LBB588_33
.LBB588_24:
	s_or_b64 exec, exec, s[0:1]
	s_and_b64 exec, exec, s[14:15]
	s_cbranch_execz .LBB588_26
.LBB588_25:
	v_fma_mixlo_f16 v2, -v2, v6, v20
	global_store_short v[0:1], v2, off offset:896
.LBB588_26:
	s_endpgm
.LBB588_27:
	v_fma_mixlo_f16 v3, -v2, v10, v9
	global_store_short v[0:1], v3, off
	s_or_b64 exec, exec, s[12:13]
	s_and_saveexec_b64 s[12:13], s[0:1]
	s_cbranch_execz .LBB588_19
.LBB588_28:
	v_fma_mixlo_f16 v3, -v2, v11, v7
	global_store_short v[0:1], v3, off offset:128
	s_or_b64 exec, exec, s[12:13]
	s_and_saveexec_b64 s[0:1], s[2:3]
	s_cbranch_execz .LBB588_20
.LBB588_29:
	v_fma_mixlo_f16 v3, -v2, v14, v13
	global_store_short v[0:1], v3, off offset:256
	s_or_b64 exec, exec, s[0:1]
	s_and_saveexec_b64 s[0:1], s[4:5]
	s_cbranch_execz .LBB588_21
.LBB588_30:
	v_fma_mixlo_f16 v3, -v2, v15, v12
	global_store_short v[0:1], v3, off offset:384
	s_or_b64 exec, exec, s[0:1]
	s_and_saveexec_b64 s[0:1], s[6:7]
	s_cbranch_execz .LBB588_22
.LBB588_31:
	v_fma_mixlo_f16 v3, -v2, v18, v17
	global_store_short v[0:1], v3, off offset:512
	s_or_b64 exec, exec, s[0:1]
	s_and_saveexec_b64 s[0:1], s[8:9]
	s_cbranch_execz .LBB588_23
.LBB588_32:
	v_fma_mixlo_f16 v3, -v2, v19, v16
	global_store_short v[0:1], v3, off offset:640
	s_or_b64 exec, exec, s[0:1]
	s_and_saveexec_b64 s[0:1], s[10:11]
	s_cbranch_execz .LBB588_24
.LBB588_33:
	v_fma_mixlo_f16 v3, -v2, v22, v21
	global_store_short v[0:1], v3, off offset:768
	s_or_b64 exec, exec, s[0:1]
	s_and_b64 exec, exec, s[14:15]
	s_cbranch_execnz .LBB588_25
	s_branch .LBB588_26
	.section	.rodata,"a",@progbits
	.p2align	6, 0x0
	.amdhsa_kernel _ZN12_GLOBAL__N_121softmax_warp_backwardIN3c104HalfES2_fLi9ELb0ELb0ELi64EEEvPT0_PKT_S7_iiiPKb
		.amdhsa_group_segment_fixed_size 0
		.amdhsa_private_segment_fixed_size 0
		.amdhsa_kernarg_size 304
		.amdhsa_user_sgpr_count 6
		.amdhsa_user_sgpr_private_segment_buffer 1
		.amdhsa_user_sgpr_dispatch_ptr 0
		.amdhsa_user_sgpr_queue_ptr 0
		.amdhsa_user_sgpr_kernarg_segment_ptr 1
		.amdhsa_user_sgpr_dispatch_id 0
		.amdhsa_user_sgpr_flat_scratch_init 0
		.amdhsa_user_sgpr_kernarg_preload_length 0
		.amdhsa_user_sgpr_kernarg_preload_offset 0
		.amdhsa_user_sgpr_private_segment_size 0
		.amdhsa_uses_dynamic_stack 0
		.amdhsa_system_sgpr_private_segment_wavefront_offset 0
		.amdhsa_system_sgpr_workgroup_id_x 1
		.amdhsa_system_sgpr_workgroup_id_y 0
		.amdhsa_system_sgpr_workgroup_id_z 0
		.amdhsa_system_sgpr_workgroup_info 0
		.amdhsa_system_vgpr_workitem_id 1
		.amdhsa_next_free_vgpr 24
		.amdhsa_next_free_sgpr 22
		.amdhsa_accum_offset 24
		.amdhsa_reserve_vcc 1
		.amdhsa_reserve_flat_scratch 0
		.amdhsa_float_round_mode_32 0
		.amdhsa_float_round_mode_16_64 0
		.amdhsa_float_denorm_mode_32 3
		.amdhsa_float_denorm_mode_16_64 3
		.amdhsa_dx10_clamp 1
		.amdhsa_ieee_mode 1
		.amdhsa_fp16_overflow 0
		.amdhsa_tg_split 0
		.amdhsa_exception_fp_ieee_invalid_op 0
		.amdhsa_exception_fp_denorm_src 0
		.amdhsa_exception_fp_ieee_div_zero 0
		.amdhsa_exception_fp_ieee_overflow 0
		.amdhsa_exception_fp_ieee_underflow 0
		.amdhsa_exception_fp_ieee_inexact 0
		.amdhsa_exception_int_div_zero 0
	.end_amdhsa_kernel
	.section	.text._ZN12_GLOBAL__N_121softmax_warp_backwardIN3c104HalfES2_fLi9ELb0ELb0ELi64EEEvPT0_PKT_S7_iiiPKb,"axG",@progbits,_ZN12_GLOBAL__N_121softmax_warp_backwardIN3c104HalfES2_fLi9ELb0ELb0ELi64EEEvPT0_PKT_S7_iiiPKb,comdat
.Lfunc_end588:
	.size	_ZN12_GLOBAL__N_121softmax_warp_backwardIN3c104HalfES2_fLi9ELb0ELb0ELi64EEEvPT0_PKT_S7_iiiPKb, .Lfunc_end588-_ZN12_GLOBAL__N_121softmax_warp_backwardIN3c104HalfES2_fLi9ELb0ELb0ELi64EEEvPT0_PKT_S7_iiiPKb
                                        ; -- End function
	.section	.AMDGPU.csdata,"",@progbits
; Kernel info:
; codeLenInByte = 1320
; NumSgprs: 26
; NumVgprs: 24
; NumAgprs: 0
; TotalNumVgprs: 24
; ScratchSize: 0
; MemoryBound: 0
; FloatMode: 240
; IeeeMode: 1
; LDSByteSize: 0 bytes/workgroup (compile time only)
; SGPRBlocks: 3
; VGPRBlocks: 2
; NumSGPRsForWavesPerEU: 26
; NumVGPRsForWavesPerEU: 24
; AccumOffset: 24
; Occupancy: 8
; WaveLimiterHint : 0
; COMPUTE_PGM_RSRC2:SCRATCH_EN: 0
; COMPUTE_PGM_RSRC2:USER_SGPR: 6
; COMPUTE_PGM_RSRC2:TRAP_HANDLER: 0
; COMPUTE_PGM_RSRC2:TGID_X_EN: 1
; COMPUTE_PGM_RSRC2:TGID_Y_EN: 0
; COMPUTE_PGM_RSRC2:TGID_Z_EN: 0
; COMPUTE_PGM_RSRC2:TIDIG_COMP_CNT: 1
; COMPUTE_PGM_RSRC3_GFX90A:ACCUM_OFFSET: 5
; COMPUTE_PGM_RSRC3_GFX90A:TG_SPLIT: 0
	.section	.text._ZN12_GLOBAL__N_121softmax_warp_backwardIN3c104HalfES2_fLi9ELb0ELb0ELi32EEEvPT0_PKT_S7_iiiPKb,"axG",@progbits,_ZN12_GLOBAL__N_121softmax_warp_backwardIN3c104HalfES2_fLi9ELb0ELb0ELi32EEEvPT0_PKT_S7_iiiPKb,comdat
	.globl	_ZN12_GLOBAL__N_121softmax_warp_backwardIN3c104HalfES2_fLi9ELb0ELb0ELi32EEEvPT0_PKT_S7_iiiPKb ; -- Begin function _ZN12_GLOBAL__N_121softmax_warp_backwardIN3c104HalfES2_fLi9ELb0ELb0ELi32EEEvPT0_PKT_S7_iiiPKb
	.p2align	8
	.type	_ZN12_GLOBAL__N_121softmax_warp_backwardIN3c104HalfES2_fLi9ELb0ELb0ELi32EEEvPT0_PKT_S7_iiiPKb,@function
_ZN12_GLOBAL__N_121softmax_warp_backwardIN3c104HalfES2_fLi9ELb0ELb0ELi32EEEvPT0_PKT_S7_iiiPKb: ; @_ZN12_GLOBAL__N_121softmax_warp_backwardIN3c104HalfES2_fLi9ELb0ELb0ELi32EEEvPT0_PKT_S7_iiiPKb
; %bb.0:
	s_load_dword s2, s[4:5], 0x3c
	s_load_dwordx4 s[28:31], s[4:5], 0x18
	s_load_dwordx4 s[36:39], s[4:5], 0x0
	s_load_dwordx2 s[0:1], s[4:5], 0x10
	v_bfe_u32 v1, v0, 10, 10
	s_waitcnt lgkmcnt(0)
	s_lshr_b32 s2, s2, 16
	s_mul_i32 s6, s6, s2
	v_add_u32_e32 v1, s6, v1
	v_and_b32_e32 v6, 31, v0
	v_sub_u32_e32 v8, s28, v1
	v_mad_u64_u32 v[0:1], s[2:3], v1, s29, v[6:7]
	v_ashrrev_i32_e32 v1, 31, v0
	v_lshlrev_b64 v[0:1], 1, v[0:1]
	v_mov_b32_e32 v3, s39
	v_add_co_u32_e32 v2, vcc, s38, v0
	v_addc_co_u32_e32 v3, vcc, v3, v1, vcc
	v_mov_b32_e32 v5, s1
	v_add_co_u32_e32 v4, vcc, s0, v0
	v_addc_co_u32_e32 v5, vcc, v5, v1, vcc
	v_cmp_lt_i32_e64 s[12:13], 0, v8
	v_cmp_gt_i32_e32 vcc, s30, v6
	s_and_b64 s[2:3], s[12:13], vcc
	v_mov_b32_e32 v7, 0
	v_mov_b32_e32 v9, 0
	;; [unrolled: 1-line block ×3, first 2 shown]
	s_and_saveexec_b64 s[0:1], s[2:3]
	s_cbranch_execz .LBB589_2
; %bb.1:
	global_load_ushort v9, v[2:3], off
	global_load_ushort v10, v[4:5], off
	s_waitcnt vmcnt(1)
	v_cvt_f32_f16_e32 v9, v9
	s_waitcnt vmcnt(0)
	v_cvt_f32_f16_e32 v10, v10
.LBB589_2:
	s_or_b64 exec, exec, s[0:1]
	v_or_b32_e32 v11, 32, v6
	v_cmp_gt_i32_e64 s[0:1], s30, v11
	s_and_b64 s[4:5], s[12:13], s[0:1]
	v_mov_b32_e32 v11, 0
	s_and_saveexec_b64 s[2:3], s[4:5]
	s_cbranch_execz .LBB589_4
; %bb.3:
	global_load_ushort v7, v[2:3], off offset:64
	global_load_ushort v11, v[4:5], off offset:64
	s_waitcnt vmcnt(1)
	v_cvt_f32_f16_e32 v7, v7
	s_waitcnt vmcnt(0)
	v_cvt_f32_f16_e32 v11, v11
.LBB589_4:
	s_or_b64 exec, exec, s[2:3]
	v_or_b32_e32 v12, 64, v6
	v_cmp_gt_i32_e64 s[2:3], s30, v12
	s_and_b64 s[6:7], s[12:13], s[2:3]
	v_mov_b32_e32 v12, 0
	v_mov_b32_e32 v13, 0
	v_mov_b32_e32 v14, 0
	s_and_saveexec_b64 s[4:5], s[6:7]
	s_cbranch_execz .LBB589_6
; %bb.5:
	global_load_ushort v13, v[2:3], off offset:128
	global_load_ushort v14, v[4:5], off offset:128
	s_waitcnt vmcnt(1)
	v_cvt_f32_f16_e32 v13, v13
	s_waitcnt vmcnt(0)
	v_cvt_f32_f16_e32 v14, v14
.LBB589_6:
	s_or_b64 exec, exec, s[4:5]
	v_or_b32_e32 v15, 0x60, v6
	v_cmp_gt_i32_e64 s[4:5], s30, v15
	s_and_b64 s[8:9], s[12:13], s[4:5]
	v_mov_b32_e32 v15, 0
	s_and_saveexec_b64 s[6:7], s[8:9]
	s_cbranch_execz .LBB589_8
; %bb.7:
	global_load_ushort v12, v[2:3], off offset:192
	global_load_ushort v15, v[4:5], off offset:192
	s_waitcnt vmcnt(1)
	v_cvt_f32_f16_e32 v12, v12
	s_waitcnt vmcnt(0)
	v_cvt_f32_f16_e32 v15, v15
.LBB589_8:
	s_or_b64 exec, exec, s[6:7]
	v_or_b32_e32 v16, 0x80, v6
	v_cmp_gt_i32_e64 s[6:7], s30, v16
	s_and_b64 s[10:11], s[12:13], s[6:7]
	v_mov_b32_e32 v16, 0
	v_mov_b32_e32 v17, 0
	v_mov_b32_e32 v18, 0
	s_and_saveexec_b64 s[8:9], s[10:11]
	s_cbranch_execz .LBB589_10
; %bb.9:
	global_load_ushort v17, v[2:3], off offset:256
	global_load_ushort v18, v[4:5], off offset:256
	s_waitcnt vmcnt(1)
	v_cvt_f32_f16_e32 v17, v17
	s_waitcnt vmcnt(0)
	v_cvt_f32_f16_e32 v18, v18
.LBB589_10:
	;; [unrolled: 32-line block ×7, first 2 shown]
	s_or_b64 exec, exec, s[34:35]
	v_or_b32_e32 v6, 0x1e0, v6
	v_cmp_gt_i32_e64 s[30:31], s30, v6
	s_and_b64 s[34:35], s[12:13], s[30:31]
	v_mov_b32_e32 v6, 0
	s_and_saveexec_b64 s[12:13], s[34:35]
	s_cbranch_execz .LBB589_32
; %bb.31:
	global_load_ushort v6, v[2:3], off offset:960
	global_load_ushort v39, v[4:5], off offset:960
	s_waitcnt vmcnt(1)
	v_cvt_f32_f16_e32 v36, v6
	s_waitcnt vmcnt(0)
	v_cvt_f32_f16_e32 v6, v39
.LBB589_32:
	s_or_b64 exec, exec, s[12:13]
	v_add_f32_e32 v2, 0, v9
	v_add_f32_e32 v2, v2, v7
	;; [unrolled: 1-line block ×10, first 2 shown]
	v_mbcnt_lo_u32_b32 v3, -1, 0
	v_add_f32_e32 v2, v2, v29
	v_mbcnt_hi_u32_b32 v3, -1, v3
	v_add_f32_e32 v2, v2, v28
	v_and_b32_e32 v4, 0x60, v3
	v_add_f32_e32 v2, v2, v33
	v_add_u32_e32 v4, 32, v4
	v_xor_b32_e32 v5, 16, v3
	v_add_f32_e32 v2, v2, v32
	v_cmp_lt_i32_e64 s[12:13], v5, v4
	v_add_f32_e32 v2, v2, v37
	v_cndmask_b32_e64 v5, v3, v5, s[12:13]
	v_add_f32_e32 v2, v2, v36
	v_lshlrev_b32_e32 v5, 2, v5
	ds_bpermute_b32 v5, v5, v2
	s_waitcnt lgkmcnt(0)
	v_add_f32_e32 v2, v2, v5
	v_xor_b32_e32 v5, 8, v3
	v_cmp_lt_i32_e64 s[12:13], v5, v4
	v_cndmask_b32_e64 v5, v3, v5, s[12:13]
	v_lshlrev_b32_e32 v5, 2, v5
	ds_bpermute_b32 v5, v5, v2
	s_waitcnt lgkmcnt(0)
	v_add_f32_e32 v2, v2, v5
	v_xor_b32_e32 v5, 4, v3
	v_cmp_lt_i32_e64 s[12:13], v5, v4
	v_cndmask_b32_e64 v5, v3, v5, s[12:13]
	;; [unrolled: 7-line block ×4, first 2 shown]
	v_lshlrev_b32_e32 v3, 2, v3
	ds_bpermute_b32 v3, v3, v2
	v_cmp_lt_i32_e64 s[12:13], 0, v8
	s_and_saveexec_b64 s[34:35], s[12:13]
	s_cbranch_execz .LBB589_50
; %bb.33:
	v_mov_b32_e32 v4, s37
	v_add_co_u32_e64 v0, s[12:13], s36, v0
	v_addc_co_u32_e64 v1, s[12:13], v4, v1, s[12:13]
	s_waitcnt lgkmcnt(0)
	v_add_f32_e32 v2, v2, v3
	s_and_saveexec_b64 s[12:13], vcc
	s_cbranch_execnz .LBB589_51
; %bb.34:
	s_or_b64 exec, exec, s[12:13]
	s_and_saveexec_b64 s[12:13], s[0:1]
	s_cbranch_execnz .LBB589_52
.LBB589_35:
	s_or_b64 exec, exec, s[12:13]
	s_and_saveexec_b64 s[0:1], s[2:3]
	s_cbranch_execnz .LBB589_53
.LBB589_36:
	s_or_b64 exec, exec, s[0:1]
	s_and_saveexec_b64 s[0:1], s[4:5]
	s_cbranch_execnz .LBB589_54
.LBB589_37:
	s_or_b64 exec, exec, s[0:1]
	s_and_saveexec_b64 s[0:1], s[6:7]
	s_cbranch_execnz .LBB589_55
.LBB589_38:
	s_or_b64 exec, exec, s[0:1]
	s_and_saveexec_b64 s[0:1], s[8:9]
	s_cbranch_execnz .LBB589_56
.LBB589_39:
	s_or_b64 exec, exec, s[0:1]
	s_and_saveexec_b64 s[0:1], s[10:11]
	s_cbranch_execnz .LBB589_57
.LBB589_40:
	s_or_b64 exec, exec, s[0:1]
	s_and_saveexec_b64 s[0:1], s[14:15]
	s_cbranch_execnz .LBB589_58
.LBB589_41:
	s_or_b64 exec, exec, s[0:1]
	s_and_saveexec_b64 s[0:1], s[16:17]
	s_cbranch_execnz .LBB589_59
.LBB589_42:
	s_or_b64 exec, exec, s[0:1]
	s_and_saveexec_b64 s[0:1], s[18:19]
	s_cbranch_execnz .LBB589_60
.LBB589_43:
	s_or_b64 exec, exec, s[0:1]
	s_and_saveexec_b64 s[0:1], s[20:21]
	s_cbranch_execnz .LBB589_61
.LBB589_44:
	s_or_b64 exec, exec, s[0:1]
	s_and_saveexec_b64 s[0:1], s[22:23]
	s_cbranch_execnz .LBB589_62
.LBB589_45:
	s_or_b64 exec, exec, s[0:1]
	s_and_saveexec_b64 s[0:1], s[24:25]
	s_cbranch_execnz .LBB589_63
.LBB589_46:
	s_or_b64 exec, exec, s[0:1]
	s_and_saveexec_b64 s[0:1], s[26:27]
	s_cbranch_execnz .LBB589_64
.LBB589_47:
	s_or_b64 exec, exec, s[0:1]
	s_and_saveexec_b64 s[0:1], s[28:29]
	s_cbranch_execnz .LBB589_65
.LBB589_48:
	s_or_b64 exec, exec, s[0:1]
	s_and_b64 exec, exec, s[30:31]
	s_cbranch_execz .LBB589_50
.LBB589_49:
	v_fma_mixlo_f16 v2, -v2, v6, v36
	global_store_short v[0:1], v2, off offset:960
.LBB589_50:
	s_endpgm
.LBB589_51:
	v_fma_mixlo_f16 v3, -v2, v10, v9
	global_store_short v[0:1], v3, off
	s_or_b64 exec, exec, s[12:13]
	s_and_saveexec_b64 s[12:13], s[0:1]
	s_cbranch_execz .LBB589_35
.LBB589_52:
	v_fma_mixlo_f16 v3, -v2, v11, v7
	global_store_short v[0:1], v3, off offset:64
	s_or_b64 exec, exec, s[12:13]
	s_and_saveexec_b64 s[0:1], s[2:3]
	s_cbranch_execz .LBB589_36
.LBB589_53:
	v_fma_mixlo_f16 v3, -v2, v14, v13
	global_store_short v[0:1], v3, off offset:128
	s_or_b64 exec, exec, s[0:1]
	s_and_saveexec_b64 s[0:1], s[4:5]
	s_cbranch_execz .LBB589_37
.LBB589_54:
	v_fma_mixlo_f16 v3, -v2, v15, v12
	global_store_short v[0:1], v3, off offset:192
	s_or_b64 exec, exec, s[0:1]
	s_and_saveexec_b64 s[0:1], s[6:7]
	s_cbranch_execz .LBB589_38
.LBB589_55:
	v_fma_mixlo_f16 v3, -v2, v18, v17
	global_store_short v[0:1], v3, off offset:256
	s_or_b64 exec, exec, s[0:1]
	s_and_saveexec_b64 s[0:1], s[8:9]
	s_cbranch_execz .LBB589_39
.LBB589_56:
	v_fma_mixlo_f16 v3, -v2, v19, v16
	global_store_short v[0:1], v3, off offset:320
	s_or_b64 exec, exec, s[0:1]
	s_and_saveexec_b64 s[0:1], s[10:11]
	s_cbranch_execz .LBB589_40
.LBB589_57:
	v_fma_mixlo_f16 v3, -v2, v22, v21
	global_store_short v[0:1], v3, off offset:384
	s_or_b64 exec, exec, s[0:1]
	s_and_saveexec_b64 s[0:1], s[14:15]
	s_cbranch_execz .LBB589_41
.LBB589_58:
	v_fma_mixlo_f16 v3, -v2, v23, v20
	global_store_short v[0:1], v3, off offset:448
	s_or_b64 exec, exec, s[0:1]
	s_and_saveexec_b64 s[0:1], s[16:17]
	s_cbranch_execz .LBB589_42
.LBB589_59:
	v_fma_mixlo_f16 v3, -v2, v26, v25
	global_store_short v[0:1], v3, off offset:512
	s_or_b64 exec, exec, s[0:1]
	s_and_saveexec_b64 s[0:1], s[18:19]
	s_cbranch_execz .LBB589_43
.LBB589_60:
	v_fma_mixlo_f16 v3, -v2, v27, v24
	global_store_short v[0:1], v3, off offset:576
	s_or_b64 exec, exec, s[0:1]
	s_and_saveexec_b64 s[0:1], s[20:21]
	s_cbranch_execz .LBB589_44
.LBB589_61:
	v_fma_mixlo_f16 v3, -v2, v30, v29
	global_store_short v[0:1], v3, off offset:640
	s_or_b64 exec, exec, s[0:1]
	s_and_saveexec_b64 s[0:1], s[22:23]
	s_cbranch_execz .LBB589_45
.LBB589_62:
	v_fma_mixlo_f16 v3, -v2, v31, v28
	global_store_short v[0:1], v3, off offset:704
	s_or_b64 exec, exec, s[0:1]
	s_and_saveexec_b64 s[0:1], s[24:25]
	s_cbranch_execz .LBB589_46
.LBB589_63:
	v_fma_mixlo_f16 v3, -v2, v34, v33
	global_store_short v[0:1], v3, off offset:768
	s_or_b64 exec, exec, s[0:1]
	s_and_saveexec_b64 s[0:1], s[26:27]
	s_cbranch_execz .LBB589_47
.LBB589_64:
	v_fma_mixlo_f16 v3, -v2, v35, v32
	global_store_short v[0:1], v3, off offset:832
	s_or_b64 exec, exec, s[0:1]
	s_and_saveexec_b64 s[0:1], s[28:29]
	s_cbranch_execz .LBB589_48
.LBB589_65:
	v_fma_mixlo_f16 v3, -v2, v38, v37
	global_store_short v[0:1], v3, off offset:896
	s_or_b64 exec, exec, s[0:1]
	s_and_b64 exec, exec, s[30:31]
	s_cbranch_execnz .LBB589_49
	s_branch .LBB589_50
	.section	.rodata,"a",@progbits
	.p2align	6, 0x0
	.amdhsa_kernel _ZN12_GLOBAL__N_121softmax_warp_backwardIN3c104HalfES2_fLi9ELb0ELb0ELi32EEEvPT0_PKT_S7_iiiPKb
		.amdhsa_group_segment_fixed_size 0
		.amdhsa_private_segment_fixed_size 0
		.amdhsa_kernarg_size 304
		.amdhsa_user_sgpr_count 6
		.amdhsa_user_sgpr_private_segment_buffer 1
		.amdhsa_user_sgpr_dispatch_ptr 0
		.amdhsa_user_sgpr_queue_ptr 0
		.amdhsa_user_sgpr_kernarg_segment_ptr 1
		.amdhsa_user_sgpr_dispatch_id 0
		.amdhsa_user_sgpr_flat_scratch_init 0
		.amdhsa_user_sgpr_kernarg_preload_length 0
		.amdhsa_user_sgpr_kernarg_preload_offset 0
		.amdhsa_user_sgpr_private_segment_size 0
		.amdhsa_uses_dynamic_stack 0
		.amdhsa_system_sgpr_private_segment_wavefront_offset 0
		.amdhsa_system_sgpr_workgroup_id_x 1
		.amdhsa_system_sgpr_workgroup_id_y 0
		.amdhsa_system_sgpr_workgroup_id_z 0
		.amdhsa_system_sgpr_workgroup_info 0
		.amdhsa_system_vgpr_workitem_id 1
		.amdhsa_next_free_vgpr 40
		.amdhsa_next_free_sgpr 40
		.amdhsa_accum_offset 40
		.amdhsa_reserve_vcc 1
		.amdhsa_reserve_flat_scratch 0
		.amdhsa_float_round_mode_32 0
		.amdhsa_float_round_mode_16_64 0
		.amdhsa_float_denorm_mode_32 3
		.amdhsa_float_denorm_mode_16_64 3
		.amdhsa_dx10_clamp 1
		.amdhsa_ieee_mode 1
		.amdhsa_fp16_overflow 0
		.amdhsa_tg_split 0
		.amdhsa_exception_fp_ieee_invalid_op 0
		.amdhsa_exception_fp_denorm_src 0
		.amdhsa_exception_fp_ieee_div_zero 0
		.amdhsa_exception_fp_ieee_overflow 0
		.amdhsa_exception_fp_ieee_underflow 0
		.amdhsa_exception_fp_ieee_inexact 0
		.amdhsa_exception_int_div_zero 0
	.end_amdhsa_kernel
	.section	.text._ZN12_GLOBAL__N_121softmax_warp_backwardIN3c104HalfES2_fLi9ELb0ELb0ELi32EEEvPT0_PKT_S7_iiiPKb,"axG",@progbits,_ZN12_GLOBAL__N_121softmax_warp_backwardIN3c104HalfES2_fLi9ELb0ELb0ELi32EEEvPT0_PKT_S7_iiiPKb,comdat
.Lfunc_end589:
	.size	_ZN12_GLOBAL__N_121softmax_warp_backwardIN3c104HalfES2_fLi9ELb0ELb0ELi32EEEvPT0_PKT_S7_iiiPKb, .Lfunc_end589-_ZN12_GLOBAL__N_121softmax_warp_backwardIN3c104HalfES2_fLi9ELb0ELb0ELi32EEEvPT0_PKT_S7_iiiPKb
                                        ; -- End function
	.section	.AMDGPU.csdata,"",@progbits
; Kernel info:
; codeLenInByte = 2208
; NumSgprs: 44
; NumVgprs: 40
; NumAgprs: 0
; TotalNumVgprs: 40
; ScratchSize: 0
; MemoryBound: 0
; FloatMode: 240
; IeeeMode: 1
; LDSByteSize: 0 bytes/workgroup (compile time only)
; SGPRBlocks: 5
; VGPRBlocks: 4
; NumSGPRsForWavesPerEU: 44
; NumVGPRsForWavesPerEU: 40
; AccumOffset: 40
; Occupancy: 8
; WaveLimiterHint : 0
; COMPUTE_PGM_RSRC2:SCRATCH_EN: 0
; COMPUTE_PGM_RSRC2:USER_SGPR: 6
; COMPUTE_PGM_RSRC2:TRAP_HANDLER: 0
; COMPUTE_PGM_RSRC2:TGID_X_EN: 1
; COMPUTE_PGM_RSRC2:TGID_Y_EN: 0
; COMPUTE_PGM_RSRC2:TGID_Z_EN: 0
; COMPUTE_PGM_RSRC2:TIDIG_COMP_CNT: 1
; COMPUTE_PGM_RSRC3_GFX90A:ACCUM_OFFSET: 9
; COMPUTE_PGM_RSRC3_GFX90A:TG_SPLIT: 0
	.section	.text._ZN12_GLOBAL__N_121softmax_warp_backwardIN3c104HalfES2_fLi10ELb0ELb0ELi64EEEvPT0_PKT_S7_iiiPKb,"axG",@progbits,_ZN12_GLOBAL__N_121softmax_warp_backwardIN3c104HalfES2_fLi10ELb0ELb0ELi64EEEvPT0_PKT_S7_iiiPKb,comdat
	.globl	_ZN12_GLOBAL__N_121softmax_warp_backwardIN3c104HalfES2_fLi10ELb0ELb0ELi64EEEvPT0_PKT_S7_iiiPKb ; -- Begin function _ZN12_GLOBAL__N_121softmax_warp_backwardIN3c104HalfES2_fLi10ELb0ELb0ELi64EEEvPT0_PKT_S7_iiiPKb
	.p2align	8
	.type	_ZN12_GLOBAL__N_121softmax_warp_backwardIN3c104HalfES2_fLi10ELb0ELb0ELi64EEEvPT0_PKT_S7_iiiPKb,@function
_ZN12_GLOBAL__N_121softmax_warp_backwardIN3c104HalfES2_fLi10ELb0ELb0ELi64EEEvPT0_PKT_S7_iiiPKb: ; @_ZN12_GLOBAL__N_121softmax_warp_backwardIN3c104HalfES2_fLi10ELb0ELb0ELi64EEEvPT0_PKT_S7_iiiPKb
; %bb.0:
	s_load_dword s2, s[4:5], 0x3c
	s_load_dwordx4 s[28:31], s[4:5], 0x18
	s_load_dwordx4 s[36:39], s[4:5], 0x0
	s_load_dwordx2 s[0:1], s[4:5], 0x10
	v_bfe_u32 v1, v0, 10, 10
	s_waitcnt lgkmcnt(0)
	s_lshr_b32 s2, s2, 16
	s_mul_i32 s6, s6, s2
	v_and_b32_e32 v21, 0x3ff, v0
	v_add_u32_e32 v1, s6, v1
	v_and_b32_e32 v6, 63, v21
	v_sub_u32_e32 v8, s28, v1
	v_mad_u64_u32 v[0:1], s[2:3], v1, s29, v[6:7]
	v_ashrrev_i32_e32 v1, 31, v0
	v_lshlrev_b64 v[0:1], 1, v[0:1]
	v_mov_b32_e32 v3, s39
	v_add_co_u32_e32 v2, vcc, s38, v0
	v_addc_co_u32_e32 v3, vcc, v3, v1, vcc
	v_mov_b32_e32 v5, s1
	v_add_co_u32_e32 v4, vcc, s0, v0
	v_addc_co_u32_e32 v5, vcc, v5, v1, vcc
	v_cmp_lt_i32_e64 s[14:15], 0, v8
	v_cmp_gt_i32_e32 vcc, s30, v6
	s_and_b64 s[2:3], s[14:15], vcc
	v_mov_b32_e32 v7, 0
	v_mov_b32_e32 v9, 0
	;; [unrolled: 1-line block ×3, first 2 shown]
	s_and_saveexec_b64 s[0:1], s[2:3]
	s_cbranch_execz .LBB590_2
; %bb.1:
	global_load_ushort v9, v[2:3], off
	global_load_ushort v10, v[4:5], off
	s_waitcnt vmcnt(1)
	v_cvt_f32_f16_e32 v9, v9
	s_waitcnt vmcnt(0)
	v_cvt_f32_f16_e32 v10, v10
.LBB590_2:
	s_or_b64 exec, exec, s[0:1]
	v_or_b32_e32 v11, 64, v6
	v_cmp_gt_i32_e64 s[0:1], s30, v11
	s_and_b64 s[4:5], s[14:15], s[0:1]
	v_mov_b32_e32 v11, 0
	s_and_saveexec_b64 s[2:3], s[4:5]
	s_cbranch_execz .LBB590_4
; %bb.3:
	global_load_ushort v7, v[2:3], off offset:128
	global_load_ushort v11, v[4:5], off offset:128
	s_waitcnt vmcnt(1)
	v_cvt_f32_f16_e32 v7, v7
	s_waitcnt vmcnt(0)
	v_cvt_f32_f16_e32 v11, v11
.LBB590_4:
	s_or_b64 exec, exec, s[2:3]
	v_or_b32_e32 v12, 0x80, v6
	v_cmp_gt_i32_e64 s[2:3], s30, v12
	s_and_b64 s[6:7], s[14:15], s[2:3]
	v_mov_b32_e32 v12, 0
	v_mov_b32_e32 v13, 0
	v_mov_b32_e32 v14, 0
	s_and_saveexec_b64 s[4:5], s[6:7]
	s_cbranch_execz .LBB590_6
; %bb.5:
	global_load_ushort v13, v[2:3], off offset:256
	global_load_ushort v14, v[4:5], off offset:256
	s_waitcnt vmcnt(1)
	v_cvt_f32_f16_e32 v13, v13
	s_waitcnt vmcnt(0)
	v_cvt_f32_f16_e32 v14, v14
.LBB590_6:
	s_or_b64 exec, exec, s[4:5]
	v_or_b32_e32 v15, 0xc0, v6
	v_cmp_gt_i32_e64 s[4:5], s30, v15
	s_and_b64 s[8:9], s[14:15], s[4:5]
	v_mov_b32_e32 v15, 0
	s_and_saveexec_b64 s[6:7], s[8:9]
	s_cbranch_execz .LBB590_8
; %bb.7:
	global_load_ushort v12, v[2:3], off offset:384
	global_load_ushort v15, v[4:5], off offset:384
	s_waitcnt vmcnt(1)
	v_cvt_f32_f16_e32 v12, v12
	s_waitcnt vmcnt(0)
	v_cvt_f32_f16_e32 v15, v15
.LBB590_8:
	s_or_b64 exec, exec, s[6:7]
	v_or_b32_e32 v16, 0x100, v6
	v_cmp_gt_i32_e64 s[6:7], s30, v16
	s_and_b64 s[10:11], s[14:15], s[6:7]
	v_mov_b32_e32 v16, 0
	v_mov_b32_e32 v17, 0
	v_mov_b32_e32 v18, 0
	s_and_saveexec_b64 s[8:9], s[10:11]
	s_cbranch_execz .LBB590_10
; %bb.9:
	global_load_ushort v17, v[2:3], off offset:512
	global_load_ushort v18, v[4:5], off offset:512
	s_waitcnt vmcnt(1)
	v_cvt_f32_f16_e32 v17, v17
	s_waitcnt vmcnt(0)
	v_cvt_f32_f16_e32 v18, v18
.LBB590_10:
	;; [unrolled: 32-line block ×7, first 2 shown]
	s_or_b64 exec, exec, s[34:35]
	v_or_b32_e32 v21, 0x3c0, v21
	v_cmp_gt_i32_e64 s[30:31], s30, v21
	s_and_b64 s[34:35], s[14:15], s[30:31]
	v_mov_b32_e32 v21, 0
	s_and_saveexec_b64 s[14:15], s[34:35]
	s_cbranch_execz .LBB590_32
; %bb.31:
	global_load_ushort v6, v[2:3], off offset:1920
	global_load_ushort v21, v[4:5], off offset:1920
	s_waitcnt vmcnt(1)
	v_cvt_f32_f16_e32 v6, v6
	s_waitcnt vmcnt(0)
	v_cvt_f32_f16_e32 v21, v21
.LBB590_32:
	s_or_b64 exec, exec, s[14:15]
	v_add_f32_e32 v2, 0, v9
	v_add_f32_e32 v2, v2, v7
	;; [unrolled: 1-line block ×10, first 2 shown]
	v_mbcnt_lo_u32_b32 v3, -1, 0
	v_add_f32_e32 v2, v2, v30
	v_mbcnt_hi_u32_b32 v3, -1, v3
	v_add_f32_e32 v2, v2, v29
	v_and_b32_e32 v4, 64, v3
	v_add_f32_e32 v2, v2, v34
	v_add_u32_e32 v4, 64, v4
	v_xor_b32_e32 v5, 32, v3
	v_add_f32_e32 v2, v2, v33
	v_cmp_lt_i32_e64 s[14:15], v5, v4
	v_add_f32_e32 v2, v2, v37
	v_cndmask_b32_e64 v5, v3, v5, s[14:15]
	v_add_f32_e32 v2, v2, v6
	v_lshlrev_b32_e32 v5, 2, v5
	ds_bpermute_b32 v5, v5, v2
	s_waitcnt lgkmcnt(0)
	v_add_f32_e32 v2, v2, v5
	v_xor_b32_e32 v5, 16, v3
	v_cmp_lt_i32_e64 s[14:15], v5, v4
	v_cndmask_b32_e64 v5, v3, v5, s[14:15]
	v_lshlrev_b32_e32 v5, 2, v5
	ds_bpermute_b32 v5, v5, v2
	s_waitcnt lgkmcnt(0)
	v_add_f32_e32 v2, v2, v5
	v_xor_b32_e32 v5, 8, v3
	v_cmp_lt_i32_e64 s[14:15], v5, v4
	v_cndmask_b32_e64 v5, v3, v5, s[14:15]
	;; [unrolled: 7-line block ×5, first 2 shown]
	v_lshlrev_b32_e32 v3, 2, v3
	ds_bpermute_b32 v3, v3, v2
	v_cmp_lt_i32_e64 s[14:15], 0, v8
	s_and_saveexec_b64 s[34:35], s[14:15]
	s_cbranch_execz .LBB590_50
; %bb.33:
	v_mov_b32_e32 v4, s37
	v_add_co_u32_e64 v0, s[14:15], s36, v0
	v_addc_co_u32_e64 v1, s[14:15], v4, v1, s[14:15]
	s_waitcnt lgkmcnt(0)
	v_add_f32_e32 v2, v2, v3
	s_and_saveexec_b64 s[14:15], vcc
	s_cbranch_execnz .LBB590_51
; %bb.34:
	s_or_b64 exec, exec, s[14:15]
	s_and_saveexec_b64 s[14:15], s[0:1]
	s_cbranch_execnz .LBB590_52
.LBB590_35:
	s_or_b64 exec, exec, s[14:15]
	s_and_saveexec_b64 s[0:1], s[2:3]
	s_cbranch_execnz .LBB590_53
.LBB590_36:
	s_or_b64 exec, exec, s[0:1]
	s_and_saveexec_b64 s[0:1], s[4:5]
	s_cbranch_execnz .LBB590_54
.LBB590_37:
	s_or_b64 exec, exec, s[0:1]
	s_and_saveexec_b64 s[0:1], s[6:7]
	s_cbranch_execnz .LBB590_55
.LBB590_38:
	s_or_b64 exec, exec, s[0:1]
	s_and_saveexec_b64 s[0:1], s[8:9]
	s_cbranch_execnz .LBB590_56
.LBB590_39:
	s_or_b64 exec, exec, s[0:1]
	s_and_saveexec_b64 s[0:1], s[10:11]
	s_cbranch_execnz .LBB590_57
.LBB590_40:
	s_or_b64 exec, exec, s[0:1]
	s_and_saveexec_b64 s[0:1], s[12:13]
	s_cbranch_execnz .LBB590_58
.LBB590_41:
	s_or_b64 exec, exec, s[0:1]
	s_and_saveexec_b64 s[0:1], s[16:17]
	s_cbranch_execnz .LBB590_59
.LBB590_42:
	s_or_b64 exec, exec, s[0:1]
	s_and_saveexec_b64 s[0:1], s[18:19]
	s_cbranch_execnz .LBB590_60
.LBB590_43:
	s_or_b64 exec, exec, s[0:1]
	s_and_saveexec_b64 s[0:1], s[20:21]
	s_cbranch_execnz .LBB590_61
.LBB590_44:
	s_or_b64 exec, exec, s[0:1]
	s_and_saveexec_b64 s[0:1], s[22:23]
	s_cbranch_execnz .LBB590_62
.LBB590_45:
	s_or_b64 exec, exec, s[0:1]
	s_and_saveexec_b64 s[0:1], s[24:25]
	s_cbranch_execnz .LBB590_63
.LBB590_46:
	s_or_b64 exec, exec, s[0:1]
	s_and_saveexec_b64 s[0:1], s[26:27]
	s_cbranch_execnz .LBB590_64
.LBB590_47:
	s_or_b64 exec, exec, s[0:1]
	s_and_saveexec_b64 s[0:1], s[28:29]
	s_cbranch_execnz .LBB590_65
.LBB590_48:
	s_or_b64 exec, exec, s[0:1]
	s_and_b64 exec, exec, s[30:31]
	s_cbranch_execz .LBB590_50
.LBB590_49:
	v_fma_mixlo_f16 v2, -v2, v21, v6
	global_store_short v[0:1], v2, off offset:1920
.LBB590_50:
	s_endpgm
.LBB590_51:
	v_fma_mixlo_f16 v3, -v2, v10, v9
	global_store_short v[0:1], v3, off
	s_or_b64 exec, exec, s[14:15]
	s_and_saveexec_b64 s[14:15], s[0:1]
	s_cbranch_execz .LBB590_35
.LBB590_52:
	v_fma_mixlo_f16 v3, -v2, v11, v7
	global_store_short v[0:1], v3, off offset:128
	s_or_b64 exec, exec, s[14:15]
	s_and_saveexec_b64 s[0:1], s[2:3]
	s_cbranch_execz .LBB590_36
.LBB590_53:
	v_fma_mixlo_f16 v3, -v2, v14, v13
	global_store_short v[0:1], v3, off offset:256
	s_or_b64 exec, exec, s[0:1]
	s_and_saveexec_b64 s[0:1], s[4:5]
	s_cbranch_execz .LBB590_37
.LBB590_54:
	v_fma_mixlo_f16 v3, -v2, v15, v12
	global_store_short v[0:1], v3, off offset:384
	s_or_b64 exec, exec, s[0:1]
	s_and_saveexec_b64 s[0:1], s[6:7]
	s_cbranch_execz .LBB590_38
.LBB590_55:
	v_fma_mixlo_f16 v3, -v2, v18, v17
	global_store_short v[0:1], v3, off offset:512
	s_or_b64 exec, exec, s[0:1]
	s_and_saveexec_b64 s[0:1], s[8:9]
	s_cbranch_execz .LBB590_39
.LBB590_56:
	v_fma_mixlo_f16 v3, -v2, v19, v16
	global_store_short v[0:1], v3, off offset:640
	s_or_b64 exec, exec, s[0:1]
	s_and_saveexec_b64 s[0:1], s[10:11]
	s_cbranch_execz .LBB590_40
.LBB590_57:
	v_fma_mixlo_f16 v3, -v2, v23, v22
	global_store_short v[0:1], v3, off offset:768
	s_or_b64 exec, exec, s[0:1]
	s_and_saveexec_b64 s[0:1], s[12:13]
	s_cbranch_execz .LBB590_41
.LBB590_58:
	v_fma_mixlo_f16 v3, -v2, v24, v20
	global_store_short v[0:1], v3, off offset:896
	s_or_b64 exec, exec, s[0:1]
	s_and_saveexec_b64 s[0:1], s[16:17]
	s_cbranch_execz .LBB590_42
.LBB590_59:
	v_fma_mixlo_f16 v3, -v2, v27, v26
	global_store_short v[0:1], v3, off offset:1024
	s_or_b64 exec, exec, s[0:1]
	s_and_saveexec_b64 s[0:1], s[18:19]
	s_cbranch_execz .LBB590_43
.LBB590_60:
	v_fma_mixlo_f16 v3, -v2, v28, v25
	global_store_short v[0:1], v3, off offset:1152
	s_or_b64 exec, exec, s[0:1]
	s_and_saveexec_b64 s[0:1], s[20:21]
	s_cbranch_execz .LBB590_44
.LBB590_61:
	v_fma_mixlo_f16 v3, -v2, v31, v30
	global_store_short v[0:1], v3, off offset:1280
	s_or_b64 exec, exec, s[0:1]
	s_and_saveexec_b64 s[0:1], s[22:23]
	s_cbranch_execz .LBB590_45
.LBB590_62:
	v_fma_mixlo_f16 v3, -v2, v32, v29
	global_store_short v[0:1], v3, off offset:1408
	s_or_b64 exec, exec, s[0:1]
	s_and_saveexec_b64 s[0:1], s[24:25]
	s_cbranch_execz .LBB590_46
.LBB590_63:
	v_fma_mixlo_f16 v3, -v2, v35, v34
	global_store_short v[0:1], v3, off offset:1536
	s_or_b64 exec, exec, s[0:1]
	s_and_saveexec_b64 s[0:1], s[26:27]
	s_cbranch_execz .LBB590_47
.LBB590_64:
	v_fma_mixlo_f16 v3, -v2, v36, v33
	global_store_short v[0:1], v3, off offset:1664
	s_or_b64 exec, exec, s[0:1]
	s_and_saveexec_b64 s[0:1], s[28:29]
	s_cbranch_execz .LBB590_48
.LBB590_65:
	v_fma_mixlo_f16 v3, -v2, v38, v37
	global_store_short v[0:1], v3, off offset:1792
	s_or_b64 exec, exec, s[0:1]
	s_and_b64 exec, exec, s[30:31]
	s_cbranch_execnz .LBB590_49
	s_branch .LBB590_50
	.section	.rodata,"a",@progbits
	.p2align	6, 0x0
	.amdhsa_kernel _ZN12_GLOBAL__N_121softmax_warp_backwardIN3c104HalfES2_fLi10ELb0ELb0ELi64EEEvPT0_PKT_S7_iiiPKb
		.amdhsa_group_segment_fixed_size 0
		.amdhsa_private_segment_fixed_size 0
		.amdhsa_kernarg_size 304
		.amdhsa_user_sgpr_count 6
		.amdhsa_user_sgpr_private_segment_buffer 1
		.amdhsa_user_sgpr_dispatch_ptr 0
		.amdhsa_user_sgpr_queue_ptr 0
		.amdhsa_user_sgpr_kernarg_segment_ptr 1
		.amdhsa_user_sgpr_dispatch_id 0
		.amdhsa_user_sgpr_flat_scratch_init 0
		.amdhsa_user_sgpr_kernarg_preload_length 0
		.amdhsa_user_sgpr_kernarg_preload_offset 0
		.amdhsa_user_sgpr_private_segment_size 0
		.amdhsa_uses_dynamic_stack 0
		.amdhsa_system_sgpr_private_segment_wavefront_offset 0
		.amdhsa_system_sgpr_workgroup_id_x 1
		.amdhsa_system_sgpr_workgroup_id_y 0
		.amdhsa_system_sgpr_workgroup_id_z 0
		.amdhsa_system_sgpr_workgroup_info 0
		.amdhsa_system_vgpr_workitem_id 1
		.amdhsa_next_free_vgpr 39
		.amdhsa_next_free_sgpr 40
		.amdhsa_accum_offset 40
		.amdhsa_reserve_vcc 1
		.amdhsa_reserve_flat_scratch 0
		.amdhsa_float_round_mode_32 0
		.amdhsa_float_round_mode_16_64 0
		.amdhsa_float_denorm_mode_32 3
		.amdhsa_float_denorm_mode_16_64 3
		.amdhsa_dx10_clamp 1
		.amdhsa_ieee_mode 1
		.amdhsa_fp16_overflow 0
		.amdhsa_tg_split 0
		.amdhsa_exception_fp_ieee_invalid_op 0
		.amdhsa_exception_fp_denorm_src 0
		.amdhsa_exception_fp_ieee_div_zero 0
		.amdhsa_exception_fp_ieee_overflow 0
		.amdhsa_exception_fp_ieee_underflow 0
		.amdhsa_exception_fp_ieee_inexact 0
		.amdhsa_exception_int_div_zero 0
	.end_amdhsa_kernel
	.section	.text._ZN12_GLOBAL__N_121softmax_warp_backwardIN3c104HalfES2_fLi10ELb0ELb0ELi64EEEvPT0_PKT_S7_iiiPKb,"axG",@progbits,_ZN12_GLOBAL__N_121softmax_warp_backwardIN3c104HalfES2_fLi10ELb0ELb0ELi64EEEvPT0_PKT_S7_iiiPKb,comdat
.Lfunc_end590:
	.size	_ZN12_GLOBAL__N_121softmax_warp_backwardIN3c104HalfES2_fLi10ELb0ELb0ELi64EEEvPT0_PKT_S7_iiiPKb, .Lfunc_end590-_ZN12_GLOBAL__N_121softmax_warp_backwardIN3c104HalfES2_fLi10ELb0ELb0ELi64EEEvPT0_PKT_S7_iiiPKb
                                        ; -- End function
	.section	.AMDGPU.csdata,"",@progbits
; Kernel info:
; codeLenInByte = 2256
; NumSgprs: 44
; NumVgprs: 39
; NumAgprs: 0
; TotalNumVgprs: 39
; ScratchSize: 0
; MemoryBound: 0
; FloatMode: 240
; IeeeMode: 1
; LDSByteSize: 0 bytes/workgroup (compile time only)
; SGPRBlocks: 5
; VGPRBlocks: 4
; NumSGPRsForWavesPerEU: 44
; NumVGPRsForWavesPerEU: 39
; AccumOffset: 40
; Occupancy: 8
; WaveLimiterHint : 0
; COMPUTE_PGM_RSRC2:SCRATCH_EN: 0
; COMPUTE_PGM_RSRC2:USER_SGPR: 6
; COMPUTE_PGM_RSRC2:TRAP_HANDLER: 0
; COMPUTE_PGM_RSRC2:TGID_X_EN: 1
; COMPUTE_PGM_RSRC2:TGID_Y_EN: 0
; COMPUTE_PGM_RSRC2:TGID_Z_EN: 0
; COMPUTE_PGM_RSRC2:TIDIG_COMP_CNT: 1
; COMPUTE_PGM_RSRC3_GFX90A:ACCUM_OFFSET: 9
; COMPUTE_PGM_RSRC3_GFX90A:TG_SPLIT: 0
	.section	.text._ZN12_GLOBAL__N_121softmax_warp_backwardIN3c104HalfES2_fLi10ELb0ELb0ELi32EEEvPT0_PKT_S7_iiiPKb,"axG",@progbits,_ZN12_GLOBAL__N_121softmax_warp_backwardIN3c104HalfES2_fLi10ELb0ELb0ELi32EEEvPT0_PKT_S7_iiiPKb,comdat
	.globl	_ZN12_GLOBAL__N_121softmax_warp_backwardIN3c104HalfES2_fLi10ELb0ELb0ELi32EEEvPT0_PKT_S7_iiiPKb ; -- Begin function _ZN12_GLOBAL__N_121softmax_warp_backwardIN3c104HalfES2_fLi10ELb0ELb0ELi32EEEvPT0_PKT_S7_iiiPKb
	.p2align	8
	.type	_ZN12_GLOBAL__N_121softmax_warp_backwardIN3c104HalfES2_fLi10ELb0ELb0ELi32EEEvPT0_PKT_S7_iiiPKb,@function
_ZN12_GLOBAL__N_121softmax_warp_backwardIN3c104HalfES2_fLi10ELb0ELb0ELi32EEEvPT0_PKT_S7_iiiPKb: ; @_ZN12_GLOBAL__N_121softmax_warp_backwardIN3c104HalfES2_fLi10ELb0ELb0ELi32EEEvPT0_PKT_S7_iiiPKb
; %bb.0:
	s_load_dword s2, s[4:5], 0x3c
	s_load_dwordx4 s[64:67], s[4:5], 0x18
	s_load_dwordx4 s[68:71], s[4:5], 0x0
	s_load_dwordx2 s[0:1], s[4:5], 0x10
	v_bfe_u32 v1, v0, 10, 10
	s_waitcnt lgkmcnt(0)
	s_lshr_b32 s2, s2, 16
	s_mul_i32 s6, s6, s2
	v_and_b32_e32 v23, 0x3ff, v0
	v_add_u32_e32 v1, s6, v1
	v_and_b32_e32 v6, 31, v23
	v_sub_u32_e32 v8, s64, v1
	v_mad_u64_u32 v[0:1], s[2:3], v1, s65, v[6:7]
	v_ashrrev_i32_e32 v1, 31, v0
	v_lshlrev_b64 v[0:1], 1, v[0:1]
	v_mov_b32_e32 v3, s71
	v_add_co_u32_e32 v2, vcc, s70, v0
	v_addc_co_u32_e32 v3, vcc, v3, v1, vcc
	v_mov_b32_e32 v5, s1
	v_add_co_u32_e32 v4, vcc, s0, v0
	v_addc_co_u32_e32 v5, vcc, v5, v1, vcc
	v_cmp_lt_i32_e64 s[14:15], 0, v8
	v_cmp_gt_i32_e32 vcc, s66, v6
	s_and_b64 s[2:3], s[14:15], vcc
	v_mov_b32_e32 v7, 0
	v_mov_b32_e32 v9, 0
	;; [unrolled: 1-line block ×3, first 2 shown]
	s_and_saveexec_b64 s[0:1], s[2:3]
	s_cbranch_execz .LBB591_2
; %bb.1:
	global_load_ushort v9, v[2:3], off
	global_load_ushort v10, v[4:5], off
	s_waitcnt vmcnt(1)
	v_cvt_f32_f16_e32 v9, v9
	s_waitcnt vmcnt(0)
	v_cvt_f32_f16_e32 v10, v10
.LBB591_2:
	s_or_b64 exec, exec, s[0:1]
	v_or_b32_e32 v11, 32, v6
	v_cmp_gt_i32_e64 s[0:1], s66, v11
	s_and_b64 s[4:5], s[14:15], s[0:1]
	v_mov_b32_e32 v11, 0
	s_and_saveexec_b64 s[2:3], s[4:5]
	s_cbranch_execz .LBB591_4
; %bb.3:
	global_load_ushort v7, v[2:3], off offset:64
	global_load_ushort v11, v[4:5], off offset:64
	s_waitcnt vmcnt(1)
	v_cvt_f32_f16_e32 v7, v7
	s_waitcnt vmcnt(0)
	v_cvt_f32_f16_e32 v11, v11
.LBB591_4:
	s_or_b64 exec, exec, s[2:3]
	v_or_b32_e32 v12, 64, v6
	v_cmp_gt_i32_e64 s[2:3], s66, v12
	s_and_b64 s[6:7], s[14:15], s[2:3]
	v_mov_b32_e32 v12, 0
	v_mov_b32_e32 v13, 0
	v_mov_b32_e32 v14, 0
	s_and_saveexec_b64 s[4:5], s[6:7]
	s_cbranch_execz .LBB591_6
; %bb.5:
	global_load_ushort v13, v[2:3], off offset:128
	global_load_ushort v14, v[4:5], off offset:128
	s_waitcnt vmcnt(1)
	v_cvt_f32_f16_e32 v13, v13
	s_waitcnt vmcnt(0)
	v_cvt_f32_f16_e32 v14, v14
.LBB591_6:
	s_or_b64 exec, exec, s[4:5]
	v_or_b32_e32 v15, 0x60, v6
	v_cmp_gt_i32_e64 s[4:5], s66, v15
	s_and_b64 s[8:9], s[14:15], s[4:5]
	v_mov_b32_e32 v15, 0
	s_and_saveexec_b64 s[6:7], s[8:9]
	s_cbranch_execz .LBB591_8
; %bb.7:
	global_load_ushort v12, v[2:3], off offset:192
	global_load_ushort v15, v[4:5], off offset:192
	s_waitcnt vmcnt(1)
	v_cvt_f32_f16_e32 v12, v12
	s_waitcnt vmcnt(0)
	v_cvt_f32_f16_e32 v15, v15
.LBB591_8:
	s_or_b64 exec, exec, s[6:7]
	v_or_b32_e32 v16, 0x80, v6
	v_cmp_gt_i32_e64 s[6:7], s66, v16
	s_and_b64 s[10:11], s[14:15], s[6:7]
	v_mov_b32_e32 v16, 0
	v_mov_b32_e32 v17, 0
	v_mov_b32_e32 v18, 0
	s_and_saveexec_b64 s[8:9], s[10:11]
	s_cbranch_execz .LBB591_10
; %bb.9:
	global_load_ushort v17, v[2:3], off offset:256
	global_load_ushort v18, v[4:5], off offset:256
	s_waitcnt vmcnt(1)
	v_cvt_f32_f16_e32 v17, v17
	s_waitcnt vmcnt(0)
	v_cvt_f32_f16_e32 v18, v18
.LBB591_10:
	;; [unrolled: 32-line block ×15, first 2 shown]
	s_or_b64 exec, exec, s[64:65]
	v_or_b32_e32 v23, 0x3e0, v23
	v_cmp_gt_i32_e64 s[64:65], s66, v23
	s_and_b64 s[66:67], s[14:15], s[64:65]
	v_mov_b32_e32 v23, 0
	s_and_saveexec_b64 s[14:15], s[66:67]
	s_cbranch_execz .LBB591_64
; %bb.63:
	global_load_ushort v2, v[2:3], off offset:1984
	s_nop 0
	global_load_ushort v3, v[4:5], off offset:1984
	s_waitcnt vmcnt(1)
	v_cvt_f32_f16_e32 v6, v2
	s_waitcnt vmcnt(0)
	v_cvt_f32_f16_e32 v23, v3
.LBB591_64:
	s_or_b64 exec, exec, s[14:15]
	v_add_f32_e32 v2, 0, v9
	v_add_f32_e32 v2, v2, v7
	v_add_f32_e32 v2, v2, v13
	v_add_f32_e32 v2, v2, v12
	v_add_f32_e32 v2, v2, v17
	v_add_f32_e32 v2, v2, v16
	v_add_f32_e32 v2, v2, v21
	v_add_f32_e32 v2, v2, v20
	v_add_f32_e32 v2, v2, v26
	v_add_f32_e32 v2, v2, v25
	v_add_f32_e32 v2, v2, v30
	v_add_f32_e32 v2, v2, v29
	v_add_f32_e32 v2, v2, v34
	v_add_f32_e32 v2, v2, v33
	v_add_f32_e32 v2, v2, v38
	v_add_f32_e32 v2, v2, v37
	v_add_f32_e32 v2, v2, v42
	v_add_f32_e32 v2, v2, v41
	v_add_f32_e32 v2, v2, v46
	v_add_f32_e32 v2, v2, v45
	v_add_f32_e32 v2, v2, v50
	v_add_f32_e32 v2, v2, v49
	v_add_f32_e32 v2, v2, v54
	v_add_f32_e32 v2, v2, v53
	v_add_f32_e32 v2, v2, v58
	v_add_f32_e32 v2, v2, v57
	v_mbcnt_lo_u32_b32 v3, -1, 0
	v_add_f32_e32 v2, v2, v62
	v_mbcnt_hi_u32_b32 v3, -1, v3
	v_add_f32_e32 v2, v2, v61
	v_and_b32_e32 v4, 0x60, v3
	v_add_f32_e32 v2, v2, v66
	v_add_u32_e32 v4, 32, v4
	v_xor_b32_e32 v5, 16, v3
	v_add_f32_e32 v2, v2, v65
	v_cmp_lt_i32_e64 s[14:15], v5, v4
	v_add_f32_e32 v2, v2, v69
	v_cndmask_b32_e64 v5, v3, v5, s[14:15]
	v_add_f32_e32 v2, v2, v6
	v_lshlrev_b32_e32 v5, 2, v5
	ds_bpermute_b32 v5, v5, v2
	s_waitcnt lgkmcnt(0)
	v_add_f32_e32 v2, v2, v5
	v_xor_b32_e32 v5, 8, v3
	v_cmp_lt_i32_e64 s[14:15], v5, v4
	v_cndmask_b32_e64 v5, v3, v5, s[14:15]
	v_lshlrev_b32_e32 v5, 2, v5
	ds_bpermute_b32 v5, v5, v2
	s_waitcnt lgkmcnt(0)
	v_add_f32_e32 v2, v2, v5
	v_xor_b32_e32 v5, 4, v3
	v_cmp_lt_i32_e64 s[14:15], v5, v4
	v_cndmask_b32_e64 v5, v3, v5, s[14:15]
	;; [unrolled: 7-line block ×4, first 2 shown]
	v_lshlrev_b32_e32 v3, 2, v3
	ds_bpermute_b32 v3, v3, v2
	v_cmp_lt_i32_e64 s[14:15], 0, v8
	s_and_saveexec_b64 s[66:67], s[14:15]
	s_cbranch_execz .LBB591_98
; %bb.65:
	v_mov_b32_e32 v4, s69
	v_add_co_u32_e64 v0, s[14:15], s68, v0
	v_addc_co_u32_e64 v1, s[14:15], v4, v1, s[14:15]
	s_waitcnt lgkmcnt(0)
	v_add_f32_e32 v2, v2, v3
	s_and_saveexec_b64 s[14:15], vcc
	s_cbranch_execnz .LBB591_99
; %bb.66:
	s_or_b64 exec, exec, s[14:15]
	s_and_saveexec_b64 s[14:15], s[0:1]
	s_cbranch_execnz .LBB591_100
.LBB591_67:
	s_or_b64 exec, exec, s[14:15]
	s_and_saveexec_b64 s[0:1], s[2:3]
	s_cbranch_execnz .LBB591_101
.LBB591_68:
	s_or_b64 exec, exec, s[0:1]
	s_and_saveexec_b64 s[0:1], s[4:5]
	s_cbranch_execnz .LBB591_102
.LBB591_69:
	s_or_b64 exec, exec, s[0:1]
	s_and_saveexec_b64 s[0:1], s[6:7]
	s_cbranch_execnz .LBB591_103
.LBB591_70:
	s_or_b64 exec, exec, s[0:1]
	s_and_saveexec_b64 s[0:1], s[8:9]
	s_cbranch_execnz .LBB591_104
.LBB591_71:
	s_or_b64 exec, exec, s[0:1]
	s_and_saveexec_b64 s[0:1], s[10:11]
	s_cbranch_execnz .LBB591_105
.LBB591_72:
	s_or_b64 exec, exec, s[0:1]
	s_and_saveexec_b64 s[0:1], s[12:13]
	s_cbranch_execnz .LBB591_106
.LBB591_73:
	s_or_b64 exec, exec, s[0:1]
	s_and_saveexec_b64 s[0:1], s[16:17]
	s_cbranch_execnz .LBB591_107
.LBB591_74:
	s_or_b64 exec, exec, s[0:1]
	s_and_saveexec_b64 s[0:1], s[18:19]
	s_cbranch_execnz .LBB591_108
.LBB591_75:
	s_or_b64 exec, exec, s[0:1]
	s_and_saveexec_b64 s[0:1], s[20:21]
	s_cbranch_execnz .LBB591_109
.LBB591_76:
	s_or_b64 exec, exec, s[0:1]
	s_and_saveexec_b64 s[0:1], s[22:23]
	s_cbranch_execnz .LBB591_110
.LBB591_77:
	s_or_b64 exec, exec, s[0:1]
	s_and_saveexec_b64 s[0:1], s[24:25]
	s_cbranch_execnz .LBB591_111
.LBB591_78:
	s_or_b64 exec, exec, s[0:1]
	s_and_saveexec_b64 s[0:1], s[26:27]
	s_cbranch_execnz .LBB591_112
.LBB591_79:
	s_or_b64 exec, exec, s[0:1]
	s_and_saveexec_b64 s[0:1], s[28:29]
	s_cbranch_execnz .LBB591_113
.LBB591_80:
	s_or_b64 exec, exec, s[0:1]
	s_and_saveexec_b64 s[0:1], s[30:31]
	s_cbranch_execnz .LBB591_114
.LBB591_81:
	s_or_b64 exec, exec, s[0:1]
	s_and_saveexec_b64 s[0:1], s[34:35]
	s_cbranch_execnz .LBB591_115
.LBB591_82:
	s_or_b64 exec, exec, s[0:1]
	s_and_saveexec_b64 s[0:1], s[36:37]
	s_cbranch_execnz .LBB591_116
.LBB591_83:
	s_or_b64 exec, exec, s[0:1]
	s_and_saveexec_b64 s[0:1], s[38:39]
	s_cbranch_execnz .LBB591_117
.LBB591_84:
	s_or_b64 exec, exec, s[0:1]
	s_and_saveexec_b64 s[0:1], s[40:41]
	s_cbranch_execnz .LBB591_118
.LBB591_85:
	s_or_b64 exec, exec, s[0:1]
	s_and_saveexec_b64 s[0:1], s[42:43]
	s_cbranch_execnz .LBB591_119
.LBB591_86:
	s_or_b64 exec, exec, s[0:1]
	s_and_saveexec_b64 s[0:1], s[44:45]
	s_cbranch_execnz .LBB591_120
.LBB591_87:
	s_or_b64 exec, exec, s[0:1]
	s_and_saveexec_b64 s[0:1], s[46:47]
	s_cbranch_execnz .LBB591_121
.LBB591_88:
	s_or_b64 exec, exec, s[0:1]
	s_and_saveexec_b64 s[0:1], s[48:49]
	s_cbranch_execnz .LBB591_122
.LBB591_89:
	s_or_b64 exec, exec, s[0:1]
	s_and_saveexec_b64 s[0:1], s[50:51]
	s_cbranch_execnz .LBB591_123
.LBB591_90:
	s_or_b64 exec, exec, s[0:1]
	s_and_saveexec_b64 s[0:1], s[52:53]
	s_cbranch_execnz .LBB591_124
.LBB591_91:
	s_or_b64 exec, exec, s[0:1]
	s_and_saveexec_b64 s[0:1], s[54:55]
	s_cbranch_execnz .LBB591_125
.LBB591_92:
	s_or_b64 exec, exec, s[0:1]
	s_and_saveexec_b64 s[0:1], s[56:57]
	s_cbranch_execnz .LBB591_126
.LBB591_93:
	s_or_b64 exec, exec, s[0:1]
	s_and_saveexec_b64 s[0:1], s[58:59]
	s_cbranch_execnz .LBB591_127
.LBB591_94:
	s_or_b64 exec, exec, s[0:1]
	s_and_saveexec_b64 s[0:1], s[60:61]
	s_cbranch_execnz .LBB591_128
.LBB591_95:
	s_or_b64 exec, exec, s[0:1]
	s_and_saveexec_b64 s[0:1], s[62:63]
	s_cbranch_execnz .LBB591_129
.LBB591_96:
	s_or_b64 exec, exec, s[0:1]
	s_and_b64 exec, exec, s[64:65]
	s_cbranch_execz .LBB591_98
.LBB591_97:
	v_fma_mixlo_f16 v2, -v2, v23, v6
	global_store_short v[0:1], v2, off offset:1984
.LBB591_98:
	s_endpgm
.LBB591_99:
	v_fma_mixlo_f16 v3, -v2, v10, v9
	global_store_short v[0:1], v3, off
	s_or_b64 exec, exec, s[14:15]
	s_and_saveexec_b64 s[14:15], s[0:1]
	s_cbranch_execz .LBB591_67
.LBB591_100:
	v_fma_mixlo_f16 v3, -v2, v11, v7
	global_store_short v[0:1], v3, off offset:64
	s_or_b64 exec, exec, s[14:15]
	s_and_saveexec_b64 s[0:1], s[2:3]
	s_cbranch_execz .LBB591_68
.LBB591_101:
	v_fma_mixlo_f16 v3, -v2, v14, v13
	global_store_short v[0:1], v3, off offset:128
	s_or_b64 exec, exec, s[0:1]
	s_and_saveexec_b64 s[0:1], s[4:5]
	s_cbranch_execz .LBB591_69
.LBB591_102:
	v_fma_mixlo_f16 v3, -v2, v15, v12
	global_store_short v[0:1], v3, off offset:192
	s_or_b64 exec, exec, s[0:1]
	s_and_saveexec_b64 s[0:1], s[6:7]
	s_cbranch_execz .LBB591_70
.LBB591_103:
	v_fma_mixlo_f16 v3, -v2, v18, v17
	global_store_short v[0:1], v3, off offset:256
	s_or_b64 exec, exec, s[0:1]
	s_and_saveexec_b64 s[0:1], s[8:9]
	s_cbranch_execz .LBB591_71
.LBB591_104:
	v_fma_mixlo_f16 v3, -v2, v19, v16
	global_store_short v[0:1], v3, off offset:320
	s_or_b64 exec, exec, s[0:1]
	s_and_saveexec_b64 s[0:1], s[10:11]
	s_cbranch_execz .LBB591_72
.LBB591_105:
	v_fma_mixlo_f16 v3, -v2, v22, v21
	global_store_short v[0:1], v3, off offset:384
	s_or_b64 exec, exec, s[0:1]
	s_and_saveexec_b64 s[0:1], s[12:13]
	s_cbranch_execz .LBB591_73
.LBB591_106:
	v_fma_mixlo_f16 v3, -v2, v24, v20
	global_store_short v[0:1], v3, off offset:448
	s_or_b64 exec, exec, s[0:1]
	s_and_saveexec_b64 s[0:1], s[16:17]
	s_cbranch_execz .LBB591_74
.LBB591_107:
	v_fma_mixlo_f16 v3, -v2, v27, v26
	global_store_short v[0:1], v3, off offset:512
	s_or_b64 exec, exec, s[0:1]
	s_and_saveexec_b64 s[0:1], s[18:19]
	s_cbranch_execz .LBB591_75
.LBB591_108:
	v_fma_mixlo_f16 v3, -v2, v28, v25
	global_store_short v[0:1], v3, off offset:576
	s_or_b64 exec, exec, s[0:1]
	s_and_saveexec_b64 s[0:1], s[20:21]
	s_cbranch_execz .LBB591_76
.LBB591_109:
	v_fma_mixlo_f16 v3, -v2, v31, v30
	global_store_short v[0:1], v3, off offset:640
	s_or_b64 exec, exec, s[0:1]
	s_and_saveexec_b64 s[0:1], s[22:23]
	s_cbranch_execz .LBB591_77
.LBB591_110:
	v_fma_mixlo_f16 v3, -v2, v32, v29
	global_store_short v[0:1], v3, off offset:704
	s_or_b64 exec, exec, s[0:1]
	s_and_saveexec_b64 s[0:1], s[24:25]
	s_cbranch_execz .LBB591_78
.LBB591_111:
	v_fma_mixlo_f16 v3, -v2, v35, v34
	global_store_short v[0:1], v3, off offset:768
	s_or_b64 exec, exec, s[0:1]
	s_and_saveexec_b64 s[0:1], s[26:27]
	s_cbranch_execz .LBB591_79
.LBB591_112:
	v_fma_mixlo_f16 v3, -v2, v36, v33
	global_store_short v[0:1], v3, off offset:832
	s_or_b64 exec, exec, s[0:1]
	s_and_saveexec_b64 s[0:1], s[28:29]
	s_cbranch_execz .LBB591_80
.LBB591_113:
	v_fma_mixlo_f16 v3, -v2, v39, v38
	global_store_short v[0:1], v3, off offset:896
	s_or_b64 exec, exec, s[0:1]
	s_and_saveexec_b64 s[0:1], s[30:31]
	s_cbranch_execz .LBB591_81
.LBB591_114:
	v_fma_mixlo_f16 v3, -v2, v40, v37
	global_store_short v[0:1], v3, off offset:960
	s_or_b64 exec, exec, s[0:1]
	s_and_saveexec_b64 s[0:1], s[34:35]
	s_cbranch_execz .LBB591_82
.LBB591_115:
	v_fma_mixlo_f16 v3, -v2, v43, v42
	global_store_short v[0:1], v3, off offset:1024
	s_or_b64 exec, exec, s[0:1]
	s_and_saveexec_b64 s[0:1], s[36:37]
	s_cbranch_execz .LBB591_83
.LBB591_116:
	v_fma_mixlo_f16 v3, -v2, v44, v41
	global_store_short v[0:1], v3, off offset:1088
	s_or_b64 exec, exec, s[0:1]
	s_and_saveexec_b64 s[0:1], s[38:39]
	s_cbranch_execz .LBB591_84
.LBB591_117:
	v_fma_mixlo_f16 v3, -v2, v47, v46
	global_store_short v[0:1], v3, off offset:1152
	s_or_b64 exec, exec, s[0:1]
	s_and_saveexec_b64 s[0:1], s[40:41]
	s_cbranch_execz .LBB591_85
.LBB591_118:
	v_fma_mixlo_f16 v3, -v2, v48, v45
	global_store_short v[0:1], v3, off offset:1216
	s_or_b64 exec, exec, s[0:1]
	s_and_saveexec_b64 s[0:1], s[42:43]
	s_cbranch_execz .LBB591_86
.LBB591_119:
	v_fma_mixlo_f16 v3, -v2, v51, v50
	global_store_short v[0:1], v3, off offset:1280
	s_or_b64 exec, exec, s[0:1]
	s_and_saveexec_b64 s[0:1], s[44:45]
	s_cbranch_execz .LBB591_87
.LBB591_120:
	v_fma_mixlo_f16 v3, -v2, v52, v49
	global_store_short v[0:1], v3, off offset:1344
	s_or_b64 exec, exec, s[0:1]
	s_and_saveexec_b64 s[0:1], s[46:47]
	s_cbranch_execz .LBB591_88
.LBB591_121:
	v_fma_mixlo_f16 v3, -v2, v55, v54
	global_store_short v[0:1], v3, off offset:1408
	s_or_b64 exec, exec, s[0:1]
	s_and_saveexec_b64 s[0:1], s[48:49]
	s_cbranch_execz .LBB591_89
.LBB591_122:
	v_fma_mixlo_f16 v3, -v2, v56, v53
	global_store_short v[0:1], v3, off offset:1472
	s_or_b64 exec, exec, s[0:1]
	s_and_saveexec_b64 s[0:1], s[50:51]
	s_cbranch_execz .LBB591_90
.LBB591_123:
	v_fma_mixlo_f16 v3, -v2, v59, v58
	global_store_short v[0:1], v3, off offset:1536
	s_or_b64 exec, exec, s[0:1]
	s_and_saveexec_b64 s[0:1], s[52:53]
	s_cbranch_execz .LBB591_91
.LBB591_124:
	v_fma_mixlo_f16 v3, -v2, v60, v57
	global_store_short v[0:1], v3, off offset:1600
	s_or_b64 exec, exec, s[0:1]
	s_and_saveexec_b64 s[0:1], s[54:55]
	s_cbranch_execz .LBB591_92
.LBB591_125:
	v_fma_mixlo_f16 v3, -v2, v63, v62
	global_store_short v[0:1], v3, off offset:1664
	s_or_b64 exec, exec, s[0:1]
	s_and_saveexec_b64 s[0:1], s[56:57]
	s_cbranch_execz .LBB591_93
.LBB591_126:
	v_fma_mixlo_f16 v3, -v2, v64, v61
	global_store_short v[0:1], v3, off offset:1728
	s_or_b64 exec, exec, s[0:1]
	s_and_saveexec_b64 s[0:1], s[58:59]
	s_cbranch_execz .LBB591_94
.LBB591_127:
	v_fma_mixlo_f16 v3, -v2, v67, v66
	global_store_short v[0:1], v3, off offset:1792
	s_or_b64 exec, exec, s[0:1]
	s_and_saveexec_b64 s[0:1], s[60:61]
	s_cbranch_execz .LBB591_95
.LBB591_128:
	v_fma_mixlo_f16 v3, -v2, v68, v65
	global_store_short v[0:1], v3, off offset:1856
	s_or_b64 exec, exec, s[0:1]
	s_and_saveexec_b64 s[0:1], s[62:63]
	s_cbranch_execz .LBB591_96
.LBB591_129:
	v_fma_mixlo_f16 v3, -v2, v70, v69
	global_store_short v[0:1], v3, off offset:1920
	s_or_b64 exec, exec, s[0:1]
	s_and_b64 exec, exec, s[64:65]
	s_cbranch_execnz .LBB591_97
	s_branch .LBB591_98
	.section	.rodata,"a",@progbits
	.p2align	6, 0x0
	.amdhsa_kernel _ZN12_GLOBAL__N_121softmax_warp_backwardIN3c104HalfES2_fLi10ELb0ELb0ELi32EEEvPT0_PKT_S7_iiiPKb
		.amdhsa_group_segment_fixed_size 0
		.amdhsa_private_segment_fixed_size 0
		.amdhsa_kernarg_size 304
		.amdhsa_user_sgpr_count 6
		.amdhsa_user_sgpr_private_segment_buffer 1
		.amdhsa_user_sgpr_dispatch_ptr 0
		.amdhsa_user_sgpr_queue_ptr 0
		.amdhsa_user_sgpr_kernarg_segment_ptr 1
		.amdhsa_user_sgpr_dispatch_id 0
		.amdhsa_user_sgpr_flat_scratch_init 0
		.amdhsa_user_sgpr_kernarg_preload_length 0
		.amdhsa_user_sgpr_kernarg_preload_offset 0
		.amdhsa_user_sgpr_private_segment_size 0
		.amdhsa_uses_dynamic_stack 0
		.amdhsa_system_sgpr_private_segment_wavefront_offset 0
		.amdhsa_system_sgpr_workgroup_id_x 1
		.amdhsa_system_sgpr_workgroup_id_y 0
		.amdhsa_system_sgpr_workgroup_id_z 0
		.amdhsa_system_sgpr_workgroup_info 0
		.amdhsa_system_vgpr_workitem_id 1
		.amdhsa_next_free_vgpr 71
		.amdhsa_next_free_sgpr 72
		.amdhsa_accum_offset 72
		.amdhsa_reserve_vcc 1
		.amdhsa_reserve_flat_scratch 0
		.amdhsa_float_round_mode_32 0
		.amdhsa_float_round_mode_16_64 0
		.amdhsa_float_denorm_mode_32 3
		.amdhsa_float_denorm_mode_16_64 3
		.amdhsa_dx10_clamp 1
		.amdhsa_ieee_mode 1
		.amdhsa_fp16_overflow 0
		.amdhsa_tg_split 0
		.amdhsa_exception_fp_ieee_invalid_op 0
		.amdhsa_exception_fp_denorm_src 0
		.amdhsa_exception_fp_ieee_div_zero 0
		.amdhsa_exception_fp_ieee_overflow 0
		.amdhsa_exception_fp_ieee_underflow 0
		.amdhsa_exception_fp_ieee_inexact 0
		.amdhsa_exception_int_div_zero 0
	.end_amdhsa_kernel
	.section	.text._ZN12_GLOBAL__N_121softmax_warp_backwardIN3c104HalfES2_fLi10ELb0ELb0ELi32EEEvPT0_PKT_S7_iiiPKb,"axG",@progbits,_ZN12_GLOBAL__N_121softmax_warp_backwardIN3c104HalfES2_fLi10ELb0ELb0ELi32EEEvPT0_PKT_S7_iiiPKb,comdat
.Lfunc_end591:
	.size	_ZN12_GLOBAL__N_121softmax_warp_backwardIN3c104HalfES2_fLi10ELb0ELb0ELi32EEEvPT0_PKT_S7_iiiPKb, .Lfunc_end591-_ZN12_GLOBAL__N_121softmax_warp_backwardIN3c104HalfES2_fLi10ELb0ELb0ELi32EEEvPT0_PKT_S7_iiiPKb
                                        ; -- End function
	.section	.AMDGPU.csdata,"",@progbits
; Kernel info:
; codeLenInByte = 4076
; NumSgprs: 76
; NumVgprs: 71
; NumAgprs: 0
; TotalNumVgprs: 71
; ScratchSize: 0
; MemoryBound: 0
; FloatMode: 240
; IeeeMode: 1
; LDSByteSize: 0 bytes/workgroup (compile time only)
; SGPRBlocks: 9
; VGPRBlocks: 8
; NumSGPRsForWavesPerEU: 76
; NumVGPRsForWavesPerEU: 71
; AccumOffset: 72
; Occupancy: 7
; WaveLimiterHint : 0
; COMPUTE_PGM_RSRC2:SCRATCH_EN: 0
; COMPUTE_PGM_RSRC2:USER_SGPR: 6
; COMPUTE_PGM_RSRC2:TRAP_HANDLER: 0
; COMPUTE_PGM_RSRC2:TGID_X_EN: 1
; COMPUTE_PGM_RSRC2:TGID_Y_EN: 0
; COMPUTE_PGM_RSRC2:TGID_Z_EN: 0
; COMPUTE_PGM_RSRC2:TIDIG_COMP_CNT: 1
; COMPUTE_PGM_RSRC3_GFX90A:ACCUM_OFFSET: 17
; COMPUTE_PGM_RSRC3_GFX90A:TG_SPLIT: 0
	.section	.text._ZN2at6native12_GLOBAL__N_124cunn_SoftMaxBackwardSmemILi8EN3c104HalfEfS4_NS1_23SoftMaxBackwardEpilogueEEEvPT0_PKT2_SA_l,"axG",@progbits,_ZN2at6native12_GLOBAL__N_124cunn_SoftMaxBackwardSmemILi8EN3c104HalfEfS4_NS1_23SoftMaxBackwardEpilogueEEEvPT0_PKT2_SA_l,comdat
	.globl	_ZN2at6native12_GLOBAL__N_124cunn_SoftMaxBackwardSmemILi8EN3c104HalfEfS4_NS1_23SoftMaxBackwardEpilogueEEEvPT0_PKT2_SA_l ; -- Begin function _ZN2at6native12_GLOBAL__N_124cunn_SoftMaxBackwardSmemILi8EN3c104HalfEfS4_NS1_23SoftMaxBackwardEpilogueEEEvPT0_PKT2_SA_l
	.p2align	8
	.type	_ZN2at6native12_GLOBAL__N_124cunn_SoftMaxBackwardSmemILi8EN3c104HalfEfS4_NS1_23SoftMaxBackwardEpilogueEEEvPT0_PKT2_SA_l,@function
_ZN2at6native12_GLOBAL__N_124cunn_SoftMaxBackwardSmemILi8EN3c104HalfEfS4_NS1_23SoftMaxBackwardEpilogueEEEvPT0_PKT2_SA_l: ; @_ZN2at6native12_GLOBAL__N_124cunn_SoftMaxBackwardSmemILi8EN3c104HalfEfS4_NS1_23SoftMaxBackwardEpilogueEEEvPT0_PKT2_SA_l
; %bb.0:
	s_load_dwordx8 s[8:15], s[4:5], 0x0
	v_lshlrev_b32_e32 v2, 3, v0
	v_mov_b32_e32 v3, 0
	v_lshl_add_u32 v8, v0, 4, 0
	s_waitcnt lgkmcnt(0)
	s_mul_i32 s0, s6, s15
	s_mul_hi_u32 s1, s6, s14
	s_mul_i32 s2, s6, s14
	s_add_i32 s3, s1, s0
	v_cmp_gt_i64_e32 vcc, s[14:15], v[2:3]
	s_and_saveexec_b64 s[6:7], vcc
	s_cbranch_execz .LBB592_4
; %bb.1:
	s_load_dword s17, s[4:5], 0x2c
	s_lshl_b64 s[0:1], s[2:3], 1
	s_add_u32 s16, s12, s0
	s_addc_u32 s0, s13, s1
	v_lshl_add_u32 v1, v0, 4, 0
	s_waitcnt lgkmcnt(0)
	s_and_b32 s17, s17, 0xffff
	v_add_lshl_u32 v4, v0, s17, 3
	s_lshl_b32 s18, s17, 3
	s_lshl_b32 s19, s17, 4
	s_mov_b64 s[12:13], 0
	v_mov_b32_e32 v3, 0
	v_mov_b32_e32 v2, s0
	;; [unrolled: 1-line block ×3, first 2 shown]
.LBB592_2:                              ; =>This Inner Loop Header: Depth=1
	v_ashrrev_i32_e32 v7, 31, v6
	v_lshlrev_b64 v[10:11], 4, v[6:7]
	v_add_co_u32_e64 v10, s[0:1], s16, v10
	v_addc_co_u32_e64 v11, s[0:1], v2, v11, s[0:1]
	global_load_dwordx4 v[10:13], v[10:11], off
	v_ashrrev_i32_e32 v5, 31, v4
	v_cmp_le_i64_e64 s[0:1], s[14:15], v[4:5]
	v_add_u32_e32 v6, s17, v6
	v_add_u32_e32 v4, s18, v4
	s_or_b64 s[12:13], s[0:1], s[12:13]
	s_waitcnt vmcnt(0)
	v_cvt_f32_f16_e32 v5, v10
	v_cvt_f32_f16_sdwa v7, v10 dst_sel:DWORD dst_unused:UNUSED_PAD src0_sel:WORD_1
	v_cvt_f32_f16_e32 v9, v11
	ds_write_b128 v1, v[10:13]
	v_cvt_f32_f16_sdwa v10, v11 dst_sel:DWORD dst_unused:UNUSED_PAD src0_sel:WORD_1
	v_cvt_f32_f16_e32 v11, v12
	v_add_f32_e32 v3, v3, v5
	v_cvt_f32_f16_sdwa v12, v12 dst_sel:DWORD dst_unused:UNUSED_PAD src0_sel:WORD_1
	v_add_f32_e32 v3, v3, v7
	v_cvt_f32_f16_e32 v14, v13
	v_add_f32_e32 v3, v3, v9
	v_cvt_f32_f16_sdwa v13, v13 dst_sel:DWORD dst_unused:UNUSED_PAD src0_sel:WORD_1
	v_add_f32_e32 v3, v3, v10
	v_add_f32_e32 v3, v3, v11
	;; [unrolled: 1-line block ×4, first 2 shown]
	v_add_u32_e32 v1, s19, v1
	v_add_f32_e32 v3, v3, v13
	s_andn2_b64 exec, exec, s[12:13]
	s_cbranch_execnz .LBB592_2
; %bb.3:
	s_or_b64 exec, exec, s[12:13]
.LBB592_4:
	s_or_b64 exec, exec, s[6:7]
	v_mbcnt_lo_u32_b32 v1, -1, 0
	v_mbcnt_hi_u32_b32 v6, -1, v1
	v_and_b32_e32 v10, 63, v6
	v_cmp_gt_u32_e64 s[0:1], 32, v10
	v_cndmask_b32_e64 v1, 0, 1, s[0:1]
	v_lshlrev_b32_e32 v1, 5, v1
	v_add_lshl_u32 v1, v1, v6, 2
	ds_bpermute_b32 v2, v1, v3
	v_cmp_gt_u32_e64 s[0:1], 48, v10
	v_cndmask_b32_e64 v4, 0, 1, s[0:1]
	v_lshlrev_b32_e32 v4, 4, v4
	v_cmp_gt_u32_e64 s[0:1], 56, v10
	s_waitcnt lgkmcnt(0)
	v_add_f32_e32 v3, v3, v2
	v_add_lshl_u32 v2, v4, v6, 2
	ds_bpermute_b32 v4, v2, v3
	v_cndmask_b32_e64 v5, 0, 1, s[0:1]
	v_lshlrev_b32_e32 v5, 3, v5
	v_cmp_gt_u32_e64 s[0:1], 60, v10
	v_cndmask_b32_e64 v7, 0, 1, s[0:1]
	s_waitcnt lgkmcnt(0)
	v_add_f32_e32 v4, v3, v4
	v_add_lshl_u32 v3, v5, v6, 2
	ds_bpermute_b32 v5, v3, v4
	v_lshlrev_b32_e32 v7, 2, v7
	v_cmp_gt_u32_e64 s[0:1], 62, v10
	v_cndmask_b32_e64 v9, 0, 1, s[0:1]
	v_lshlrev_b32_e32 v9, 1, v9
	s_waitcnt lgkmcnt(0)
	v_add_f32_e32 v5, v4, v5
	v_add_lshl_u32 v4, v7, v6, 2
	ds_bpermute_b32 v7, v4, v5
	s_lshl_b32 s0, s14, 1
	s_add_i32 s12, s0, 0
	v_cmp_ne_u32_e64 s[0:1], 63, v10
	s_waitcnt lgkmcnt(0)
	v_add_f32_e32 v11, v5, v7
	v_add_lshl_u32 v5, v9, v6, 2
	ds_bpermute_b32 v9, v5, v11
	v_addc_co_u32_e64 v6, s[0:1], 0, v6, s[0:1]
	v_lshlrev_b32_e32 v6, 2, v6
	v_and_b32_e32 v7, 63, v0
	s_waitcnt lgkmcnt(0)
	v_add_f32_e32 v9, v11, v9
	ds_bpermute_b32 v10, v6, v9
	v_cmp_eq_u32_e64 s[0:1], 0, v7
	s_barrier
	s_waitcnt lgkmcnt(0)
	s_and_saveexec_b64 s[6:7], s[0:1]
	s_cbranch_execz .LBB592_6
; %bb.5:
	v_lshrrev_b32_e32 v11, 4, v0
	v_add_u32_e32 v11, s12, v11
	v_add_f32_e32 v9, v9, v10
	ds_write_b32 v11, v9
.LBB592_6:
	s_or_b64 exec, exec, s[6:7]
	s_waitcnt lgkmcnt(0)
	s_barrier
	s_load_dword s6, s[4:5], 0x2c
	v_mov_b32_e32 v9, 0
	s_waitcnt lgkmcnt(0)
	s_bfe_u32 s0, s6, 0xa0006
	v_cmp_gt_u32_e64 s[0:1], s0, v0
	s_and_saveexec_b64 s[4:5], s[0:1]
	s_cbranch_execnz .LBB592_14
; %bb.7:
	s_or_b64 exec, exec, s[4:5]
	v_cmp_gt_u32_e64 s[0:1], 64, v0
	s_and_saveexec_b64 s[4:5], s[0:1]
	s_cbranch_execnz .LBB592_15
.LBB592_8:
	s_or_b64 exec, exec, s[4:5]
	v_cmp_eq_u32_e64 s[0:1], 0, v0
	s_and_saveexec_b64 s[4:5], s[0:1]
	s_cbranch_execz .LBB592_10
.LBB592_9:
	v_mov_b32_e32 v1, s12
	s_waitcnt lgkmcnt(0)
	ds_write_b32 v1, v9
.LBB592_10:
	s_or_b64 exec, exec, s[4:5]
	s_waitcnt lgkmcnt(0)
	s_barrier
	s_and_saveexec_b64 s[0:1], vcc
	s_cbranch_execz .LBB592_13
; %bb.11:
	v_mov_b32_e32 v1, s12
	ds_read_b32 v2, v1
	s_and_b32 s4, s6, 0xffff
	s_lshl_b64 s[0:1], s[2:3], 1
	s_add_u32 s5, s8, s0
	s_addc_u32 s9, s9, s1
	s_add_u32 s6, s10, s0
	s_addc_u32 s0, s11, s1
	s_waitcnt lgkmcnt(0)
	v_xor_b32_e32 v6, 0x80000000, v2
	v_mov_b32_e32 v3, v2
	v_add_lshl_u32 v4, v0, s4, 3
	s_lshl_b32 s7, s4, 3
	s_lshl_b32 s8, s4, 4
	s_mov_b64 s[2:3], 0
	v_mov_b32_e32 v9, s0
	v_mov_b32_e32 v10, s9
	;; [unrolled: 1-line block ×3, first 2 shown]
.LBB592_12:                             ; =>This Inner Loop Header: Depth=1
	v_ashrrev_i32_e32 v1, 31, v0
	v_lshlrev_b64 v[20:21], 4, v[0:1]
	v_add_co_u32_e32 v12, vcc, s6, v20
	v_addc_co_u32_e32 v13, vcc, v9, v21, vcc
	global_load_dwordx4 v[12:15], v[12:13], off
	ds_read_b128 v[16:19], v8
	v_ashrrev_i32_e32 v5, 31, v4
	v_cmp_le_i64_e32 vcc, s[14:15], v[4:5]
	v_add_co_u32_e64 v20, s[0:1], s5, v20
	s_waitcnt lgkmcnt(0)
	v_cvt_f32_f16_sdwa v23, v16 dst_sel:DWORD dst_unused:UNUSED_PAD src0_sel:WORD_1
	v_cvt_f32_f16_sdwa v25, v17 dst_sel:DWORD dst_unused:UNUSED_PAD src0_sel:WORD_1
	v_cvt_f32_f16_e32 v22, v16
	v_cvt_f32_f16_e32 v24, v17
	v_cvt_f32_f16_sdwa v17, v18 dst_sel:DWORD dst_unused:UNUSED_PAD src0_sel:WORD_1
	v_cvt_f32_f16_sdwa v27, v19 dst_sel:DWORD dst_unused:UNUSED_PAD src0_sel:WORD_1
	v_cvt_f32_f16_e32 v16, v18
	v_cvt_f32_f16_e32 v26, v19
	v_add_u32_e32 v8, s8, v8
	v_add_u32_e32 v0, s4, v0
	;; [unrolled: 1-line block ×3, first 2 shown]
	v_addc_co_u32_e64 v21, s[0:1], v10, v21, s[0:1]
	s_or_b64 s[2:3], vcc, s[2:3]
	s_waitcnt vmcnt(0)
	v_cvt_f32_f16_e32 v18, v12
	v_cvt_f32_f16_sdwa v19, v12 dst_sel:DWORD dst_unused:UNUSED_PAD src0_sel:WORD_1
	v_cvt_f32_f16_e32 v12, v13
	v_cvt_f32_f16_sdwa v13, v13 dst_sel:DWORD dst_unused:UNUSED_PAD src0_sel:WORD_1
	v_cvt_f32_f16_e32 v28, v14
	v_cvt_f32_f16_e32 v30, v15
	v_cvt_f32_f16_sdwa v31, v15 dst_sel:DWORD dst_unused:UNUSED_PAD src0_sel:WORD_1
	v_cvt_f32_f16_sdwa v29, v14 dst_sel:DWORD dst_unused:UNUSED_PAD src0_sel:WORD_1
	v_pk_fma_f32 v[12:13], v[6:7], v[12:13], v[24:25]
	v_pk_fma_f32 v[14:15], v[2:3], v[18:19], v[22:23] neg_lo:[1,0,0] neg_hi:[1,0,0]
	v_pk_fma_f32 v[18:19], v[6:7], v[30:31], v[26:27]
	v_pk_fma_f32 v[16:17], v[2:3], v[28:29], v[16:17] neg_lo:[1,0,0] neg_hi:[1,0,0]
	v_cvt_f16_f32_e32 v1, v13
	v_cvt_f16_f32_e32 v5, v12
	;; [unrolled: 1-line block ×8, first 2 shown]
	v_pack_b32_f16 v15, v13, v12
	v_pack_b32_f16 v13, v5, v1
	;; [unrolled: 1-line block ×4, first 2 shown]
	global_store_dwordx4 v[20:21], v[12:15], off
	s_andn2_b64 exec, exec, s[2:3]
	s_cbranch_execnz .LBB592_12
.LBB592_13:
	s_endpgm
.LBB592_14:
	v_lshl_add_u32 v7, v7, 2, s12
	ds_read_b32 v9, v7
	s_or_b64 exec, exec, s[4:5]
	v_cmp_gt_u32_e64 s[0:1], 64, v0
	s_and_saveexec_b64 s[4:5], s[0:1]
	s_cbranch_execz .LBB592_8
.LBB592_15:
	s_waitcnt lgkmcnt(0)
	ds_bpermute_b32 v1, v1, v9
	s_waitcnt lgkmcnt(0)
	v_add_f32_e32 v1, v9, v1
	ds_bpermute_b32 v2, v2, v1
	s_waitcnt lgkmcnt(0)
	v_add_f32_e32 v1, v1, v2
	ds_bpermute_b32 v2, v3, v1
	s_waitcnt lgkmcnt(0)
	v_add_f32_e32 v1, v1, v2
	ds_bpermute_b32 v2, v4, v1
	s_waitcnt lgkmcnt(0)
	v_add_f32_e32 v1, v1, v2
	ds_bpermute_b32 v2, v5, v1
	s_waitcnt lgkmcnt(0)
	v_add_f32_e32 v1, v1, v2
	ds_bpermute_b32 v2, v6, v1
	s_waitcnt lgkmcnt(0)
	v_add_f32_e32 v9, v1, v2
	s_or_b64 exec, exec, s[4:5]
	v_cmp_eq_u32_e64 s[0:1], 0, v0
	s_and_saveexec_b64 s[4:5], s[0:1]
	s_cbranch_execnz .LBB592_9
	s_branch .LBB592_10
	.section	.rodata,"a",@progbits
	.p2align	6, 0x0
	.amdhsa_kernel _ZN2at6native12_GLOBAL__N_124cunn_SoftMaxBackwardSmemILi8EN3c104HalfEfS4_NS1_23SoftMaxBackwardEpilogueEEEvPT0_PKT2_SA_l
		.amdhsa_group_segment_fixed_size 0
		.amdhsa_private_segment_fixed_size 0
		.amdhsa_kernarg_size 288
		.amdhsa_user_sgpr_count 6
		.amdhsa_user_sgpr_private_segment_buffer 1
		.amdhsa_user_sgpr_dispatch_ptr 0
		.amdhsa_user_sgpr_queue_ptr 0
		.amdhsa_user_sgpr_kernarg_segment_ptr 1
		.amdhsa_user_sgpr_dispatch_id 0
		.amdhsa_user_sgpr_flat_scratch_init 0
		.amdhsa_user_sgpr_kernarg_preload_length 0
		.amdhsa_user_sgpr_kernarg_preload_offset 0
		.amdhsa_user_sgpr_private_segment_size 0
		.amdhsa_uses_dynamic_stack 0
		.amdhsa_system_sgpr_private_segment_wavefront_offset 0
		.amdhsa_system_sgpr_workgroup_id_x 1
		.amdhsa_system_sgpr_workgroup_id_y 0
		.amdhsa_system_sgpr_workgroup_id_z 0
		.amdhsa_system_sgpr_workgroup_info 0
		.amdhsa_system_vgpr_workitem_id 0
		.amdhsa_next_free_vgpr 32
		.amdhsa_next_free_sgpr 20
		.amdhsa_accum_offset 32
		.amdhsa_reserve_vcc 1
		.amdhsa_reserve_flat_scratch 0
		.amdhsa_float_round_mode_32 0
		.amdhsa_float_round_mode_16_64 0
		.amdhsa_float_denorm_mode_32 3
		.amdhsa_float_denorm_mode_16_64 3
		.amdhsa_dx10_clamp 1
		.amdhsa_ieee_mode 1
		.amdhsa_fp16_overflow 0
		.amdhsa_tg_split 0
		.amdhsa_exception_fp_ieee_invalid_op 0
		.amdhsa_exception_fp_denorm_src 0
		.amdhsa_exception_fp_ieee_div_zero 0
		.amdhsa_exception_fp_ieee_overflow 0
		.amdhsa_exception_fp_ieee_underflow 0
		.amdhsa_exception_fp_ieee_inexact 0
		.amdhsa_exception_int_div_zero 0
	.end_amdhsa_kernel
	.section	.text._ZN2at6native12_GLOBAL__N_124cunn_SoftMaxBackwardSmemILi8EN3c104HalfEfS4_NS1_23SoftMaxBackwardEpilogueEEEvPT0_PKT2_SA_l,"axG",@progbits,_ZN2at6native12_GLOBAL__N_124cunn_SoftMaxBackwardSmemILi8EN3c104HalfEfS4_NS1_23SoftMaxBackwardEpilogueEEEvPT0_PKT2_SA_l,comdat
.Lfunc_end592:
	.size	_ZN2at6native12_GLOBAL__N_124cunn_SoftMaxBackwardSmemILi8EN3c104HalfEfS4_NS1_23SoftMaxBackwardEpilogueEEEvPT0_PKT2_SA_l, .Lfunc_end592-_ZN2at6native12_GLOBAL__N_124cunn_SoftMaxBackwardSmemILi8EN3c104HalfEfS4_NS1_23SoftMaxBackwardEpilogueEEEvPT0_PKT2_SA_l
                                        ; -- End function
	.section	.AMDGPU.csdata,"",@progbits
; Kernel info:
; codeLenInByte = 1296
; NumSgprs: 24
; NumVgprs: 32
; NumAgprs: 0
; TotalNumVgprs: 32
; ScratchSize: 0
; MemoryBound: 0
; FloatMode: 240
; IeeeMode: 1
; LDSByteSize: 0 bytes/workgroup (compile time only)
; SGPRBlocks: 2
; VGPRBlocks: 3
; NumSGPRsForWavesPerEU: 24
; NumVGPRsForWavesPerEU: 32
; AccumOffset: 32
; Occupancy: 8
; WaveLimiterHint : 0
; COMPUTE_PGM_RSRC2:SCRATCH_EN: 0
; COMPUTE_PGM_RSRC2:USER_SGPR: 6
; COMPUTE_PGM_RSRC2:TRAP_HANDLER: 0
; COMPUTE_PGM_RSRC2:TGID_X_EN: 1
; COMPUTE_PGM_RSRC2:TGID_Y_EN: 0
; COMPUTE_PGM_RSRC2:TGID_Z_EN: 0
; COMPUTE_PGM_RSRC2:TIDIG_COMP_CNT: 0
; COMPUTE_PGM_RSRC3_GFX90A:ACCUM_OFFSET: 7
; COMPUTE_PGM_RSRC3_GFX90A:TG_SPLIT: 0
	.section	.text._ZN2at6native12_GLOBAL__N_120cunn_SoftMaxBackwardILi8EN3c104HalfEfS4_NS1_23SoftMaxBackwardEpilogueEEEvPT0_PKT2_SA_l,"axG",@progbits,_ZN2at6native12_GLOBAL__N_120cunn_SoftMaxBackwardILi8EN3c104HalfEfS4_NS1_23SoftMaxBackwardEpilogueEEEvPT0_PKT2_SA_l,comdat
	.globl	_ZN2at6native12_GLOBAL__N_120cunn_SoftMaxBackwardILi8EN3c104HalfEfS4_NS1_23SoftMaxBackwardEpilogueEEEvPT0_PKT2_SA_l ; -- Begin function _ZN2at6native12_GLOBAL__N_120cunn_SoftMaxBackwardILi8EN3c104HalfEfS4_NS1_23SoftMaxBackwardEpilogueEEEvPT0_PKT2_SA_l
	.p2align	8
	.type	_ZN2at6native12_GLOBAL__N_120cunn_SoftMaxBackwardILi8EN3c104HalfEfS4_NS1_23SoftMaxBackwardEpilogueEEEvPT0_PKT2_SA_l,@function
_ZN2at6native12_GLOBAL__N_120cunn_SoftMaxBackwardILi8EN3c104HalfEfS4_NS1_23SoftMaxBackwardEpilogueEEEvPT0_PKT2_SA_l: ; @_ZN2at6native12_GLOBAL__N_120cunn_SoftMaxBackwardILi8EN3c104HalfEfS4_NS1_23SoftMaxBackwardEpilogueEEEvPT0_PKT2_SA_l
; %bb.0:
	s_load_dwordx8 s[8:15], s[4:5], 0x0
	v_mov_b32_e32 v2, 0x7ffffffe
	v_mov_b32_e32 v3, 0
	s_mov_b32 s31, 0
	s_waitcnt lgkmcnt(0)
	s_mul_i32 s1, s6, s15
	s_mul_hi_u32 s2, s6, s14
	s_mul_i32 s0, s6, s14
	s_add_i32 s1, s2, s1
	s_lshl_b64 s[26:27], s[0:1], 1
	s_add_u32 s16, s12, s26
	s_addc_u32 s17, s13, s27
	s_bfe_u32 s30, s16, 0x30001
	v_cmp_gt_i64_e64 s[0:1], s[14:15], v[2:3]
	s_cmp_lg_u32 s30, 0
	s_cselect_b64 s[2:3], -1, 0
	s_and_b64 vcc, exec, s[0:1]
	s_cbranch_vccz .LBB593_16
; %bb.1:
	v_mov_b32_e32 v1, 0
	s_and_b64 vcc, exec, s[2:3]
	s_cbranch_vccz .LBB593_39
; %bb.2:
	s_lshl_b32 s7, s30, 1
	s_sub_u32 s20, s16, s7
	s_subb_u32 s21, s17, 0
	v_cmp_le_u64_e32 vcc, s[30:31], v[0:1]
	v_mov_b32_e32 v8, v1
	s_and_saveexec_b64 s[18:19], vcc
	s_cbranch_execz .LBB593_4
; %bb.3:
	v_lshlrev_b32_e32 v2, 1, v0
	global_load_ushort v2, v2, s[20:21]
	s_waitcnt vmcnt(0)
	v_cvt_f32_f16_e32 v2, v2
	v_add_f32_e32 v8, 0, v2
.LBB593_4:
	s_or_b64 exec, exec, s[18:19]
	s_load_dword s7, s[4:5], 0x2c
	s_add_u32 s18, s30, s14
	s_addc_u32 s19, 0, s15
	s_add_u32 s22, s4, 32
	s_addc_u32 s23, s5, 0
	s_waitcnt lgkmcnt(0)
	s_and_b32 s7, s7, 0xffff
	s_sub_u32 s18, s18, s7
	s_subb_u32 s19, s19, 0
	s_lshl_b32 s7, s7, 1
	s_add_u32 s20, s20, s7
	s_addc_u32 s21, s21, 0
	s_branch .LBB593_6
.LBB593_5:
	s_add_u32 s22, s4, 32
	s_addc_u32 s23, s5, 0
	v_mov_b32_e32 v8, 0
	s_mov_b64 s[18:19], s[14:15]
	s_mov_b64 s[20:21], s[16:17]
.LBB593_6:
	s_load_dword s7, s[22:23], 0x0
	v_mov_b32_e32 v2, 0
	s_waitcnt lgkmcnt(0)
	s_cmp_lt_u32 s6, s7
	s_cselect_b32 s7, 12, 18
	s_add_u32 s22, s22, s7
	s_addc_u32 s23, s23, 0
	global_load_ushort v2, v2, s[22:23]
	s_mov_b32 s22, 0
	s_mov_b32 s23, s19
	s_waitcnt vmcnt(0)
	v_readfirstlane_b32 s7, v2
	s_and_b32 s7, 0xffff, s7
	s_lshl_b32 s7, s7, 3
	s_cmp_lg_u64 s[22:23], 0
	v_and_b32_e32 v9, 0xffff, v2
	s_cbranch_scc0 .LBB593_40
; %bb.7:
	v_cvt_f32_u32_e32 v2, s7
	v_mov_b32_e32 v3, 0x4f800000
	s_sub_u32 s24, 0, s7
	s_subb_u32 s25, 0, 0
	v_mac_f32_e32 v2, 0, v3
	v_rcp_f32_e32 v2, v2
	v_mul_f32_e32 v2, 0x5f7ffffc, v2
	v_mul_f32_e32 v3, 0x2f800000, v2
	v_trunc_f32_e32 v3, v3
	v_madmk_f32 v2, v3, 0xcf800000, v2
	v_cvt_u32_f32_e32 v3, v3
	v_cvt_u32_f32_e32 v2, v2
	v_readfirstlane_b32 s28, v3
	v_readfirstlane_b32 s29, v2
	s_mul_i32 s33, s24, s28
	s_mul_hi_u32 s35, s24, s29
	s_mul_i32 s34, s25, s29
	s_add_i32 s33, s35, s33
	s_add_i32 s33, s33, s34
	s_mul_i32 s36, s24, s29
	s_mul_hi_u32 s34, s29, s33
	s_mul_i32 s35, s29, s33
	s_mul_hi_u32 s29, s29, s36
	s_add_u32 s29, s29, s35
	s_addc_u32 s34, 0, s34
	s_mul_hi_u32 s37, s28, s36
	s_mul_i32 s36, s28, s36
	s_add_u32 s29, s29, s36
	s_mul_hi_u32 s35, s28, s33
	s_addc_u32 s29, s34, s37
	s_addc_u32 s34, s35, 0
	s_mul_i32 s33, s28, s33
	s_add_u32 s29, s29, s33
	s_addc_u32 s33, 0, s34
	v_add_co_u32_e32 v2, vcc, s29, v2
	s_cmp_lg_u64 vcc, 0
	s_addc_u32 s28, s28, s33
	v_readfirstlane_b32 s33, v2
	s_mul_i32 s29, s24, s28
	s_mul_hi_u32 s34, s24, s33
	s_add_i32 s29, s34, s29
	s_mul_i32 s25, s25, s33
	s_add_i32 s29, s29, s25
	s_mul_i32 s24, s24, s33
	s_mul_hi_u32 s34, s28, s24
	s_mul_i32 s35, s28, s24
	s_mul_i32 s37, s33, s29
	s_mul_hi_u32 s24, s33, s24
	s_mul_hi_u32 s36, s33, s29
	s_add_u32 s24, s24, s37
	s_addc_u32 s33, 0, s36
	s_add_u32 s24, s24, s35
	s_mul_hi_u32 s25, s28, s29
	s_addc_u32 s24, s33, s34
	s_addc_u32 s25, s25, 0
	s_mul_i32 s29, s28, s29
	s_add_u32 s24, s24, s29
	s_addc_u32 s25, 0, s25
	v_add_co_u32_e32 v2, vcc, s24, v2
	s_cmp_lg_u64 vcc, 0
	s_addc_u32 s24, s28, s25
	v_readfirstlane_b32 s29, v2
	s_mul_i32 s28, s18, s24
	s_mul_hi_u32 s33, s18, s29
	s_mul_hi_u32 s25, s18, s24
	s_add_u32 s28, s33, s28
	s_addc_u32 s25, 0, s25
	s_mul_hi_u32 s34, s19, s29
	s_mul_i32 s29, s19, s29
	s_add_u32 s28, s28, s29
	s_mul_hi_u32 s33, s19, s24
	s_addc_u32 s25, s25, s34
	s_addc_u32 s28, s33, 0
	s_mul_i32 s24, s19, s24
	s_add_u32 s24, s25, s24
	s_addc_u32 s25, 0, s28
	s_mul_hi_u32 s28, s7, s24
	s_mul_i32 s24, s7, s24
	s_mul_i32 s25, s7, s25
	v_mov_b32_e32 v2, s24
	s_add_i32 s28, s28, s25
	v_sub_co_u32_e32 v2, vcc, s18, v2
	s_cmp_lg_u64 vcc, 0
	s_subb_u32 s24, s19, s28
	v_subrev_co_u32_e32 v3, vcc, s7, v2
	s_cmp_lg_u64 vcc, 0
	s_subb_u32 s25, s24, 0
	v_subrev_co_u32_e32 v4, vcc, s7, v3
	s_cmp_lg_u64 vcc, 0
	s_subb_u32 s28, s25, 0
	v_cmp_le_u32_e32 vcc, s7, v3
	s_cmp_eq_u32 s25, 0
	v_cndmask_b32_e64 v5, 0, -1, vcc
	s_cselect_b64 vcc, -1, 0
	v_cndmask_b32_e32 v5, -1, v5, vcc
	v_mov_b32_e32 v6, s25
	v_mov_b32_e32 v7, s28
	v_cmp_ne_u32_e32 vcc, 0, v5
	v_cndmask_b32_e32 v5, v6, v7, vcc
	v_cndmask_b32_e32 v4, v3, v4, vcc
	v_cmp_le_u32_e32 vcc, s7, v2
	s_cmp_eq_u32 s24, 0
	v_cndmask_b32_e64 v3, 0, -1, vcc
	s_cselect_b64 vcc, -1, 0
	v_cndmask_b32_e32 v3, -1, v3, vcc
	v_mov_b32_e32 v6, s24
	v_cmp_ne_u32_e32 vcc, 0, v3
	v_cndmask_b32_e32 v3, v6, v5, vcc
	v_cndmask_b32_e32 v2, v2, v4, vcc
	s_cbranch_execnz .LBB593_9
.LBB593_8:
	v_cvt_f32_u32_e32 v2, s7
	s_sub_i32 s22, 0, s7
	v_rcp_iflag_f32_e32 v2, v2
	v_mul_f32_e32 v2, 0x4f7ffffe, v2
	v_cvt_u32_f32_e32 v2, v2
	v_mul_lo_u32 v3, s22, v2
	v_mul_hi_u32 v3, v2, v3
	v_add_u32_e32 v2, v2, v3
	v_mul_hi_u32 v2, s18, v2
	v_mul_lo_u32 v2, v2, s7
	v_sub_u32_e32 v2, s18, v2
	v_subrev_u32_e32 v3, s7, v2
	v_cmp_le_u32_e32 vcc, s7, v2
	v_cndmask_b32_e32 v2, v2, v3, vcc
	v_subrev_u32_e32 v3, s7, v2
	v_cmp_le_u32_e32 vcc, s7, v2
	v_cndmask_b32_e32 v2, v2, v3, vcc
	v_mov_b32_e32 v3, 0
.LBB593_9:
	v_mov_b32_e32 v4, s19
	v_sub_co_u32_e32 v2, vcc, s18, v2
	v_subb_co_u32_e32 v3, vcc, v4, v3, vcc
	v_lshlrev_b32_e32 v4, 4, v0
	v_mov_b32_e32 v5, s21
	v_add_co_u32_e32 v4, vcc, s20, v4
	v_addc_co_u32_e32 v5, vcc, 0, v5, vcc
	v_lshlrev_b32_e32 v10, 4, v9
	s_mov_b64 s[22:23], 0
	v_pk_mov_b32 v[6:7], v[0:1], v[0:1] op_sel:[0,1]
.LBB593_10:                             ; =>This Inner Loop Header: Depth=1
	global_load_dwordx4 v[12:15], v[4:5], off
	v_add_co_u32_e32 v6, vcc, v6, v9
	v_addc_co_u32_e32 v7, vcc, 0, v7, vcc
	v_add_co_u32_e32 v4, vcc, v4, v10
	v_addc_co_u32_e32 v5, vcc, 0, v5, vcc
	v_lshlrev_b64 v[16:17], 3, v[6:7]
	v_cmp_ge_i64_e32 vcc, v[16:17], v[2:3]
	s_or_b64 s[22:23], vcc, s[22:23]
	s_waitcnt vmcnt(0)
	v_cvt_f32_f16_e32 v1, v12
	v_cvt_f32_f16_sdwa v11, v12 dst_sel:DWORD dst_unused:UNUSED_PAD src0_sel:WORD_1
	v_cvt_f32_f16_e32 v12, v13
	v_cvt_f32_f16_sdwa v13, v13 dst_sel:DWORD dst_unused:UNUSED_PAD src0_sel:WORD_1
	v_cvt_f32_f16_e32 v16, v14
	v_add_f32_e32 v1, v8, v1
	v_cvt_f32_f16_sdwa v14, v14 dst_sel:DWORD dst_unused:UNUSED_PAD src0_sel:WORD_1
	v_add_f32_e32 v1, v1, v11
	v_cvt_f32_f16_e32 v17, v15
	v_add_f32_e32 v1, v1, v12
	v_cvt_f32_f16_sdwa v15, v15 dst_sel:DWORD dst_unused:UNUSED_PAD src0_sel:WORD_1
	v_add_f32_e32 v1, v1, v13
	v_add_f32_e32 v1, v1, v16
	;; [unrolled: 1-line block ×5, first 2 shown]
	s_andn2_b64 exec, exec, s[22:23]
	s_cbranch_execnz .LBB593_10
; %bb.11:
	s_or_b64 exec, exec, s[22:23]
	v_add_co_u32_e32 v2, vcc, v2, v0
	v_addc_co_u32_e32 v3, vcc, 0, v3, vcc
	v_cmp_gt_i64_e32 vcc, s[18:19], v[2:3]
	s_and_saveexec_b64 s[22:23], vcc
	s_cbranch_execz .LBB593_15
; %bb.12:
	s_mov_b64 s[24:25], 0
	v_mov_b32_e32 v1, s21
.LBB593_13:                             ; =>This Inner Loop Header: Depth=1
	v_lshlrev_b64 v[4:5], 1, v[2:3]
	v_add_co_u32_e32 v4, vcc, s20, v4
	v_addc_co_u32_e32 v5, vcc, v1, v5, vcc
	global_load_ushort v4, v[4:5], off
	v_add_co_u32_e32 v2, vcc, v2, v9
	v_addc_co_u32_e32 v3, vcc, 0, v3, vcc
	v_cmp_le_i64_e32 vcc, s[18:19], v[2:3]
	s_or_b64 s[24:25], vcc, s[24:25]
	s_waitcnt vmcnt(0)
	v_cvt_f32_f16_e32 v4, v4
	v_add_f32_e32 v8, v8, v4
	s_andn2_b64 exec, exec, s[24:25]
	s_cbranch_execnz .LBB593_13
; %bb.14:
	s_or_b64 exec, exec, s[24:25]
.LBB593_15:
	s_or_b64 exec, exec, s[22:23]
	s_branch .LBB593_31
.LBB593_16:
                                        ; implicit-def: $vgpr8
	s_cbranch_execz .LBB593_31
; %bb.17:
	s_and_b64 vcc, exec, s[2:3]
	s_cbranch_vccz .LBB593_41
; %bb.18:
	s_lshl_b64 s[2:3], s[30:31], 1
	s_sub_u32 s20, s16, s2
	s_subb_u32 s21, s17, s3
	s_add_i32 s7, s30, s14
	v_cmp_le_u32_e32 vcc, s30, v0
	v_cmp_gt_i32_e64 s[2:3], s7, v0
	s_and_b64 s[18:19], vcc, s[2:3]
	v_mov_b32_e32 v8, 0
	s_and_saveexec_b64 s[2:3], s[18:19]
	s_cbranch_execz .LBB593_20
; %bb.19:
	v_lshlrev_b32_e32 v1, 1, v0
	global_load_ushort v1, v1, s[20:21]
	s_waitcnt vmcnt(0)
	v_cvt_f32_f16_e32 v1, v1
	v_add_f32_e32 v8, 0, v1
.LBB593_20:
	s_or_b64 exec, exec, s[2:3]
	s_load_dword s2, s[4:5], 0x2c
	s_add_u32 s18, s4, 32
	s_addc_u32 s19, s5, 0
	s_waitcnt lgkmcnt(0)
	s_and_b32 s2, s2, 0xffff
	v_mov_b32_e32 v1, s2
	s_lshl_b32 s2, s2, 1
	v_sub_u32_e64 v1, s7, v1 clamp
	s_add_u32 s2, s20, s2
	v_readfirstlane_b32 s7, v1
	s_addc_u32 s3, s21, 0
	s_branch .LBB593_22
.LBB593_21:
	s_add_u32 s18, s4, 32
	s_addc_u32 s19, s5, 0
	v_mov_b32_e32 v8, 0
	s_mov_b32 s7, s14
	s_mov_b64 s[2:3], s[16:17]
.LBB593_22:
	s_load_dword s20, s[18:19], 0x0
	v_mov_b32_e32 v1, 0
	s_waitcnt lgkmcnt(0)
	s_cmp_lt_u32 s6, s20
	s_cselect_b32 s20, 12, 18
	s_add_u32 s18, s18, s20
	s_addc_u32 s19, s19, 0
	global_load_ushort v1, v1, s[18:19]
	s_waitcnt vmcnt(0)
	v_readfirstlane_b32 s18, v1
	s_lshl_b32 s18, s18, 3
	v_cvt_f32_u32_e32 v2, s18
	s_sub_i32 s19, 0, s18
	v_rcp_iflag_f32_e32 v2, v2
	v_mul_f32_e32 v2, 0x4f7ffffe, v2
	v_cvt_u32_f32_e32 v2, v2
	v_readfirstlane_b32 s20, v2
	s_mul_i32 s19, s19, s20
	s_mul_hi_u32 s19, s20, s19
	s_add_i32 s20, s20, s19
	s_mul_hi_u32 s19, s7, s20
	s_mul_i32 s19, s19, s18
	s_sub_i32 s19, s7, s19
	s_sub_i32 s20, s19, s18
	s_cmp_ge_u32 s19, s18
	s_cselect_b32 s19, s20, s19
	s_sub_i32 s20, s19, s18
	s_cmp_ge_u32 s19, s18
	s_cselect_b32 s18, s20, s19
	s_sub_i32 s22, s7, s18
	v_lshlrev_b32_e32 v2, 3, v0
	v_cmp_gt_i32_e32 vcc, s22, v2
	s_and_saveexec_b64 s[18:19], vcc
	s_cbranch_execz .LBB593_26
; %bb.23:
	s_mov_b64 s[20:21], 0
	v_mov_b32_e32 v4, s3
	v_mov_b32_e32 v2, v0
.LBB593_24:                             ; =>This Inner Loop Header: Depth=1
	v_ashrrev_i32_e32 v3, 31, v2
	v_lshlrev_b64 v[6:7], 4, v[2:3]
	v_add_co_u32_e32 v6, vcc, s2, v6
	v_addc_co_u32_e32 v7, vcc, v4, v7, vcc
	global_load_dwordx4 v[10:13], v[6:7], off
	v_add_u32_e32 v2, v2, v1
	v_lshlrev_b32_e32 v3, 3, v2
	v_cmp_le_i32_e32 vcc, s22, v3
	s_or_b64 s[20:21], vcc, s[20:21]
	s_waitcnt vmcnt(0)
	v_cvt_f32_f16_e32 v3, v10
	v_cvt_f32_f16_sdwa v5, v10 dst_sel:DWORD dst_unused:UNUSED_PAD src0_sel:WORD_1
	v_cvt_f32_f16_e32 v6, v11
	v_cvt_f32_f16_sdwa v7, v11 dst_sel:DWORD dst_unused:UNUSED_PAD src0_sel:WORD_1
	v_cvt_f32_f16_e32 v9, v12
	v_add_f32_e32 v3, v8, v3
	v_cvt_f32_f16_sdwa v10, v12 dst_sel:DWORD dst_unused:UNUSED_PAD src0_sel:WORD_1
	v_add_f32_e32 v3, v3, v5
	v_cvt_f32_f16_e32 v11, v13
	v_add_f32_e32 v3, v3, v6
	v_cvt_f32_f16_sdwa v12, v13 dst_sel:DWORD dst_unused:UNUSED_PAD src0_sel:WORD_1
	v_add_f32_e32 v3, v3, v7
	v_add_f32_e32 v3, v3, v9
	;; [unrolled: 1-line block ×5, first 2 shown]
	s_andn2_b64 exec, exec, s[20:21]
	s_cbranch_execnz .LBB593_24
; %bb.25:
	s_or_b64 exec, exec, s[20:21]
.LBB593_26:
	s_or_b64 exec, exec, s[18:19]
	v_add_u32_e32 v2, s22, v0
	v_cmp_gt_i32_e32 vcc, s7, v2
	s_and_saveexec_b64 s[18:19], vcc
	s_cbranch_execz .LBB593_30
; %bb.27:
	s_mov_b64 s[20:21], 0
	v_mov_b32_e32 v4, s3
.LBB593_28:                             ; =>This Inner Loop Header: Depth=1
	v_ashrrev_i32_e32 v3, 31, v2
	v_lshlrev_b64 v[6:7], 1, v[2:3]
	v_add_co_u32_e32 v6, vcc, s2, v6
	v_addc_co_u32_e32 v7, vcc, v4, v7, vcc
	global_load_ushort v3, v[6:7], off
	v_add_u32_e32 v2, v2, v1
	v_cmp_le_i32_e32 vcc, s7, v2
	s_or_b64 s[20:21], vcc, s[20:21]
	s_waitcnt vmcnt(0)
	v_cvt_f32_f16_e32 v3, v3
	v_add_f32_e32 v8, v8, v3
	s_andn2_b64 exec, exec, s[20:21]
	s_cbranch_execnz .LBB593_28
; %bb.29:
	s_or_b64 exec, exec, s[20:21]
.LBB593_30:
	s_or_b64 exec, exec, s[18:19]
.LBB593_31:
	v_lshl_add_u32 v1, v0, 2, 0
	s_barrier
	ds_write_b32 v1, v8
	s_waitcnt lgkmcnt(0)
	s_barrier
	s_load_dword s18, s[4:5], 0x2c
	s_add_u32 s4, s4, 32
	s_addc_u32 s5, s5, 0
	s_waitcnt lgkmcnt(0)
	s_bfe_u32 s7, s18, 0xa0006
	s_min_u32 s2, s7, 64
	v_cmp_gt_u32_e32 vcc, s2, v0
	s_and_saveexec_b64 s[2:3], vcc
	s_cbranch_execz .LBB593_33
; %bb.32:
	s_movk_i32 s19, 0xfc
	v_mad_u32_u24 v10, v0, s19, v1
	ds_read2_b32 v[2:3], v10 offset1:1
	ds_read2_b32 v[4:5], v10 offset0:2 offset1:3
	ds_read2_b32 v[6:7], v10 offset0:4 offset1:5
	ds_read2_b32 v[8:9], v10 offset0:6 offset1:7
	s_waitcnt lgkmcnt(3)
	v_add_f32_e32 v2, 0, v2
	v_add_f32_e32 v2, v2, v3
	s_waitcnt lgkmcnt(2)
	v_add_f32_e32 v2, v2, v4
	v_add_f32_e32 v2, v2, v5
	s_waitcnt lgkmcnt(1)
	v_add_f32_e32 v2, v2, v6
	v_add_f32_e32 v2, v2, v7
	s_waitcnt lgkmcnt(0)
	v_add_f32_e32 v4, v2, v8
	ds_read2_b32 v[2:3], v10 offset0:8 offset1:9
	v_add_f32_e32 v11, v4, v9
	ds_read2_b32 v[4:5], v10 offset0:10 offset1:11
	ds_read2_b32 v[6:7], v10 offset0:12 offset1:13
	ds_read2_b32 v[8:9], v10 offset0:14 offset1:15
	s_waitcnt lgkmcnt(3)
	v_add_f32_e32 v2, v11, v2
	v_add_f32_e32 v2, v2, v3
	s_waitcnt lgkmcnt(2)
	v_add_f32_e32 v2, v2, v4
	v_add_f32_e32 v2, v2, v5
	s_waitcnt lgkmcnt(1)
	v_add_f32_e32 v2, v2, v6
	v_add_f32_e32 v2, v2, v7
	s_waitcnt lgkmcnt(0)
	v_add_f32_e32 v4, v2, v8
	ds_read2_b32 v[2:3], v10 offset0:16 offset1:17
	v_add_f32_e32 v11, v4, v9
	;; [unrolled: 16-line block ×7, first 2 shown]
	ds_read2_b32 v[4:5], v10 offset0:58 offset1:59
	ds_read2_b32 v[6:7], v10 offset0:60 offset1:61
	;; [unrolled: 1-line block ×3, first 2 shown]
	s_waitcnt lgkmcnt(3)
	v_add_f32_e32 v2, v11, v2
	v_add_f32_e32 v2, v2, v3
	s_waitcnt lgkmcnt(2)
	v_add_f32_e32 v2, v2, v4
	v_add_f32_e32 v2, v2, v5
	;; [unrolled: 3-line block ×4, first 2 shown]
	ds_write_b32 v1, v2
.LBB593_33:
	s_or_b64 exec, exec, s[2:3]
	s_and_b32 s24, s18, 0xffff
	v_cmp_eq_u32_e32 vcc, 0, v0
	s_waitcnt lgkmcnt(0)
	s_barrier
	s_and_saveexec_b64 s[2:3], vcc
	s_cbranch_execz .LBB593_46
; %bb.34:
	s_cmp_lt_u32 s24, 64
	v_mov_b32_e32 v1, 0
	s_cbranch_scc1 .LBB593_45
; %bb.35:
	s_add_i32 s18, s7, -1
	s_cmp_lt_u32 s18, 7
	s_cbranch_scc1 .LBB593_42
; %bb.36:
	s_and_b32 s18, s7, 0x3f8
	s_mov_b32 s19, 0
	s_mov_b32 s20, 0
	v_mov_b32_e32 v1, 0
.LBB593_37:                             ; =>This Inner Loop Header: Depth=1
	v_mov_b32_e32 v8, s20
	ds_read2_b32 v[2:3], v8 offset1:1
	ds_read2_b32 v[4:5], v8 offset0:2 offset1:3
	ds_read2_b32 v[6:7], v8 offset0:4 offset1:5
	;; [unrolled: 1-line block ×3, first 2 shown]
	s_add_i32 s19, s19, 8
	s_waitcnt lgkmcnt(3)
	v_add_f32_e32 v1, v1, v2
	v_add_f32_e32 v1, v1, v3
	s_waitcnt lgkmcnt(2)
	v_add_f32_e32 v1, v1, v4
	v_add_f32_e32 v1, v1, v5
	;; [unrolled: 3-line block ×3, first 2 shown]
	s_add_i32 s20, s20, 32
	s_waitcnt lgkmcnt(0)
	v_add_f32_e32 v1, v1, v8
	s_cmp_eq_u32 s18, s19
	v_add_f32_e32 v1, v1, v9
	s_cbranch_scc0 .LBB593_37
; %bb.38:
	s_and_b32 s7, s7, 7
	s_cmp_eq_u32 s7, 0
	s_cbranch_scc0 .LBB593_43
	s_branch .LBB593_45
.LBB593_39:
                                        ; implicit-def: $sgpr20_sgpr21
                                        ; implicit-def: $sgpr18_sgpr19
                                        ; implicit-def: $vgpr8
                                        ; implicit-def: $sgpr22_sgpr23
	s_cbranch_execnz .LBB593_5
	s_branch .LBB593_6
.LBB593_40:
                                        ; implicit-def: $vgpr2_vgpr3
	s_branch .LBB593_8
.LBB593_41:
                                        ; implicit-def: $sgpr2_sgpr3
                                        ; implicit-def: $sgpr7
                                        ; implicit-def: $vgpr8
                                        ; implicit-def: $sgpr18_sgpr19
	s_cbranch_execnz .LBB593_21
	s_branch .LBB593_22
.LBB593_42:
	s_mov_b32 s18, 0
	v_mov_b32_e32 v1, 0
	s_and_b32 s7, s7, 7
	s_cmp_eq_u32 s7, 0
	s_cbranch_scc1 .LBB593_45
.LBB593_43:
	s_lshl_b32 s18, s18, 2
	s_add_i32 s18, s18, 0
.LBB593_44:                             ; =>This Inner Loop Header: Depth=1
	v_mov_b32_e32 v2, s18
	ds_read_b32 v2, v2
	s_add_i32 s18, s18, 4
	s_add_i32 s7, s7, -1
	s_cmp_lg_u32 s7, 0
	s_waitcnt lgkmcnt(0)
	v_add_f32_e32 v1, v1, v2
	s_cbranch_scc1 .LBB593_44
.LBB593_45:
	v_mov_b32_e32 v2, 0
	ds_write_b32 v2, v1
.LBB593_46:
	s_or_b64 exec, exec, s[2:3]
	s_add_u32 s20, s8, s26
	s_addc_u32 s21, s9, s27
	s_add_u32 s22, s10, s26
	v_mov_b32_e32 v1, 0
	s_mov_b32 s29, 0
	s_addc_u32 s23, s11, s27
	s_waitcnt lgkmcnt(0)
	s_barrier
	ds_read_b32 v1, v1
	s_bfe_u32 s28, s20, 0x30001
	s_bfe_u32 s2, s22, 0x30001
	s_mov_b32 s3, s29
	s_cmp_eq_u64 s[28:29], s[2:3]
	s_cselect_b64 s[2:3], -1, 0
	s_cmp_eq_u64 s[28:29], s[30:31]
	s_cselect_b64 s[30:31], -1, 0
	s_and_b64 s[2:3], s[2:3], s[30:31]
	s_waitcnt lgkmcnt(0)
	v_readfirstlane_b32 s18, v1
	s_andn2_b64 vcc, exec, s[2:3]
	s_mov_b64 s[2:3], -1
	s_cbranch_vccz .LBB593_65
; %bb.47:
	s_and_b64 vcc, exec, s[0:1]
	s_cbranch_vccz .LBB593_56
; %bb.48:
	s_lshl_b32 s7, s24, 3
	v_cvt_f32_u32_e32 v1, s7
	s_sub_i32 s3, 0, s7
	s_mov_b32 s2, 0
	v_rcp_iflag_f32_e32 v1, v1
	v_mul_f32_e32 v1, 0x4f7ffffe, v1
	v_cvt_u32_f32_e32 v2, v1
	v_mov_b32_e32 v1, 0
	v_readfirstlane_b32 s19, v2
	s_mul_i32 s3, s3, s19
	s_mul_hi_u32 s3, s19, s3
	s_add_i32 s19, s19, s3
	s_mul_hi_u32 s3, s14, s19
	s_mul_i32 s3, s3, s7
	s_sub_i32 s3, s14, s3
	s_sub_i32 s19, s3, s7
	s_cmp_ge_u32 s3, s7
	s_cselect_b32 s3, s19, s3
	s_sub_i32 s19, s3, s7
	s_cmp_ge_u32 s3, s7
	s_cselect_b32 s3, s19, s3
	s_bfe_i64 s[30:31], s[14:15], 0x200000
	s_sub_u32 s34, s30, s3
	s_subb_u32 s35, s31, 0
	v_cmp_gt_i64_e32 vcc, s[34:35], v[0:1]
	v_pk_mov_b32 v[2:3], v[0:1], v[0:1] op_sel:[0,1]
	s_and_saveexec_b64 s[36:37], vcc
	s_cbranch_execz .LBB593_52
; %bb.49:
	v_lshlrev_b64 v[2:3], 1, v[0:1]
	v_mov_b32_e32 v5, s27
	v_add_co_u32_e32 v4, vcc, s26, v2
	s_lshl_b32 s19, s24, 1
	v_addc_co_u32_e32 v5, vcc, v5, v3, vcc
	s_lshl_b32 s25, s24, 4
	s_mov_b64 s[38:39], 0
	v_mov_b32_e32 v6, s11
	v_mov_b32_e32 v7, s13
	;; [unrolled: 1-line block ×6, first 2 shown]
	v_pk_mov_b32 v[2:3], v[0:1], v[0:1] op_sel:[0,1]
.LBB593_50:                             ; =>This Inner Loop Header: Depth=1
	v_add_co_u32_e32 v12, vcc, s10, v4
	v_addc_co_u32_e32 v13, vcc, v6, v5, vcc
	v_add_co_u32_e32 v14, vcc, s12, v4
	v_addc_co_u32_e32 v15, vcc, v7, v5, vcc
	global_load_ushort v1, v[12:13], off
	global_load_ushort v28, v[14:15], off
	v_add_co_u32_e32 v12, vcc, s19, v12
	v_addc_co_u32_e32 v13, vcc, v13, v8, vcc
	v_add_co_u32_e32 v14, vcc, s19, v14
	v_addc_co_u32_e32 v15, vcc, v15, v8, vcc
	global_load_ushort v29, v[12:13], off
	global_load_ushort v30, v[14:15], off
	;; [unrolled: 6-line block ×8, first 2 shown]
	v_add_co_u32_e32 v12, vcc, s8, v4
	v_addc_co_u32_e32 v13, vcc, v9, v5, vcc
	v_add_co_u32_e32 v2, vcc, s7, v2
	v_addc_co_u32_e32 v3, vcc, v3, v10, vcc
	;; [unrolled: 2-line block ×4, first 2 shown]
	v_cmp_le_i64_e32 vcc, s[34:35], v[2:3]
	v_add_co_u32_e64 v16, s[2:3], s19, v14
	v_addc_co_u32_e64 v17, s[2:3], v15, v8, s[2:3]
	s_or_b64 s[38:39], vcc, s[38:39]
	v_add_co_u32_e32 v18, vcc, s19, v16
	v_addc_co_u32_e32 v19, vcc, v17, v8, vcc
	v_add_co_u32_e32 v20, vcc, s19, v18
	s_waitcnt vmcnt(14)
	v_fma_mixlo_f16 v1, -s18, v1, v28 op_sel_hi:[0,1,1]
	v_addc_co_u32_e32 v21, vcc, v19, v8, vcc
	global_store_short v[12:13], v1, off
	s_waitcnt vmcnt(13)
	v_fma_mixlo_f16 v1, -s18, v29, v30 op_sel_hi:[0,1,1]
	v_add_co_u32_e32 v22, vcc, s19, v20
	global_store_short v[14:15], v1, off
	s_waitcnt vmcnt(12)
	v_fma_mixlo_f16 v1, -s18, v31, v32 op_sel_hi:[0,1,1]
	v_addc_co_u32_e32 v23, vcc, v21, v8, vcc
	global_store_short v[16:17], v1, off
	v_add_co_u32_e32 v24, vcc, s19, v22
	v_addc_co_u32_e32 v25, vcc, v23, v8, vcc
	s_waitcnt vmcnt(11)
	v_fma_mixlo_f16 v1, -s18, v33, v34 op_sel_hi:[0,1,1]
	global_store_short v[18:19], v1, off
	v_add_co_u32_e32 v26, vcc, s19, v24
	v_addc_co_u32_e32 v27, vcc, v25, v8, vcc
	s_waitcnt vmcnt(10)
	v_fma_mixlo_f16 v1, -s18, v35, v36 op_sel_hi:[0,1,1]
	global_store_short v[20:21], v1, off
	s_waitcnt vmcnt(9)
	v_fma_mixlo_f16 v1, -s18, v37, v38 op_sel_hi:[0,1,1]
	global_store_short v[22:23], v1, off
	;; [unrolled: 3-line block ×4, first 2 shown]
	s_andn2_b64 exec, exec, s[38:39]
	s_cbranch_execnz .LBB593_50
; %bb.51:
	s_or_b64 exec, exec, s[38:39]
.LBB593_52:
	s_or_b64 exec, exec, s[36:37]
	v_cmp_gt_i64_e32 vcc, s[30:31], v[2:3]
	s_and_saveexec_b64 s[2:3], vcc
	s_cbranch_execz .LBB593_55
; %bb.53:
	v_lshlrev_b64 v[4:5], 1, v[2:3]
	s_mov_b32 s19, 0
	v_mov_b32_e32 v1, s27
	v_add_co_u32_e32 v4, vcc, s26, v4
	v_addc_co_u32_e32 v1, vcc, v1, v5, vcc
	s_lshl_b32 s7, s24, 1
	s_mov_b64 s[26:27], 0
	v_mov_b32_e32 v5, s13
	v_mov_b32_e32 v6, s11
	;; [unrolled: 1-line block ×5, first 2 shown]
	s_mov_b32 s25, s19
.LBB593_54:                             ; =>This Inner Loop Header: Depth=1
	v_add_co_u32_e32 v10, vcc, s12, v4
	v_addc_co_u32_e32 v11, vcc, v5, v1, vcc
	v_add_co_u32_e32 v12, vcc, s10, v4
	v_addc_co_u32_e32 v13, vcc, v6, v1, vcc
	global_load_ushort v14, v[10:11], off
	global_load_ushort v15, v[12:13], off
	v_add_co_u32_e32 v10, vcc, s8, v4
	v_addc_co_u32_e32 v11, vcc, v7, v1, vcc
	v_add_co_u32_e32 v2, vcc, s24, v2
	v_addc_co_u32_e32 v3, vcc, v3, v8, vcc
	v_add_co_u32_e32 v4, vcc, s7, v4
	v_addc_co_u32_e32 v1, vcc, v1, v9, vcc
	v_cmp_le_i64_e32 vcc, s[30:31], v[2:3]
	s_or_b64 s[26:27], vcc, s[26:27]
	s_waitcnt vmcnt(0)
	v_fma_mixlo_f16 v12, -s18, v15, v14 op_sel_hi:[0,1,1]
	global_store_short v[10:11], v12, off
	s_andn2_b64 exec, exec, s[26:27]
	s_cbranch_execnz .LBB593_54
.LBB593_55:
	s_or_b64 exec, exec, s[2:3]
	s_mov_b64 s[2:3], 0
.LBB593_56:
	s_and_b64 vcc, exec, s[2:3]
	s_cbranch_vccz .LBB593_92
; %bb.57:
	s_lshl_b32 s2, s24, 3
	v_cvt_f32_u32_e32 v1, s2
	s_sub_i32 s3, 0, s2
	v_mov_b32_e32 v2, v0
	v_rcp_iflag_f32_e32 v1, v1
	v_mul_f32_e32 v1, 0x4f7ffffe, v1
	v_cvt_u32_f32_e32 v1, v1
	v_readfirstlane_b32 s7, v1
	s_mul_i32 s3, s3, s7
	s_mul_hi_u32 s3, s7, s3
	s_add_i32 s7, s7, s3
	s_mul_hi_u32 s3, s14, s7
	s_mul_i32 s3, s3, s2
	s_sub_i32 s3, s14, s3
	s_sub_i32 s7, s3, s2
	s_cmp_ge_u32 s3, s2
	s_cselect_b32 s3, s7, s3
	s_sub_i32 s7, s3, s2
	s_cmp_ge_u32 s3, s2
	s_cselect_b32 s2, s7, s3
	s_sub_i32 s7, s14, s2
	v_cmp_gt_i32_e32 vcc, s7, v0
	s_and_saveexec_b64 s[2:3], vcc
	s_cbranch_execz .LBB593_61
; %bb.58:
	s_add_i32 s26, s24, s24
	s_add_i32 s27, s26, s24
	;; [unrolled: 1-line block ×3, first 2 shown]
	s_lshl_b32 s10, s24, 1
	s_mul_i32 s11, s24, 3
	s_lshl_b32 s12, s24, 2
	s_mul_i32 s13, s24, 5
	s_mul_i32 s19, s24, 6
	;; [unrolled: 1-line block ×3, first 2 shown]
	s_mov_b64 s[8:9], 0
	v_mov_b32_e32 v1, s23
	v_mov_b32_e32 v10, s17
	;; [unrolled: 1-line block ×3, first 2 shown]
	s_add_i32 s26, s26, s27
	v_mov_b32_e32 v3, 0
	v_mov_b32_e32 v2, v0
.LBB593_59:                             ; =>This Inner Loop Header: Depth=1
	v_lshlrev_b64 v[6:7], 1, v[2:3]
	v_add_co_u32_e32 v20, vcc, s22, v6
	v_addc_co_u32_e32 v21, vcc, v1, v7, vcc
	v_add_u32_e32 v4, s24, v2
	v_mov_b32_e32 v5, v3
	v_add_co_u32_e32 v22, vcc, s16, v6
	v_addc_co_u32_e32 v23, vcc, v10, v7, vcc
	v_lshlrev_b64 v[24:25], 1, v[4:5]
	global_load_ushort v52, v[20:21], off
	global_load_ushort v53, v[22:23], off
	v_add_co_u32_e32 v20, vcc, s22, v24
	v_addc_co_u32_e32 v21, vcc, v1, v25, vcc
	v_add_u32_e32 v8, s10, v2
	v_mov_b32_e32 v9, v3
	v_add_co_u32_e32 v22, vcc, s16, v24
	v_lshlrev_b64 v[26:27], 1, v[8:9]
	v_addc_co_u32_e32 v23, vcc, v10, v25, vcc
	v_add_co_u32_e32 v28, vcc, s22, v26
	v_addc_co_u32_e32 v29, vcc, v1, v27, vcc
	v_add_u32_e32 v12, s11, v2
	v_mov_b32_e32 v13, v3
	v_add_co_u32_e32 v30, vcc, s16, v26
	v_lshlrev_b64 v[12:13], 1, v[12:13]
	v_addc_co_u32_e32 v31, vcc, v10, v27, vcc
	;; [unrolled: 7-line block ×5, first 2 shown]
	v_add_co_u32_e32 v44, vcc, s22, v8
	v_addc_co_u32_e32 v45, vcc, v1, v9, vcc
	v_add_u32_e32 v2, s25, v2
	v_add_co_u32_e32 v46, vcc, s16, v8
	v_lshlrev_b64 v[18:19], 1, v[2:3]
	v_addc_co_u32_e32 v47, vcc, v10, v9, vcc
	v_add_co_u32_e32 v48, vcc, s22, v18
	v_addc_co_u32_e32 v49, vcc, v1, v19, vcc
	v_add_co_u32_e32 v50, vcc, s16, v18
	v_addc_co_u32_e32 v51, vcc, v10, v19, vcc
	global_load_ushort v54, v[20:21], off
	global_load_ushort v55, v[22:23], off
	;; [unrolled: 1-line block ×12, first 2 shown]
                                        ; kill: killed $vgpr30 killed $vgpr31
                                        ; kill: killed $vgpr42 killed $vgpr43
                                        ; kill: killed $vgpr28 killed $vgpr29
                                        ; kill: killed $vgpr40 killed $vgpr41
                                        ; kill: killed $vgpr34 killed $vgpr35
                                        ; kill: killed $vgpr46 killed $vgpr47
                                        ; kill: killed $vgpr32 killed $vgpr33
                                        ; kill: killed $vgpr22 killed $vgpr23
                                        ; kill: killed $vgpr44 killed $vgpr45
                                        ; kill: killed $vgpr38 killed $vgpr39
                                        ; kill: killed $vgpr20 killed $vgpr21
                                        ; kill: killed $vgpr36 killed $vgpr37
	global_load_ushort v22, v[48:49], off
	global_load_ushort v23, v[50:51], off
	v_add_co_u32_e32 v6, vcc, s20, v6
	v_addc_co_u32_e32 v7, vcc, v11, v7, vcc
	v_add_u32_e32 v2, s26, v4
	v_add_co_u32_e32 v4, vcc, s20, v24
	v_addc_co_u32_e32 v5, vcc, v11, v25, vcc
	v_add_co_u32_e32 v20, vcc, s20, v26
	v_addc_co_u32_e32 v21, vcc, v11, v27, vcc
	;; [unrolled: 2-line block ×7, first 2 shown]
	v_cmp_le_i32_e32 vcc, s7, v2
	s_waitcnt vmcnt(14)
	v_fma_mixlo_f16 v24, -s18, v52, v53 op_sel_hi:[0,1,1]
	s_or_b64 s[8:9], vcc, s[8:9]
	global_store_short v[6:7], v24, off
	s_waitcnt vmcnt(13)
	v_fma_mixlo_f16 v6, -s18, v54, v55 op_sel_hi:[0,1,1]
	s_waitcnt vmcnt(11)
	v_fma_mixlo_f16 v7, -s18, v56, v57 op_sel_hi:[0,1,1]
	;; [unrolled: 2-line block ×7, first 2 shown]
	global_store_short v[4:5], v6, off
	global_store_short v[20:21], v7, off
	;; [unrolled: 1-line block ×7, first 2 shown]
	s_andn2_b64 exec, exec, s[8:9]
	s_cbranch_execnz .LBB593_59
; %bb.60:
	s_or_b64 exec, exec, s[8:9]
.LBB593_61:
	s_or_b64 exec, exec, s[2:3]
	v_cmp_gt_i32_e32 vcc, s14, v2
	s_and_saveexec_b64 s[2:3], vcc
	s_cbranch_execz .LBB593_64
; %bb.62:
	s_mov_b64 s[8:9], 0
	v_mov_b32_e32 v1, s17
	v_mov_b32_e32 v4, s23
	;; [unrolled: 1-line block ×3, first 2 shown]
.LBB593_63:                             ; =>This Inner Loop Header: Depth=1
	v_ashrrev_i32_e32 v3, 31, v2
	v_lshlrev_b64 v[6:7], 1, v[2:3]
	v_add_co_u32_e32 v8, vcc, s16, v6
	v_addc_co_u32_e32 v9, vcc, v1, v7, vcc
	global_load_ushort v3, v[8:9], off
	v_add_co_u32_e32 v8, vcc, s22, v6
	v_addc_co_u32_e32 v9, vcc, v4, v7, vcc
	global_load_ushort v8, v[8:9], off
	v_add_co_u32_e32 v6, vcc, s20, v6
	v_add_u32_e32 v2, s24, v2
	v_addc_co_u32_e32 v7, vcc, v5, v7, vcc
	v_cmp_le_i32_e32 vcc, s14, v2
	s_or_b64 s[8:9], vcc, s[8:9]
	s_waitcnt vmcnt(0)
	v_fma_mixlo_f16 v3, -s18, v8, v3 op_sel_hi:[0,1,1]
	global_store_short v[6:7], v3, off
	s_andn2_b64 exec, exec, s[8:9]
	s_cbranch_execnz .LBB593_63
.LBB593_64:
	s_or_b64 exec, exec, s[2:3]
	s_mov_b64 s[2:3], 0
.LBB593_65:
	s_andn2_b64 vcc, exec, s[2:3]
	s_cbranch_vccnz .LBB593_93
.LBB593_66:
	s_cmp_lg_u64 s[28:29], 0
	s_cselect_b64 s[8:9], -1, 0
	v_cndmask_b32_e64 v1, 0, 1, s[8:9]
	s_mov_b64 s[2:3], -1
	s_and_b64 vcc, exec, s[0:1]
	v_cmp_ne_u32_e64 s[0:1], 1, v1
	s_cbranch_vccz .LBB593_81
; %bb.67:
	v_mov_b32_e32 v1, 0
	s_and_b64 vcc, exec, s[0:1]
	s_mov_b64 s[2:3], s[14:15]
	s_mov_b64 s[8:9], s[20:21]
	;; [unrolled: 1-line block ×4, first 2 shown]
	s_cbranch_vccnz .LBB593_71
; %bb.68:
	s_lshl_b32 s2, s28, 1
	s_sub_u32 s8, s20, s2
	s_subb_u32 s9, s21, 0
	s_sub_u32 s10, s22, s2
	s_subb_u32 s11, s23, 0
	s_sub_u32 s7, s16, s2
	s_mov_b32 s25, 0
	s_subb_u32 s13, s17, 0
	v_cmp_le_u64_e32 vcc, s[28:29], v[0:1]
	s_and_saveexec_b64 s[2:3], vcc
	s_cbranch_execz .LBB593_70
; %bb.69:
	v_lshlrev_b64 v[2:3], 1, v[0:1]
	v_mov_b32_e32 v5, s13
	v_add_co_u32_e32 v4, vcc, s7, v2
	v_addc_co_u32_e32 v5, vcc, v5, v3, vcc
	global_load_ushort v6, v[4:5], off
	v_mov_b32_e32 v5, s11
	v_add_co_u32_e32 v4, vcc, s10, v2
	v_addc_co_u32_e32 v5, vcc, v5, v3, vcc
	global_load_ushort v4, v[4:5], off
	v_mov_b32_e32 v5, s9
	v_add_co_u32_e32 v2, vcc, s8, v2
	v_addc_co_u32_e32 v3, vcc, v5, v3, vcc
	s_waitcnt vmcnt(0)
	v_fma_mixlo_f16 v4, -s18, v4, v6 op_sel_hi:[0,1,1]
	global_store_short v[2:3], v4, off
.LBB593_70:
	s_or_b64 exec, exec, s[2:3]
	s_add_u32 s2, s28, s14
	s_addc_u32 s3, 0, s15
	v_pk_mov_b32 v[2:3], s[24:25], s[24:25] op_sel:[0,1]
	v_cmp_lt_i64_e32 vcc, s[2:3], v[2:3]
	s_and_b64 s[26:27], vcc, exec
	s_cselect_b32 s15, s2, s24
	s_cselect_b32 s12, s3, 0
	s_sub_u32 s2, s2, s15
	s_subb_u32 s3, s3, s12
	s_lshl_b32 s12, s24, 1
	s_add_u32 s8, s8, s12
	s_addc_u32 s9, s9, 0
	s_add_u32 s10, s10, s12
	s_addc_u32 s11, s11, 0
	;; [unrolled: 2-line block ×3, first 2 shown]
.LBB593_71:
	s_load_dword s7, s[4:5], 0x0
	v_mov_b32_e32 v2, 0
	s_waitcnt lgkmcnt(0)
	s_cmp_lt_u32 s6, s7
	s_cselect_b32 s7, 12, 18
	s_add_u32 s26, s4, s7
	s_addc_u32 s27, s5, 0
	global_load_ushort v4, v2, s[26:27]
	s_mov_b32 s26, 0
	s_mov_b32 s27, s3
	s_waitcnt vmcnt(0)
	v_readfirstlane_b32 s7, v4
	s_and_b32 s7, 0xffff, s7
	s_lshl_b32 s7, s7, 3
	s_cmp_lg_u64 s[26:27], 0
	s_cbranch_scc0 .LBB593_94
; %bb.72:
	v_cvt_f32_u32_e32 v2, s7
	v_cvt_f32_ubyte0_e32 v3, 0
	s_sub_u32 s15, 0, s7
	s_subb_u32 s19, 0, 0
	v_madmk_f32 v2, v3, 0x4f800000, v2
	v_rcp_f32_e32 v2, v2
	v_mul_f32_e32 v2, 0x5f7ffffc, v2
	v_mul_f32_e32 v3, 0x2f800000, v2
	v_trunc_f32_e32 v3, v3
	v_madmk_f32 v2, v3, 0xcf800000, v2
	v_cvt_u32_f32_e32 v3, v3
	v_cvt_u32_f32_e32 v2, v2
	v_readfirstlane_b32 s25, v3
	v_readfirstlane_b32 s29, v2
	s_mul_i32 s30, s15, s25
	s_mul_hi_u32 s33, s15, s29
	s_mul_i32 s31, s19, s29
	s_add_i32 s30, s33, s30
	s_add_i32 s30, s30, s31
	s_mul_i32 s34, s15, s29
	s_mul_hi_u32 s31, s29, s30
	s_mul_i32 s33, s29, s30
	s_mul_hi_u32 s29, s29, s34
	s_add_u32 s29, s29, s33
	s_addc_u32 s31, 0, s31
	s_mul_hi_u32 s35, s25, s34
	s_mul_i32 s34, s25, s34
	s_add_u32 s29, s29, s34
	s_mul_hi_u32 s33, s25, s30
	s_addc_u32 s29, s31, s35
	s_addc_u32 s31, s33, 0
	s_mul_i32 s30, s25, s30
	s_add_u32 s29, s29, s30
	s_addc_u32 s30, 0, s31
	v_add_co_u32_e32 v2, vcc, s29, v2
	s_cmp_lg_u64 vcc, 0
	s_addc_u32 s25, s25, s30
	v_readfirstlane_b32 s30, v2
	s_mul_i32 s29, s15, s25
	s_mul_hi_u32 s31, s15, s30
	s_add_i32 s29, s31, s29
	s_mul_i32 s19, s19, s30
	s_add_i32 s29, s29, s19
	s_mul_i32 s15, s15, s30
	s_mul_hi_u32 s31, s25, s15
	s_mul_i32 s33, s25, s15
	s_mul_i32 s35, s30, s29
	s_mul_hi_u32 s15, s30, s15
	s_mul_hi_u32 s34, s30, s29
	s_add_u32 s15, s15, s35
	s_addc_u32 s30, 0, s34
	s_add_u32 s15, s15, s33
	s_mul_hi_u32 s19, s25, s29
	s_addc_u32 s15, s30, s31
	s_addc_u32 s19, s19, 0
	s_mul_i32 s29, s25, s29
	s_add_u32 s15, s15, s29
	s_addc_u32 s19, 0, s19
	v_add_co_u32_e32 v2, vcc, s15, v2
	s_cmp_lg_u64 vcc, 0
	s_addc_u32 s15, s25, s19
	s_ashr_i32 s30, s3, 31
	s_add_u32 s34, s2, s30
	s_mov_b32 s31, s30
	s_addc_u32 s35, s3, s30
	s_xor_b64 s[34:35], s[34:35], s[30:31]
	v_readfirstlane_b32 s29, v2
	s_mul_i32 s25, s34, s15
	s_mul_hi_u32 s31, s34, s29
	s_mul_hi_u32 s19, s34, s15
	s_add_u32 s25, s31, s25
	s_addc_u32 s19, 0, s19
	s_mul_hi_u32 s33, s35, s29
	s_mul_i32 s29, s35, s29
	s_add_u32 s25, s25, s29
	s_mul_hi_u32 s31, s35, s15
	s_addc_u32 s19, s19, s33
	s_addc_u32 s25, s31, 0
	s_mul_i32 s15, s35, s15
	s_add_u32 s15, s19, s15
	s_addc_u32 s19, 0, s25
	s_mul_hi_u32 s25, s7, s15
	s_mul_i32 s15, s7, s15
	s_mul_i32 s19, s7, s19
	v_mov_b32_e32 v2, s15
	s_add_i32 s25, s25, s19
	v_sub_co_u32_e32 v2, vcc, s34, v2
	s_cmp_lg_u64 vcc, 0
	s_subb_u32 s15, s35, s25
	v_subrev_co_u32_e32 v3, vcc, s7, v2
	s_cmp_lg_u64 vcc, 0
	s_subb_u32 s19, s15, 0
	v_subrev_co_u32_e32 v5, vcc, s7, v3
	s_cmp_lg_u64 vcc, 0
	s_subb_u32 s25, s19, 0
	v_cmp_le_u32_e32 vcc, s7, v3
	s_cmp_eq_u32 s19, 0
	v_cndmask_b32_e64 v6, 0, -1, vcc
	s_cselect_b64 vcc, -1, 0
	v_cndmask_b32_e32 v6, -1, v6, vcc
	v_mov_b32_e32 v7, s19
	v_mov_b32_e32 v8, s25
	v_cmp_ne_u32_e32 vcc, 0, v6
	v_cndmask_b32_e32 v6, v7, v8, vcc
	v_cndmask_b32_e32 v3, v3, v5, vcc
	v_cmp_le_u32_e32 vcc, s7, v2
	s_cmp_eq_u32 s15, 0
	v_cndmask_b32_e64 v5, 0, -1, vcc
	s_cselect_b64 vcc, -1, 0
	v_cndmask_b32_e32 v5, -1, v5, vcc
	v_cmp_ne_u32_e32 vcc, 0, v5
	v_mov_b32_e32 v7, s15
	v_cndmask_b32_e32 v2, v2, v3, vcc
	v_cndmask_b32_e32 v5, v7, v6, vcc
	v_xor_b32_e32 v2, s30, v2
	v_xor_b32_e32 v3, s30, v5
	v_mov_b32_e32 v5, s30
	v_subrev_co_u32_e32 v2, vcc, s30, v2
	v_subb_co_u32_e32 v3, vcc, v3, v5, vcc
	v_and_b32_e32 v8, 0xffff, v4
	s_cbranch_execnz .LBB593_74
.LBB593_73:
	v_cvt_f32_u32_e32 v2, s7
	s_sub_i32 s15, 0, s7
	v_rcp_iflag_f32_e32 v2, v2
	v_mul_f32_e32 v2, 0x4f7ffffe, v2
	v_cvt_u32_f32_e32 v2, v2
	v_mul_lo_u32 v3, s15, v2
	v_mul_hi_u32 v3, v2, v3
	v_add_u32_e32 v2, v2, v3
	v_mul_hi_u32 v2, s2, v2
	v_mul_lo_u32 v2, v2, s7
	v_sub_u32_e32 v2, s2, v2
	v_subrev_u32_e32 v3, s7, v2
	v_cmp_le_u32_e32 vcc, s7, v2
	v_cndmask_b32_e32 v2, v2, v3, vcc
	v_subrev_u32_e32 v3, s7, v2
	v_cmp_le_u32_e32 vcc, s7, v2
	v_cndmask_b32_e32 v2, v2, v3, vcc
	v_mov_b32_e32 v3, 0
.LBB593_74:
	v_mov_b32_e32 v4, s3
	v_sub_co_u32_e32 v2, vcc, s2, v2
	v_subb_co_u32_e32 v3, vcc, v4, v3, vcc
	v_lshlrev_b64 v[4:5], 3, v[0:1]
	v_cmp_lt_i64_e32 vcc, v[4:5], v[2:3]
	s_and_saveexec_b64 s[26:27], vcc
	s_cbranch_execz .LBB593_77
; %bb.75:
	v_lshlrev_b64 v[4:5], 4, v[0:1]
	s_mov_b32 s19, s18
	v_or_b32_e32 v4, 8, v4
	v_lshlrev_b32_e32 v9, 4, v8
	s_mov_b64 s[30:31], 0
	v_mov_b32_e32 v10, s11
	v_mov_b32_e32 v11, s13
	;; [unrolled: 1-line block ×3, first 2 shown]
	s_xor_b32 s35, s18, 0x80000000
	s_xor_b32 s34, s18, 0x80000000
	v_pk_mov_b32 v[6:7], v[0:1], v[0:1] op_sel:[0,1]
	s_mov_b32 s15, s18
.LBB593_76:                             ; =>This Inner Loop Header: Depth=1
	v_add_co_u32_e32 v22, vcc, s10, v4
	v_addc_co_u32_e32 v23, vcc, v10, v5, vcc
	v_add_co_u32_e32 v24, vcc, s12, v4
	v_addc_co_u32_e32 v25, vcc, v11, v5, vcc
	global_load_dwordx4 v[14:17], v[22:23], off offset:-8
	global_load_dwordx4 v[18:21], v[24:25], off offset:-8
	v_add_co_u32_e32 v22, vcc, s8, v4
	v_addc_co_u32_e32 v23, vcc, v12, v5, vcc
	v_add_co_u32_e32 v6, vcc, v6, v8
	v_addc_co_u32_e32 v7, vcc, 0, v7, vcc
	;; [unrolled: 2-line block ×3, first 2 shown]
	v_lshlrev_b64 v[24:25], 3, v[6:7]
	v_cmp_ge_i64_e32 vcc, v[24:25], v[2:3]
	s_or_b64 s[30:31], vcc, s[30:31]
	s_waitcnt vmcnt(1)
	v_cvt_f32_f16_e32 v24, v14
	v_cvt_f32_f16_sdwa v25, v14 dst_sel:DWORD dst_unused:UNUSED_PAD src0_sel:WORD_1
	v_cvt_f32_f16_e32 v14, v15
	v_cvt_f32_f16_sdwa v15, v15 dst_sel:DWORD dst_unused:UNUSED_PAD src0_sel:WORD_1
	s_waitcnt vmcnt(0)
	v_cvt_f32_f16_e32 v26, v18
	v_cvt_f32_f16_sdwa v27, v18 dst_sel:DWORD dst_unused:UNUSED_PAD src0_sel:WORD_1
	v_cvt_f32_f16_e32 v18, v19
	v_cvt_f32_f16_sdwa v19, v19 dst_sel:DWORD dst_unused:UNUSED_PAD src0_sel:WORD_1
	;; [unrolled: 2-line block ×4, first 2 shown]
	v_cvt_f32_f16_e32 v30, v20
	v_cvt_f32_f16_e32 v32, v21
	v_cvt_f32_f16_sdwa v33, v21 dst_sel:DWORD dst_unused:UNUSED_PAD src0_sel:WORD_1
	v_cvt_f32_f16_sdwa v31, v20 dst_sel:DWORD dst_unused:UNUSED_PAD src0_sel:WORD_1
	v_pk_fma_f32 v[14:15], s[34:35], v[14:15], v[18:19]
	v_pk_fma_f32 v[18:19], s[18:19], v[24:25], v[26:27] neg_lo:[1,0,0] neg_hi:[1,0,0]
	v_pk_fma_f32 v[16:17], s[34:35], v[16:17], v[32:33]
	v_pk_fma_f32 v[20:21], s[18:19], v[28:29], v[30:31] neg_lo:[1,0,0] neg_hi:[1,0,0]
	v_cvt_f16_f32_e32 v1, v15
	v_cvt_f16_f32_e32 v13, v14
	;; [unrolled: 1-line block ×8, first 2 shown]
	v_pack_b32_f16 v17, v16, v15
	v_pack_b32_f16 v15, v13, v1
	;; [unrolled: 1-line block ×4, first 2 shown]
	global_store_dwordx4 v[22:23], v[14:17], off offset:-8
	s_andn2_b64 exec, exec, s[30:31]
	s_cbranch_execnz .LBB593_76
.LBB593_77:
	s_or_b64 exec, exec, s[26:27]
	v_add_co_u32_e32 v2, vcc, v2, v0
	v_addc_co_u32_e32 v3, vcc, 0, v3, vcc
	v_cmp_gt_i64_e32 vcc, s[2:3], v[2:3]
	s_and_saveexec_b64 s[26:27], vcc
	s_cbranch_execz .LBB593_80
; %bb.78:
	v_lshlrev_b64 v[4:5], 1, v[2:3]
	v_lshlrev_b32_e32 v1, 1, v8
	s_mov_b64 s[30:31], 0
	v_mov_b32_e32 v6, s13
	v_mov_b32_e32 v7, s11
	;; [unrolled: 1-line block ×3, first 2 shown]
.LBB593_79:                             ; =>This Inner Loop Header: Depth=1
	v_add_co_u32_e32 v10, vcc, s12, v4
	v_addc_co_u32_e32 v11, vcc, v6, v5, vcc
	v_add_co_u32_e32 v12, vcc, s10, v4
	v_addc_co_u32_e32 v13, vcc, v7, v5, vcc
	global_load_ushort v14, v[10:11], off
	global_load_ushort v15, v[12:13], off
	v_add_co_u32_e32 v10, vcc, s8, v4
	v_addc_co_u32_e32 v11, vcc, v9, v5, vcc
	v_add_co_u32_e32 v2, vcc, v2, v8
	v_addc_co_u32_e32 v3, vcc, 0, v3, vcc
	;; [unrolled: 2-line block ×3, first 2 shown]
	v_cmp_le_i64_e32 vcc, s[2:3], v[2:3]
	s_or_b64 s[30:31], vcc, s[30:31]
	s_waitcnt vmcnt(0)
	v_fma_mixlo_f16 v12, -s18, v15, v14 op_sel_hi:[0,1,1]
	global_store_short v[10:11], v12, off
	s_andn2_b64 exec, exec, s[30:31]
	s_cbranch_execnz .LBB593_79
.LBB593_80:
	s_or_b64 exec, exec, s[26:27]
	s_mov_b64 s[2:3], 0
.LBB593_81:
	s_and_b64 vcc, exec, s[2:3]
	s_cbranch_vccz .LBB593_93
; %bb.82:
	s_and_b64 vcc, exec, s[0:1]
	s_cbranch_vccnz .LBB593_86
; %bb.83:
	s_lshl_b32 s0, s28, 1
	s_sub_u32 s9, s20, s0
	s_subb_u32 s10, s21, 0
	s_sub_u32 s7, s22, s0
	s_subb_u32 s8, s23, 0
	;; [unrolled: 2-line block ×3, first 2 shown]
	v_cmp_le_u32_e32 vcc, s28, v0
	s_and_saveexec_b64 s[0:1], vcc
	s_cbranch_execz .LBB593_85
; %bb.84:
	v_mov_b32_e32 v1, 0
	v_lshlrev_b64 v[2:3], 1, v[0:1]
	v_mov_b32_e32 v1, s3
	v_add_co_u32_e32 v4, vcc, s2, v2
	v_addc_co_u32_e32 v5, vcc, v1, v3, vcc
	global_load_ushort v1, v[4:5], off
	v_mov_b32_e32 v5, s8
	v_add_co_u32_e32 v4, vcc, s7, v2
	v_addc_co_u32_e32 v5, vcc, v5, v3, vcc
	global_load_ushort v4, v[4:5], off
	v_mov_b32_e32 v5, s10
	v_add_co_u32_e32 v2, vcc, s9, v2
	v_addc_co_u32_e32 v3, vcc, v5, v3, vcc
	s_waitcnt vmcnt(0)
	v_fma_mixlo_f16 v1, -s18, v4, v1 op_sel_hi:[0,1,1]
	global_store_short v[2:3], v1, off
.LBB593_85:
	s_or_b64 exec, exec, s[0:1]
	s_add_i32 s0, s28, s14
	v_mov_b32_e32 v1, s24
	v_sub_u32_e64 v1, s0, v1 clamp
	s_lshl_b32 s0, s24, 1
	s_add_u32 s20, s9, s0
	s_addc_u32 s21, s10, 0
	s_add_u32 s22, s7, s0
	s_addc_u32 s23, s8, 0
	s_add_u32 s16, s2, s0
	v_readfirstlane_b32 s14, v1
	s_addc_u32 s17, s3, 0
.LBB593_86:
	s_load_dword s0, s[4:5], 0x0
	v_mov_b32_e32 v1, 0
	s_waitcnt lgkmcnt(0)
	s_cmp_lt_u32 s6, s0
	s_cselect_b32 s0, 12, 18
	s_add_u32 s0, s4, s0
	s_addc_u32 s1, s5, 0
	global_load_ushort v4, v1, s[0:1]
	s_waitcnt vmcnt(0)
	v_readfirstlane_b32 s0, v4
	s_lshl_b32 s0, s0, 3
	v_cvt_f32_u32_e32 v1, s0
	s_sub_i32 s1, 0, s0
	v_rcp_iflag_f32_e32 v1, v1
	v_mul_f32_e32 v1, 0x4f7ffffe, v1
	v_cvt_u32_f32_e32 v1, v1
	v_readfirstlane_b32 s2, v1
	s_mul_i32 s1, s1, s2
	s_mul_hi_u32 s1, s2, s1
	s_add_i32 s2, s2, s1
	s_mul_hi_u32 s1, s14, s2
	s_mul_i32 s1, s1, s0
	s_sub_i32 s1, s14, s1
	s_sub_i32 s2, s1, s0
	s_cmp_ge_u32 s1, s0
	s_cselect_b32 s1, s2, s1
	s_sub_i32 s2, s1, s0
	s_cmp_ge_u32 s1, s0
	s_cselect_b32 s0, s2, s1
	s_sub_i32 s6, s14, s0
	v_lshlrev_b32_e32 v1, 3, v0
	v_cmp_gt_i32_e32 vcc, s6, v1
	s_and_saveexec_b64 s[0:1], vcc
	s_cbranch_execz .LBB593_89
; %bb.87:
	s_mov_b32 s19, s18
	s_mov_b64 s[2:3], 0
	v_mov_b32_e32 v1, s23
	v_mov_b32_e32 v5, s17
	;; [unrolled: 1-line block ×3, first 2 shown]
	s_xor_b32 s5, s18, 0x80000000
	s_xor_b32 s4, s18, 0x80000000
	v_mov_b32_e32 v2, v0
.LBB593_88:                             ; =>This Inner Loop Header: Depth=1
	v_ashrrev_i32_e32 v3, 31, v2
	v_lshlrev_b64 v[16:17], 4, v[2:3]
	v_add_co_u32_e32 v8, vcc, s22, v16
	v_addc_co_u32_e32 v9, vcc, v1, v17, vcc
	v_add_co_u32_e32 v12, vcc, s16, v16
	v_addc_co_u32_e32 v13, vcc, v5, v17, vcc
	global_load_dwordx4 v[8:11], v[8:9], off
	v_add_u32_e32 v2, v2, v4
	global_load_dwordx4 v[12:15], v[12:13], off
	v_add_co_u32_e32 v16, vcc, s20, v16
	v_addc_co_u32_e32 v17, vcc, v6, v17, vcc
	v_lshlrev_b32_e32 v3, 3, v2
	v_cmp_le_i32_e32 vcc, s6, v3
	s_or_b64 s[2:3], vcc, s[2:3]
	s_waitcnt vmcnt(1)
	v_cvt_f32_f16_e32 v18, v8
	v_cvt_f32_f16_sdwa v19, v8 dst_sel:DWORD dst_unused:UNUSED_PAD src0_sel:WORD_1
	v_cvt_f32_f16_e32 v8, v9
	v_cvt_f32_f16_sdwa v9, v9 dst_sel:DWORD dst_unused:UNUSED_PAD src0_sel:WORD_1
	s_waitcnt vmcnt(0)
	v_cvt_f32_f16_e32 v20, v12
	v_cvt_f32_f16_sdwa v21, v12 dst_sel:DWORD dst_unused:UNUSED_PAD src0_sel:WORD_1
	v_cvt_f32_f16_e32 v12, v13
	v_cvt_f32_f16_sdwa v13, v13 dst_sel:DWORD dst_unused:UNUSED_PAD src0_sel:WORD_1
	v_cvt_f32_f16_e32 v22, v10
	v_cvt_f32_f16_sdwa v23, v10 dst_sel:DWORD dst_unused:UNUSED_PAD src0_sel:WORD_1
	v_cvt_f32_f16_e32 v10, v11
	v_cvt_f32_f16_sdwa v11, v11 dst_sel:DWORD dst_unused:UNUSED_PAD src0_sel:WORD_1
	v_cvt_f32_f16_e32 v24, v14
	v_cvt_f32_f16_e32 v26, v15
	v_cvt_f32_f16_sdwa v27, v15 dst_sel:DWORD dst_unused:UNUSED_PAD src0_sel:WORD_1
	v_cvt_f32_f16_sdwa v25, v14 dst_sel:DWORD dst_unused:UNUSED_PAD src0_sel:WORD_1
	v_pk_fma_f32 v[8:9], s[4:5], v[8:9], v[12:13]
	v_pk_fma_f32 v[12:13], s[18:19], v[18:19], v[20:21] neg_lo:[1,0,0] neg_hi:[1,0,0]
	v_pk_fma_f32 v[10:11], s[4:5], v[10:11], v[26:27]
	v_pk_fma_f32 v[14:15], s[18:19], v[22:23], v[24:25] neg_lo:[1,0,0] neg_hi:[1,0,0]
	v_cvt_f16_f32_e32 v3, v9
	v_cvt_f16_f32_e32 v7, v8
	;; [unrolled: 1-line block ×8, first 2 shown]
	v_pack_b32_f16 v11, v10, v9
	v_pack_b32_f16 v9, v7, v3
	;; [unrolled: 1-line block ×4, first 2 shown]
	global_store_dwordx4 v[16:17], v[8:11], off
	s_andn2_b64 exec, exec, s[2:3]
	s_cbranch_execnz .LBB593_88
.LBB593_89:
	s_or_b64 exec, exec, s[0:1]
	v_add_u32_e32 v0, s6, v0
	v_cmp_gt_i32_e32 vcc, s14, v0
	s_and_saveexec_b64 s[0:1], vcc
	s_cbranch_execz .LBB593_93
; %bb.90:
	s_mov_b64 s[0:1], 0
	v_mov_b32_e32 v2, s17
	v_mov_b32_e32 v3, s23
	;; [unrolled: 1-line block ×3, first 2 shown]
.LBB593_91:                             ; =>This Inner Loop Header: Depth=1
	v_ashrrev_i32_e32 v1, 31, v0
	v_lshlrev_b64 v[6:7], 1, v[0:1]
	v_add_co_u32_e32 v8, vcc, s16, v6
	v_addc_co_u32_e32 v9, vcc, v2, v7, vcc
	global_load_ushort v1, v[8:9], off
	v_add_co_u32_e32 v8, vcc, s22, v6
	v_addc_co_u32_e32 v9, vcc, v3, v7, vcc
	global_load_ushort v8, v[8:9], off
	v_add_co_u32_e32 v6, vcc, s20, v6
	v_add_u32_e32 v0, v0, v4
	v_addc_co_u32_e32 v7, vcc, v5, v7, vcc
	v_cmp_le_i32_e32 vcc, s14, v0
	s_or_b64 s[0:1], vcc, s[0:1]
	s_waitcnt vmcnt(0)
	v_fma_mixlo_f16 v1, -s18, v8, v1 op_sel_hi:[0,1,1]
	global_store_short v[6:7], v1, off
	s_andn2_b64 exec, exec, s[0:1]
	s_cbranch_execnz .LBB593_91
	s_branch .LBB593_93
.LBB593_92:
	s_cbranch_execz .LBB593_66
.LBB593_93:
	s_endpgm
.LBB593_94:
                                        ; implicit-def: $vgpr2_vgpr3
	v_and_b32_e32 v8, 0xffff, v4
	s_branch .LBB593_73
	.section	.rodata,"a",@progbits
	.p2align	6, 0x0
	.amdhsa_kernel _ZN2at6native12_GLOBAL__N_120cunn_SoftMaxBackwardILi8EN3c104HalfEfS4_NS1_23SoftMaxBackwardEpilogueEEEvPT0_PKT2_SA_l
		.amdhsa_group_segment_fixed_size 0
		.amdhsa_private_segment_fixed_size 0
		.amdhsa_kernarg_size 288
		.amdhsa_user_sgpr_count 6
		.amdhsa_user_sgpr_private_segment_buffer 1
		.amdhsa_user_sgpr_dispatch_ptr 0
		.amdhsa_user_sgpr_queue_ptr 0
		.amdhsa_user_sgpr_kernarg_segment_ptr 1
		.amdhsa_user_sgpr_dispatch_id 0
		.amdhsa_user_sgpr_flat_scratch_init 0
		.amdhsa_user_sgpr_kernarg_preload_length 0
		.amdhsa_user_sgpr_kernarg_preload_offset 0
		.amdhsa_user_sgpr_private_segment_size 0
		.amdhsa_uses_dynamic_stack 0
		.amdhsa_system_sgpr_private_segment_wavefront_offset 0
		.amdhsa_system_sgpr_workgroup_id_x 1
		.amdhsa_system_sgpr_workgroup_id_y 0
		.amdhsa_system_sgpr_workgroup_id_z 0
		.amdhsa_system_sgpr_workgroup_info 0
		.amdhsa_system_vgpr_workitem_id 0
		.amdhsa_next_free_vgpr 66
		.amdhsa_next_free_sgpr 40
		.amdhsa_accum_offset 68
		.amdhsa_reserve_vcc 1
		.amdhsa_reserve_flat_scratch 0
		.amdhsa_float_round_mode_32 0
		.amdhsa_float_round_mode_16_64 0
		.amdhsa_float_denorm_mode_32 3
		.amdhsa_float_denorm_mode_16_64 3
		.amdhsa_dx10_clamp 1
		.amdhsa_ieee_mode 1
		.amdhsa_fp16_overflow 0
		.amdhsa_tg_split 0
		.amdhsa_exception_fp_ieee_invalid_op 0
		.amdhsa_exception_fp_denorm_src 0
		.amdhsa_exception_fp_ieee_div_zero 0
		.amdhsa_exception_fp_ieee_overflow 0
		.amdhsa_exception_fp_ieee_underflow 0
		.amdhsa_exception_fp_ieee_inexact 0
		.amdhsa_exception_int_div_zero 0
	.end_amdhsa_kernel
	.section	.text._ZN2at6native12_GLOBAL__N_120cunn_SoftMaxBackwardILi8EN3c104HalfEfS4_NS1_23SoftMaxBackwardEpilogueEEEvPT0_PKT2_SA_l,"axG",@progbits,_ZN2at6native12_GLOBAL__N_120cunn_SoftMaxBackwardILi8EN3c104HalfEfS4_NS1_23SoftMaxBackwardEpilogueEEEvPT0_PKT2_SA_l,comdat
.Lfunc_end593:
	.size	_ZN2at6native12_GLOBAL__N_120cunn_SoftMaxBackwardILi8EN3c104HalfEfS4_NS1_23SoftMaxBackwardEpilogueEEEvPT0_PKT2_SA_l, .Lfunc_end593-_ZN2at6native12_GLOBAL__N_120cunn_SoftMaxBackwardILi8EN3c104HalfEfS4_NS1_23SoftMaxBackwardEpilogueEEEvPT0_PKT2_SA_l
                                        ; -- End function
	.section	.AMDGPU.csdata,"",@progbits
; Kernel info:
; codeLenInByte = 6968
; NumSgprs: 44
; NumVgprs: 66
; NumAgprs: 0
; TotalNumVgprs: 66
; ScratchSize: 0
; MemoryBound: 0
; FloatMode: 240
; IeeeMode: 1
; LDSByteSize: 0 bytes/workgroup (compile time only)
; SGPRBlocks: 5
; VGPRBlocks: 8
; NumSGPRsForWavesPerEU: 44
; NumVGPRsForWavesPerEU: 66
; AccumOffset: 68
; Occupancy: 7
; WaveLimiterHint : 0
; COMPUTE_PGM_RSRC2:SCRATCH_EN: 0
; COMPUTE_PGM_RSRC2:USER_SGPR: 6
; COMPUTE_PGM_RSRC2:TRAP_HANDLER: 0
; COMPUTE_PGM_RSRC2:TGID_X_EN: 1
; COMPUTE_PGM_RSRC2:TGID_Y_EN: 0
; COMPUTE_PGM_RSRC2:TGID_Z_EN: 0
; COMPUTE_PGM_RSRC2:TIDIG_COMP_CNT: 0
; COMPUTE_PGM_RSRC3_GFX90A:ACCUM_OFFSET: 16
; COMPUTE_PGM_RSRC3_GFX90A:TG_SPLIT: 0
	.section	.text._ZN12_GLOBAL__N_121softmax_warp_backwardIfN3c104HalfEfLi0ELb0ELb0ELi64EEEvPT0_PKT_S7_iiiPKb,"axG",@progbits,_ZN12_GLOBAL__N_121softmax_warp_backwardIfN3c104HalfEfLi0ELb0ELb0ELi64EEEvPT0_PKT_S7_iiiPKb,comdat
	.globl	_ZN12_GLOBAL__N_121softmax_warp_backwardIfN3c104HalfEfLi0ELb0ELb0ELi64EEEvPT0_PKT_S7_iiiPKb ; -- Begin function _ZN12_GLOBAL__N_121softmax_warp_backwardIfN3c104HalfEfLi0ELb0ELb0ELi64EEEvPT0_PKT_S7_iiiPKb
	.p2align	8
	.type	_ZN12_GLOBAL__N_121softmax_warp_backwardIfN3c104HalfEfLi0ELb0ELb0ELi64EEEvPT0_PKT_S7_iiiPKb,@function
_ZN12_GLOBAL__N_121softmax_warp_backwardIfN3c104HalfEfLi0ELb0ELb0ELi64EEEvPT0_PKT_S7_iiiPKb: ; @_ZN12_GLOBAL__N_121softmax_warp_backwardIfN3c104HalfEfLi0ELb0ELb0ELi64EEEvPT0_PKT_S7_iiiPKb
; %bb.0:
	s_load_dword s2, s[4:5], 0x3c
	s_load_dwordx4 s[8:11], s[4:5], 0x18
	s_load_dwordx4 s[12:15], s[4:5], 0x0
	s_load_dwordx2 s[0:1], s[4:5], 0x10
	v_bfe_u32 v0, v0, 10, 10
	s_waitcnt lgkmcnt(0)
	s_lshr_b32 s2, s2, 16
	s_mul_i32 s6, s6, s2
	v_add_lshl_u32 v0, s6, v0, 1
	v_sub_u32_e32 v6, s8, v0
	v_mul_lo_u32 v0, v0, s9
	v_ashrrev_i32_e32 v1, 31, v0
	v_lshlrev_b64 v[4:5], 2, v[0:1]
	v_mov_b32_e32 v3, s15
	v_add_co_u32_e32 v2, vcc, s14, v4
	v_addc_co_u32_e32 v3, vcc, v3, v5, vcc
	v_mov_b32_e32 v7, s1
	v_add_co_u32_e32 v4, vcc, s0, v4
	v_addc_co_u32_e32 v5, vcc, v7, v5, vcc
	s_cmp_gt_i32 s10, 0
	s_cselect_b64 s[2:3], -1, 0
	v_cmp_lt_i32_e32 vcc, 0, v6
	s_and_b64 s[4:5], s[2:3], vcc
	v_mov_b32_e32 v7, 0
	v_mov_b32_e32 v8, 0
	;; [unrolled: 1-line block ×3, first 2 shown]
	s_and_saveexec_b64 s[0:1], s[4:5]
	s_cbranch_execz .LBB594_2
; %bb.1:
	global_load_dword v8, v[2:3], off
	global_load_dword v9, v[4:5], off
.LBB594_2:
	s_or_b64 exec, exec, s[0:1]
	v_cmp_lt_i32_e64 s[0:1], 1, v6
	s_and_b64 s[0:1], s[2:3], s[0:1]
	s_mov_b32 s11, 0
	v_mov_b32_e32 v10, 0
	s_and_saveexec_b64 s[4:5], s[0:1]
	s_cbranch_execz .LBB594_4
; %bb.3:
	s_lshl_b64 s[6:7], s[10:11], 2
	v_mov_b32_e32 v10, s7
	v_add_co_u32_e64 v2, s[0:1], s6, v2
	v_addc_co_u32_e64 v3, s[0:1], v3, v10, s[0:1]
	global_load_dword v7, v[2:3], off
	v_add_co_u32_e64 v2, s[0:1], s6, v4
	v_addc_co_u32_e64 v3, s[0:1], v5, v10, s[0:1]
	global_load_dword v10, v[2:3], off
.LBB594_4:
	s_or_b64 exec, exec, s[4:5]
	s_and_saveexec_b64 s[0:1], vcc
	s_cbranch_execz .LBB594_10
; %bb.5:
	v_lshlrev_b64 v[0:1], 1, v[0:1]
	v_mov_b32_e32 v2, s13
	v_cndmask_b32_e64 v3, 0, 1, s[2:3]
	s_andn2_b64 vcc, exec, s[2:3]
	v_add_co_u32_e64 v0, s[2:3], s12, v0
	v_cmp_ne_u32_e64 s[0:1], 1, v3
	v_addc_co_u32_e64 v1, s[2:3], v2, v1, s[2:3]
	s_cbranch_vccnz .LBB594_7
; %bb.6:
	s_waitcnt vmcnt(1)
	v_add_f32_e32 v2, 0, v8
	s_waitcnt vmcnt(0)
	v_fma_mixlo_f16 v2, -v2, v9, v8
	global_store_short v[0:1], v2, off
.LBB594_7:
	v_cmp_ne_u32_e32 vcc, 1, v6
	s_and_b64 exec, exec, vcc
	s_cbranch_execz .LBB594_10
; %bb.8:
	s_and_b64 vcc, exec, s[0:1]
	s_cbranch_vccnz .LBB594_10
; %bb.9:
	s_lshl_b64 s[0:1], s[10:11], 1
	s_waitcnt vmcnt(1)
	v_add_f32_e32 v2, 0, v7
	v_mov_b32_e32 v3, s1
	v_add_co_u32_e32 v0, vcc, s0, v0
	s_waitcnt vmcnt(0)
	v_fma_mixlo_f16 v2, -v2, v10, v7
	v_addc_co_u32_e32 v1, vcc, v1, v3, vcc
	global_store_short v[0:1], v2, off
.LBB594_10:
	s_endpgm
	.section	.rodata,"a",@progbits
	.p2align	6, 0x0
	.amdhsa_kernel _ZN12_GLOBAL__N_121softmax_warp_backwardIfN3c104HalfEfLi0ELb0ELb0ELi64EEEvPT0_PKT_S7_iiiPKb
		.amdhsa_group_segment_fixed_size 0
		.amdhsa_private_segment_fixed_size 0
		.amdhsa_kernarg_size 304
		.amdhsa_user_sgpr_count 6
		.amdhsa_user_sgpr_private_segment_buffer 1
		.amdhsa_user_sgpr_dispatch_ptr 0
		.amdhsa_user_sgpr_queue_ptr 0
		.amdhsa_user_sgpr_kernarg_segment_ptr 1
		.amdhsa_user_sgpr_dispatch_id 0
		.amdhsa_user_sgpr_flat_scratch_init 0
		.amdhsa_user_sgpr_kernarg_preload_length 0
		.amdhsa_user_sgpr_kernarg_preload_offset 0
		.amdhsa_user_sgpr_private_segment_size 0
		.amdhsa_uses_dynamic_stack 0
		.amdhsa_system_sgpr_private_segment_wavefront_offset 0
		.amdhsa_system_sgpr_workgroup_id_x 1
		.amdhsa_system_sgpr_workgroup_id_y 0
		.amdhsa_system_sgpr_workgroup_id_z 0
		.amdhsa_system_sgpr_workgroup_info 0
		.amdhsa_system_vgpr_workitem_id 1
		.amdhsa_next_free_vgpr 11
		.amdhsa_next_free_sgpr 16
		.amdhsa_accum_offset 12
		.amdhsa_reserve_vcc 1
		.amdhsa_reserve_flat_scratch 0
		.amdhsa_float_round_mode_32 0
		.amdhsa_float_round_mode_16_64 0
		.amdhsa_float_denorm_mode_32 3
		.amdhsa_float_denorm_mode_16_64 3
		.amdhsa_dx10_clamp 1
		.amdhsa_ieee_mode 1
		.amdhsa_fp16_overflow 0
		.amdhsa_tg_split 0
		.amdhsa_exception_fp_ieee_invalid_op 0
		.amdhsa_exception_fp_denorm_src 0
		.amdhsa_exception_fp_ieee_div_zero 0
		.amdhsa_exception_fp_ieee_overflow 0
		.amdhsa_exception_fp_ieee_underflow 0
		.amdhsa_exception_fp_ieee_inexact 0
		.amdhsa_exception_int_div_zero 0
	.end_amdhsa_kernel
	.section	.text._ZN12_GLOBAL__N_121softmax_warp_backwardIfN3c104HalfEfLi0ELb0ELb0ELi64EEEvPT0_PKT_S7_iiiPKb,"axG",@progbits,_ZN12_GLOBAL__N_121softmax_warp_backwardIfN3c104HalfEfLi0ELb0ELb0ELi64EEEvPT0_PKT_S7_iiiPKb,comdat
.Lfunc_end594:
	.size	_ZN12_GLOBAL__N_121softmax_warp_backwardIfN3c104HalfEfLi0ELb0ELb0ELi64EEEvPT0_PKT_S7_iiiPKb, .Lfunc_end594-_ZN12_GLOBAL__N_121softmax_warp_backwardIfN3c104HalfEfLi0ELb0ELb0ELi64EEEvPT0_PKT_S7_iiiPKb
                                        ; -- End function
	.section	.AMDGPU.csdata,"",@progbits
; Kernel info:
; codeLenInByte = 408
; NumSgprs: 20
; NumVgprs: 11
; NumAgprs: 0
; TotalNumVgprs: 11
; ScratchSize: 0
; MemoryBound: 0
; FloatMode: 240
; IeeeMode: 1
; LDSByteSize: 0 bytes/workgroup (compile time only)
; SGPRBlocks: 2
; VGPRBlocks: 1
; NumSGPRsForWavesPerEU: 20
; NumVGPRsForWavesPerEU: 11
; AccumOffset: 12
; Occupancy: 8
; WaveLimiterHint : 0
; COMPUTE_PGM_RSRC2:SCRATCH_EN: 0
; COMPUTE_PGM_RSRC2:USER_SGPR: 6
; COMPUTE_PGM_RSRC2:TRAP_HANDLER: 0
; COMPUTE_PGM_RSRC2:TGID_X_EN: 1
; COMPUTE_PGM_RSRC2:TGID_Y_EN: 0
; COMPUTE_PGM_RSRC2:TGID_Z_EN: 0
; COMPUTE_PGM_RSRC2:TIDIG_COMP_CNT: 1
; COMPUTE_PGM_RSRC3_GFX90A:ACCUM_OFFSET: 2
; COMPUTE_PGM_RSRC3_GFX90A:TG_SPLIT: 0
	.section	.text._ZN12_GLOBAL__N_121softmax_warp_backwardIfN3c104HalfEfLi0ELb0ELb0ELi32EEEvPT0_PKT_S7_iiiPKb,"axG",@progbits,_ZN12_GLOBAL__N_121softmax_warp_backwardIfN3c104HalfEfLi0ELb0ELb0ELi32EEEvPT0_PKT_S7_iiiPKb,comdat
	.globl	_ZN12_GLOBAL__N_121softmax_warp_backwardIfN3c104HalfEfLi0ELb0ELb0ELi32EEEvPT0_PKT_S7_iiiPKb ; -- Begin function _ZN12_GLOBAL__N_121softmax_warp_backwardIfN3c104HalfEfLi0ELb0ELb0ELi32EEEvPT0_PKT_S7_iiiPKb
	.p2align	8
	.type	_ZN12_GLOBAL__N_121softmax_warp_backwardIfN3c104HalfEfLi0ELb0ELb0ELi32EEEvPT0_PKT_S7_iiiPKb,@function
_ZN12_GLOBAL__N_121softmax_warp_backwardIfN3c104HalfEfLi0ELb0ELb0ELi32EEEvPT0_PKT_S7_iiiPKb: ; @_ZN12_GLOBAL__N_121softmax_warp_backwardIfN3c104HalfEfLi0ELb0ELb0ELi32EEEvPT0_PKT_S7_iiiPKb
; %bb.0:
	s_load_dword s2, s[4:5], 0x3c
	s_load_dwordx4 s[8:11], s[4:5], 0x18
	s_load_dwordx4 s[12:15], s[4:5], 0x0
	s_load_dwordx2 s[0:1], s[4:5], 0x10
	v_bfe_u32 v0, v0, 10, 10
	s_waitcnt lgkmcnt(0)
	s_lshr_b32 s2, s2, 16
	s_mul_i32 s6, s6, s2
	v_add_lshl_u32 v0, s6, v0, 1
	v_sub_u32_e32 v6, s8, v0
	v_mul_lo_u32 v0, v0, s9
	v_ashrrev_i32_e32 v1, 31, v0
	v_lshlrev_b64 v[4:5], 2, v[0:1]
	v_mov_b32_e32 v3, s15
	v_add_co_u32_e32 v2, vcc, s14, v4
	v_addc_co_u32_e32 v3, vcc, v3, v5, vcc
	v_mov_b32_e32 v7, s1
	v_add_co_u32_e32 v4, vcc, s0, v4
	v_addc_co_u32_e32 v5, vcc, v7, v5, vcc
	s_cmp_gt_i32 s10, 0
	s_cselect_b64 s[2:3], -1, 0
	v_cmp_lt_i32_e32 vcc, 0, v6
	s_and_b64 s[4:5], s[2:3], vcc
	v_mov_b32_e32 v7, 0
	v_mov_b32_e32 v8, 0
	;; [unrolled: 1-line block ×3, first 2 shown]
	s_and_saveexec_b64 s[0:1], s[4:5]
	s_cbranch_execz .LBB595_2
; %bb.1:
	global_load_dword v8, v[2:3], off
	global_load_dword v9, v[4:5], off
.LBB595_2:
	s_or_b64 exec, exec, s[0:1]
	v_cmp_lt_i32_e64 s[0:1], 1, v6
	s_and_b64 s[0:1], s[2:3], s[0:1]
	s_mov_b32 s11, 0
	v_mov_b32_e32 v10, 0
	s_and_saveexec_b64 s[4:5], s[0:1]
	s_cbranch_execz .LBB595_4
; %bb.3:
	s_lshl_b64 s[6:7], s[10:11], 2
	v_mov_b32_e32 v10, s7
	v_add_co_u32_e64 v2, s[0:1], s6, v2
	v_addc_co_u32_e64 v3, s[0:1], v3, v10, s[0:1]
	global_load_dword v7, v[2:3], off
	v_add_co_u32_e64 v2, s[0:1], s6, v4
	v_addc_co_u32_e64 v3, s[0:1], v5, v10, s[0:1]
	global_load_dword v10, v[2:3], off
.LBB595_4:
	s_or_b64 exec, exec, s[4:5]
	s_and_saveexec_b64 s[0:1], vcc
	s_cbranch_execz .LBB595_10
; %bb.5:
	v_lshlrev_b64 v[0:1], 1, v[0:1]
	v_mov_b32_e32 v2, s13
	v_cndmask_b32_e64 v3, 0, 1, s[2:3]
	s_andn2_b64 vcc, exec, s[2:3]
	v_add_co_u32_e64 v0, s[2:3], s12, v0
	v_cmp_ne_u32_e64 s[0:1], 1, v3
	v_addc_co_u32_e64 v1, s[2:3], v2, v1, s[2:3]
	s_cbranch_vccnz .LBB595_7
; %bb.6:
	s_waitcnt vmcnt(1)
	v_add_f32_e32 v2, 0, v8
	s_waitcnt vmcnt(0)
	v_fma_mixlo_f16 v2, -v2, v9, v8
	global_store_short v[0:1], v2, off
.LBB595_7:
	v_cmp_ne_u32_e32 vcc, 1, v6
	s_and_b64 exec, exec, vcc
	s_cbranch_execz .LBB595_10
; %bb.8:
	s_and_b64 vcc, exec, s[0:1]
	s_cbranch_vccnz .LBB595_10
; %bb.9:
	s_lshl_b64 s[0:1], s[10:11], 1
	s_waitcnt vmcnt(1)
	v_add_f32_e32 v2, 0, v7
	v_mov_b32_e32 v3, s1
	v_add_co_u32_e32 v0, vcc, s0, v0
	s_waitcnt vmcnt(0)
	v_fma_mixlo_f16 v2, -v2, v10, v7
	v_addc_co_u32_e32 v1, vcc, v1, v3, vcc
	global_store_short v[0:1], v2, off
.LBB595_10:
	s_endpgm
	.section	.rodata,"a",@progbits
	.p2align	6, 0x0
	.amdhsa_kernel _ZN12_GLOBAL__N_121softmax_warp_backwardIfN3c104HalfEfLi0ELb0ELb0ELi32EEEvPT0_PKT_S7_iiiPKb
		.amdhsa_group_segment_fixed_size 0
		.amdhsa_private_segment_fixed_size 0
		.amdhsa_kernarg_size 304
		.amdhsa_user_sgpr_count 6
		.amdhsa_user_sgpr_private_segment_buffer 1
		.amdhsa_user_sgpr_dispatch_ptr 0
		.amdhsa_user_sgpr_queue_ptr 0
		.amdhsa_user_sgpr_kernarg_segment_ptr 1
		.amdhsa_user_sgpr_dispatch_id 0
		.amdhsa_user_sgpr_flat_scratch_init 0
		.amdhsa_user_sgpr_kernarg_preload_length 0
		.amdhsa_user_sgpr_kernarg_preload_offset 0
		.amdhsa_user_sgpr_private_segment_size 0
		.amdhsa_uses_dynamic_stack 0
		.amdhsa_system_sgpr_private_segment_wavefront_offset 0
		.amdhsa_system_sgpr_workgroup_id_x 1
		.amdhsa_system_sgpr_workgroup_id_y 0
		.amdhsa_system_sgpr_workgroup_id_z 0
		.amdhsa_system_sgpr_workgroup_info 0
		.amdhsa_system_vgpr_workitem_id 1
		.amdhsa_next_free_vgpr 11
		.amdhsa_next_free_sgpr 16
		.amdhsa_accum_offset 12
		.amdhsa_reserve_vcc 1
		.amdhsa_reserve_flat_scratch 0
		.amdhsa_float_round_mode_32 0
		.amdhsa_float_round_mode_16_64 0
		.amdhsa_float_denorm_mode_32 3
		.amdhsa_float_denorm_mode_16_64 3
		.amdhsa_dx10_clamp 1
		.amdhsa_ieee_mode 1
		.amdhsa_fp16_overflow 0
		.amdhsa_tg_split 0
		.amdhsa_exception_fp_ieee_invalid_op 0
		.amdhsa_exception_fp_denorm_src 0
		.amdhsa_exception_fp_ieee_div_zero 0
		.amdhsa_exception_fp_ieee_overflow 0
		.amdhsa_exception_fp_ieee_underflow 0
		.amdhsa_exception_fp_ieee_inexact 0
		.amdhsa_exception_int_div_zero 0
	.end_amdhsa_kernel
	.section	.text._ZN12_GLOBAL__N_121softmax_warp_backwardIfN3c104HalfEfLi0ELb0ELb0ELi32EEEvPT0_PKT_S7_iiiPKb,"axG",@progbits,_ZN12_GLOBAL__N_121softmax_warp_backwardIfN3c104HalfEfLi0ELb0ELb0ELi32EEEvPT0_PKT_S7_iiiPKb,comdat
.Lfunc_end595:
	.size	_ZN12_GLOBAL__N_121softmax_warp_backwardIfN3c104HalfEfLi0ELb0ELb0ELi32EEEvPT0_PKT_S7_iiiPKb, .Lfunc_end595-_ZN12_GLOBAL__N_121softmax_warp_backwardIfN3c104HalfEfLi0ELb0ELb0ELi32EEEvPT0_PKT_S7_iiiPKb
                                        ; -- End function
	.section	.AMDGPU.csdata,"",@progbits
; Kernel info:
; codeLenInByte = 408
; NumSgprs: 20
; NumVgprs: 11
; NumAgprs: 0
; TotalNumVgprs: 11
; ScratchSize: 0
; MemoryBound: 0
; FloatMode: 240
; IeeeMode: 1
; LDSByteSize: 0 bytes/workgroup (compile time only)
; SGPRBlocks: 2
; VGPRBlocks: 1
; NumSGPRsForWavesPerEU: 20
; NumVGPRsForWavesPerEU: 11
; AccumOffset: 12
; Occupancy: 8
; WaveLimiterHint : 0
; COMPUTE_PGM_RSRC2:SCRATCH_EN: 0
; COMPUTE_PGM_RSRC2:USER_SGPR: 6
; COMPUTE_PGM_RSRC2:TRAP_HANDLER: 0
; COMPUTE_PGM_RSRC2:TGID_X_EN: 1
; COMPUTE_PGM_RSRC2:TGID_Y_EN: 0
; COMPUTE_PGM_RSRC2:TGID_Z_EN: 0
; COMPUTE_PGM_RSRC2:TIDIG_COMP_CNT: 1
; COMPUTE_PGM_RSRC3_GFX90A:ACCUM_OFFSET: 2
; COMPUTE_PGM_RSRC3_GFX90A:TG_SPLIT: 0
	.section	.text._ZN12_GLOBAL__N_121softmax_warp_backwardIfN3c104HalfEfLi1ELb0ELb0ELi64EEEvPT0_PKT_S7_iiiPKb,"axG",@progbits,_ZN12_GLOBAL__N_121softmax_warp_backwardIfN3c104HalfEfLi1ELb0ELb0ELi64EEEvPT0_PKT_S7_iiiPKb,comdat
	.globl	_ZN12_GLOBAL__N_121softmax_warp_backwardIfN3c104HalfEfLi1ELb0ELb0ELi64EEEvPT0_PKT_S7_iiiPKb ; -- Begin function _ZN12_GLOBAL__N_121softmax_warp_backwardIfN3c104HalfEfLi1ELb0ELb0ELi64EEEvPT0_PKT_S7_iiiPKb
	.p2align	8
	.type	_ZN12_GLOBAL__N_121softmax_warp_backwardIfN3c104HalfEfLi1ELb0ELb0ELi64EEEvPT0_PKT_S7_iiiPKb,@function
_ZN12_GLOBAL__N_121softmax_warp_backwardIfN3c104HalfEfLi1ELb0ELb0ELi64EEEvPT0_PKT_S7_iiiPKb: ; @_ZN12_GLOBAL__N_121softmax_warp_backwardIfN3c104HalfEfLi1ELb0ELb0ELi64EEEvPT0_PKT_S7_iiiPKb
; %bb.0:
	s_load_dword s2, s[4:5], 0x3c
	s_load_dwordx4 s[8:11], s[4:5], 0x18
	s_load_dwordx4 s[12:15], s[4:5], 0x0
	s_load_dwordx2 s[0:1], s[4:5], 0x10
	v_bfe_u32 v1, v0, 10, 10
	s_waitcnt lgkmcnt(0)
	s_lshr_b32 s2, s2, 16
	s_mul_i32 s6, s6, s2
	v_add_lshl_u32 v1, s6, v1, 1
	v_sub_u32_e32 v8, s8, v1
	v_mul_lo_u32 v1, v1, s9
	v_and_b32_e32 v9, 1, v0
	v_or_b32_e32 v2, v1, v9
	v_ashrrev_i32_e32 v3, 31, v2
	v_lshlrev_b64 v[0:1], 2, v[2:3]
	v_mov_b32_e32 v5, s15
	v_add_co_u32_e32 v4, vcc, s14, v0
	v_addc_co_u32_e32 v5, vcc, v5, v1, vcc
	v_mov_b32_e32 v7, s1
	v_add_co_u32_e32 v6, vcc, s0, v0
	v_addc_co_u32_e32 v7, vcc, v7, v1, vcc
	v_cmp_gt_i32_e32 vcc, s10, v9
	v_cmp_lt_i32_e64 s[0:1], 0, v8
	s_and_b64 s[4:5], vcc, s[0:1]
	v_mov_b32_e32 v1, 0
	v_mov_b32_e32 v0, 0
	;; [unrolled: 1-line block ×3, first 2 shown]
	s_and_saveexec_b64 s[2:3], s[4:5]
	s_cbranch_execz .LBB596_2
; %bb.1:
	global_load_dword v0, v[4:5], off
	global_load_dword v9, v[6:7], off
.LBB596_2:
	s_or_b64 exec, exec, s[2:3]
	v_cmp_lt_i32_e64 s[2:3], 1, v8
	s_and_b64 s[2:3], vcc, s[2:3]
	s_mov_b32 s11, 0
	v_mov_b32_e32 v10, 0
	s_and_saveexec_b64 s[4:5], s[2:3]
	s_cbranch_execz .LBB596_4
; %bb.3:
	s_lshl_b64 s[6:7], s[10:11], 2
	v_mov_b32_e32 v10, s7
	v_add_co_u32_e64 v4, s[2:3], s6, v4
	v_addc_co_u32_e64 v5, s[2:3], v5, v10, s[2:3]
	global_load_dword v1, v[4:5], off
	v_add_co_u32_e64 v4, s[2:3], s6, v6
	v_addc_co_u32_e64 v5, s[2:3], v7, v10, s[2:3]
	global_load_dword v10, v[4:5], off
.LBB596_4:
	s_or_b64 exec, exec, s[4:5]
	v_mbcnt_lo_u32_b32 v6, -1, 0
	v_mbcnt_hi_u32_b32 v6, -1, v6
	v_and_b32_e32 v11, 0x7e, v6
	v_xor_b32_e32 v7, 1, v6
	v_add_u32_e32 v11, 2, v11
	v_cmp_lt_i32_e64 s[2:3], v7, v11
	v_cndmask_b32_e64 v6, v6, v7, s[2:3]
	s_waitcnt vmcnt(1)
	v_pk_add_f32 v[4:5], v[0:1], 0 op_sel_hi:[1,0]
	v_lshlrev_b32_e32 v7, 2, v6
	ds_bpermute_b32 v6, v7, v4
	ds_bpermute_b32 v7, v7, v5
	s_and_saveexec_b64 s[2:3], s[0:1]
	s_cbranch_execz .LBB596_10
; %bb.5:
	v_lshlrev_b64 v[2:3], 1, v[2:3]
	v_mov_b32_e32 v11, s13
	v_add_co_u32_e64 v2, s[0:1], s12, v2
	v_addc_co_u32_e64 v3, s[0:1], v11, v3, s[0:1]
	s_waitcnt lgkmcnt(0)
	v_pk_add_f32 v[4:5], v[4:5], v[6:7]
	s_and_saveexec_b64 s[0:1], vcc
	s_cbranch_execz .LBB596_7
; %bb.6:
	s_waitcnt vmcnt(0)
	v_fma_mixlo_f16 v0, -v4, v9, v0
	global_store_short v[2:3], v0, off
.LBB596_7:
	s_or_b64 exec, exec, s[0:1]
	v_cmp_ne_u32_e64 s[0:1], 1, v8
	s_and_b64 exec, exec, s[0:1]
	s_cbranch_execz .LBB596_10
; %bb.8:
	s_and_b64 exec, exec, vcc
	s_cbranch_execz .LBB596_10
; %bb.9:
	s_lshl_b64 s[0:1], s[10:11], 1
	s_waitcnt vmcnt(0)
	v_fma_mixlo_f16 v4, -v5, v10, v1
	v_mov_b32_e32 v1, s1
	v_add_co_u32_e32 v0, vcc, s0, v2
	v_addc_co_u32_e32 v1, vcc, v3, v1, vcc
	global_store_short v[0:1], v4, off
.LBB596_10:
	s_endpgm
	.section	.rodata,"a",@progbits
	.p2align	6, 0x0
	.amdhsa_kernel _ZN12_GLOBAL__N_121softmax_warp_backwardIfN3c104HalfEfLi1ELb0ELb0ELi64EEEvPT0_PKT_S7_iiiPKb
		.amdhsa_group_segment_fixed_size 0
		.amdhsa_private_segment_fixed_size 0
		.amdhsa_kernarg_size 304
		.amdhsa_user_sgpr_count 6
		.amdhsa_user_sgpr_private_segment_buffer 1
		.amdhsa_user_sgpr_dispatch_ptr 0
		.amdhsa_user_sgpr_queue_ptr 0
		.amdhsa_user_sgpr_kernarg_segment_ptr 1
		.amdhsa_user_sgpr_dispatch_id 0
		.amdhsa_user_sgpr_flat_scratch_init 0
		.amdhsa_user_sgpr_kernarg_preload_length 0
		.amdhsa_user_sgpr_kernarg_preload_offset 0
		.amdhsa_user_sgpr_private_segment_size 0
		.amdhsa_uses_dynamic_stack 0
		.amdhsa_system_sgpr_private_segment_wavefront_offset 0
		.amdhsa_system_sgpr_workgroup_id_x 1
		.amdhsa_system_sgpr_workgroup_id_y 0
		.amdhsa_system_sgpr_workgroup_id_z 0
		.amdhsa_system_sgpr_workgroup_info 0
		.amdhsa_system_vgpr_workitem_id 1
		.amdhsa_next_free_vgpr 12
		.amdhsa_next_free_sgpr 16
		.amdhsa_accum_offset 12
		.amdhsa_reserve_vcc 1
		.amdhsa_reserve_flat_scratch 0
		.amdhsa_float_round_mode_32 0
		.amdhsa_float_round_mode_16_64 0
		.amdhsa_float_denorm_mode_32 3
		.amdhsa_float_denorm_mode_16_64 3
		.amdhsa_dx10_clamp 1
		.amdhsa_ieee_mode 1
		.amdhsa_fp16_overflow 0
		.amdhsa_tg_split 0
		.amdhsa_exception_fp_ieee_invalid_op 0
		.amdhsa_exception_fp_denorm_src 0
		.amdhsa_exception_fp_ieee_div_zero 0
		.amdhsa_exception_fp_ieee_overflow 0
		.amdhsa_exception_fp_ieee_underflow 0
		.amdhsa_exception_fp_ieee_inexact 0
		.amdhsa_exception_int_div_zero 0
	.end_amdhsa_kernel
	.section	.text._ZN12_GLOBAL__N_121softmax_warp_backwardIfN3c104HalfEfLi1ELb0ELb0ELi64EEEvPT0_PKT_S7_iiiPKb,"axG",@progbits,_ZN12_GLOBAL__N_121softmax_warp_backwardIfN3c104HalfEfLi1ELb0ELb0ELi64EEEvPT0_PKT_S7_iiiPKb,comdat
.Lfunc_end596:
	.size	_ZN12_GLOBAL__N_121softmax_warp_backwardIfN3c104HalfEfLi1ELb0ELb0ELi64EEEvPT0_PKT_S7_iiiPKb, .Lfunc_end596-_ZN12_GLOBAL__N_121softmax_warp_backwardIfN3c104HalfEfLi1ELb0ELb0ELi64EEEvPT0_PKT_S7_iiiPKb
                                        ; -- End function
	.section	.AMDGPU.csdata,"",@progbits
; Kernel info:
; codeLenInByte = 484
; NumSgprs: 20
; NumVgprs: 12
; NumAgprs: 0
; TotalNumVgprs: 12
; ScratchSize: 0
; MemoryBound: 0
; FloatMode: 240
; IeeeMode: 1
; LDSByteSize: 0 bytes/workgroup (compile time only)
; SGPRBlocks: 2
; VGPRBlocks: 1
; NumSGPRsForWavesPerEU: 20
; NumVGPRsForWavesPerEU: 12
; AccumOffset: 12
; Occupancy: 8
; WaveLimiterHint : 0
; COMPUTE_PGM_RSRC2:SCRATCH_EN: 0
; COMPUTE_PGM_RSRC2:USER_SGPR: 6
; COMPUTE_PGM_RSRC2:TRAP_HANDLER: 0
; COMPUTE_PGM_RSRC2:TGID_X_EN: 1
; COMPUTE_PGM_RSRC2:TGID_Y_EN: 0
; COMPUTE_PGM_RSRC2:TGID_Z_EN: 0
; COMPUTE_PGM_RSRC2:TIDIG_COMP_CNT: 1
; COMPUTE_PGM_RSRC3_GFX90A:ACCUM_OFFSET: 2
; COMPUTE_PGM_RSRC3_GFX90A:TG_SPLIT: 0
	.section	.text._ZN12_GLOBAL__N_121softmax_warp_backwardIfN3c104HalfEfLi1ELb0ELb0ELi32EEEvPT0_PKT_S7_iiiPKb,"axG",@progbits,_ZN12_GLOBAL__N_121softmax_warp_backwardIfN3c104HalfEfLi1ELb0ELb0ELi32EEEvPT0_PKT_S7_iiiPKb,comdat
	.globl	_ZN12_GLOBAL__N_121softmax_warp_backwardIfN3c104HalfEfLi1ELb0ELb0ELi32EEEvPT0_PKT_S7_iiiPKb ; -- Begin function _ZN12_GLOBAL__N_121softmax_warp_backwardIfN3c104HalfEfLi1ELb0ELb0ELi32EEEvPT0_PKT_S7_iiiPKb
	.p2align	8
	.type	_ZN12_GLOBAL__N_121softmax_warp_backwardIfN3c104HalfEfLi1ELb0ELb0ELi32EEEvPT0_PKT_S7_iiiPKb,@function
_ZN12_GLOBAL__N_121softmax_warp_backwardIfN3c104HalfEfLi1ELb0ELb0ELi32EEEvPT0_PKT_S7_iiiPKb: ; @_ZN12_GLOBAL__N_121softmax_warp_backwardIfN3c104HalfEfLi1ELb0ELb0ELi32EEEvPT0_PKT_S7_iiiPKb
; %bb.0:
	s_load_dword s2, s[4:5], 0x3c
	s_load_dwordx4 s[8:11], s[4:5], 0x18
	s_load_dwordx4 s[12:15], s[4:5], 0x0
	s_load_dwordx2 s[0:1], s[4:5], 0x10
	v_bfe_u32 v1, v0, 10, 10
	s_waitcnt lgkmcnt(0)
	s_lshr_b32 s2, s2, 16
	s_mul_i32 s6, s6, s2
	v_add_lshl_u32 v1, s6, v1, 1
	v_sub_u32_e32 v8, s8, v1
	v_mul_lo_u32 v1, v1, s9
	v_and_b32_e32 v9, 1, v0
	v_or_b32_e32 v2, v1, v9
	v_ashrrev_i32_e32 v3, 31, v2
	v_lshlrev_b64 v[0:1], 2, v[2:3]
	v_mov_b32_e32 v5, s15
	v_add_co_u32_e32 v4, vcc, s14, v0
	v_addc_co_u32_e32 v5, vcc, v5, v1, vcc
	v_mov_b32_e32 v7, s1
	v_add_co_u32_e32 v6, vcc, s0, v0
	v_addc_co_u32_e32 v7, vcc, v7, v1, vcc
	v_cmp_gt_i32_e32 vcc, s10, v9
	v_cmp_lt_i32_e64 s[0:1], 0, v8
	s_and_b64 s[4:5], vcc, s[0:1]
	v_mov_b32_e32 v1, 0
	v_mov_b32_e32 v0, 0
	v_mov_b32_e32 v9, 0
	s_and_saveexec_b64 s[2:3], s[4:5]
	s_cbranch_execz .LBB597_2
; %bb.1:
	global_load_dword v0, v[4:5], off
	global_load_dword v9, v[6:7], off
.LBB597_2:
	s_or_b64 exec, exec, s[2:3]
	v_cmp_lt_i32_e64 s[2:3], 1, v8
	s_and_b64 s[2:3], vcc, s[2:3]
	s_mov_b32 s11, 0
	v_mov_b32_e32 v10, 0
	s_and_saveexec_b64 s[4:5], s[2:3]
	s_cbranch_execz .LBB597_4
; %bb.3:
	s_lshl_b64 s[6:7], s[10:11], 2
	v_mov_b32_e32 v10, s7
	v_add_co_u32_e64 v4, s[2:3], s6, v4
	v_addc_co_u32_e64 v5, s[2:3], v5, v10, s[2:3]
	global_load_dword v1, v[4:5], off
	v_add_co_u32_e64 v4, s[2:3], s6, v6
	v_addc_co_u32_e64 v5, s[2:3], v7, v10, s[2:3]
	global_load_dword v10, v[4:5], off
.LBB597_4:
	s_or_b64 exec, exec, s[4:5]
	v_mbcnt_lo_u32_b32 v6, -1, 0
	v_mbcnt_hi_u32_b32 v6, -1, v6
	v_and_b32_e32 v11, 0x7e, v6
	v_xor_b32_e32 v7, 1, v6
	v_add_u32_e32 v11, 2, v11
	v_cmp_lt_i32_e64 s[2:3], v7, v11
	v_cndmask_b32_e64 v6, v6, v7, s[2:3]
	s_waitcnt vmcnt(1)
	v_pk_add_f32 v[4:5], v[0:1], 0 op_sel_hi:[1,0]
	v_lshlrev_b32_e32 v7, 2, v6
	ds_bpermute_b32 v6, v7, v4
	ds_bpermute_b32 v7, v7, v5
	s_and_saveexec_b64 s[2:3], s[0:1]
	s_cbranch_execz .LBB597_10
; %bb.5:
	v_lshlrev_b64 v[2:3], 1, v[2:3]
	v_mov_b32_e32 v11, s13
	v_add_co_u32_e64 v2, s[0:1], s12, v2
	v_addc_co_u32_e64 v3, s[0:1], v11, v3, s[0:1]
	s_waitcnt lgkmcnt(0)
	v_pk_add_f32 v[4:5], v[4:5], v[6:7]
	s_and_saveexec_b64 s[0:1], vcc
	s_cbranch_execz .LBB597_7
; %bb.6:
	s_waitcnt vmcnt(0)
	v_fma_mixlo_f16 v0, -v4, v9, v0
	global_store_short v[2:3], v0, off
.LBB597_7:
	s_or_b64 exec, exec, s[0:1]
	v_cmp_ne_u32_e64 s[0:1], 1, v8
	s_and_b64 exec, exec, s[0:1]
	s_cbranch_execz .LBB597_10
; %bb.8:
	s_and_b64 exec, exec, vcc
	s_cbranch_execz .LBB597_10
; %bb.9:
	s_lshl_b64 s[0:1], s[10:11], 1
	s_waitcnt vmcnt(0)
	v_fma_mixlo_f16 v4, -v5, v10, v1
	v_mov_b32_e32 v1, s1
	v_add_co_u32_e32 v0, vcc, s0, v2
	v_addc_co_u32_e32 v1, vcc, v3, v1, vcc
	global_store_short v[0:1], v4, off
.LBB597_10:
	s_endpgm
	.section	.rodata,"a",@progbits
	.p2align	6, 0x0
	.amdhsa_kernel _ZN12_GLOBAL__N_121softmax_warp_backwardIfN3c104HalfEfLi1ELb0ELb0ELi32EEEvPT0_PKT_S7_iiiPKb
		.amdhsa_group_segment_fixed_size 0
		.amdhsa_private_segment_fixed_size 0
		.amdhsa_kernarg_size 304
		.amdhsa_user_sgpr_count 6
		.amdhsa_user_sgpr_private_segment_buffer 1
		.amdhsa_user_sgpr_dispatch_ptr 0
		.amdhsa_user_sgpr_queue_ptr 0
		.amdhsa_user_sgpr_kernarg_segment_ptr 1
		.amdhsa_user_sgpr_dispatch_id 0
		.amdhsa_user_sgpr_flat_scratch_init 0
		.amdhsa_user_sgpr_kernarg_preload_length 0
		.amdhsa_user_sgpr_kernarg_preload_offset 0
		.amdhsa_user_sgpr_private_segment_size 0
		.amdhsa_uses_dynamic_stack 0
		.amdhsa_system_sgpr_private_segment_wavefront_offset 0
		.amdhsa_system_sgpr_workgroup_id_x 1
		.amdhsa_system_sgpr_workgroup_id_y 0
		.amdhsa_system_sgpr_workgroup_id_z 0
		.amdhsa_system_sgpr_workgroup_info 0
		.amdhsa_system_vgpr_workitem_id 1
		.amdhsa_next_free_vgpr 12
		.amdhsa_next_free_sgpr 16
		.amdhsa_accum_offset 12
		.amdhsa_reserve_vcc 1
		.amdhsa_reserve_flat_scratch 0
		.amdhsa_float_round_mode_32 0
		.amdhsa_float_round_mode_16_64 0
		.amdhsa_float_denorm_mode_32 3
		.amdhsa_float_denorm_mode_16_64 3
		.amdhsa_dx10_clamp 1
		.amdhsa_ieee_mode 1
		.amdhsa_fp16_overflow 0
		.amdhsa_tg_split 0
		.amdhsa_exception_fp_ieee_invalid_op 0
		.amdhsa_exception_fp_denorm_src 0
		.amdhsa_exception_fp_ieee_div_zero 0
		.amdhsa_exception_fp_ieee_overflow 0
		.amdhsa_exception_fp_ieee_underflow 0
		.amdhsa_exception_fp_ieee_inexact 0
		.amdhsa_exception_int_div_zero 0
	.end_amdhsa_kernel
	.section	.text._ZN12_GLOBAL__N_121softmax_warp_backwardIfN3c104HalfEfLi1ELb0ELb0ELi32EEEvPT0_PKT_S7_iiiPKb,"axG",@progbits,_ZN12_GLOBAL__N_121softmax_warp_backwardIfN3c104HalfEfLi1ELb0ELb0ELi32EEEvPT0_PKT_S7_iiiPKb,comdat
.Lfunc_end597:
	.size	_ZN12_GLOBAL__N_121softmax_warp_backwardIfN3c104HalfEfLi1ELb0ELb0ELi32EEEvPT0_PKT_S7_iiiPKb, .Lfunc_end597-_ZN12_GLOBAL__N_121softmax_warp_backwardIfN3c104HalfEfLi1ELb0ELb0ELi32EEEvPT0_PKT_S7_iiiPKb
                                        ; -- End function
	.section	.AMDGPU.csdata,"",@progbits
; Kernel info:
; codeLenInByte = 484
; NumSgprs: 20
; NumVgprs: 12
; NumAgprs: 0
; TotalNumVgprs: 12
; ScratchSize: 0
; MemoryBound: 0
; FloatMode: 240
; IeeeMode: 1
; LDSByteSize: 0 bytes/workgroup (compile time only)
; SGPRBlocks: 2
; VGPRBlocks: 1
; NumSGPRsForWavesPerEU: 20
; NumVGPRsForWavesPerEU: 12
; AccumOffset: 12
; Occupancy: 8
; WaveLimiterHint : 0
; COMPUTE_PGM_RSRC2:SCRATCH_EN: 0
; COMPUTE_PGM_RSRC2:USER_SGPR: 6
; COMPUTE_PGM_RSRC2:TRAP_HANDLER: 0
; COMPUTE_PGM_RSRC2:TGID_X_EN: 1
; COMPUTE_PGM_RSRC2:TGID_Y_EN: 0
; COMPUTE_PGM_RSRC2:TGID_Z_EN: 0
; COMPUTE_PGM_RSRC2:TIDIG_COMP_CNT: 1
; COMPUTE_PGM_RSRC3_GFX90A:ACCUM_OFFSET: 2
; COMPUTE_PGM_RSRC3_GFX90A:TG_SPLIT: 0
	.section	.text._ZN12_GLOBAL__N_121softmax_warp_backwardIfN3c104HalfEfLi2ELb0ELb0ELi64EEEvPT0_PKT_S7_iiiPKb,"axG",@progbits,_ZN12_GLOBAL__N_121softmax_warp_backwardIfN3c104HalfEfLi2ELb0ELb0ELi64EEEvPT0_PKT_S7_iiiPKb,comdat
	.globl	_ZN12_GLOBAL__N_121softmax_warp_backwardIfN3c104HalfEfLi2ELb0ELb0ELi64EEEvPT0_PKT_S7_iiiPKb ; -- Begin function _ZN12_GLOBAL__N_121softmax_warp_backwardIfN3c104HalfEfLi2ELb0ELb0ELi64EEEvPT0_PKT_S7_iiiPKb
	.p2align	8
	.type	_ZN12_GLOBAL__N_121softmax_warp_backwardIfN3c104HalfEfLi2ELb0ELb0ELi64EEEvPT0_PKT_S7_iiiPKb,@function
_ZN12_GLOBAL__N_121softmax_warp_backwardIfN3c104HalfEfLi2ELb0ELb0ELi64EEEvPT0_PKT_S7_iiiPKb: ; @_ZN12_GLOBAL__N_121softmax_warp_backwardIfN3c104HalfEfLi2ELb0ELb0ELi64EEEvPT0_PKT_S7_iiiPKb
; %bb.0:
	s_load_dword s2, s[4:5], 0x3c
	s_load_dwordx4 s[8:11], s[4:5], 0x18
	s_load_dwordx4 s[12:15], s[4:5], 0x0
	s_load_dwordx2 s[0:1], s[4:5], 0x10
	v_bfe_u32 v1, v0, 10, 10
	s_waitcnt lgkmcnt(0)
	s_lshr_b32 s2, s2, 16
	s_mul_i32 s6, s6, s2
	v_add_lshl_u32 v1, s6, v1, 1
	v_and_b32_e32 v0, 3, v0
	v_mad_u64_u32 v[2:3], s[2:3], v1, s9, v[0:1]
	v_ashrrev_i32_e32 v3, 31, v2
	v_lshlrev_b64 v[6:7], 2, v[2:3]
	v_sub_u32_e32 v8, s8, v1
	v_mov_b32_e32 v1, s15
	v_add_co_u32_e32 v4, vcc, s14, v6
	v_addc_co_u32_e32 v5, vcc, v1, v7, vcc
	v_mov_b32_e32 v1, s1
	v_add_co_u32_e32 v6, vcc, s0, v6
	v_addc_co_u32_e32 v7, vcc, v1, v7, vcc
	v_cmp_gt_i32_e32 vcc, s10, v0
	v_cmp_lt_i32_e64 s[0:1], 0, v8
	s_and_b64 s[4:5], vcc, s[0:1]
	v_mov_b32_e32 v1, 0
	v_mov_b32_e32 v0, 0
	;; [unrolled: 1-line block ×3, first 2 shown]
	s_and_saveexec_b64 s[2:3], s[4:5]
	s_cbranch_execz .LBB598_2
; %bb.1:
	global_load_dword v0, v[4:5], off
	global_load_dword v9, v[6:7], off
.LBB598_2:
	s_or_b64 exec, exec, s[2:3]
	v_cmp_lt_i32_e64 s[2:3], 1, v8
	s_and_b64 s[2:3], vcc, s[2:3]
	s_mov_b32 s11, 0
	v_mov_b32_e32 v10, 0
	s_and_saveexec_b64 s[4:5], s[2:3]
	s_cbranch_execz .LBB598_4
; %bb.3:
	s_lshl_b64 s[6:7], s[10:11], 2
	v_mov_b32_e32 v10, s7
	v_add_co_u32_e64 v4, s[2:3], s6, v4
	v_addc_co_u32_e64 v5, s[2:3], v5, v10, s[2:3]
	global_load_dword v1, v[4:5], off
	v_add_co_u32_e64 v4, s[2:3], s6, v6
	v_addc_co_u32_e64 v5, s[2:3], v7, v10, s[2:3]
	global_load_dword v10, v[4:5], off
.LBB598_4:
	s_or_b64 exec, exec, s[4:5]
	v_mbcnt_lo_u32_b32 v6, -1, 0
	v_mbcnt_hi_u32_b32 v11, -1, v6
	v_and_b32_e32 v6, 0x7c, v11
	v_add_u32_e32 v12, 4, v6
	v_xor_b32_e32 v6, 2, v11
	v_cmp_lt_i32_e64 s[2:3], v6, v12
	v_cndmask_b32_e64 v6, v11, v6, s[2:3]
	s_waitcnt vmcnt(1)
	v_pk_add_f32 v[4:5], v[0:1], 0 op_sel_hi:[1,0]
	v_lshlrev_b32_e32 v7, 2, v6
	ds_bpermute_b32 v6, v7, v4
	ds_bpermute_b32 v7, v7, v5
	v_xor_b32_e32 v13, 1, v11
	v_cmp_lt_i32_e64 s[2:3], v13, v12
	v_cndmask_b32_e64 v11, v11, v13, s[2:3]
	v_lshlrev_b32_e32 v11, 2, v11
	s_waitcnt lgkmcnt(0)
	v_pk_add_f32 v[4:5], v[4:5], v[6:7]
	ds_bpermute_b32 v6, v11, v4
	ds_bpermute_b32 v7, v11, v5
	s_and_saveexec_b64 s[2:3], s[0:1]
	s_cbranch_execz .LBB598_10
; %bb.5:
	v_lshlrev_b64 v[2:3], 1, v[2:3]
	v_mov_b32_e32 v11, s13
	v_add_co_u32_e64 v2, s[0:1], s12, v2
	v_addc_co_u32_e64 v3, s[0:1], v11, v3, s[0:1]
	s_waitcnt lgkmcnt(0)
	v_pk_add_f32 v[4:5], v[4:5], v[6:7]
	s_and_saveexec_b64 s[0:1], vcc
	s_cbranch_execz .LBB598_7
; %bb.6:
	s_waitcnt vmcnt(0)
	v_fma_mixlo_f16 v0, -v4, v9, v0
	global_store_short v[2:3], v0, off
.LBB598_7:
	s_or_b64 exec, exec, s[0:1]
	v_cmp_ne_u32_e64 s[0:1], 1, v8
	s_and_b64 exec, exec, s[0:1]
	s_cbranch_execz .LBB598_10
; %bb.8:
	s_and_b64 exec, exec, vcc
	s_cbranch_execz .LBB598_10
; %bb.9:
	s_lshl_b64 s[0:1], s[10:11], 1
	s_waitcnt vmcnt(0)
	v_fma_mixlo_f16 v4, -v5, v10, v1
	v_mov_b32_e32 v1, s1
	v_add_co_u32_e32 v0, vcc, s0, v2
	v_addc_co_u32_e32 v1, vcc, v3, v1, vcc
	global_store_short v[0:1], v4, off
.LBB598_10:
	s_endpgm
	.section	.rodata,"a",@progbits
	.p2align	6, 0x0
	.amdhsa_kernel _ZN12_GLOBAL__N_121softmax_warp_backwardIfN3c104HalfEfLi2ELb0ELb0ELi64EEEvPT0_PKT_S7_iiiPKb
		.amdhsa_group_segment_fixed_size 0
		.amdhsa_private_segment_fixed_size 0
		.amdhsa_kernarg_size 304
		.amdhsa_user_sgpr_count 6
		.amdhsa_user_sgpr_private_segment_buffer 1
		.amdhsa_user_sgpr_dispatch_ptr 0
		.amdhsa_user_sgpr_queue_ptr 0
		.amdhsa_user_sgpr_kernarg_segment_ptr 1
		.amdhsa_user_sgpr_dispatch_id 0
		.amdhsa_user_sgpr_flat_scratch_init 0
		.amdhsa_user_sgpr_kernarg_preload_length 0
		.amdhsa_user_sgpr_kernarg_preload_offset 0
		.amdhsa_user_sgpr_private_segment_size 0
		.amdhsa_uses_dynamic_stack 0
		.amdhsa_system_sgpr_private_segment_wavefront_offset 0
		.amdhsa_system_sgpr_workgroup_id_x 1
		.amdhsa_system_sgpr_workgroup_id_y 0
		.amdhsa_system_sgpr_workgroup_id_z 0
		.amdhsa_system_sgpr_workgroup_info 0
		.amdhsa_system_vgpr_workitem_id 1
		.amdhsa_next_free_vgpr 14
		.amdhsa_next_free_sgpr 16
		.amdhsa_accum_offset 16
		.amdhsa_reserve_vcc 1
		.amdhsa_reserve_flat_scratch 0
		.amdhsa_float_round_mode_32 0
		.amdhsa_float_round_mode_16_64 0
		.amdhsa_float_denorm_mode_32 3
		.amdhsa_float_denorm_mode_16_64 3
		.amdhsa_dx10_clamp 1
		.amdhsa_ieee_mode 1
		.amdhsa_fp16_overflow 0
		.amdhsa_tg_split 0
		.amdhsa_exception_fp_ieee_invalid_op 0
		.amdhsa_exception_fp_denorm_src 0
		.amdhsa_exception_fp_ieee_div_zero 0
		.amdhsa_exception_fp_ieee_overflow 0
		.amdhsa_exception_fp_ieee_underflow 0
		.amdhsa_exception_fp_ieee_inexact 0
		.amdhsa_exception_int_div_zero 0
	.end_amdhsa_kernel
	.section	.text._ZN12_GLOBAL__N_121softmax_warp_backwardIfN3c104HalfEfLi2ELb0ELb0ELi64EEEvPT0_PKT_S7_iiiPKb,"axG",@progbits,_ZN12_GLOBAL__N_121softmax_warp_backwardIfN3c104HalfEfLi2ELb0ELb0ELi64EEEvPT0_PKT_S7_iiiPKb,comdat
.Lfunc_end598:
	.size	_ZN12_GLOBAL__N_121softmax_warp_backwardIfN3c104HalfEfLi2ELb0ELb0ELi64EEEvPT0_PKT_S7_iiiPKb, .Lfunc_end598-_ZN12_GLOBAL__N_121softmax_warp_backwardIfN3c104HalfEfLi2ELb0ELb0ELi64EEEvPT0_PKT_S7_iiiPKb
                                        ; -- End function
	.section	.AMDGPU.csdata,"",@progbits
; Kernel info:
; codeLenInByte = 532
; NumSgprs: 20
; NumVgprs: 14
; NumAgprs: 0
; TotalNumVgprs: 14
; ScratchSize: 0
; MemoryBound: 0
; FloatMode: 240
; IeeeMode: 1
; LDSByteSize: 0 bytes/workgroup (compile time only)
; SGPRBlocks: 2
; VGPRBlocks: 1
; NumSGPRsForWavesPerEU: 20
; NumVGPRsForWavesPerEU: 14
; AccumOffset: 16
; Occupancy: 8
; WaveLimiterHint : 0
; COMPUTE_PGM_RSRC2:SCRATCH_EN: 0
; COMPUTE_PGM_RSRC2:USER_SGPR: 6
; COMPUTE_PGM_RSRC2:TRAP_HANDLER: 0
; COMPUTE_PGM_RSRC2:TGID_X_EN: 1
; COMPUTE_PGM_RSRC2:TGID_Y_EN: 0
; COMPUTE_PGM_RSRC2:TGID_Z_EN: 0
; COMPUTE_PGM_RSRC2:TIDIG_COMP_CNT: 1
; COMPUTE_PGM_RSRC3_GFX90A:ACCUM_OFFSET: 3
; COMPUTE_PGM_RSRC3_GFX90A:TG_SPLIT: 0
	.section	.text._ZN12_GLOBAL__N_121softmax_warp_backwardIfN3c104HalfEfLi2ELb0ELb0ELi32EEEvPT0_PKT_S7_iiiPKb,"axG",@progbits,_ZN12_GLOBAL__N_121softmax_warp_backwardIfN3c104HalfEfLi2ELb0ELb0ELi32EEEvPT0_PKT_S7_iiiPKb,comdat
	.globl	_ZN12_GLOBAL__N_121softmax_warp_backwardIfN3c104HalfEfLi2ELb0ELb0ELi32EEEvPT0_PKT_S7_iiiPKb ; -- Begin function _ZN12_GLOBAL__N_121softmax_warp_backwardIfN3c104HalfEfLi2ELb0ELb0ELi32EEEvPT0_PKT_S7_iiiPKb
	.p2align	8
	.type	_ZN12_GLOBAL__N_121softmax_warp_backwardIfN3c104HalfEfLi2ELb0ELb0ELi32EEEvPT0_PKT_S7_iiiPKb,@function
_ZN12_GLOBAL__N_121softmax_warp_backwardIfN3c104HalfEfLi2ELb0ELb0ELi32EEEvPT0_PKT_S7_iiiPKb: ; @_ZN12_GLOBAL__N_121softmax_warp_backwardIfN3c104HalfEfLi2ELb0ELb0ELi32EEEvPT0_PKT_S7_iiiPKb
; %bb.0:
	s_load_dword s2, s[4:5], 0x3c
	s_load_dwordx4 s[8:11], s[4:5], 0x18
	s_load_dwordx4 s[12:15], s[4:5], 0x0
	s_load_dwordx2 s[0:1], s[4:5], 0x10
	v_bfe_u32 v1, v0, 10, 10
	s_waitcnt lgkmcnt(0)
	s_lshr_b32 s2, s2, 16
	s_mul_i32 s6, s6, s2
	v_add_lshl_u32 v1, s6, v1, 1
	v_and_b32_e32 v0, 3, v0
	v_mad_u64_u32 v[2:3], s[2:3], v1, s9, v[0:1]
	v_ashrrev_i32_e32 v3, 31, v2
	v_lshlrev_b64 v[6:7], 2, v[2:3]
	v_sub_u32_e32 v8, s8, v1
	v_mov_b32_e32 v1, s15
	v_add_co_u32_e32 v4, vcc, s14, v6
	v_addc_co_u32_e32 v5, vcc, v1, v7, vcc
	v_mov_b32_e32 v1, s1
	v_add_co_u32_e32 v6, vcc, s0, v6
	v_addc_co_u32_e32 v7, vcc, v1, v7, vcc
	v_cmp_gt_i32_e32 vcc, s10, v0
	v_cmp_lt_i32_e64 s[0:1], 0, v8
	s_and_b64 s[4:5], vcc, s[0:1]
	v_mov_b32_e32 v1, 0
	v_mov_b32_e32 v0, 0
	;; [unrolled: 1-line block ×3, first 2 shown]
	s_and_saveexec_b64 s[2:3], s[4:5]
	s_cbranch_execz .LBB599_2
; %bb.1:
	global_load_dword v0, v[4:5], off
	global_load_dword v9, v[6:7], off
.LBB599_2:
	s_or_b64 exec, exec, s[2:3]
	v_cmp_lt_i32_e64 s[2:3], 1, v8
	s_and_b64 s[2:3], vcc, s[2:3]
	s_mov_b32 s11, 0
	v_mov_b32_e32 v10, 0
	s_and_saveexec_b64 s[4:5], s[2:3]
	s_cbranch_execz .LBB599_4
; %bb.3:
	s_lshl_b64 s[6:7], s[10:11], 2
	v_mov_b32_e32 v10, s7
	v_add_co_u32_e64 v4, s[2:3], s6, v4
	v_addc_co_u32_e64 v5, s[2:3], v5, v10, s[2:3]
	global_load_dword v1, v[4:5], off
	v_add_co_u32_e64 v4, s[2:3], s6, v6
	v_addc_co_u32_e64 v5, s[2:3], v7, v10, s[2:3]
	global_load_dword v10, v[4:5], off
.LBB599_4:
	s_or_b64 exec, exec, s[4:5]
	v_mbcnt_lo_u32_b32 v6, -1, 0
	v_mbcnt_hi_u32_b32 v11, -1, v6
	v_and_b32_e32 v6, 0x7c, v11
	v_add_u32_e32 v12, 4, v6
	v_xor_b32_e32 v6, 2, v11
	v_cmp_lt_i32_e64 s[2:3], v6, v12
	v_cndmask_b32_e64 v6, v11, v6, s[2:3]
	s_waitcnt vmcnt(1)
	v_pk_add_f32 v[4:5], v[0:1], 0 op_sel_hi:[1,0]
	v_lshlrev_b32_e32 v7, 2, v6
	ds_bpermute_b32 v6, v7, v4
	ds_bpermute_b32 v7, v7, v5
	v_xor_b32_e32 v13, 1, v11
	v_cmp_lt_i32_e64 s[2:3], v13, v12
	v_cndmask_b32_e64 v11, v11, v13, s[2:3]
	v_lshlrev_b32_e32 v11, 2, v11
	s_waitcnt lgkmcnt(0)
	v_pk_add_f32 v[4:5], v[4:5], v[6:7]
	ds_bpermute_b32 v6, v11, v4
	ds_bpermute_b32 v7, v11, v5
	s_and_saveexec_b64 s[2:3], s[0:1]
	s_cbranch_execz .LBB599_10
; %bb.5:
	v_lshlrev_b64 v[2:3], 1, v[2:3]
	v_mov_b32_e32 v11, s13
	v_add_co_u32_e64 v2, s[0:1], s12, v2
	v_addc_co_u32_e64 v3, s[0:1], v11, v3, s[0:1]
	s_waitcnt lgkmcnt(0)
	v_pk_add_f32 v[4:5], v[4:5], v[6:7]
	s_and_saveexec_b64 s[0:1], vcc
	s_cbranch_execz .LBB599_7
; %bb.6:
	s_waitcnt vmcnt(0)
	v_fma_mixlo_f16 v0, -v4, v9, v0
	global_store_short v[2:3], v0, off
.LBB599_7:
	s_or_b64 exec, exec, s[0:1]
	v_cmp_ne_u32_e64 s[0:1], 1, v8
	s_and_b64 exec, exec, s[0:1]
	s_cbranch_execz .LBB599_10
; %bb.8:
	s_and_b64 exec, exec, vcc
	s_cbranch_execz .LBB599_10
; %bb.9:
	s_lshl_b64 s[0:1], s[10:11], 1
	s_waitcnt vmcnt(0)
	v_fma_mixlo_f16 v4, -v5, v10, v1
	v_mov_b32_e32 v1, s1
	v_add_co_u32_e32 v0, vcc, s0, v2
	v_addc_co_u32_e32 v1, vcc, v3, v1, vcc
	global_store_short v[0:1], v4, off
.LBB599_10:
	s_endpgm
	.section	.rodata,"a",@progbits
	.p2align	6, 0x0
	.amdhsa_kernel _ZN12_GLOBAL__N_121softmax_warp_backwardIfN3c104HalfEfLi2ELb0ELb0ELi32EEEvPT0_PKT_S7_iiiPKb
		.amdhsa_group_segment_fixed_size 0
		.amdhsa_private_segment_fixed_size 0
		.amdhsa_kernarg_size 304
		.amdhsa_user_sgpr_count 6
		.amdhsa_user_sgpr_private_segment_buffer 1
		.amdhsa_user_sgpr_dispatch_ptr 0
		.amdhsa_user_sgpr_queue_ptr 0
		.amdhsa_user_sgpr_kernarg_segment_ptr 1
		.amdhsa_user_sgpr_dispatch_id 0
		.amdhsa_user_sgpr_flat_scratch_init 0
		.amdhsa_user_sgpr_kernarg_preload_length 0
		.amdhsa_user_sgpr_kernarg_preload_offset 0
		.amdhsa_user_sgpr_private_segment_size 0
		.amdhsa_uses_dynamic_stack 0
		.amdhsa_system_sgpr_private_segment_wavefront_offset 0
		.amdhsa_system_sgpr_workgroup_id_x 1
		.amdhsa_system_sgpr_workgroup_id_y 0
		.amdhsa_system_sgpr_workgroup_id_z 0
		.amdhsa_system_sgpr_workgroup_info 0
		.amdhsa_system_vgpr_workitem_id 1
		.amdhsa_next_free_vgpr 14
		.amdhsa_next_free_sgpr 16
		.amdhsa_accum_offset 16
		.amdhsa_reserve_vcc 1
		.amdhsa_reserve_flat_scratch 0
		.amdhsa_float_round_mode_32 0
		.amdhsa_float_round_mode_16_64 0
		.amdhsa_float_denorm_mode_32 3
		.amdhsa_float_denorm_mode_16_64 3
		.amdhsa_dx10_clamp 1
		.amdhsa_ieee_mode 1
		.amdhsa_fp16_overflow 0
		.amdhsa_tg_split 0
		.amdhsa_exception_fp_ieee_invalid_op 0
		.amdhsa_exception_fp_denorm_src 0
		.amdhsa_exception_fp_ieee_div_zero 0
		.amdhsa_exception_fp_ieee_overflow 0
		.amdhsa_exception_fp_ieee_underflow 0
		.amdhsa_exception_fp_ieee_inexact 0
		.amdhsa_exception_int_div_zero 0
	.end_amdhsa_kernel
	.section	.text._ZN12_GLOBAL__N_121softmax_warp_backwardIfN3c104HalfEfLi2ELb0ELb0ELi32EEEvPT0_PKT_S7_iiiPKb,"axG",@progbits,_ZN12_GLOBAL__N_121softmax_warp_backwardIfN3c104HalfEfLi2ELb0ELb0ELi32EEEvPT0_PKT_S7_iiiPKb,comdat
.Lfunc_end599:
	.size	_ZN12_GLOBAL__N_121softmax_warp_backwardIfN3c104HalfEfLi2ELb0ELb0ELi32EEEvPT0_PKT_S7_iiiPKb, .Lfunc_end599-_ZN12_GLOBAL__N_121softmax_warp_backwardIfN3c104HalfEfLi2ELb0ELb0ELi32EEEvPT0_PKT_S7_iiiPKb
                                        ; -- End function
	.section	.AMDGPU.csdata,"",@progbits
; Kernel info:
; codeLenInByte = 532
; NumSgprs: 20
; NumVgprs: 14
; NumAgprs: 0
; TotalNumVgprs: 14
; ScratchSize: 0
; MemoryBound: 0
; FloatMode: 240
; IeeeMode: 1
; LDSByteSize: 0 bytes/workgroup (compile time only)
; SGPRBlocks: 2
; VGPRBlocks: 1
; NumSGPRsForWavesPerEU: 20
; NumVGPRsForWavesPerEU: 14
; AccumOffset: 16
; Occupancy: 8
; WaveLimiterHint : 0
; COMPUTE_PGM_RSRC2:SCRATCH_EN: 0
; COMPUTE_PGM_RSRC2:USER_SGPR: 6
; COMPUTE_PGM_RSRC2:TRAP_HANDLER: 0
; COMPUTE_PGM_RSRC2:TGID_X_EN: 1
; COMPUTE_PGM_RSRC2:TGID_Y_EN: 0
; COMPUTE_PGM_RSRC2:TGID_Z_EN: 0
; COMPUTE_PGM_RSRC2:TIDIG_COMP_CNT: 1
; COMPUTE_PGM_RSRC3_GFX90A:ACCUM_OFFSET: 3
; COMPUTE_PGM_RSRC3_GFX90A:TG_SPLIT: 0
	.section	.text._ZN12_GLOBAL__N_121softmax_warp_backwardIfN3c104HalfEfLi3ELb0ELb0ELi64EEEvPT0_PKT_S7_iiiPKb,"axG",@progbits,_ZN12_GLOBAL__N_121softmax_warp_backwardIfN3c104HalfEfLi3ELb0ELb0ELi64EEEvPT0_PKT_S7_iiiPKb,comdat
	.globl	_ZN12_GLOBAL__N_121softmax_warp_backwardIfN3c104HalfEfLi3ELb0ELb0ELi64EEEvPT0_PKT_S7_iiiPKb ; -- Begin function _ZN12_GLOBAL__N_121softmax_warp_backwardIfN3c104HalfEfLi3ELb0ELb0ELi64EEEvPT0_PKT_S7_iiiPKb
	.p2align	8
	.type	_ZN12_GLOBAL__N_121softmax_warp_backwardIfN3c104HalfEfLi3ELb0ELb0ELi64EEEvPT0_PKT_S7_iiiPKb,@function
_ZN12_GLOBAL__N_121softmax_warp_backwardIfN3c104HalfEfLi3ELb0ELb0ELi64EEEvPT0_PKT_S7_iiiPKb: ; @_ZN12_GLOBAL__N_121softmax_warp_backwardIfN3c104HalfEfLi3ELb0ELb0ELi64EEEvPT0_PKT_S7_iiiPKb
; %bb.0:
	s_load_dword s2, s[4:5], 0x3c
	s_load_dwordx4 s[8:11], s[4:5], 0x18
	s_load_dwordx4 s[12:15], s[4:5], 0x0
	s_load_dwordx2 s[0:1], s[4:5], 0x10
	v_bfe_u32 v1, v0, 10, 10
	s_waitcnt lgkmcnt(0)
	s_lshr_b32 s2, s2, 16
	s_mul_i32 s6, s6, s2
	v_add_lshl_u32 v1, s6, v1, 1
	v_and_b32_e32 v0, 7, v0
	v_mad_u64_u32 v[2:3], s[2:3], v1, s9, v[0:1]
	v_ashrrev_i32_e32 v3, 31, v2
	v_lshlrev_b64 v[6:7], 2, v[2:3]
	v_sub_u32_e32 v8, s8, v1
	v_mov_b32_e32 v1, s15
	v_add_co_u32_e32 v4, vcc, s14, v6
	v_addc_co_u32_e32 v5, vcc, v1, v7, vcc
	v_mov_b32_e32 v1, s1
	v_add_co_u32_e32 v6, vcc, s0, v6
	v_addc_co_u32_e32 v7, vcc, v1, v7, vcc
	v_cmp_gt_i32_e32 vcc, s10, v0
	v_cmp_lt_i32_e64 s[0:1], 0, v8
	s_and_b64 s[4:5], vcc, s[0:1]
	v_mov_b32_e32 v1, 0
	v_mov_b32_e32 v0, 0
	;; [unrolled: 1-line block ×3, first 2 shown]
	s_and_saveexec_b64 s[2:3], s[4:5]
	s_cbranch_execz .LBB600_2
; %bb.1:
	global_load_dword v0, v[4:5], off
	global_load_dword v9, v[6:7], off
.LBB600_2:
	s_or_b64 exec, exec, s[2:3]
	v_cmp_lt_i32_e64 s[2:3], 1, v8
	s_and_b64 s[2:3], vcc, s[2:3]
	s_mov_b32 s11, 0
	v_mov_b32_e32 v10, 0
	s_and_saveexec_b64 s[4:5], s[2:3]
	s_cbranch_execz .LBB600_4
; %bb.3:
	s_lshl_b64 s[6:7], s[10:11], 2
	v_mov_b32_e32 v10, s7
	v_add_co_u32_e64 v4, s[2:3], s6, v4
	v_addc_co_u32_e64 v5, s[2:3], v5, v10, s[2:3]
	global_load_dword v1, v[4:5], off
	v_add_co_u32_e64 v4, s[2:3], s6, v6
	v_addc_co_u32_e64 v5, s[2:3], v7, v10, s[2:3]
	global_load_dword v10, v[4:5], off
.LBB600_4:
	s_or_b64 exec, exec, s[4:5]
	v_mbcnt_lo_u32_b32 v6, -1, 0
	v_mbcnt_hi_u32_b32 v11, -1, v6
	v_and_b32_e32 v6, 0x78, v11
	v_add_u32_e32 v12, 8, v6
	v_xor_b32_e32 v6, 4, v11
	v_cmp_lt_i32_e64 s[2:3], v6, v12
	v_cndmask_b32_e64 v6, v11, v6, s[2:3]
	s_waitcnt vmcnt(1)
	v_pk_add_f32 v[4:5], v[0:1], 0 op_sel_hi:[1,0]
	v_lshlrev_b32_e32 v7, 2, v6
	ds_bpermute_b32 v6, v7, v4
	ds_bpermute_b32 v7, v7, v5
	v_xor_b32_e32 v13, 2, v11
	v_cmp_lt_i32_e64 s[2:3], v13, v12
	v_cndmask_b32_e64 v13, v11, v13, s[2:3]
	v_lshlrev_b32_e32 v13, 2, v13
	s_waitcnt lgkmcnt(0)
	v_pk_add_f32 v[4:5], v[4:5], v[6:7]
	ds_bpermute_b32 v6, v13, v4
	ds_bpermute_b32 v7, v13, v5
	v_xor_b32_e32 v13, 1, v11
	v_cmp_lt_i32_e64 s[2:3], v13, v12
	v_cndmask_b32_e64 v11, v11, v13, s[2:3]
	v_lshlrev_b32_e32 v11, 2, v11
	s_waitcnt lgkmcnt(0)
	v_pk_add_f32 v[4:5], v[4:5], v[6:7]
	ds_bpermute_b32 v6, v11, v4
	ds_bpermute_b32 v7, v11, v5
	s_and_saveexec_b64 s[2:3], s[0:1]
	s_cbranch_execz .LBB600_10
; %bb.5:
	v_lshlrev_b64 v[2:3], 1, v[2:3]
	v_mov_b32_e32 v11, s13
	v_add_co_u32_e64 v2, s[0:1], s12, v2
	v_addc_co_u32_e64 v3, s[0:1], v11, v3, s[0:1]
	s_waitcnt lgkmcnt(0)
	v_pk_add_f32 v[4:5], v[4:5], v[6:7]
	s_and_saveexec_b64 s[0:1], vcc
	s_cbranch_execz .LBB600_7
; %bb.6:
	s_waitcnt vmcnt(0)
	v_fma_mixlo_f16 v0, -v4, v9, v0
	global_store_short v[2:3], v0, off
.LBB600_7:
	s_or_b64 exec, exec, s[0:1]
	v_cmp_ne_u32_e64 s[0:1], 1, v8
	s_and_b64 exec, exec, s[0:1]
	s_cbranch_execz .LBB600_10
; %bb.8:
	s_and_b64 exec, exec, vcc
	s_cbranch_execz .LBB600_10
; %bb.9:
	s_lshl_b64 s[0:1], s[10:11], 1
	s_waitcnt vmcnt(0)
	v_fma_mixlo_f16 v4, -v5, v10, v1
	v_mov_b32_e32 v1, s1
	v_add_co_u32_e32 v0, vcc, s0, v2
	v_addc_co_u32_e32 v1, vcc, v3, v1, vcc
	global_store_short v[0:1], v4, off
.LBB600_10:
	s_endpgm
	.section	.rodata,"a",@progbits
	.p2align	6, 0x0
	.amdhsa_kernel _ZN12_GLOBAL__N_121softmax_warp_backwardIfN3c104HalfEfLi3ELb0ELb0ELi64EEEvPT0_PKT_S7_iiiPKb
		.amdhsa_group_segment_fixed_size 0
		.amdhsa_private_segment_fixed_size 0
		.amdhsa_kernarg_size 304
		.amdhsa_user_sgpr_count 6
		.amdhsa_user_sgpr_private_segment_buffer 1
		.amdhsa_user_sgpr_dispatch_ptr 0
		.amdhsa_user_sgpr_queue_ptr 0
		.amdhsa_user_sgpr_kernarg_segment_ptr 1
		.amdhsa_user_sgpr_dispatch_id 0
		.amdhsa_user_sgpr_flat_scratch_init 0
		.amdhsa_user_sgpr_kernarg_preload_length 0
		.amdhsa_user_sgpr_kernarg_preload_offset 0
		.amdhsa_user_sgpr_private_segment_size 0
		.amdhsa_uses_dynamic_stack 0
		.amdhsa_system_sgpr_private_segment_wavefront_offset 0
		.amdhsa_system_sgpr_workgroup_id_x 1
		.amdhsa_system_sgpr_workgroup_id_y 0
		.amdhsa_system_sgpr_workgroup_id_z 0
		.amdhsa_system_sgpr_workgroup_info 0
		.amdhsa_system_vgpr_workitem_id 1
		.amdhsa_next_free_vgpr 14
		.amdhsa_next_free_sgpr 16
		.amdhsa_accum_offset 16
		.amdhsa_reserve_vcc 1
		.amdhsa_reserve_flat_scratch 0
		.amdhsa_float_round_mode_32 0
		.amdhsa_float_round_mode_16_64 0
		.amdhsa_float_denorm_mode_32 3
		.amdhsa_float_denorm_mode_16_64 3
		.amdhsa_dx10_clamp 1
		.amdhsa_ieee_mode 1
		.amdhsa_fp16_overflow 0
		.amdhsa_tg_split 0
		.amdhsa_exception_fp_ieee_invalid_op 0
		.amdhsa_exception_fp_denorm_src 0
		.amdhsa_exception_fp_ieee_div_zero 0
		.amdhsa_exception_fp_ieee_overflow 0
		.amdhsa_exception_fp_ieee_underflow 0
		.amdhsa_exception_fp_ieee_inexact 0
		.amdhsa_exception_int_div_zero 0
	.end_amdhsa_kernel
	.section	.text._ZN12_GLOBAL__N_121softmax_warp_backwardIfN3c104HalfEfLi3ELb0ELb0ELi64EEEvPT0_PKT_S7_iiiPKb,"axG",@progbits,_ZN12_GLOBAL__N_121softmax_warp_backwardIfN3c104HalfEfLi3ELb0ELb0ELi64EEEvPT0_PKT_S7_iiiPKb,comdat
.Lfunc_end600:
	.size	_ZN12_GLOBAL__N_121softmax_warp_backwardIfN3c104HalfEfLi3ELb0ELb0ELi64EEEvPT0_PKT_S7_iiiPKb, .Lfunc_end600-_ZN12_GLOBAL__N_121softmax_warp_backwardIfN3c104HalfEfLi3ELb0ELb0ELi64EEEvPT0_PKT_S7_iiiPKb
                                        ; -- End function
	.section	.AMDGPU.csdata,"",@progbits
; Kernel info:
; codeLenInByte = 584
; NumSgprs: 20
; NumVgprs: 14
; NumAgprs: 0
; TotalNumVgprs: 14
; ScratchSize: 0
; MemoryBound: 0
; FloatMode: 240
; IeeeMode: 1
; LDSByteSize: 0 bytes/workgroup (compile time only)
; SGPRBlocks: 2
; VGPRBlocks: 1
; NumSGPRsForWavesPerEU: 20
; NumVGPRsForWavesPerEU: 14
; AccumOffset: 16
; Occupancy: 8
; WaveLimiterHint : 0
; COMPUTE_PGM_RSRC2:SCRATCH_EN: 0
; COMPUTE_PGM_RSRC2:USER_SGPR: 6
; COMPUTE_PGM_RSRC2:TRAP_HANDLER: 0
; COMPUTE_PGM_RSRC2:TGID_X_EN: 1
; COMPUTE_PGM_RSRC2:TGID_Y_EN: 0
; COMPUTE_PGM_RSRC2:TGID_Z_EN: 0
; COMPUTE_PGM_RSRC2:TIDIG_COMP_CNT: 1
; COMPUTE_PGM_RSRC3_GFX90A:ACCUM_OFFSET: 3
; COMPUTE_PGM_RSRC3_GFX90A:TG_SPLIT: 0
	.section	.text._ZN12_GLOBAL__N_121softmax_warp_backwardIfN3c104HalfEfLi3ELb0ELb0ELi32EEEvPT0_PKT_S7_iiiPKb,"axG",@progbits,_ZN12_GLOBAL__N_121softmax_warp_backwardIfN3c104HalfEfLi3ELb0ELb0ELi32EEEvPT0_PKT_S7_iiiPKb,comdat
	.globl	_ZN12_GLOBAL__N_121softmax_warp_backwardIfN3c104HalfEfLi3ELb0ELb0ELi32EEEvPT0_PKT_S7_iiiPKb ; -- Begin function _ZN12_GLOBAL__N_121softmax_warp_backwardIfN3c104HalfEfLi3ELb0ELb0ELi32EEEvPT0_PKT_S7_iiiPKb
	.p2align	8
	.type	_ZN12_GLOBAL__N_121softmax_warp_backwardIfN3c104HalfEfLi3ELb0ELb0ELi32EEEvPT0_PKT_S7_iiiPKb,@function
_ZN12_GLOBAL__N_121softmax_warp_backwardIfN3c104HalfEfLi3ELb0ELb0ELi32EEEvPT0_PKT_S7_iiiPKb: ; @_ZN12_GLOBAL__N_121softmax_warp_backwardIfN3c104HalfEfLi3ELb0ELb0ELi32EEEvPT0_PKT_S7_iiiPKb
; %bb.0:
	s_load_dword s2, s[4:5], 0x3c
	s_load_dwordx4 s[8:11], s[4:5], 0x18
	s_load_dwordx4 s[12:15], s[4:5], 0x0
	s_load_dwordx2 s[0:1], s[4:5], 0x10
	v_bfe_u32 v1, v0, 10, 10
	s_waitcnt lgkmcnt(0)
	s_lshr_b32 s2, s2, 16
	s_mul_i32 s6, s6, s2
	v_add_lshl_u32 v1, s6, v1, 1
	v_and_b32_e32 v0, 7, v0
	v_mad_u64_u32 v[2:3], s[2:3], v1, s9, v[0:1]
	v_ashrrev_i32_e32 v3, 31, v2
	v_lshlrev_b64 v[6:7], 2, v[2:3]
	v_sub_u32_e32 v8, s8, v1
	v_mov_b32_e32 v1, s15
	v_add_co_u32_e32 v4, vcc, s14, v6
	v_addc_co_u32_e32 v5, vcc, v1, v7, vcc
	v_mov_b32_e32 v1, s1
	v_add_co_u32_e32 v6, vcc, s0, v6
	v_addc_co_u32_e32 v7, vcc, v1, v7, vcc
	v_cmp_gt_i32_e32 vcc, s10, v0
	v_cmp_lt_i32_e64 s[0:1], 0, v8
	s_and_b64 s[4:5], vcc, s[0:1]
	v_mov_b32_e32 v1, 0
	v_mov_b32_e32 v0, 0
	;; [unrolled: 1-line block ×3, first 2 shown]
	s_and_saveexec_b64 s[2:3], s[4:5]
	s_cbranch_execz .LBB601_2
; %bb.1:
	global_load_dword v0, v[4:5], off
	global_load_dword v9, v[6:7], off
.LBB601_2:
	s_or_b64 exec, exec, s[2:3]
	v_cmp_lt_i32_e64 s[2:3], 1, v8
	s_and_b64 s[2:3], vcc, s[2:3]
	s_mov_b32 s11, 0
	v_mov_b32_e32 v10, 0
	s_and_saveexec_b64 s[4:5], s[2:3]
	s_cbranch_execz .LBB601_4
; %bb.3:
	s_lshl_b64 s[6:7], s[10:11], 2
	v_mov_b32_e32 v10, s7
	v_add_co_u32_e64 v4, s[2:3], s6, v4
	v_addc_co_u32_e64 v5, s[2:3], v5, v10, s[2:3]
	global_load_dword v1, v[4:5], off
	v_add_co_u32_e64 v4, s[2:3], s6, v6
	v_addc_co_u32_e64 v5, s[2:3], v7, v10, s[2:3]
	global_load_dword v10, v[4:5], off
.LBB601_4:
	s_or_b64 exec, exec, s[4:5]
	v_mbcnt_lo_u32_b32 v6, -1, 0
	v_mbcnt_hi_u32_b32 v11, -1, v6
	v_and_b32_e32 v6, 0x78, v11
	v_add_u32_e32 v12, 8, v6
	v_xor_b32_e32 v6, 4, v11
	v_cmp_lt_i32_e64 s[2:3], v6, v12
	v_cndmask_b32_e64 v6, v11, v6, s[2:3]
	s_waitcnt vmcnt(1)
	v_pk_add_f32 v[4:5], v[0:1], 0 op_sel_hi:[1,0]
	v_lshlrev_b32_e32 v7, 2, v6
	ds_bpermute_b32 v6, v7, v4
	ds_bpermute_b32 v7, v7, v5
	v_xor_b32_e32 v13, 2, v11
	v_cmp_lt_i32_e64 s[2:3], v13, v12
	v_cndmask_b32_e64 v13, v11, v13, s[2:3]
	v_lshlrev_b32_e32 v13, 2, v13
	s_waitcnt lgkmcnt(0)
	v_pk_add_f32 v[4:5], v[4:5], v[6:7]
	ds_bpermute_b32 v6, v13, v4
	ds_bpermute_b32 v7, v13, v5
	v_xor_b32_e32 v13, 1, v11
	v_cmp_lt_i32_e64 s[2:3], v13, v12
	v_cndmask_b32_e64 v11, v11, v13, s[2:3]
	v_lshlrev_b32_e32 v11, 2, v11
	s_waitcnt lgkmcnt(0)
	v_pk_add_f32 v[4:5], v[4:5], v[6:7]
	ds_bpermute_b32 v6, v11, v4
	ds_bpermute_b32 v7, v11, v5
	s_and_saveexec_b64 s[2:3], s[0:1]
	s_cbranch_execz .LBB601_10
; %bb.5:
	v_lshlrev_b64 v[2:3], 1, v[2:3]
	v_mov_b32_e32 v11, s13
	v_add_co_u32_e64 v2, s[0:1], s12, v2
	v_addc_co_u32_e64 v3, s[0:1], v11, v3, s[0:1]
	s_waitcnt lgkmcnt(0)
	v_pk_add_f32 v[4:5], v[4:5], v[6:7]
	s_and_saveexec_b64 s[0:1], vcc
	s_cbranch_execz .LBB601_7
; %bb.6:
	s_waitcnt vmcnt(0)
	v_fma_mixlo_f16 v0, -v4, v9, v0
	global_store_short v[2:3], v0, off
.LBB601_7:
	s_or_b64 exec, exec, s[0:1]
	v_cmp_ne_u32_e64 s[0:1], 1, v8
	s_and_b64 exec, exec, s[0:1]
	s_cbranch_execz .LBB601_10
; %bb.8:
	s_and_b64 exec, exec, vcc
	s_cbranch_execz .LBB601_10
; %bb.9:
	s_lshl_b64 s[0:1], s[10:11], 1
	s_waitcnt vmcnt(0)
	v_fma_mixlo_f16 v4, -v5, v10, v1
	v_mov_b32_e32 v1, s1
	v_add_co_u32_e32 v0, vcc, s0, v2
	v_addc_co_u32_e32 v1, vcc, v3, v1, vcc
	global_store_short v[0:1], v4, off
.LBB601_10:
	s_endpgm
	.section	.rodata,"a",@progbits
	.p2align	6, 0x0
	.amdhsa_kernel _ZN12_GLOBAL__N_121softmax_warp_backwardIfN3c104HalfEfLi3ELb0ELb0ELi32EEEvPT0_PKT_S7_iiiPKb
		.amdhsa_group_segment_fixed_size 0
		.amdhsa_private_segment_fixed_size 0
		.amdhsa_kernarg_size 304
		.amdhsa_user_sgpr_count 6
		.amdhsa_user_sgpr_private_segment_buffer 1
		.amdhsa_user_sgpr_dispatch_ptr 0
		.amdhsa_user_sgpr_queue_ptr 0
		.amdhsa_user_sgpr_kernarg_segment_ptr 1
		.amdhsa_user_sgpr_dispatch_id 0
		.amdhsa_user_sgpr_flat_scratch_init 0
		.amdhsa_user_sgpr_kernarg_preload_length 0
		.amdhsa_user_sgpr_kernarg_preload_offset 0
		.amdhsa_user_sgpr_private_segment_size 0
		.amdhsa_uses_dynamic_stack 0
		.amdhsa_system_sgpr_private_segment_wavefront_offset 0
		.amdhsa_system_sgpr_workgroup_id_x 1
		.amdhsa_system_sgpr_workgroup_id_y 0
		.amdhsa_system_sgpr_workgroup_id_z 0
		.amdhsa_system_sgpr_workgroup_info 0
		.amdhsa_system_vgpr_workitem_id 1
		.amdhsa_next_free_vgpr 14
		.amdhsa_next_free_sgpr 16
		.amdhsa_accum_offset 16
		.amdhsa_reserve_vcc 1
		.amdhsa_reserve_flat_scratch 0
		.amdhsa_float_round_mode_32 0
		.amdhsa_float_round_mode_16_64 0
		.amdhsa_float_denorm_mode_32 3
		.amdhsa_float_denorm_mode_16_64 3
		.amdhsa_dx10_clamp 1
		.amdhsa_ieee_mode 1
		.amdhsa_fp16_overflow 0
		.amdhsa_tg_split 0
		.amdhsa_exception_fp_ieee_invalid_op 0
		.amdhsa_exception_fp_denorm_src 0
		.amdhsa_exception_fp_ieee_div_zero 0
		.amdhsa_exception_fp_ieee_overflow 0
		.amdhsa_exception_fp_ieee_underflow 0
		.amdhsa_exception_fp_ieee_inexact 0
		.amdhsa_exception_int_div_zero 0
	.end_amdhsa_kernel
	.section	.text._ZN12_GLOBAL__N_121softmax_warp_backwardIfN3c104HalfEfLi3ELb0ELb0ELi32EEEvPT0_PKT_S7_iiiPKb,"axG",@progbits,_ZN12_GLOBAL__N_121softmax_warp_backwardIfN3c104HalfEfLi3ELb0ELb0ELi32EEEvPT0_PKT_S7_iiiPKb,comdat
.Lfunc_end601:
	.size	_ZN12_GLOBAL__N_121softmax_warp_backwardIfN3c104HalfEfLi3ELb0ELb0ELi32EEEvPT0_PKT_S7_iiiPKb, .Lfunc_end601-_ZN12_GLOBAL__N_121softmax_warp_backwardIfN3c104HalfEfLi3ELb0ELb0ELi32EEEvPT0_PKT_S7_iiiPKb
                                        ; -- End function
	.section	.AMDGPU.csdata,"",@progbits
; Kernel info:
; codeLenInByte = 584
; NumSgprs: 20
; NumVgprs: 14
; NumAgprs: 0
; TotalNumVgprs: 14
; ScratchSize: 0
; MemoryBound: 0
; FloatMode: 240
; IeeeMode: 1
; LDSByteSize: 0 bytes/workgroup (compile time only)
; SGPRBlocks: 2
; VGPRBlocks: 1
; NumSGPRsForWavesPerEU: 20
; NumVGPRsForWavesPerEU: 14
; AccumOffset: 16
; Occupancy: 8
; WaveLimiterHint : 0
; COMPUTE_PGM_RSRC2:SCRATCH_EN: 0
; COMPUTE_PGM_RSRC2:USER_SGPR: 6
; COMPUTE_PGM_RSRC2:TRAP_HANDLER: 0
; COMPUTE_PGM_RSRC2:TGID_X_EN: 1
; COMPUTE_PGM_RSRC2:TGID_Y_EN: 0
; COMPUTE_PGM_RSRC2:TGID_Z_EN: 0
; COMPUTE_PGM_RSRC2:TIDIG_COMP_CNT: 1
; COMPUTE_PGM_RSRC3_GFX90A:ACCUM_OFFSET: 3
; COMPUTE_PGM_RSRC3_GFX90A:TG_SPLIT: 0
	.section	.text._ZN12_GLOBAL__N_121softmax_warp_backwardIfN3c104HalfEfLi4ELb0ELb0ELi64EEEvPT0_PKT_S7_iiiPKb,"axG",@progbits,_ZN12_GLOBAL__N_121softmax_warp_backwardIfN3c104HalfEfLi4ELb0ELb0ELi64EEEvPT0_PKT_S7_iiiPKb,comdat
	.globl	_ZN12_GLOBAL__N_121softmax_warp_backwardIfN3c104HalfEfLi4ELb0ELb0ELi64EEEvPT0_PKT_S7_iiiPKb ; -- Begin function _ZN12_GLOBAL__N_121softmax_warp_backwardIfN3c104HalfEfLi4ELb0ELb0ELi64EEEvPT0_PKT_S7_iiiPKb
	.p2align	8
	.type	_ZN12_GLOBAL__N_121softmax_warp_backwardIfN3c104HalfEfLi4ELb0ELb0ELi64EEEvPT0_PKT_S7_iiiPKb,@function
_ZN12_GLOBAL__N_121softmax_warp_backwardIfN3c104HalfEfLi4ELb0ELb0ELi64EEEvPT0_PKT_S7_iiiPKb: ; @_ZN12_GLOBAL__N_121softmax_warp_backwardIfN3c104HalfEfLi4ELb0ELb0ELi64EEEvPT0_PKT_S7_iiiPKb
; %bb.0:
	s_load_dword s2, s[4:5], 0x3c
	s_load_dwordx4 s[8:11], s[4:5], 0x18
	s_load_dwordx4 s[12:15], s[4:5], 0x0
	s_load_dwordx2 s[0:1], s[4:5], 0x10
	v_bfe_u32 v1, v0, 10, 10
	s_waitcnt lgkmcnt(0)
	s_lshr_b32 s2, s2, 16
	s_mul_i32 s6, s6, s2
	v_add_lshl_u32 v1, s6, v1, 1
	v_and_b32_e32 v0, 15, v0
	v_mad_u64_u32 v[2:3], s[2:3], v1, s9, v[0:1]
	v_ashrrev_i32_e32 v3, 31, v2
	v_lshlrev_b64 v[6:7], 2, v[2:3]
	v_sub_u32_e32 v8, s8, v1
	v_mov_b32_e32 v1, s15
	v_add_co_u32_e32 v4, vcc, s14, v6
	v_addc_co_u32_e32 v5, vcc, v1, v7, vcc
	v_mov_b32_e32 v1, s1
	v_add_co_u32_e32 v6, vcc, s0, v6
	v_addc_co_u32_e32 v7, vcc, v1, v7, vcc
	v_cmp_gt_i32_e32 vcc, s10, v0
	v_cmp_lt_i32_e64 s[0:1], 0, v8
	s_and_b64 s[4:5], vcc, s[0:1]
	v_mov_b32_e32 v1, 0
	v_mov_b32_e32 v0, 0
	;; [unrolled: 1-line block ×3, first 2 shown]
	s_and_saveexec_b64 s[2:3], s[4:5]
	s_cbranch_execz .LBB602_2
; %bb.1:
	global_load_dword v0, v[4:5], off
	global_load_dword v9, v[6:7], off
.LBB602_2:
	s_or_b64 exec, exec, s[2:3]
	v_cmp_lt_i32_e64 s[2:3], 1, v8
	s_and_b64 s[2:3], vcc, s[2:3]
	s_mov_b32 s11, 0
	v_mov_b32_e32 v10, 0
	s_and_saveexec_b64 s[4:5], s[2:3]
	s_cbranch_execz .LBB602_4
; %bb.3:
	s_lshl_b64 s[6:7], s[10:11], 2
	v_mov_b32_e32 v10, s7
	v_add_co_u32_e64 v4, s[2:3], s6, v4
	v_addc_co_u32_e64 v5, s[2:3], v5, v10, s[2:3]
	global_load_dword v1, v[4:5], off
	v_add_co_u32_e64 v4, s[2:3], s6, v6
	v_addc_co_u32_e64 v5, s[2:3], v7, v10, s[2:3]
	global_load_dword v10, v[4:5], off
.LBB602_4:
	s_or_b64 exec, exec, s[4:5]
	v_mbcnt_lo_u32_b32 v6, -1, 0
	v_mbcnt_hi_u32_b32 v11, -1, v6
	v_and_b32_e32 v6, 0x70, v11
	v_add_u32_e32 v12, 16, v6
	v_xor_b32_e32 v6, 8, v11
	v_cmp_lt_i32_e64 s[2:3], v6, v12
	v_cndmask_b32_e64 v6, v11, v6, s[2:3]
	s_waitcnt vmcnt(1)
	v_pk_add_f32 v[4:5], v[0:1], 0 op_sel_hi:[1,0]
	v_lshlrev_b32_e32 v7, 2, v6
	ds_bpermute_b32 v6, v7, v4
	ds_bpermute_b32 v7, v7, v5
	v_xor_b32_e32 v13, 4, v11
	v_cmp_lt_i32_e64 s[2:3], v13, v12
	v_cndmask_b32_e64 v13, v11, v13, s[2:3]
	v_lshlrev_b32_e32 v13, 2, v13
	s_waitcnt lgkmcnt(0)
	v_pk_add_f32 v[4:5], v[4:5], v[6:7]
	ds_bpermute_b32 v6, v13, v4
	ds_bpermute_b32 v7, v13, v5
	v_xor_b32_e32 v13, 2, v11
	v_cmp_lt_i32_e64 s[2:3], v13, v12
	v_cndmask_b32_e64 v13, v11, v13, s[2:3]
	v_lshlrev_b32_e32 v13, 2, v13
	s_waitcnt lgkmcnt(0)
	v_pk_add_f32 v[4:5], v[4:5], v[6:7]
	;; [unrolled: 8-line block ×3, first 2 shown]
	ds_bpermute_b32 v6, v11, v4
	ds_bpermute_b32 v7, v11, v5
	s_and_saveexec_b64 s[2:3], s[0:1]
	s_cbranch_execz .LBB602_10
; %bb.5:
	v_lshlrev_b64 v[2:3], 1, v[2:3]
	v_mov_b32_e32 v11, s13
	v_add_co_u32_e64 v2, s[0:1], s12, v2
	v_addc_co_u32_e64 v3, s[0:1], v11, v3, s[0:1]
	s_waitcnt lgkmcnt(0)
	v_pk_add_f32 v[4:5], v[4:5], v[6:7]
	s_and_saveexec_b64 s[0:1], vcc
	s_cbranch_execz .LBB602_7
; %bb.6:
	s_waitcnt vmcnt(0)
	v_fma_mixlo_f16 v0, -v4, v9, v0
	global_store_short v[2:3], v0, off
.LBB602_7:
	s_or_b64 exec, exec, s[0:1]
	v_cmp_ne_u32_e64 s[0:1], 1, v8
	s_and_b64 exec, exec, s[0:1]
	s_cbranch_execz .LBB602_10
; %bb.8:
	s_and_b64 exec, exec, vcc
	s_cbranch_execz .LBB602_10
; %bb.9:
	s_lshl_b64 s[0:1], s[10:11], 1
	s_waitcnt vmcnt(0)
	v_fma_mixlo_f16 v4, -v5, v10, v1
	v_mov_b32_e32 v1, s1
	v_add_co_u32_e32 v0, vcc, s0, v2
	v_addc_co_u32_e32 v1, vcc, v3, v1, vcc
	global_store_short v[0:1], v4, off
.LBB602_10:
	s_endpgm
	.section	.rodata,"a",@progbits
	.p2align	6, 0x0
	.amdhsa_kernel _ZN12_GLOBAL__N_121softmax_warp_backwardIfN3c104HalfEfLi4ELb0ELb0ELi64EEEvPT0_PKT_S7_iiiPKb
		.amdhsa_group_segment_fixed_size 0
		.amdhsa_private_segment_fixed_size 0
		.amdhsa_kernarg_size 304
		.amdhsa_user_sgpr_count 6
		.amdhsa_user_sgpr_private_segment_buffer 1
		.amdhsa_user_sgpr_dispatch_ptr 0
		.amdhsa_user_sgpr_queue_ptr 0
		.amdhsa_user_sgpr_kernarg_segment_ptr 1
		.amdhsa_user_sgpr_dispatch_id 0
		.amdhsa_user_sgpr_flat_scratch_init 0
		.amdhsa_user_sgpr_kernarg_preload_length 0
		.amdhsa_user_sgpr_kernarg_preload_offset 0
		.amdhsa_user_sgpr_private_segment_size 0
		.amdhsa_uses_dynamic_stack 0
		.amdhsa_system_sgpr_private_segment_wavefront_offset 0
		.amdhsa_system_sgpr_workgroup_id_x 1
		.amdhsa_system_sgpr_workgroup_id_y 0
		.amdhsa_system_sgpr_workgroup_id_z 0
		.amdhsa_system_sgpr_workgroup_info 0
		.amdhsa_system_vgpr_workitem_id 1
		.amdhsa_next_free_vgpr 14
		.amdhsa_next_free_sgpr 16
		.amdhsa_accum_offset 16
		.amdhsa_reserve_vcc 1
		.amdhsa_reserve_flat_scratch 0
		.amdhsa_float_round_mode_32 0
		.amdhsa_float_round_mode_16_64 0
		.amdhsa_float_denorm_mode_32 3
		.amdhsa_float_denorm_mode_16_64 3
		.amdhsa_dx10_clamp 1
		.amdhsa_ieee_mode 1
		.amdhsa_fp16_overflow 0
		.amdhsa_tg_split 0
		.amdhsa_exception_fp_ieee_invalid_op 0
		.amdhsa_exception_fp_denorm_src 0
		.amdhsa_exception_fp_ieee_div_zero 0
		.amdhsa_exception_fp_ieee_overflow 0
		.amdhsa_exception_fp_ieee_underflow 0
		.amdhsa_exception_fp_ieee_inexact 0
		.amdhsa_exception_int_div_zero 0
	.end_amdhsa_kernel
	.section	.text._ZN12_GLOBAL__N_121softmax_warp_backwardIfN3c104HalfEfLi4ELb0ELb0ELi64EEEvPT0_PKT_S7_iiiPKb,"axG",@progbits,_ZN12_GLOBAL__N_121softmax_warp_backwardIfN3c104HalfEfLi4ELb0ELb0ELi64EEEvPT0_PKT_S7_iiiPKb,comdat
.Lfunc_end602:
	.size	_ZN12_GLOBAL__N_121softmax_warp_backwardIfN3c104HalfEfLi4ELb0ELb0ELi64EEEvPT0_PKT_S7_iiiPKb, .Lfunc_end602-_ZN12_GLOBAL__N_121softmax_warp_backwardIfN3c104HalfEfLi4ELb0ELb0ELi64EEEvPT0_PKT_S7_iiiPKb
                                        ; -- End function
	.section	.AMDGPU.csdata,"",@progbits
; Kernel info:
; codeLenInByte = 636
; NumSgprs: 20
; NumVgprs: 14
; NumAgprs: 0
; TotalNumVgprs: 14
; ScratchSize: 0
; MemoryBound: 0
; FloatMode: 240
; IeeeMode: 1
; LDSByteSize: 0 bytes/workgroup (compile time only)
; SGPRBlocks: 2
; VGPRBlocks: 1
; NumSGPRsForWavesPerEU: 20
; NumVGPRsForWavesPerEU: 14
; AccumOffset: 16
; Occupancy: 8
; WaveLimiterHint : 0
; COMPUTE_PGM_RSRC2:SCRATCH_EN: 0
; COMPUTE_PGM_RSRC2:USER_SGPR: 6
; COMPUTE_PGM_RSRC2:TRAP_HANDLER: 0
; COMPUTE_PGM_RSRC2:TGID_X_EN: 1
; COMPUTE_PGM_RSRC2:TGID_Y_EN: 0
; COMPUTE_PGM_RSRC2:TGID_Z_EN: 0
; COMPUTE_PGM_RSRC2:TIDIG_COMP_CNT: 1
; COMPUTE_PGM_RSRC3_GFX90A:ACCUM_OFFSET: 3
; COMPUTE_PGM_RSRC3_GFX90A:TG_SPLIT: 0
	.section	.text._ZN12_GLOBAL__N_121softmax_warp_backwardIfN3c104HalfEfLi4ELb0ELb0ELi32EEEvPT0_PKT_S7_iiiPKb,"axG",@progbits,_ZN12_GLOBAL__N_121softmax_warp_backwardIfN3c104HalfEfLi4ELb0ELb0ELi32EEEvPT0_PKT_S7_iiiPKb,comdat
	.globl	_ZN12_GLOBAL__N_121softmax_warp_backwardIfN3c104HalfEfLi4ELb0ELb0ELi32EEEvPT0_PKT_S7_iiiPKb ; -- Begin function _ZN12_GLOBAL__N_121softmax_warp_backwardIfN3c104HalfEfLi4ELb0ELb0ELi32EEEvPT0_PKT_S7_iiiPKb
	.p2align	8
	.type	_ZN12_GLOBAL__N_121softmax_warp_backwardIfN3c104HalfEfLi4ELb0ELb0ELi32EEEvPT0_PKT_S7_iiiPKb,@function
_ZN12_GLOBAL__N_121softmax_warp_backwardIfN3c104HalfEfLi4ELb0ELb0ELi32EEEvPT0_PKT_S7_iiiPKb: ; @_ZN12_GLOBAL__N_121softmax_warp_backwardIfN3c104HalfEfLi4ELb0ELb0ELi32EEEvPT0_PKT_S7_iiiPKb
; %bb.0:
	s_load_dword s2, s[4:5], 0x3c
	s_load_dwordx4 s[8:11], s[4:5], 0x18
	s_load_dwordx4 s[12:15], s[4:5], 0x0
	s_load_dwordx2 s[0:1], s[4:5], 0x10
	v_bfe_u32 v1, v0, 10, 10
	s_waitcnt lgkmcnt(0)
	s_lshr_b32 s2, s2, 16
	s_mul_i32 s6, s6, s2
	v_add_lshl_u32 v1, s6, v1, 1
	v_and_b32_e32 v0, 15, v0
	v_mad_u64_u32 v[2:3], s[2:3], v1, s9, v[0:1]
	v_ashrrev_i32_e32 v3, 31, v2
	v_lshlrev_b64 v[6:7], 2, v[2:3]
	v_sub_u32_e32 v8, s8, v1
	v_mov_b32_e32 v1, s15
	v_add_co_u32_e32 v4, vcc, s14, v6
	v_addc_co_u32_e32 v5, vcc, v1, v7, vcc
	v_mov_b32_e32 v1, s1
	v_add_co_u32_e32 v6, vcc, s0, v6
	v_addc_co_u32_e32 v7, vcc, v1, v7, vcc
	v_cmp_gt_i32_e32 vcc, s10, v0
	v_cmp_lt_i32_e64 s[0:1], 0, v8
	s_and_b64 s[4:5], vcc, s[0:1]
	v_mov_b32_e32 v1, 0
	v_mov_b32_e32 v0, 0
	;; [unrolled: 1-line block ×3, first 2 shown]
	s_and_saveexec_b64 s[2:3], s[4:5]
	s_cbranch_execz .LBB603_2
; %bb.1:
	global_load_dword v0, v[4:5], off
	global_load_dword v9, v[6:7], off
.LBB603_2:
	s_or_b64 exec, exec, s[2:3]
	v_cmp_lt_i32_e64 s[2:3], 1, v8
	s_and_b64 s[2:3], vcc, s[2:3]
	s_mov_b32 s11, 0
	v_mov_b32_e32 v10, 0
	s_and_saveexec_b64 s[4:5], s[2:3]
	s_cbranch_execz .LBB603_4
; %bb.3:
	s_lshl_b64 s[6:7], s[10:11], 2
	v_mov_b32_e32 v10, s7
	v_add_co_u32_e64 v4, s[2:3], s6, v4
	v_addc_co_u32_e64 v5, s[2:3], v5, v10, s[2:3]
	global_load_dword v1, v[4:5], off
	v_add_co_u32_e64 v4, s[2:3], s6, v6
	v_addc_co_u32_e64 v5, s[2:3], v7, v10, s[2:3]
	global_load_dword v10, v[4:5], off
.LBB603_4:
	s_or_b64 exec, exec, s[4:5]
	v_mbcnt_lo_u32_b32 v6, -1, 0
	v_mbcnt_hi_u32_b32 v11, -1, v6
	v_and_b32_e32 v6, 0x70, v11
	v_add_u32_e32 v12, 16, v6
	v_xor_b32_e32 v6, 8, v11
	v_cmp_lt_i32_e64 s[2:3], v6, v12
	v_cndmask_b32_e64 v6, v11, v6, s[2:3]
	s_waitcnt vmcnt(1)
	v_pk_add_f32 v[4:5], v[0:1], 0 op_sel_hi:[1,0]
	v_lshlrev_b32_e32 v7, 2, v6
	ds_bpermute_b32 v6, v7, v4
	ds_bpermute_b32 v7, v7, v5
	v_xor_b32_e32 v13, 4, v11
	v_cmp_lt_i32_e64 s[2:3], v13, v12
	v_cndmask_b32_e64 v13, v11, v13, s[2:3]
	v_lshlrev_b32_e32 v13, 2, v13
	s_waitcnt lgkmcnt(0)
	v_pk_add_f32 v[4:5], v[4:5], v[6:7]
	ds_bpermute_b32 v6, v13, v4
	ds_bpermute_b32 v7, v13, v5
	v_xor_b32_e32 v13, 2, v11
	v_cmp_lt_i32_e64 s[2:3], v13, v12
	v_cndmask_b32_e64 v13, v11, v13, s[2:3]
	v_lshlrev_b32_e32 v13, 2, v13
	s_waitcnt lgkmcnt(0)
	v_pk_add_f32 v[4:5], v[4:5], v[6:7]
	;; [unrolled: 8-line block ×3, first 2 shown]
	ds_bpermute_b32 v6, v11, v4
	ds_bpermute_b32 v7, v11, v5
	s_and_saveexec_b64 s[2:3], s[0:1]
	s_cbranch_execz .LBB603_10
; %bb.5:
	v_lshlrev_b64 v[2:3], 1, v[2:3]
	v_mov_b32_e32 v11, s13
	v_add_co_u32_e64 v2, s[0:1], s12, v2
	v_addc_co_u32_e64 v3, s[0:1], v11, v3, s[0:1]
	s_waitcnt lgkmcnt(0)
	v_pk_add_f32 v[4:5], v[4:5], v[6:7]
	s_and_saveexec_b64 s[0:1], vcc
	s_cbranch_execz .LBB603_7
; %bb.6:
	s_waitcnt vmcnt(0)
	v_fma_mixlo_f16 v0, -v4, v9, v0
	global_store_short v[2:3], v0, off
.LBB603_7:
	s_or_b64 exec, exec, s[0:1]
	v_cmp_ne_u32_e64 s[0:1], 1, v8
	s_and_b64 exec, exec, s[0:1]
	s_cbranch_execz .LBB603_10
; %bb.8:
	s_and_b64 exec, exec, vcc
	s_cbranch_execz .LBB603_10
; %bb.9:
	s_lshl_b64 s[0:1], s[10:11], 1
	s_waitcnt vmcnt(0)
	v_fma_mixlo_f16 v4, -v5, v10, v1
	v_mov_b32_e32 v1, s1
	v_add_co_u32_e32 v0, vcc, s0, v2
	v_addc_co_u32_e32 v1, vcc, v3, v1, vcc
	global_store_short v[0:1], v4, off
.LBB603_10:
	s_endpgm
	.section	.rodata,"a",@progbits
	.p2align	6, 0x0
	.amdhsa_kernel _ZN12_GLOBAL__N_121softmax_warp_backwardIfN3c104HalfEfLi4ELb0ELb0ELi32EEEvPT0_PKT_S7_iiiPKb
		.amdhsa_group_segment_fixed_size 0
		.amdhsa_private_segment_fixed_size 0
		.amdhsa_kernarg_size 304
		.amdhsa_user_sgpr_count 6
		.amdhsa_user_sgpr_private_segment_buffer 1
		.amdhsa_user_sgpr_dispatch_ptr 0
		.amdhsa_user_sgpr_queue_ptr 0
		.amdhsa_user_sgpr_kernarg_segment_ptr 1
		.amdhsa_user_sgpr_dispatch_id 0
		.amdhsa_user_sgpr_flat_scratch_init 0
		.amdhsa_user_sgpr_kernarg_preload_length 0
		.amdhsa_user_sgpr_kernarg_preload_offset 0
		.amdhsa_user_sgpr_private_segment_size 0
		.amdhsa_uses_dynamic_stack 0
		.amdhsa_system_sgpr_private_segment_wavefront_offset 0
		.amdhsa_system_sgpr_workgroup_id_x 1
		.amdhsa_system_sgpr_workgroup_id_y 0
		.amdhsa_system_sgpr_workgroup_id_z 0
		.amdhsa_system_sgpr_workgroup_info 0
		.amdhsa_system_vgpr_workitem_id 1
		.amdhsa_next_free_vgpr 14
		.amdhsa_next_free_sgpr 16
		.amdhsa_accum_offset 16
		.amdhsa_reserve_vcc 1
		.amdhsa_reserve_flat_scratch 0
		.amdhsa_float_round_mode_32 0
		.amdhsa_float_round_mode_16_64 0
		.amdhsa_float_denorm_mode_32 3
		.amdhsa_float_denorm_mode_16_64 3
		.amdhsa_dx10_clamp 1
		.amdhsa_ieee_mode 1
		.amdhsa_fp16_overflow 0
		.amdhsa_tg_split 0
		.amdhsa_exception_fp_ieee_invalid_op 0
		.amdhsa_exception_fp_denorm_src 0
		.amdhsa_exception_fp_ieee_div_zero 0
		.amdhsa_exception_fp_ieee_overflow 0
		.amdhsa_exception_fp_ieee_underflow 0
		.amdhsa_exception_fp_ieee_inexact 0
		.amdhsa_exception_int_div_zero 0
	.end_amdhsa_kernel
	.section	.text._ZN12_GLOBAL__N_121softmax_warp_backwardIfN3c104HalfEfLi4ELb0ELb0ELi32EEEvPT0_PKT_S7_iiiPKb,"axG",@progbits,_ZN12_GLOBAL__N_121softmax_warp_backwardIfN3c104HalfEfLi4ELb0ELb0ELi32EEEvPT0_PKT_S7_iiiPKb,comdat
.Lfunc_end603:
	.size	_ZN12_GLOBAL__N_121softmax_warp_backwardIfN3c104HalfEfLi4ELb0ELb0ELi32EEEvPT0_PKT_S7_iiiPKb, .Lfunc_end603-_ZN12_GLOBAL__N_121softmax_warp_backwardIfN3c104HalfEfLi4ELb0ELb0ELi32EEEvPT0_PKT_S7_iiiPKb
                                        ; -- End function
	.section	.AMDGPU.csdata,"",@progbits
; Kernel info:
; codeLenInByte = 636
; NumSgprs: 20
; NumVgprs: 14
; NumAgprs: 0
; TotalNumVgprs: 14
; ScratchSize: 0
; MemoryBound: 0
; FloatMode: 240
; IeeeMode: 1
; LDSByteSize: 0 bytes/workgroup (compile time only)
; SGPRBlocks: 2
; VGPRBlocks: 1
; NumSGPRsForWavesPerEU: 20
; NumVGPRsForWavesPerEU: 14
; AccumOffset: 16
; Occupancy: 8
; WaveLimiterHint : 0
; COMPUTE_PGM_RSRC2:SCRATCH_EN: 0
; COMPUTE_PGM_RSRC2:USER_SGPR: 6
; COMPUTE_PGM_RSRC2:TRAP_HANDLER: 0
; COMPUTE_PGM_RSRC2:TGID_X_EN: 1
; COMPUTE_PGM_RSRC2:TGID_Y_EN: 0
; COMPUTE_PGM_RSRC2:TGID_Z_EN: 0
; COMPUTE_PGM_RSRC2:TIDIG_COMP_CNT: 1
; COMPUTE_PGM_RSRC3_GFX90A:ACCUM_OFFSET: 3
; COMPUTE_PGM_RSRC3_GFX90A:TG_SPLIT: 0
	.section	.text._ZN12_GLOBAL__N_121softmax_warp_backwardIfN3c104HalfEfLi5ELb0ELb0ELi64EEEvPT0_PKT_S7_iiiPKb,"axG",@progbits,_ZN12_GLOBAL__N_121softmax_warp_backwardIfN3c104HalfEfLi5ELb0ELb0ELi64EEEvPT0_PKT_S7_iiiPKb,comdat
	.globl	_ZN12_GLOBAL__N_121softmax_warp_backwardIfN3c104HalfEfLi5ELb0ELb0ELi64EEEvPT0_PKT_S7_iiiPKb ; -- Begin function _ZN12_GLOBAL__N_121softmax_warp_backwardIfN3c104HalfEfLi5ELb0ELb0ELi64EEEvPT0_PKT_S7_iiiPKb
	.p2align	8
	.type	_ZN12_GLOBAL__N_121softmax_warp_backwardIfN3c104HalfEfLi5ELb0ELb0ELi64EEEvPT0_PKT_S7_iiiPKb,@function
_ZN12_GLOBAL__N_121softmax_warp_backwardIfN3c104HalfEfLi5ELb0ELb0ELi64EEEvPT0_PKT_S7_iiiPKb: ; @_ZN12_GLOBAL__N_121softmax_warp_backwardIfN3c104HalfEfLi5ELb0ELb0ELi64EEEvPT0_PKT_S7_iiiPKb
; %bb.0:
	s_load_dword s2, s[4:5], 0x3c
	s_load_dwordx4 s[8:11], s[4:5], 0x18
	s_load_dwordx4 s[12:15], s[4:5], 0x0
	s_load_dwordx2 s[0:1], s[4:5], 0x10
	v_bfe_u32 v1, v0, 10, 10
	s_waitcnt lgkmcnt(0)
	s_lshr_b32 s2, s2, 16
	s_mul_i32 s6, s6, s2
	v_add_lshl_u32 v1, s6, v1, 1
	v_and_b32_e32 v0, 31, v0
	v_mad_u64_u32 v[2:3], s[2:3], v1, s9, v[0:1]
	v_ashrrev_i32_e32 v3, 31, v2
	v_lshlrev_b64 v[6:7], 2, v[2:3]
	v_sub_u32_e32 v8, s8, v1
	v_mov_b32_e32 v1, s15
	v_add_co_u32_e32 v4, vcc, s14, v6
	v_addc_co_u32_e32 v5, vcc, v1, v7, vcc
	v_mov_b32_e32 v1, s1
	v_add_co_u32_e32 v6, vcc, s0, v6
	v_addc_co_u32_e32 v7, vcc, v1, v7, vcc
	v_cmp_gt_i32_e32 vcc, s10, v0
	v_cmp_lt_i32_e64 s[0:1], 0, v8
	s_and_b64 s[4:5], vcc, s[0:1]
	v_mov_b32_e32 v1, 0
	v_mov_b32_e32 v0, 0
	;; [unrolled: 1-line block ×3, first 2 shown]
	s_and_saveexec_b64 s[2:3], s[4:5]
	s_cbranch_execz .LBB604_2
; %bb.1:
	global_load_dword v0, v[4:5], off
	global_load_dword v9, v[6:7], off
.LBB604_2:
	s_or_b64 exec, exec, s[2:3]
	v_cmp_lt_i32_e64 s[2:3], 1, v8
	s_and_b64 s[2:3], vcc, s[2:3]
	s_mov_b32 s11, 0
	v_mov_b32_e32 v10, 0
	s_and_saveexec_b64 s[4:5], s[2:3]
	s_cbranch_execz .LBB604_4
; %bb.3:
	s_lshl_b64 s[6:7], s[10:11], 2
	v_mov_b32_e32 v10, s7
	v_add_co_u32_e64 v4, s[2:3], s6, v4
	v_addc_co_u32_e64 v5, s[2:3], v5, v10, s[2:3]
	global_load_dword v1, v[4:5], off
	v_add_co_u32_e64 v4, s[2:3], s6, v6
	v_addc_co_u32_e64 v5, s[2:3], v7, v10, s[2:3]
	global_load_dword v10, v[4:5], off
.LBB604_4:
	s_or_b64 exec, exec, s[4:5]
	v_mbcnt_lo_u32_b32 v6, -1, 0
	v_mbcnt_hi_u32_b32 v11, -1, v6
	v_and_b32_e32 v6, 0x60, v11
	v_add_u32_e32 v12, 32, v6
	v_xor_b32_e32 v6, 16, v11
	v_cmp_lt_i32_e64 s[2:3], v6, v12
	v_cndmask_b32_e64 v6, v11, v6, s[2:3]
	s_waitcnt vmcnt(1)
	v_pk_add_f32 v[4:5], v[0:1], 0 op_sel_hi:[1,0]
	v_lshlrev_b32_e32 v7, 2, v6
	ds_bpermute_b32 v6, v7, v4
	ds_bpermute_b32 v7, v7, v5
	v_xor_b32_e32 v13, 8, v11
	v_cmp_lt_i32_e64 s[2:3], v13, v12
	v_cndmask_b32_e64 v13, v11, v13, s[2:3]
	v_lshlrev_b32_e32 v13, 2, v13
	s_waitcnt lgkmcnt(0)
	v_pk_add_f32 v[4:5], v[4:5], v[6:7]
	ds_bpermute_b32 v6, v13, v4
	ds_bpermute_b32 v7, v13, v5
	v_xor_b32_e32 v13, 4, v11
	v_cmp_lt_i32_e64 s[2:3], v13, v12
	v_cndmask_b32_e64 v13, v11, v13, s[2:3]
	v_lshlrev_b32_e32 v13, 2, v13
	s_waitcnt lgkmcnt(0)
	v_pk_add_f32 v[4:5], v[4:5], v[6:7]
	;; [unrolled: 8-line block ×4, first 2 shown]
	ds_bpermute_b32 v6, v11, v4
	ds_bpermute_b32 v7, v11, v5
	s_and_saveexec_b64 s[2:3], s[0:1]
	s_cbranch_execz .LBB604_10
; %bb.5:
	v_lshlrev_b64 v[2:3], 1, v[2:3]
	v_mov_b32_e32 v11, s13
	v_add_co_u32_e64 v2, s[0:1], s12, v2
	v_addc_co_u32_e64 v3, s[0:1], v11, v3, s[0:1]
	s_waitcnt lgkmcnt(0)
	v_pk_add_f32 v[4:5], v[4:5], v[6:7]
	s_and_saveexec_b64 s[0:1], vcc
	s_cbranch_execz .LBB604_7
; %bb.6:
	s_waitcnt vmcnt(0)
	v_fma_mixlo_f16 v0, -v4, v9, v0
	global_store_short v[2:3], v0, off
.LBB604_7:
	s_or_b64 exec, exec, s[0:1]
	v_cmp_ne_u32_e64 s[0:1], 1, v8
	s_and_b64 exec, exec, s[0:1]
	s_cbranch_execz .LBB604_10
; %bb.8:
	s_and_b64 exec, exec, vcc
	s_cbranch_execz .LBB604_10
; %bb.9:
	s_lshl_b64 s[0:1], s[10:11], 1
	s_waitcnt vmcnt(0)
	v_fma_mixlo_f16 v4, -v5, v10, v1
	v_mov_b32_e32 v1, s1
	v_add_co_u32_e32 v0, vcc, s0, v2
	v_addc_co_u32_e32 v1, vcc, v3, v1, vcc
	global_store_short v[0:1], v4, off
.LBB604_10:
	s_endpgm
	.section	.rodata,"a",@progbits
	.p2align	6, 0x0
	.amdhsa_kernel _ZN12_GLOBAL__N_121softmax_warp_backwardIfN3c104HalfEfLi5ELb0ELb0ELi64EEEvPT0_PKT_S7_iiiPKb
		.amdhsa_group_segment_fixed_size 0
		.amdhsa_private_segment_fixed_size 0
		.amdhsa_kernarg_size 304
		.amdhsa_user_sgpr_count 6
		.amdhsa_user_sgpr_private_segment_buffer 1
		.amdhsa_user_sgpr_dispatch_ptr 0
		.amdhsa_user_sgpr_queue_ptr 0
		.amdhsa_user_sgpr_kernarg_segment_ptr 1
		.amdhsa_user_sgpr_dispatch_id 0
		.amdhsa_user_sgpr_flat_scratch_init 0
		.amdhsa_user_sgpr_kernarg_preload_length 0
		.amdhsa_user_sgpr_kernarg_preload_offset 0
		.amdhsa_user_sgpr_private_segment_size 0
		.amdhsa_uses_dynamic_stack 0
		.amdhsa_system_sgpr_private_segment_wavefront_offset 0
		.amdhsa_system_sgpr_workgroup_id_x 1
		.amdhsa_system_sgpr_workgroup_id_y 0
		.amdhsa_system_sgpr_workgroup_id_z 0
		.amdhsa_system_sgpr_workgroup_info 0
		.amdhsa_system_vgpr_workitem_id 1
		.amdhsa_next_free_vgpr 14
		.amdhsa_next_free_sgpr 16
		.amdhsa_accum_offset 16
		.amdhsa_reserve_vcc 1
		.amdhsa_reserve_flat_scratch 0
		.amdhsa_float_round_mode_32 0
		.amdhsa_float_round_mode_16_64 0
		.amdhsa_float_denorm_mode_32 3
		.amdhsa_float_denorm_mode_16_64 3
		.amdhsa_dx10_clamp 1
		.amdhsa_ieee_mode 1
		.amdhsa_fp16_overflow 0
		.amdhsa_tg_split 0
		.amdhsa_exception_fp_ieee_invalid_op 0
		.amdhsa_exception_fp_denorm_src 0
		.amdhsa_exception_fp_ieee_div_zero 0
		.amdhsa_exception_fp_ieee_overflow 0
		.amdhsa_exception_fp_ieee_underflow 0
		.amdhsa_exception_fp_ieee_inexact 0
		.amdhsa_exception_int_div_zero 0
	.end_amdhsa_kernel
	.section	.text._ZN12_GLOBAL__N_121softmax_warp_backwardIfN3c104HalfEfLi5ELb0ELb0ELi64EEEvPT0_PKT_S7_iiiPKb,"axG",@progbits,_ZN12_GLOBAL__N_121softmax_warp_backwardIfN3c104HalfEfLi5ELb0ELb0ELi64EEEvPT0_PKT_S7_iiiPKb,comdat
.Lfunc_end604:
	.size	_ZN12_GLOBAL__N_121softmax_warp_backwardIfN3c104HalfEfLi5ELb0ELb0ELi64EEEvPT0_PKT_S7_iiiPKb, .Lfunc_end604-_ZN12_GLOBAL__N_121softmax_warp_backwardIfN3c104HalfEfLi5ELb0ELb0ELi64EEEvPT0_PKT_S7_iiiPKb
                                        ; -- End function
	.section	.AMDGPU.csdata,"",@progbits
; Kernel info:
; codeLenInByte = 688
; NumSgprs: 20
; NumVgprs: 14
; NumAgprs: 0
; TotalNumVgprs: 14
; ScratchSize: 0
; MemoryBound: 0
; FloatMode: 240
; IeeeMode: 1
; LDSByteSize: 0 bytes/workgroup (compile time only)
; SGPRBlocks: 2
; VGPRBlocks: 1
; NumSGPRsForWavesPerEU: 20
; NumVGPRsForWavesPerEU: 14
; AccumOffset: 16
; Occupancy: 8
; WaveLimiterHint : 0
; COMPUTE_PGM_RSRC2:SCRATCH_EN: 0
; COMPUTE_PGM_RSRC2:USER_SGPR: 6
; COMPUTE_PGM_RSRC2:TRAP_HANDLER: 0
; COMPUTE_PGM_RSRC2:TGID_X_EN: 1
; COMPUTE_PGM_RSRC2:TGID_Y_EN: 0
; COMPUTE_PGM_RSRC2:TGID_Z_EN: 0
; COMPUTE_PGM_RSRC2:TIDIG_COMP_CNT: 1
; COMPUTE_PGM_RSRC3_GFX90A:ACCUM_OFFSET: 3
; COMPUTE_PGM_RSRC3_GFX90A:TG_SPLIT: 0
	.section	.text._ZN12_GLOBAL__N_121softmax_warp_backwardIfN3c104HalfEfLi5ELb0ELb0ELi32EEEvPT0_PKT_S7_iiiPKb,"axG",@progbits,_ZN12_GLOBAL__N_121softmax_warp_backwardIfN3c104HalfEfLi5ELb0ELb0ELi32EEEvPT0_PKT_S7_iiiPKb,comdat
	.globl	_ZN12_GLOBAL__N_121softmax_warp_backwardIfN3c104HalfEfLi5ELb0ELb0ELi32EEEvPT0_PKT_S7_iiiPKb ; -- Begin function _ZN12_GLOBAL__N_121softmax_warp_backwardIfN3c104HalfEfLi5ELb0ELb0ELi32EEEvPT0_PKT_S7_iiiPKb
	.p2align	8
	.type	_ZN12_GLOBAL__N_121softmax_warp_backwardIfN3c104HalfEfLi5ELb0ELb0ELi32EEEvPT0_PKT_S7_iiiPKb,@function
_ZN12_GLOBAL__N_121softmax_warp_backwardIfN3c104HalfEfLi5ELb0ELb0ELi32EEEvPT0_PKT_S7_iiiPKb: ; @_ZN12_GLOBAL__N_121softmax_warp_backwardIfN3c104HalfEfLi5ELb0ELb0ELi32EEEvPT0_PKT_S7_iiiPKb
; %bb.0:
	s_load_dword s2, s[4:5], 0x3c
	s_load_dwordx4 s[8:11], s[4:5], 0x18
	s_load_dwordx4 s[12:15], s[4:5], 0x0
	s_load_dwordx2 s[0:1], s[4:5], 0x10
	v_bfe_u32 v1, v0, 10, 10
	s_waitcnt lgkmcnt(0)
	s_lshr_b32 s2, s2, 16
	s_mul_i32 s6, s6, s2
	v_add_lshl_u32 v1, s6, v1, 1
	v_and_b32_e32 v0, 31, v0
	v_mad_u64_u32 v[2:3], s[2:3], v1, s9, v[0:1]
	v_ashrrev_i32_e32 v3, 31, v2
	v_lshlrev_b64 v[6:7], 2, v[2:3]
	v_sub_u32_e32 v8, s8, v1
	v_mov_b32_e32 v1, s15
	v_add_co_u32_e32 v4, vcc, s14, v6
	v_addc_co_u32_e32 v5, vcc, v1, v7, vcc
	v_mov_b32_e32 v1, s1
	v_add_co_u32_e32 v6, vcc, s0, v6
	v_addc_co_u32_e32 v7, vcc, v1, v7, vcc
	v_cmp_gt_i32_e32 vcc, s10, v0
	v_cmp_lt_i32_e64 s[0:1], 0, v8
	s_and_b64 s[4:5], vcc, s[0:1]
	v_mov_b32_e32 v1, 0
	v_mov_b32_e32 v0, 0
	;; [unrolled: 1-line block ×3, first 2 shown]
	s_and_saveexec_b64 s[2:3], s[4:5]
	s_cbranch_execz .LBB605_2
; %bb.1:
	global_load_dword v0, v[4:5], off
	global_load_dword v9, v[6:7], off
.LBB605_2:
	s_or_b64 exec, exec, s[2:3]
	v_cmp_lt_i32_e64 s[2:3], 1, v8
	s_and_b64 s[2:3], vcc, s[2:3]
	s_mov_b32 s11, 0
	v_mov_b32_e32 v10, 0
	s_and_saveexec_b64 s[4:5], s[2:3]
	s_cbranch_execz .LBB605_4
; %bb.3:
	s_lshl_b64 s[6:7], s[10:11], 2
	v_mov_b32_e32 v10, s7
	v_add_co_u32_e64 v4, s[2:3], s6, v4
	v_addc_co_u32_e64 v5, s[2:3], v5, v10, s[2:3]
	global_load_dword v1, v[4:5], off
	v_add_co_u32_e64 v4, s[2:3], s6, v6
	v_addc_co_u32_e64 v5, s[2:3], v7, v10, s[2:3]
	global_load_dword v10, v[4:5], off
.LBB605_4:
	s_or_b64 exec, exec, s[4:5]
	v_mbcnt_lo_u32_b32 v6, -1, 0
	v_mbcnt_hi_u32_b32 v11, -1, v6
	v_and_b32_e32 v6, 0x60, v11
	v_add_u32_e32 v12, 32, v6
	v_xor_b32_e32 v6, 16, v11
	v_cmp_lt_i32_e64 s[2:3], v6, v12
	v_cndmask_b32_e64 v6, v11, v6, s[2:3]
	s_waitcnt vmcnt(1)
	v_pk_add_f32 v[4:5], v[0:1], 0 op_sel_hi:[1,0]
	v_lshlrev_b32_e32 v7, 2, v6
	ds_bpermute_b32 v6, v7, v4
	ds_bpermute_b32 v7, v7, v5
	v_xor_b32_e32 v13, 8, v11
	v_cmp_lt_i32_e64 s[2:3], v13, v12
	v_cndmask_b32_e64 v13, v11, v13, s[2:3]
	v_lshlrev_b32_e32 v13, 2, v13
	s_waitcnt lgkmcnt(0)
	v_pk_add_f32 v[4:5], v[4:5], v[6:7]
	ds_bpermute_b32 v6, v13, v4
	ds_bpermute_b32 v7, v13, v5
	v_xor_b32_e32 v13, 4, v11
	v_cmp_lt_i32_e64 s[2:3], v13, v12
	v_cndmask_b32_e64 v13, v11, v13, s[2:3]
	v_lshlrev_b32_e32 v13, 2, v13
	s_waitcnt lgkmcnt(0)
	v_pk_add_f32 v[4:5], v[4:5], v[6:7]
	;; [unrolled: 8-line block ×4, first 2 shown]
	ds_bpermute_b32 v6, v11, v4
	ds_bpermute_b32 v7, v11, v5
	s_and_saveexec_b64 s[2:3], s[0:1]
	s_cbranch_execz .LBB605_10
; %bb.5:
	v_lshlrev_b64 v[2:3], 1, v[2:3]
	v_mov_b32_e32 v11, s13
	v_add_co_u32_e64 v2, s[0:1], s12, v2
	v_addc_co_u32_e64 v3, s[0:1], v11, v3, s[0:1]
	s_waitcnt lgkmcnt(0)
	v_pk_add_f32 v[4:5], v[4:5], v[6:7]
	s_and_saveexec_b64 s[0:1], vcc
	s_cbranch_execz .LBB605_7
; %bb.6:
	s_waitcnt vmcnt(0)
	v_fma_mixlo_f16 v0, -v4, v9, v0
	global_store_short v[2:3], v0, off
.LBB605_7:
	s_or_b64 exec, exec, s[0:1]
	v_cmp_ne_u32_e64 s[0:1], 1, v8
	s_and_b64 exec, exec, s[0:1]
	s_cbranch_execz .LBB605_10
; %bb.8:
	s_and_b64 exec, exec, vcc
	s_cbranch_execz .LBB605_10
; %bb.9:
	s_lshl_b64 s[0:1], s[10:11], 1
	s_waitcnt vmcnt(0)
	v_fma_mixlo_f16 v4, -v5, v10, v1
	v_mov_b32_e32 v1, s1
	v_add_co_u32_e32 v0, vcc, s0, v2
	v_addc_co_u32_e32 v1, vcc, v3, v1, vcc
	global_store_short v[0:1], v4, off
.LBB605_10:
	s_endpgm
	.section	.rodata,"a",@progbits
	.p2align	6, 0x0
	.amdhsa_kernel _ZN12_GLOBAL__N_121softmax_warp_backwardIfN3c104HalfEfLi5ELb0ELb0ELi32EEEvPT0_PKT_S7_iiiPKb
		.amdhsa_group_segment_fixed_size 0
		.amdhsa_private_segment_fixed_size 0
		.amdhsa_kernarg_size 304
		.amdhsa_user_sgpr_count 6
		.amdhsa_user_sgpr_private_segment_buffer 1
		.amdhsa_user_sgpr_dispatch_ptr 0
		.amdhsa_user_sgpr_queue_ptr 0
		.amdhsa_user_sgpr_kernarg_segment_ptr 1
		.amdhsa_user_sgpr_dispatch_id 0
		.amdhsa_user_sgpr_flat_scratch_init 0
		.amdhsa_user_sgpr_kernarg_preload_length 0
		.amdhsa_user_sgpr_kernarg_preload_offset 0
		.amdhsa_user_sgpr_private_segment_size 0
		.amdhsa_uses_dynamic_stack 0
		.amdhsa_system_sgpr_private_segment_wavefront_offset 0
		.amdhsa_system_sgpr_workgroup_id_x 1
		.amdhsa_system_sgpr_workgroup_id_y 0
		.amdhsa_system_sgpr_workgroup_id_z 0
		.amdhsa_system_sgpr_workgroup_info 0
		.amdhsa_system_vgpr_workitem_id 1
		.amdhsa_next_free_vgpr 14
		.amdhsa_next_free_sgpr 16
		.amdhsa_accum_offset 16
		.amdhsa_reserve_vcc 1
		.amdhsa_reserve_flat_scratch 0
		.amdhsa_float_round_mode_32 0
		.amdhsa_float_round_mode_16_64 0
		.amdhsa_float_denorm_mode_32 3
		.amdhsa_float_denorm_mode_16_64 3
		.amdhsa_dx10_clamp 1
		.amdhsa_ieee_mode 1
		.amdhsa_fp16_overflow 0
		.amdhsa_tg_split 0
		.amdhsa_exception_fp_ieee_invalid_op 0
		.amdhsa_exception_fp_denorm_src 0
		.amdhsa_exception_fp_ieee_div_zero 0
		.amdhsa_exception_fp_ieee_overflow 0
		.amdhsa_exception_fp_ieee_underflow 0
		.amdhsa_exception_fp_ieee_inexact 0
		.amdhsa_exception_int_div_zero 0
	.end_amdhsa_kernel
	.section	.text._ZN12_GLOBAL__N_121softmax_warp_backwardIfN3c104HalfEfLi5ELb0ELb0ELi32EEEvPT0_PKT_S7_iiiPKb,"axG",@progbits,_ZN12_GLOBAL__N_121softmax_warp_backwardIfN3c104HalfEfLi5ELb0ELb0ELi32EEEvPT0_PKT_S7_iiiPKb,comdat
.Lfunc_end605:
	.size	_ZN12_GLOBAL__N_121softmax_warp_backwardIfN3c104HalfEfLi5ELb0ELb0ELi32EEEvPT0_PKT_S7_iiiPKb, .Lfunc_end605-_ZN12_GLOBAL__N_121softmax_warp_backwardIfN3c104HalfEfLi5ELb0ELb0ELi32EEEvPT0_PKT_S7_iiiPKb
                                        ; -- End function
	.section	.AMDGPU.csdata,"",@progbits
; Kernel info:
; codeLenInByte = 688
; NumSgprs: 20
; NumVgprs: 14
; NumAgprs: 0
; TotalNumVgprs: 14
; ScratchSize: 0
; MemoryBound: 0
; FloatMode: 240
; IeeeMode: 1
; LDSByteSize: 0 bytes/workgroup (compile time only)
; SGPRBlocks: 2
; VGPRBlocks: 1
; NumSGPRsForWavesPerEU: 20
; NumVGPRsForWavesPerEU: 14
; AccumOffset: 16
; Occupancy: 8
; WaveLimiterHint : 0
; COMPUTE_PGM_RSRC2:SCRATCH_EN: 0
; COMPUTE_PGM_RSRC2:USER_SGPR: 6
; COMPUTE_PGM_RSRC2:TRAP_HANDLER: 0
; COMPUTE_PGM_RSRC2:TGID_X_EN: 1
; COMPUTE_PGM_RSRC2:TGID_Y_EN: 0
; COMPUTE_PGM_RSRC2:TGID_Z_EN: 0
; COMPUTE_PGM_RSRC2:TIDIG_COMP_CNT: 1
; COMPUTE_PGM_RSRC3_GFX90A:ACCUM_OFFSET: 3
; COMPUTE_PGM_RSRC3_GFX90A:TG_SPLIT: 0
	.section	.text._ZN12_GLOBAL__N_121softmax_warp_backwardIfN3c104HalfEfLi6ELb0ELb0ELi64EEEvPT0_PKT_S7_iiiPKb,"axG",@progbits,_ZN12_GLOBAL__N_121softmax_warp_backwardIfN3c104HalfEfLi6ELb0ELb0ELi64EEEvPT0_PKT_S7_iiiPKb,comdat
	.globl	_ZN12_GLOBAL__N_121softmax_warp_backwardIfN3c104HalfEfLi6ELb0ELb0ELi64EEEvPT0_PKT_S7_iiiPKb ; -- Begin function _ZN12_GLOBAL__N_121softmax_warp_backwardIfN3c104HalfEfLi6ELb0ELb0ELi64EEEvPT0_PKT_S7_iiiPKb
	.p2align	8
	.type	_ZN12_GLOBAL__N_121softmax_warp_backwardIfN3c104HalfEfLi6ELb0ELb0ELi64EEEvPT0_PKT_S7_iiiPKb,@function
_ZN12_GLOBAL__N_121softmax_warp_backwardIfN3c104HalfEfLi6ELb0ELb0ELi64EEEvPT0_PKT_S7_iiiPKb: ; @_ZN12_GLOBAL__N_121softmax_warp_backwardIfN3c104HalfEfLi6ELb0ELb0ELi64EEEvPT0_PKT_S7_iiiPKb
; %bb.0:
	s_load_dword s2, s[4:5], 0x3c
	s_load_dwordx4 s[8:11], s[4:5], 0x18
	s_load_dwordx4 s[12:15], s[4:5], 0x0
	s_load_dwordx2 s[0:1], s[4:5], 0x10
	v_bfe_u32 v1, v0, 10, 10
	s_waitcnt lgkmcnt(0)
	s_lshr_b32 s2, s2, 16
	s_mul_i32 s6, s6, s2
	v_add_lshl_u32 v1, s6, v1, 1
	v_and_b32_e32 v0, 63, v0
	v_mad_u64_u32 v[2:3], s[2:3], v1, s9, v[0:1]
	v_ashrrev_i32_e32 v3, 31, v2
	v_lshlrev_b64 v[6:7], 2, v[2:3]
	v_sub_u32_e32 v8, s8, v1
	v_mov_b32_e32 v1, s15
	v_add_co_u32_e32 v4, vcc, s14, v6
	v_addc_co_u32_e32 v5, vcc, v1, v7, vcc
	v_mov_b32_e32 v1, s1
	v_add_co_u32_e32 v6, vcc, s0, v6
	v_addc_co_u32_e32 v7, vcc, v1, v7, vcc
	v_cmp_gt_i32_e32 vcc, s10, v0
	v_cmp_lt_i32_e64 s[0:1], 0, v8
	s_and_b64 s[4:5], vcc, s[0:1]
	v_mov_b32_e32 v1, 0
	v_mov_b32_e32 v0, 0
	;; [unrolled: 1-line block ×3, first 2 shown]
	s_and_saveexec_b64 s[2:3], s[4:5]
	s_cbranch_execz .LBB606_2
; %bb.1:
	global_load_dword v0, v[4:5], off
	global_load_dword v9, v[6:7], off
.LBB606_2:
	s_or_b64 exec, exec, s[2:3]
	v_cmp_lt_i32_e64 s[2:3], 1, v8
	s_and_b64 s[2:3], vcc, s[2:3]
	s_mov_b32 s11, 0
	v_mov_b32_e32 v10, 0
	s_and_saveexec_b64 s[4:5], s[2:3]
	s_cbranch_execz .LBB606_4
; %bb.3:
	s_lshl_b64 s[6:7], s[10:11], 2
	v_mov_b32_e32 v10, s7
	v_add_co_u32_e64 v4, s[2:3], s6, v4
	v_addc_co_u32_e64 v5, s[2:3], v5, v10, s[2:3]
	global_load_dword v1, v[4:5], off
	v_add_co_u32_e64 v4, s[2:3], s6, v6
	v_addc_co_u32_e64 v5, s[2:3], v7, v10, s[2:3]
	global_load_dword v10, v[4:5], off
.LBB606_4:
	s_or_b64 exec, exec, s[4:5]
	v_mbcnt_lo_u32_b32 v6, -1, 0
	v_mbcnt_hi_u32_b32 v11, -1, v6
	v_and_b32_e32 v6, 64, v11
	v_add_u32_e32 v12, 64, v6
	v_xor_b32_e32 v6, 32, v11
	v_cmp_lt_i32_e64 s[2:3], v6, v12
	v_cndmask_b32_e64 v6, v11, v6, s[2:3]
	s_waitcnt vmcnt(1)
	v_pk_add_f32 v[4:5], v[0:1], 0 op_sel_hi:[1,0]
	v_lshlrev_b32_e32 v7, 2, v6
	ds_bpermute_b32 v6, v7, v4
	ds_bpermute_b32 v7, v7, v5
	v_xor_b32_e32 v13, 16, v11
	v_cmp_lt_i32_e64 s[2:3], v13, v12
	v_cndmask_b32_e64 v13, v11, v13, s[2:3]
	v_lshlrev_b32_e32 v13, 2, v13
	s_waitcnt lgkmcnt(0)
	v_pk_add_f32 v[4:5], v[4:5], v[6:7]
	ds_bpermute_b32 v6, v13, v4
	ds_bpermute_b32 v7, v13, v5
	v_xor_b32_e32 v13, 8, v11
	v_cmp_lt_i32_e64 s[2:3], v13, v12
	v_cndmask_b32_e64 v13, v11, v13, s[2:3]
	v_lshlrev_b32_e32 v13, 2, v13
	s_waitcnt lgkmcnt(0)
	v_pk_add_f32 v[4:5], v[4:5], v[6:7]
	;; [unrolled: 8-line block ×5, first 2 shown]
	ds_bpermute_b32 v6, v11, v4
	ds_bpermute_b32 v7, v11, v5
	s_and_saveexec_b64 s[2:3], s[0:1]
	s_cbranch_execz .LBB606_10
; %bb.5:
	v_lshlrev_b64 v[2:3], 1, v[2:3]
	v_mov_b32_e32 v11, s13
	v_add_co_u32_e64 v2, s[0:1], s12, v2
	v_addc_co_u32_e64 v3, s[0:1], v11, v3, s[0:1]
	s_waitcnt lgkmcnt(0)
	v_pk_add_f32 v[4:5], v[4:5], v[6:7]
	s_and_saveexec_b64 s[0:1], vcc
	s_cbranch_execz .LBB606_7
; %bb.6:
	s_waitcnt vmcnt(0)
	v_fma_mixlo_f16 v0, -v4, v9, v0
	global_store_short v[2:3], v0, off
.LBB606_7:
	s_or_b64 exec, exec, s[0:1]
	v_cmp_ne_u32_e64 s[0:1], 1, v8
	s_and_b64 exec, exec, s[0:1]
	s_cbranch_execz .LBB606_10
; %bb.8:
	s_and_b64 exec, exec, vcc
	s_cbranch_execz .LBB606_10
; %bb.9:
	s_lshl_b64 s[0:1], s[10:11], 1
	s_waitcnt vmcnt(0)
	v_fma_mixlo_f16 v4, -v5, v10, v1
	v_mov_b32_e32 v1, s1
	v_add_co_u32_e32 v0, vcc, s0, v2
	v_addc_co_u32_e32 v1, vcc, v3, v1, vcc
	global_store_short v[0:1], v4, off
.LBB606_10:
	s_endpgm
	.section	.rodata,"a",@progbits
	.p2align	6, 0x0
	.amdhsa_kernel _ZN12_GLOBAL__N_121softmax_warp_backwardIfN3c104HalfEfLi6ELb0ELb0ELi64EEEvPT0_PKT_S7_iiiPKb
		.amdhsa_group_segment_fixed_size 0
		.amdhsa_private_segment_fixed_size 0
		.amdhsa_kernarg_size 304
		.amdhsa_user_sgpr_count 6
		.amdhsa_user_sgpr_private_segment_buffer 1
		.amdhsa_user_sgpr_dispatch_ptr 0
		.amdhsa_user_sgpr_queue_ptr 0
		.amdhsa_user_sgpr_kernarg_segment_ptr 1
		.amdhsa_user_sgpr_dispatch_id 0
		.amdhsa_user_sgpr_flat_scratch_init 0
		.amdhsa_user_sgpr_kernarg_preload_length 0
		.amdhsa_user_sgpr_kernarg_preload_offset 0
		.amdhsa_user_sgpr_private_segment_size 0
		.amdhsa_uses_dynamic_stack 0
		.amdhsa_system_sgpr_private_segment_wavefront_offset 0
		.amdhsa_system_sgpr_workgroup_id_x 1
		.amdhsa_system_sgpr_workgroup_id_y 0
		.amdhsa_system_sgpr_workgroup_id_z 0
		.amdhsa_system_sgpr_workgroup_info 0
		.amdhsa_system_vgpr_workitem_id 1
		.amdhsa_next_free_vgpr 14
		.amdhsa_next_free_sgpr 16
		.amdhsa_accum_offset 16
		.amdhsa_reserve_vcc 1
		.amdhsa_reserve_flat_scratch 0
		.amdhsa_float_round_mode_32 0
		.amdhsa_float_round_mode_16_64 0
		.amdhsa_float_denorm_mode_32 3
		.amdhsa_float_denorm_mode_16_64 3
		.amdhsa_dx10_clamp 1
		.amdhsa_ieee_mode 1
		.amdhsa_fp16_overflow 0
		.amdhsa_tg_split 0
		.amdhsa_exception_fp_ieee_invalid_op 0
		.amdhsa_exception_fp_denorm_src 0
		.amdhsa_exception_fp_ieee_div_zero 0
		.amdhsa_exception_fp_ieee_overflow 0
		.amdhsa_exception_fp_ieee_underflow 0
		.amdhsa_exception_fp_ieee_inexact 0
		.amdhsa_exception_int_div_zero 0
	.end_amdhsa_kernel
	.section	.text._ZN12_GLOBAL__N_121softmax_warp_backwardIfN3c104HalfEfLi6ELb0ELb0ELi64EEEvPT0_PKT_S7_iiiPKb,"axG",@progbits,_ZN12_GLOBAL__N_121softmax_warp_backwardIfN3c104HalfEfLi6ELb0ELb0ELi64EEEvPT0_PKT_S7_iiiPKb,comdat
.Lfunc_end606:
	.size	_ZN12_GLOBAL__N_121softmax_warp_backwardIfN3c104HalfEfLi6ELb0ELb0ELi64EEEvPT0_PKT_S7_iiiPKb, .Lfunc_end606-_ZN12_GLOBAL__N_121softmax_warp_backwardIfN3c104HalfEfLi6ELb0ELb0ELi64EEEvPT0_PKT_S7_iiiPKb
                                        ; -- End function
	.section	.AMDGPU.csdata,"",@progbits
; Kernel info:
; codeLenInByte = 736
; NumSgprs: 20
; NumVgprs: 14
; NumAgprs: 0
; TotalNumVgprs: 14
; ScratchSize: 0
; MemoryBound: 0
; FloatMode: 240
; IeeeMode: 1
; LDSByteSize: 0 bytes/workgroup (compile time only)
; SGPRBlocks: 2
; VGPRBlocks: 1
; NumSGPRsForWavesPerEU: 20
; NumVGPRsForWavesPerEU: 14
; AccumOffset: 16
; Occupancy: 8
; WaveLimiterHint : 0
; COMPUTE_PGM_RSRC2:SCRATCH_EN: 0
; COMPUTE_PGM_RSRC2:USER_SGPR: 6
; COMPUTE_PGM_RSRC2:TRAP_HANDLER: 0
; COMPUTE_PGM_RSRC2:TGID_X_EN: 1
; COMPUTE_PGM_RSRC2:TGID_Y_EN: 0
; COMPUTE_PGM_RSRC2:TGID_Z_EN: 0
; COMPUTE_PGM_RSRC2:TIDIG_COMP_CNT: 1
; COMPUTE_PGM_RSRC3_GFX90A:ACCUM_OFFSET: 3
; COMPUTE_PGM_RSRC3_GFX90A:TG_SPLIT: 0
	.section	.text._ZN12_GLOBAL__N_121softmax_warp_backwardIfN3c104HalfEfLi6ELb0ELb0ELi32EEEvPT0_PKT_S7_iiiPKb,"axG",@progbits,_ZN12_GLOBAL__N_121softmax_warp_backwardIfN3c104HalfEfLi6ELb0ELb0ELi32EEEvPT0_PKT_S7_iiiPKb,comdat
	.globl	_ZN12_GLOBAL__N_121softmax_warp_backwardIfN3c104HalfEfLi6ELb0ELb0ELi32EEEvPT0_PKT_S7_iiiPKb ; -- Begin function _ZN12_GLOBAL__N_121softmax_warp_backwardIfN3c104HalfEfLi6ELb0ELb0ELi32EEEvPT0_PKT_S7_iiiPKb
	.p2align	8
	.type	_ZN12_GLOBAL__N_121softmax_warp_backwardIfN3c104HalfEfLi6ELb0ELb0ELi32EEEvPT0_PKT_S7_iiiPKb,@function
_ZN12_GLOBAL__N_121softmax_warp_backwardIfN3c104HalfEfLi6ELb0ELb0ELi32EEEvPT0_PKT_S7_iiiPKb: ; @_ZN12_GLOBAL__N_121softmax_warp_backwardIfN3c104HalfEfLi6ELb0ELb0ELi32EEEvPT0_PKT_S7_iiiPKb
; %bb.0:
	s_load_dword s2, s[4:5], 0x3c
	s_load_dwordx4 s[8:11], s[4:5], 0x18
	s_load_dwordx4 s[12:15], s[4:5], 0x0
	s_load_dwordx2 s[0:1], s[4:5], 0x10
	v_bfe_u32 v1, v0, 10, 10
	s_waitcnt lgkmcnt(0)
	s_lshr_b32 s2, s2, 16
	s_mul_i32 s6, s6, s2
	v_add_lshl_u32 v1, s6, v1, 1
	v_sub_u32_e32 v11, s8, v1
	v_and_b32_e32 v10, 31, v0
	v_mad_u64_u32 v[4:5], s[2:3], v1, s9, v[10:11]
	v_ashrrev_i32_e32 v5, 31, v4
	v_lshlrev_b64 v[0:1], 2, v[4:5]
	v_mov_b32_e32 v2, s15
	v_add_co_u32_e32 v6, vcc, s14, v0
	v_addc_co_u32_e32 v7, vcc, v2, v1, vcc
	v_mov_b32_e32 v2, s1
	v_add_co_u32_e32 v8, vcc, s0, v0
	v_cmp_lt_i32_e64 s[2:3], 0, v11
	v_cmp_gt_i32_e64 s[0:1], s10, v10
	v_addc_co_u32_e32 v9, vcc, v2, v1, vcc
	s_and_b64 s[6:7], s[2:3], s[0:1]
	v_mov_b32_e32 v0, 0
	v_mov_b32_e32 v2, 0
	;; [unrolled: 1-line block ×3, first 2 shown]
	s_and_saveexec_b64 s[4:5], s[6:7]
	s_cbranch_execz .LBB607_2
; %bb.1:
	global_load_dword v2, v[6:7], off
	global_load_dword v12, v[8:9], off
.LBB607_2:
	s_or_b64 exec, exec, s[4:5]
	v_or_b32_e32 v1, 32, v10
	v_cmp_gt_i32_e32 vcc, s10, v1
	s_and_b64 s[6:7], s[2:3], vcc
	v_mov_b32_e32 v10, 0
	s_and_saveexec_b64 s[4:5], s[6:7]
	s_cbranch_execz .LBB607_4
; %bb.3:
	global_load_dword v0, v[6:7], off offset:128
	global_load_dword v10, v[8:9], off offset:128
.LBB607_4:
	s_or_b64 exec, exec, s[4:5]
	v_cmp_lt_i32_e64 s[4:5], 1, v11
	s_and_b64 s[6:7], s[4:5], s[0:1]
	s_mov_b32 s11, 0
	v_mov_b32_e32 v1, 0
	v_mov_b32_e32 v3, 0
	;; [unrolled: 1-line block ×3, first 2 shown]
	s_and_saveexec_b64 s[8:9], s[6:7]
	s_cbranch_execz .LBB607_6
; %bb.5:
	s_lshl_b64 s[14:15], s[10:11], 2
	v_mov_b32_e32 v13, s15
	v_add_co_u32_e64 v14, s[6:7], s14, v6
	v_addc_co_u32_e64 v15, s[6:7], v7, v13, s[6:7]
	global_load_dword v3, v[14:15], off
	v_add_co_u32_e64 v14, s[6:7], s14, v8
	v_addc_co_u32_e64 v15, s[6:7], v9, v13, s[6:7]
	global_load_dword v13, v[14:15], off
.LBB607_6:
	s_or_b64 exec, exec, s[8:9]
	s_and_b64 s[4:5], s[4:5], vcc
	v_mov_b32_e32 v14, 0
	s_and_saveexec_b64 s[6:7], s[4:5]
	s_cbranch_execz .LBB607_8
; %bb.7:
	s_lshl_b64 s[8:9], s[10:11], 2
	v_mov_b32_e32 v14, s9
	v_add_co_u32_e64 v6, s[4:5], s8, v6
	v_addc_co_u32_e64 v7, s[4:5], v7, v14, s[4:5]
	global_load_dword v1, v[6:7], off offset:128
	v_add_co_u32_e64 v6, s[4:5], s8, v8
	v_addc_co_u32_e64 v7, s[4:5], v9, v14, s[4:5]
	global_load_dword v14, v[6:7], off offset:128
.LBB607_8:
	s_or_b64 exec, exec, s[6:7]
	v_mbcnt_lo_u32_b32 v8, -1, 0
	v_mbcnt_hi_u32_b32 v15, -1, v8
	v_and_b32_e32 v8, 0x60, v15
	v_add_u32_e32 v16, 32, v8
	v_xor_b32_e32 v8, 16, v15
	v_cmp_lt_i32_e64 s[4:5], v8, v16
	s_waitcnt vmcnt(1)
	v_pk_add_f32 v[6:7], v[2:3], 0 op_sel_hi:[1,0]
	v_cndmask_b32_e64 v8, v15, v8, s[4:5]
	v_lshlrev_b32_e32 v9, 2, v8
	v_pk_add_f32 v[6:7], v[6:7], v[0:1]
	ds_bpermute_b32 v8, v9, v6
	ds_bpermute_b32 v9, v9, v7
	v_xor_b32_e32 v17, 8, v15
	v_cmp_lt_i32_e64 s[4:5], v17, v16
	v_cndmask_b32_e64 v17, v15, v17, s[4:5]
	v_lshlrev_b32_e32 v17, 2, v17
	s_waitcnt lgkmcnt(0)
	v_pk_add_f32 v[6:7], v[6:7], v[8:9]
	ds_bpermute_b32 v8, v17, v6
	ds_bpermute_b32 v9, v17, v7
	v_xor_b32_e32 v17, 4, v15
	v_cmp_lt_i32_e64 s[4:5], v17, v16
	v_cndmask_b32_e64 v17, v15, v17, s[4:5]
	v_lshlrev_b32_e32 v17, 2, v17
	s_waitcnt lgkmcnt(0)
	;; [unrolled: 8-line block ×4, first 2 shown]
	v_pk_add_f32 v[6:7], v[6:7], v[8:9]
	ds_bpermute_b32 v8, v15, v6
	ds_bpermute_b32 v9, v15, v7
	s_and_saveexec_b64 s[4:5], s[2:3]
	s_cbranch_execz .LBB607_12
; %bb.9:
	v_lshlrev_b64 v[4:5], 1, v[4:5]
	v_mov_b32_e32 v15, s13
	v_add_co_u32_e64 v4, s[2:3], s12, v4
	v_addc_co_u32_e64 v5, s[2:3], v15, v5, s[2:3]
	s_waitcnt lgkmcnt(0)
	v_pk_add_f32 v[6:7], v[6:7], v[8:9]
	s_and_saveexec_b64 s[2:3], s[0:1]
	s_cbranch_execnz .LBB607_13
; %bb.10:
	s_or_b64 exec, exec, s[2:3]
	s_and_saveexec_b64 s[2:3], vcc
	s_cbranch_execnz .LBB607_14
.LBB607_11:
	s_or_b64 exec, exec, s[2:3]
	v_cmp_ne_u32_e64 s[2:3], 1, v11
	s_and_b64 exec, exec, s[2:3]
	s_cbranch_execnz .LBB607_15
.LBB607_12:
	s_endpgm
.LBB607_13:
	s_waitcnt vmcnt(0)
	v_fma_mixlo_f16 v2, -v6, v12, v2
	global_store_short v[4:5], v2, off
	s_or_b64 exec, exec, s[2:3]
	s_and_saveexec_b64 s[2:3], vcc
	s_cbranch_execz .LBB607_11
.LBB607_14:
	s_waitcnt vmcnt(0)
	v_fma_mixlo_f16 v0, -v6, v10, v0
	global_store_short v[4:5], v0, off offset:64
	s_or_b64 exec, exec, s[2:3]
	v_cmp_ne_u32_e64 s[2:3], 1, v11
	s_and_b64 exec, exec, s[2:3]
	s_cbranch_execz .LBB607_12
.LBB607_15:
	s_and_saveexec_b64 s[2:3], s[0:1]
	s_cbranch_execz .LBB607_17
; %bb.16:
	s_lshl_b64 s[0:1], s[10:11], 1
	s_waitcnt vmcnt(0)
	v_fma_mixlo_f16 v0, -v7, v13, v3
	v_mov_b32_e32 v3, s1
	v_add_co_u32_e64 v2, s[0:1], s0, v4
	v_addc_co_u32_e64 v3, s[0:1], v5, v3, s[0:1]
	global_store_short v[2:3], v0, off
.LBB607_17:
	s_or_b64 exec, exec, s[2:3]
	s_and_b64 exec, exec, vcc
	s_cbranch_execz .LBB607_12
; %bb.18:
	s_ashr_i32 s11, s10, 31
	s_lshl_b64 s[0:1], s[10:11], 1
	s_waitcnt vmcnt(0)
	v_fma_mixlo_f16 v2, -v7, v14, v1
	v_mov_b32_e32 v1, s1
	v_add_co_u32_e32 v0, vcc, s0, v4
	v_addc_co_u32_e32 v1, vcc, v5, v1, vcc
	global_store_short v[0:1], v2, off offset:64
	s_endpgm
	.section	.rodata,"a",@progbits
	.p2align	6, 0x0
	.amdhsa_kernel _ZN12_GLOBAL__N_121softmax_warp_backwardIfN3c104HalfEfLi6ELb0ELb0ELi32EEEvPT0_PKT_S7_iiiPKb
		.amdhsa_group_segment_fixed_size 0
		.amdhsa_private_segment_fixed_size 0
		.amdhsa_kernarg_size 304
		.amdhsa_user_sgpr_count 6
		.amdhsa_user_sgpr_private_segment_buffer 1
		.amdhsa_user_sgpr_dispatch_ptr 0
		.amdhsa_user_sgpr_queue_ptr 0
		.amdhsa_user_sgpr_kernarg_segment_ptr 1
		.amdhsa_user_sgpr_dispatch_id 0
		.amdhsa_user_sgpr_flat_scratch_init 0
		.amdhsa_user_sgpr_kernarg_preload_length 0
		.amdhsa_user_sgpr_kernarg_preload_offset 0
		.amdhsa_user_sgpr_private_segment_size 0
		.amdhsa_uses_dynamic_stack 0
		.amdhsa_system_sgpr_private_segment_wavefront_offset 0
		.amdhsa_system_sgpr_workgroup_id_x 1
		.amdhsa_system_sgpr_workgroup_id_y 0
		.amdhsa_system_sgpr_workgroup_id_z 0
		.amdhsa_system_sgpr_workgroup_info 0
		.amdhsa_system_vgpr_workitem_id 1
		.amdhsa_next_free_vgpr 18
		.amdhsa_next_free_sgpr 16
		.amdhsa_accum_offset 20
		.amdhsa_reserve_vcc 1
		.amdhsa_reserve_flat_scratch 0
		.amdhsa_float_round_mode_32 0
		.amdhsa_float_round_mode_16_64 0
		.amdhsa_float_denorm_mode_32 3
		.amdhsa_float_denorm_mode_16_64 3
		.amdhsa_dx10_clamp 1
		.amdhsa_ieee_mode 1
		.amdhsa_fp16_overflow 0
		.amdhsa_tg_split 0
		.amdhsa_exception_fp_ieee_invalid_op 0
		.amdhsa_exception_fp_denorm_src 0
		.amdhsa_exception_fp_ieee_div_zero 0
		.amdhsa_exception_fp_ieee_overflow 0
		.amdhsa_exception_fp_ieee_underflow 0
		.amdhsa_exception_fp_ieee_inexact 0
		.amdhsa_exception_int_div_zero 0
	.end_amdhsa_kernel
	.section	.text._ZN12_GLOBAL__N_121softmax_warp_backwardIfN3c104HalfEfLi6ELb0ELb0ELi32EEEvPT0_PKT_S7_iiiPKb,"axG",@progbits,_ZN12_GLOBAL__N_121softmax_warp_backwardIfN3c104HalfEfLi6ELb0ELb0ELi32EEEvPT0_PKT_S7_iiiPKb,comdat
.Lfunc_end607:
	.size	_ZN12_GLOBAL__N_121softmax_warp_backwardIfN3c104HalfEfLi6ELb0ELb0ELi32EEEvPT0_PKT_S7_iiiPKb, .Lfunc_end607-_ZN12_GLOBAL__N_121softmax_warp_backwardIfN3c104HalfEfLi6ELb0ELb0ELi32EEEvPT0_PKT_S7_iiiPKb
                                        ; -- End function
	.section	.AMDGPU.csdata,"",@progbits
; Kernel info:
; codeLenInByte = 956
; NumSgprs: 20
; NumVgprs: 18
; NumAgprs: 0
; TotalNumVgprs: 18
; ScratchSize: 0
; MemoryBound: 0
; FloatMode: 240
; IeeeMode: 1
; LDSByteSize: 0 bytes/workgroup (compile time only)
; SGPRBlocks: 2
; VGPRBlocks: 2
; NumSGPRsForWavesPerEU: 20
; NumVGPRsForWavesPerEU: 18
; AccumOffset: 20
; Occupancy: 8
; WaveLimiterHint : 0
; COMPUTE_PGM_RSRC2:SCRATCH_EN: 0
; COMPUTE_PGM_RSRC2:USER_SGPR: 6
; COMPUTE_PGM_RSRC2:TRAP_HANDLER: 0
; COMPUTE_PGM_RSRC2:TGID_X_EN: 1
; COMPUTE_PGM_RSRC2:TGID_Y_EN: 0
; COMPUTE_PGM_RSRC2:TGID_Z_EN: 0
; COMPUTE_PGM_RSRC2:TIDIG_COMP_CNT: 1
; COMPUTE_PGM_RSRC3_GFX90A:ACCUM_OFFSET: 4
; COMPUTE_PGM_RSRC3_GFX90A:TG_SPLIT: 0
	.section	.text._ZN12_GLOBAL__N_121softmax_warp_backwardIfN3c104HalfEfLi7ELb0ELb0ELi64EEEvPT0_PKT_S7_iiiPKb,"axG",@progbits,_ZN12_GLOBAL__N_121softmax_warp_backwardIfN3c104HalfEfLi7ELb0ELb0ELi64EEEvPT0_PKT_S7_iiiPKb,comdat
	.globl	_ZN12_GLOBAL__N_121softmax_warp_backwardIfN3c104HalfEfLi7ELb0ELb0ELi64EEEvPT0_PKT_S7_iiiPKb ; -- Begin function _ZN12_GLOBAL__N_121softmax_warp_backwardIfN3c104HalfEfLi7ELb0ELb0ELi64EEEvPT0_PKT_S7_iiiPKb
	.p2align	8
	.type	_ZN12_GLOBAL__N_121softmax_warp_backwardIfN3c104HalfEfLi7ELb0ELb0ELi64EEEvPT0_PKT_S7_iiiPKb,@function
_ZN12_GLOBAL__N_121softmax_warp_backwardIfN3c104HalfEfLi7ELb0ELb0ELi64EEEvPT0_PKT_S7_iiiPKb: ; @_ZN12_GLOBAL__N_121softmax_warp_backwardIfN3c104HalfEfLi7ELb0ELb0ELi64EEEvPT0_PKT_S7_iiiPKb
; %bb.0:
	s_load_dword s2, s[4:5], 0x3c
	s_load_dwordx4 s[8:11], s[4:5], 0x18
	s_load_dwordx4 s[12:15], s[4:5], 0x0
	s_load_dwordx2 s[0:1], s[4:5], 0x10
	v_bfe_u32 v1, v0, 10, 10
	s_waitcnt lgkmcnt(0)
	s_lshr_b32 s2, s2, 16
	s_mul_i32 s6, s6, s2
	v_add_lshl_u32 v1, s6, v1, 1
	v_sub_u32_e32 v11, s8, v1
	v_and_b32_e32 v10, 63, v0
	v_mad_u64_u32 v[4:5], s[2:3], v1, s9, v[10:11]
	v_ashrrev_i32_e32 v5, 31, v4
	v_lshlrev_b64 v[0:1], 2, v[4:5]
	v_mov_b32_e32 v2, s15
	v_add_co_u32_e32 v6, vcc, s14, v0
	v_addc_co_u32_e32 v7, vcc, v2, v1, vcc
	v_mov_b32_e32 v2, s1
	v_add_co_u32_e32 v8, vcc, s0, v0
	v_cmp_lt_i32_e64 s[2:3], 0, v11
	v_cmp_gt_i32_e64 s[0:1], s10, v10
	v_addc_co_u32_e32 v9, vcc, v2, v1, vcc
	s_and_b64 s[6:7], s[2:3], s[0:1]
	v_mov_b32_e32 v0, 0
	v_mov_b32_e32 v2, 0
	;; [unrolled: 1-line block ×3, first 2 shown]
	s_and_saveexec_b64 s[4:5], s[6:7]
	s_cbranch_execz .LBB608_2
; %bb.1:
	global_load_dword v2, v[6:7], off
	global_load_dword v12, v[8:9], off
.LBB608_2:
	s_or_b64 exec, exec, s[4:5]
	v_or_b32_e32 v1, 64, v10
	v_cmp_gt_i32_e32 vcc, s10, v1
	s_and_b64 s[6:7], s[2:3], vcc
	v_mov_b32_e32 v10, 0
	s_and_saveexec_b64 s[4:5], s[6:7]
	s_cbranch_execz .LBB608_4
; %bb.3:
	global_load_dword v0, v[6:7], off offset:256
	global_load_dword v10, v[8:9], off offset:256
.LBB608_4:
	s_or_b64 exec, exec, s[4:5]
	v_cmp_lt_i32_e64 s[4:5], 1, v11
	s_and_b64 s[6:7], s[4:5], s[0:1]
	s_mov_b32 s11, 0
	v_mov_b32_e32 v1, 0
	v_mov_b32_e32 v3, 0
	;; [unrolled: 1-line block ×3, first 2 shown]
	s_and_saveexec_b64 s[8:9], s[6:7]
	s_cbranch_execz .LBB608_6
; %bb.5:
	s_lshl_b64 s[14:15], s[10:11], 2
	v_mov_b32_e32 v13, s15
	v_add_co_u32_e64 v14, s[6:7], s14, v6
	v_addc_co_u32_e64 v15, s[6:7], v7, v13, s[6:7]
	global_load_dword v3, v[14:15], off
	v_add_co_u32_e64 v14, s[6:7], s14, v8
	v_addc_co_u32_e64 v15, s[6:7], v9, v13, s[6:7]
	global_load_dword v13, v[14:15], off
.LBB608_6:
	s_or_b64 exec, exec, s[8:9]
	s_and_b64 s[4:5], s[4:5], vcc
	v_mov_b32_e32 v14, 0
	s_and_saveexec_b64 s[6:7], s[4:5]
	s_cbranch_execz .LBB608_8
; %bb.7:
	s_lshl_b64 s[8:9], s[10:11], 2
	v_mov_b32_e32 v14, s9
	v_add_co_u32_e64 v6, s[4:5], s8, v6
	v_addc_co_u32_e64 v7, s[4:5], v7, v14, s[4:5]
	global_load_dword v1, v[6:7], off offset:256
	v_add_co_u32_e64 v6, s[4:5], s8, v8
	v_addc_co_u32_e64 v7, s[4:5], v9, v14, s[4:5]
	global_load_dword v14, v[6:7], off offset:256
.LBB608_8:
	s_or_b64 exec, exec, s[6:7]
	v_mbcnt_lo_u32_b32 v8, -1, 0
	v_mbcnt_hi_u32_b32 v15, -1, v8
	v_and_b32_e32 v8, 64, v15
	v_add_u32_e32 v16, 64, v8
	v_xor_b32_e32 v8, 32, v15
	v_cmp_lt_i32_e64 s[4:5], v8, v16
	s_waitcnt vmcnt(1)
	v_pk_add_f32 v[6:7], v[2:3], 0 op_sel_hi:[1,0]
	v_cndmask_b32_e64 v8, v15, v8, s[4:5]
	v_lshlrev_b32_e32 v9, 2, v8
	v_pk_add_f32 v[6:7], v[6:7], v[0:1]
	ds_bpermute_b32 v8, v9, v6
	ds_bpermute_b32 v9, v9, v7
	v_xor_b32_e32 v17, 16, v15
	v_cmp_lt_i32_e64 s[4:5], v17, v16
	v_cndmask_b32_e64 v17, v15, v17, s[4:5]
	v_lshlrev_b32_e32 v17, 2, v17
	s_waitcnt lgkmcnt(0)
	v_pk_add_f32 v[6:7], v[6:7], v[8:9]
	ds_bpermute_b32 v8, v17, v6
	ds_bpermute_b32 v9, v17, v7
	v_xor_b32_e32 v17, 8, v15
	v_cmp_lt_i32_e64 s[4:5], v17, v16
	v_cndmask_b32_e64 v17, v15, v17, s[4:5]
	v_lshlrev_b32_e32 v17, 2, v17
	s_waitcnt lgkmcnt(0)
	;; [unrolled: 8-line block ×5, first 2 shown]
	v_pk_add_f32 v[6:7], v[6:7], v[8:9]
	ds_bpermute_b32 v8, v15, v6
	ds_bpermute_b32 v9, v15, v7
	s_and_saveexec_b64 s[4:5], s[2:3]
	s_cbranch_execz .LBB608_12
; %bb.9:
	v_lshlrev_b64 v[4:5], 1, v[4:5]
	v_mov_b32_e32 v15, s13
	v_add_co_u32_e64 v4, s[2:3], s12, v4
	v_addc_co_u32_e64 v5, s[2:3], v15, v5, s[2:3]
	s_waitcnt lgkmcnt(0)
	v_pk_add_f32 v[6:7], v[6:7], v[8:9]
	s_and_saveexec_b64 s[2:3], s[0:1]
	s_cbranch_execnz .LBB608_13
; %bb.10:
	s_or_b64 exec, exec, s[2:3]
	s_and_saveexec_b64 s[2:3], vcc
	s_cbranch_execnz .LBB608_14
.LBB608_11:
	s_or_b64 exec, exec, s[2:3]
	v_cmp_ne_u32_e64 s[2:3], 1, v11
	s_and_b64 exec, exec, s[2:3]
	s_cbranch_execnz .LBB608_15
.LBB608_12:
	s_endpgm
.LBB608_13:
	s_waitcnt vmcnt(0)
	v_fma_mixlo_f16 v2, -v6, v12, v2
	global_store_short v[4:5], v2, off
	s_or_b64 exec, exec, s[2:3]
	s_and_saveexec_b64 s[2:3], vcc
	s_cbranch_execz .LBB608_11
.LBB608_14:
	s_waitcnt vmcnt(0)
	v_fma_mixlo_f16 v0, -v6, v10, v0
	global_store_short v[4:5], v0, off offset:128
	s_or_b64 exec, exec, s[2:3]
	v_cmp_ne_u32_e64 s[2:3], 1, v11
	s_and_b64 exec, exec, s[2:3]
	s_cbranch_execz .LBB608_12
.LBB608_15:
	s_and_saveexec_b64 s[2:3], s[0:1]
	s_cbranch_execz .LBB608_17
; %bb.16:
	s_lshl_b64 s[0:1], s[10:11], 1
	s_waitcnt vmcnt(0)
	v_fma_mixlo_f16 v0, -v7, v13, v3
	v_mov_b32_e32 v3, s1
	v_add_co_u32_e64 v2, s[0:1], s0, v4
	v_addc_co_u32_e64 v3, s[0:1], v5, v3, s[0:1]
	global_store_short v[2:3], v0, off
.LBB608_17:
	s_or_b64 exec, exec, s[2:3]
	s_and_b64 exec, exec, vcc
	s_cbranch_execz .LBB608_12
; %bb.18:
	s_ashr_i32 s11, s10, 31
	s_lshl_b64 s[0:1], s[10:11], 1
	s_waitcnt vmcnt(0)
	v_fma_mixlo_f16 v2, -v7, v14, v1
	v_mov_b32_e32 v1, s1
	v_add_co_u32_e32 v0, vcc, s0, v4
	v_addc_co_u32_e32 v1, vcc, v5, v1, vcc
	global_store_short v[0:1], v2, off offset:128
	s_endpgm
	.section	.rodata,"a",@progbits
	.p2align	6, 0x0
	.amdhsa_kernel _ZN12_GLOBAL__N_121softmax_warp_backwardIfN3c104HalfEfLi7ELb0ELb0ELi64EEEvPT0_PKT_S7_iiiPKb
		.amdhsa_group_segment_fixed_size 0
		.amdhsa_private_segment_fixed_size 0
		.amdhsa_kernarg_size 304
		.amdhsa_user_sgpr_count 6
		.amdhsa_user_sgpr_private_segment_buffer 1
		.amdhsa_user_sgpr_dispatch_ptr 0
		.amdhsa_user_sgpr_queue_ptr 0
		.amdhsa_user_sgpr_kernarg_segment_ptr 1
		.amdhsa_user_sgpr_dispatch_id 0
		.amdhsa_user_sgpr_flat_scratch_init 0
		.amdhsa_user_sgpr_kernarg_preload_length 0
		.amdhsa_user_sgpr_kernarg_preload_offset 0
		.amdhsa_user_sgpr_private_segment_size 0
		.amdhsa_uses_dynamic_stack 0
		.amdhsa_system_sgpr_private_segment_wavefront_offset 0
		.amdhsa_system_sgpr_workgroup_id_x 1
		.amdhsa_system_sgpr_workgroup_id_y 0
		.amdhsa_system_sgpr_workgroup_id_z 0
		.amdhsa_system_sgpr_workgroup_info 0
		.amdhsa_system_vgpr_workitem_id 1
		.amdhsa_next_free_vgpr 18
		.amdhsa_next_free_sgpr 16
		.amdhsa_accum_offset 20
		.amdhsa_reserve_vcc 1
		.amdhsa_reserve_flat_scratch 0
		.amdhsa_float_round_mode_32 0
		.amdhsa_float_round_mode_16_64 0
		.amdhsa_float_denorm_mode_32 3
		.amdhsa_float_denorm_mode_16_64 3
		.amdhsa_dx10_clamp 1
		.amdhsa_ieee_mode 1
		.amdhsa_fp16_overflow 0
		.amdhsa_tg_split 0
		.amdhsa_exception_fp_ieee_invalid_op 0
		.amdhsa_exception_fp_denorm_src 0
		.amdhsa_exception_fp_ieee_div_zero 0
		.amdhsa_exception_fp_ieee_overflow 0
		.amdhsa_exception_fp_ieee_underflow 0
		.amdhsa_exception_fp_ieee_inexact 0
		.amdhsa_exception_int_div_zero 0
	.end_amdhsa_kernel
	.section	.text._ZN12_GLOBAL__N_121softmax_warp_backwardIfN3c104HalfEfLi7ELb0ELb0ELi64EEEvPT0_PKT_S7_iiiPKb,"axG",@progbits,_ZN12_GLOBAL__N_121softmax_warp_backwardIfN3c104HalfEfLi7ELb0ELb0ELi64EEEvPT0_PKT_S7_iiiPKb,comdat
.Lfunc_end608:
	.size	_ZN12_GLOBAL__N_121softmax_warp_backwardIfN3c104HalfEfLi7ELb0ELb0ELi64EEEvPT0_PKT_S7_iiiPKb, .Lfunc_end608-_ZN12_GLOBAL__N_121softmax_warp_backwardIfN3c104HalfEfLi7ELb0ELb0ELi64EEEvPT0_PKT_S7_iiiPKb
                                        ; -- End function
	.section	.AMDGPU.csdata,"",@progbits
; Kernel info:
; codeLenInByte = 1004
; NumSgprs: 20
; NumVgprs: 18
; NumAgprs: 0
; TotalNumVgprs: 18
; ScratchSize: 0
; MemoryBound: 0
; FloatMode: 240
; IeeeMode: 1
; LDSByteSize: 0 bytes/workgroup (compile time only)
; SGPRBlocks: 2
; VGPRBlocks: 2
; NumSGPRsForWavesPerEU: 20
; NumVGPRsForWavesPerEU: 18
; AccumOffset: 20
; Occupancy: 8
; WaveLimiterHint : 0
; COMPUTE_PGM_RSRC2:SCRATCH_EN: 0
; COMPUTE_PGM_RSRC2:USER_SGPR: 6
; COMPUTE_PGM_RSRC2:TRAP_HANDLER: 0
; COMPUTE_PGM_RSRC2:TGID_X_EN: 1
; COMPUTE_PGM_RSRC2:TGID_Y_EN: 0
; COMPUTE_PGM_RSRC2:TGID_Z_EN: 0
; COMPUTE_PGM_RSRC2:TIDIG_COMP_CNT: 1
; COMPUTE_PGM_RSRC3_GFX90A:ACCUM_OFFSET: 4
; COMPUTE_PGM_RSRC3_GFX90A:TG_SPLIT: 0
	.section	.text._ZN12_GLOBAL__N_121softmax_warp_backwardIfN3c104HalfEfLi7ELb0ELb0ELi32EEEvPT0_PKT_S7_iiiPKb,"axG",@progbits,_ZN12_GLOBAL__N_121softmax_warp_backwardIfN3c104HalfEfLi7ELb0ELb0ELi32EEEvPT0_PKT_S7_iiiPKb,comdat
	.globl	_ZN12_GLOBAL__N_121softmax_warp_backwardIfN3c104HalfEfLi7ELb0ELb0ELi32EEEvPT0_PKT_S7_iiiPKb ; -- Begin function _ZN12_GLOBAL__N_121softmax_warp_backwardIfN3c104HalfEfLi7ELb0ELb0ELi32EEEvPT0_PKT_S7_iiiPKb
	.p2align	8
	.type	_ZN12_GLOBAL__N_121softmax_warp_backwardIfN3c104HalfEfLi7ELb0ELb0ELi32EEEvPT0_PKT_S7_iiiPKb,@function
_ZN12_GLOBAL__N_121softmax_warp_backwardIfN3c104HalfEfLi7ELb0ELb0ELi32EEEvPT0_PKT_S7_iiiPKb: ; @_ZN12_GLOBAL__N_121softmax_warp_backwardIfN3c104HalfEfLi7ELb0ELb0ELi32EEEvPT0_PKT_S7_iiiPKb
; %bb.0:
	s_load_dword s2, s[4:5], 0x3c
	s_load_dwordx4 s[12:15], s[4:5], 0x18
	s_load_dwordx4 s[16:19], s[4:5], 0x0
	s_load_dwordx2 s[0:1], s[4:5], 0x10
	v_bfe_u32 v1, v0, 10, 10
	s_waitcnt lgkmcnt(0)
	s_lshr_b32 s2, s2, 16
	s_mul_i32 s6, s6, s2
	v_add_lshl_u32 v1, s6, v1, 1
	v_and_b32_e32 v14, 31, v0
	v_mad_u64_u32 v[8:9], s[2:3], v1, s13, v[14:15]
	v_ashrrev_i32_e32 v9, 31, v8
	v_sub_u32_e32 v16, s12, v1
	v_lshlrev_b64 v[0:1], 2, v[8:9]
	v_mov_b32_e32 v2, s19
	v_add_co_u32_e32 v10, vcc, s18, v0
	v_addc_co_u32_e32 v11, vcc, v2, v1, vcc
	v_mov_b32_e32 v2, s1
	v_add_co_u32_e32 v12, vcc, s0, v0
	v_addc_co_u32_e32 v13, vcc, v2, v1, vcc
	v_cmp_lt_i32_e64 s[6:7], 0, v16
	v_cmp_gt_i32_e32 vcc, s14, v14
	s_and_b64 s[2:3], s[6:7], vcc
	v_mov_b32_e32 v0, 0
	v_mov_b32_e32 v2, 0
	v_mov_b32_e32 v17, 0
	s_and_saveexec_b64 s[0:1], s[2:3]
	s_cbranch_execz .LBB609_2
; %bb.1:
	global_load_dword v2, v[10:11], off
	global_load_dword v17, v[12:13], off
.LBB609_2:
	s_or_b64 exec, exec, s[0:1]
	v_or_b32_e32 v1, 32, v14
	v_cmp_gt_i32_e64 s[0:1], s14, v1
	s_and_b64 s[4:5], s[6:7], s[0:1]
	v_mov_b32_e32 v18, 0
	s_and_saveexec_b64 s[2:3], s[4:5]
	s_cbranch_execz .LBB609_4
; %bb.3:
	global_load_dword v0, v[10:11], off offset:128
	global_load_dword v18, v[12:13], off offset:128
.LBB609_4:
	s_or_b64 exec, exec, s[2:3]
	v_or_b32_e32 v1, 64, v14
	v_cmp_gt_i32_e64 s[2:3], s14, v1
	s_and_b64 s[8:9], s[6:7], s[2:3]
	v_mov_b32_e32 v4, 0
	v_mov_b32_e32 v6, 0
	v_mov_b32_e32 v19, 0
	s_and_saveexec_b64 s[4:5], s[8:9]
	s_cbranch_execz .LBB609_6
; %bb.5:
	global_load_dword v6, v[10:11], off offset:256
	global_load_dword v19, v[12:13], off offset:256
.LBB609_6:
	s_or_b64 exec, exec, s[4:5]
	v_or_b32_e32 v1, 0x60, v14
	v_cmp_gt_i32_e64 s[4:5], s14, v1
	s_and_b64 s[10:11], s[6:7], s[4:5]
	v_mov_b32_e32 v20, 0
	s_and_saveexec_b64 s[8:9], s[10:11]
	s_cbranch_execz .LBB609_8
; %bb.7:
	global_load_dword v4, v[10:11], off offset:384
	global_load_dword v20, v[12:13], off offset:384
.LBB609_8:
	s_or_b64 exec, exec, s[8:9]
	v_cmp_lt_i32_e64 s[8:9], 1, v16
	s_and_b64 s[10:11], s[8:9], vcc
	s_mov_b32 s15, 0
	v_mov_b32_e32 v1, 0
	v_mov_b32_e32 v3, 0
	;; [unrolled: 1-line block ×3, first 2 shown]
	s_and_saveexec_b64 s[12:13], s[10:11]
	s_cbranch_execz .LBB609_10
; %bb.9:
	s_lshl_b64 s[18:19], s[14:15], 2
	v_mov_b32_e32 v5, s19
	v_add_co_u32_e64 v14, s[10:11], s18, v10
	v_addc_co_u32_e64 v15, s[10:11], v11, v5, s[10:11]
	global_load_dword v3, v[14:15], off
	v_add_co_u32_e64 v14, s[10:11], s18, v12
	v_addc_co_u32_e64 v15, s[10:11], v13, v5, s[10:11]
	global_load_dword v21, v[14:15], off
.LBB609_10:
	s_or_b64 exec, exec, s[12:13]
	s_and_b64 s[10:11], s[8:9], s[0:1]
	v_mov_b32_e32 v22, 0
	s_and_saveexec_b64 s[12:13], s[10:11]
	s_cbranch_execz .LBB609_12
; %bb.11:
	s_lshl_b64 s[18:19], s[14:15], 2
	v_mov_b32_e32 v5, s19
	v_add_co_u32_e64 v14, s[10:11], s18, v10
	v_addc_co_u32_e64 v15, s[10:11], v11, v5, s[10:11]
	global_load_dword v1, v[14:15], off offset:128
	v_add_co_u32_e64 v14, s[10:11], s18, v12
	v_addc_co_u32_e64 v15, s[10:11], v13, v5, s[10:11]
	global_load_dword v22, v[14:15], off offset:128
.LBB609_12:
	s_or_b64 exec, exec, s[12:13]
	s_and_b64 s[10:11], s[8:9], s[2:3]
	v_mov_b32_e32 v5, 0
	v_mov_b32_e32 v7, 0
	;; [unrolled: 1-line block ×3, first 2 shown]
	s_and_saveexec_b64 s[12:13], s[10:11]
	s_cbranch_execz .LBB609_14
; %bb.13:
	s_lshl_b64 s[18:19], s[14:15], 2
	v_mov_b32_e32 v23, s19
	v_add_co_u32_e64 v14, s[10:11], s18, v10
	v_addc_co_u32_e64 v15, s[10:11], v11, v23, s[10:11]
	global_load_dword v7, v[14:15], off offset:256
	v_add_co_u32_e64 v14, s[10:11], s18, v12
	v_addc_co_u32_e64 v15, s[10:11], v13, v23, s[10:11]
	global_load_dword v23, v[14:15], off offset:256
.LBB609_14:
	s_or_b64 exec, exec, s[12:13]
	s_and_b64 s[8:9], s[8:9], s[4:5]
	v_mov_b32_e32 v24, 0
	s_and_saveexec_b64 s[10:11], s[8:9]
	s_cbranch_execz .LBB609_16
; %bb.15:
	s_lshl_b64 s[12:13], s[14:15], 2
	v_mov_b32_e32 v14, s13
	v_add_co_u32_e64 v10, s[8:9], s12, v10
	v_addc_co_u32_e64 v11, s[8:9], v11, v14, s[8:9]
	global_load_dword v5, v[10:11], off offset:384
	v_add_co_u32_e64 v10, s[8:9], s12, v12
	v_addc_co_u32_e64 v11, s[8:9], v13, v14, s[8:9]
	global_load_dword v24, v[10:11], off offset:384
.LBB609_16:
	s_or_b64 exec, exec, s[10:11]
	v_mbcnt_lo_u32_b32 v12, -1, 0
	v_mbcnt_hi_u32_b32 v14, -1, v12
	v_and_b32_e32 v12, 0x60, v14
	s_waitcnt vmcnt(1)
	v_pk_add_f32 v[10:11], v[2:3], 0 op_sel_hi:[1,0]
	v_add_u32_e32 v15, 32, v12
	v_xor_b32_e32 v12, 16, v14
	v_cmp_lt_i32_e64 s[8:9], v12, v15
	v_pk_add_f32 v[10:11], v[10:11], v[0:1]
	v_cndmask_b32_e64 v12, v14, v12, s[8:9]
	v_pk_add_f32 v[10:11], v[10:11], v[6:7]
	v_lshlrev_b32_e32 v13, 2, v12
	v_pk_add_f32 v[10:11], v[10:11], v[4:5]
	ds_bpermute_b32 v12, v13, v10
	ds_bpermute_b32 v13, v13, v11
	v_xor_b32_e32 v25, 8, v14
	v_cmp_lt_i32_e64 s[8:9], v25, v15
	v_cndmask_b32_e64 v25, v14, v25, s[8:9]
	v_lshlrev_b32_e32 v25, 2, v25
	s_waitcnt lgkmcnt(0)
	v_pk_add_f32 v[10:11], v[10:11], v[12:13]
	ds_bpermute_b32 v12, v25, v10
	ds_bpermute_b32 v13, v25, v11
	v_xor_b32_e32 v25, 4, v14
	v_cmp_lt_i32_e64 s[8:9], v25, v15
	v_cndmask_b32_e64 v25, v14, v25, s[8:9]
	v_lshlrev_b32_e32 v25, 2, v25
	s_waitcnt lgkmcnt(0)
	;; [unrolled: 8-line block ×4, first 2 shown]
	v_pk_add_f32 v[12:13], v[10:11], v[12:13]
	ds_bpermute_b32 v14, v15, v12
	ds_bpermute_b32 v15, v15, v13
	s_and_saveexec_b64 s[8:9], s[6:7]
	s_cbranch_execz .LBB609_22
; %bb.17:
	v_lshlrev_b64 v[8:9], 1, v[8:9]
	v_mov_b32_e32 v11, s17
	v_add_co_u32_e64 v10, s[6:7], s16, v8
	v_addc_co_u32_e64 v11, s[6:7], v11, v9, s[6:7]
	s_waitcnt lgkmcnt(0)
	v_pk_add_f32 v[8:9], v[12:13], v[14:15]
	s_and_saveexec_b64 s[6:7], vcc
	s_cbranch_execnz .LBB609_23
; %bb.18:
	s_or_b64 exec, exec, s[6:7]
	s_and_saveexec_b64 s[6:7], s[0:1]
	s_cbranch_execnz .LBB609_24
.LBB609_19:
	s_or_b64 exec, exec, s[6:7]
	s_and_saveexec_b64 s[6:7], s[2:3]
	s_cbranch_execnz .LBB609_25
.LBB609_20:
	s_or_b64 exec, exec, s[6:7]
	s_and_saveexec_b64 s[6:7], s[4:5]
	s_cbranch_execnz .LBB609_26
.LBB609_21:
	s_or_b64 exec, exec, s[6:7]
	v_cmp_ne_u32_e64 s[6:7], 1, v16
	s_and_b64 exec, exec, s[6:7]
	s_cbranch_execnz .LBB609_27
.LBB609_22:
	s_endpgm
.LBB609_23:
	s_waitcnt vmcnt(0)
	v_fma_mixlo_f16 v2, -v8, v17, v2
	global_store_short v[10:11], v2, off
	s_or_b64 exec, exec, s[6:7]
	s_and_saveexec_b64 s[6:7], s[0:1]
	s_cbranch_execz .LBB609_19
.LBB609_24:
	s_waitcnt vmcnt(0)
	v_fma_mixlo_f16 v0, -v8, v18, v0
	global_store_short v[10:11], v0, off offset:64
	s_or_b64 exec, exec, s[6:7]
	s_and_saveexec_b64 s[6:7], s[2:3]
	s_cbranch_execz .LBB609_20
.LBB609_25:
	s_waitcnt vmcnt(0)
	v_fma_mixlo_f16 v0, -v8, v19, v6
	global_store_short v[10:11], v0, off offset:128
	s_or_b64 exec, exec, s[6:7]
	s_and_saveexec_b64 s[6:7], s[4:5]
	s_cbranch_execz .LBB609_21
.LBB609_26:
	s_waitcnt vmcnt(0)
	v_fma_mixlo_f16 v0, -v8, v20, v4
	global_store_short v[10:11], v0, off offset:192
	s_or_b64 exec, exec, s[6:7]
	v_cmp_ne_u32_e64 s[6:7], 1, v16
	s_and_b64 exec, exec, s[6:7]
	s_cbranch_execz .LBB609_22
.LBB609_27:
	s_ashr_i32 s15, s14, 31
	s_lshl_b64 s[6:7], s[14:15], 1
	v_mov_b32_e32 v0, s7
	v_add_co_u32_e64 v10, s[6:7], s6, v10
	v_addc_co_u32_e64 v11, s[6:7], v11, v0, s[6:7]
	s_and_saveexec_b64 s[6:7], vcc
	s_cbranch_execnz .LBB609_31
; %bb.28:
	s_or_b64 exec, exec, s[6:7]
	s_and_saveexec_b64 s[6:7], s[0:1]
	s_cbranch_execnz .LBB609_32
.LBB609_29:
	s_or_b64 exec, exec, s[6:7]
	s_and_saveexec_b64 s[0:1], s[2:3]
	s_cbranch_execnz .LBB609_33
.LBB609_30:
	s_or_b64 exec, exec, s[0:1]
	s_and_b64 exec, exec, s[4:5]
	s_cbranch_execz .LBB609_22
	s_branch .LBB609_34
.LBB609_31:
	s_waitcnt vmcnt(0)
	v_fma_mixlo_f16 v0, -v9, v21, v3
	global_store_short v[10:11], v0, off
	s_or_b64 exec, exec, s[6:7]
	s_and_saveexec_b64 s[6:7], s[0:1]
	s_cbranch_execz .LBB609_29
.LBB609_32:
	s_waitcnt vmcnt(0)
	v_fma_mixlo_f16 v0, -v9, v22, v1
	global_store_short v[10:11], v0, off offset:64
	s_or_b64 exec, exec, s[6:7]
	s_and_saveexec_b64 s[0:1], s[2:3]
	s_cbranch_execz .LBB609_30
.LBB609_33:
	s_waitcnt vmcnt(0)
	v_fma_mixlo_f16 v0, -v9, v23, v7
	global_store_short v[10:11], v0, off offset:128
	s_or_b64 exec, exec, s[0:1]
	s_and_b64 exec, exec, s[4:5]
	s_cbranch_execz .LBB609_22
.LBB609_34:
	s_waitcnt vmcnt(0)
	v_fma_mixlo_f16 v0, -v9, v24, v5
	global_store_short v[10:11], v0, off offset:192
	s_endpgm
	.section	.rodata,"a",@progbits
	.p2align	6, 0x0
	.amdhsa_kernel _ZN12_GLOBAL__N_121softmax_warp_backwardIfN3c104HalfEfLi7ELb0ELb0ELi32EEEvPT0_PKT_S7_iiiPKb
		.amdhsa_group_segment_fixed_size 0
		.amdhsa_private_segment_fixed_size 0
		.amdhsa_kernarg_size 304
		.amdhsa_user_sgpr_count 6
		.amdhsa_user_sgpr_private_segment_buffer 1
		.amdhsa_user_sgpr_dispatch_ptr 0
		.amdhsa_user_sgpr_queue_ptr 0
		.amdhsa_user_sgpr_kernarg_segment_ptr 1
		.amdhsa_user_sgpr_dispatch_id 0
		.amdhsa_user_sgpr_flat_scratch_init 0
		.amdhsa_user_sgpr_kernarg_preload_length 0
		.amdhsa_user_sgpr_kernarg_preload_offset 0
		.amdhsa_user_sgpr_private_segment_size 0
		.amdhsa_uses_dynamic_stack 0
		.amdhsa_system_sgpr_private_segment_wavefront_offset 0
		.amdhsa_system_sgpr_workgroup_id_x 1
		.amdhsa_system_sgpr_workgroup_id_y 0
		.amdhsa_system_sgpr_workgroup_id_z 0
		.amdhsa_system_sgpr_workgroup_info 0
		.amdhsa_system_vgpr_workitem_id 1
		.amdhsa_next_free_vgpr 26
		.amdhsa_next_free_sgpr 20
		.amdhsa_accum_offset 28
		.amdhsa_reserve_vcc 1
		.amdhsa_reserve_flat_scratch 0
		.amdhsa_float_round_mode_32 0
		.amdhsa_float_round_mode_16_64 0
		.amdhsa_float_denorm_mode_32 3
		.amdhsa_float_denorm_mode_16_64 3
		.amdhsa_dx10_clamp 1
		.amdhsa_ieee_mode 1
		.amdhsa_fp16_overflow 0
		.amdhsa_tg_split 0
		.amdhsa_exception_fp_ieee_invalid_op 0
		.amdhsa_exception_fp_denorm_src 0
		.amdhsa_exception_fp_ieee_div_zero 0
		.amdhsa_exception_fp_ieee_overflow 0
		.amdhsa_exception_fp_ieee_underflow 0
		.amdhsa_exception_fp_ieee_inexact 0
		.amdhsa_exception_int_div_zero 0
	.end_amdhsa_kernel
	.section	.text._ZN12_GLOBAL__N_121softmax_warp_backwardIfN3c104HalfEfLi7ELb0ELb0ELi32EEEvPT0_PKT_S7_iiiPKb,"axG",@progbits,_ZN12_GLOBAL__N_121softmax_warp_backwardIfN3c104HalfEfLi7ELb0ELb0ELi32EEEvPT0_PKT_S7_iiiPKb,comdat
.Lfunc_end609:
	.size	_ZN12_GLOBAL__N_121softmax_warp_backwardIfN3c104HalfEfLi7ELb0ELb0ELi32EEEvPT0_PKT_S7_iiiPKb, .Lfunc_end609-_ZN12_GLOBAL__N_121softmax_warp_backwardIfN3c104HalfEfLi7ELb0ELb0ELi32EEEvPT0_PKT_S7_iiiPKb
                                        ; -- End function
	.section	.AMDGPU.csdata,"",@progbits
; Kernel info:
; codeLenInByte = 1416
; NumSgprs: 24
; NumVgprs: 26
; NumAgprs: 0
; TotalNumVgprs: 26
; ScratchSize: 0
; MemoryBound: 0
; FloatMode: 240
; IeeeMode: 1
; LDSByteSize: 0 bytes/workgroup (compile time only)
; SGPRBlocks: 2
; VGPRBlocks: 3
; NumSGPRsForWavesPerEU: 24
; NumVGPRsForWavesPerEU: 26
; AccumOffset: 28
; Occupancy: 8
; WaveLimiterHint : 0
; COMPUTE_PGM_RSRC2:SCRATCH_EN: 0
; COMPUTE_PGM_RSRC2:USER_SGPR: 6
; COMPUTE_PGM_RSRC2:TRAP_HANDLER: 0
; COMPUTE_PGM_RSRC2:TGID_X_EN: 1
; COMPUTE_PGM_RSRC2:TGID_Y_EN: 0
; COMPUTE_PGM_RSRC2:TGID_Z_EN: 0
; COMPUTE_PGM_RSRC2:TIDIG_COMP_CNT: 1
; COMPUTE_PGM_RSRC3_GFX90A:ACCUM_OFFSET: 6
; COMPUTE_PGM_RSRC3_GFX90A:TG_SPLIT: 0
	.section	.text._ZN12_GLOBAL__N_121softmax_warp_backwardIfN3c104HalfEfLi8ELb0ELb0ELi64EEEvPT0_PKT_S7_iiiPKb,"axG",@progbits,_ZN12_GLOBAL__N_121softmax_warp_backwardIfN3c104HalfEfLi8ELb0ELb0ELi64EEEvPT0_PKT_S7_iiiPKb,comdat
	.globl	_ZN12_GLOBAL__N_121softmax_warp_backwardIfN3c104HalfEfLi8ELb0ELb0ELi64EEEvPT0_PKT_S7_iiiPKb ; -- Begin function _ZN12_GLOBAL__N_121softmax_warp_backwardIfN3c104HalfEfLi8ELb0ELb0ELi64EEEvPT0_PKT_S7_iiiPKb
	.p2align	8
	.type	_ZN12_GLOBAL__N_121softmax_warp_backwardIfN3c104HalfEfLi8ELb0ELb0ELi64EEEvPT0_PKT_S7_iiiPKb,@function
_ZN12_GLOBAL__N_121softmax_warp_backwardIfN3c104HalfEfLi8ELb0ELb0ELi64EEEvPT0_PKT_S7_iiiPKb: ; @_ZN12_GLOBAL__N_121softmax_warp_backwardIfN3c104HalfEfLi8ELb0ELb0ELi64EEEvPT0_PKT_S7_iiiPKb
; %bb.0:
	s_load_dword s2, s[4:5], 0x3c
	s_load_dwordx4 s[12:15], s[4:5], 0x18
	s_load_dwordx4 s[8:11], s[4:5], 0x0
	s_load_dwordx2 s[0:1], s[4:5], 0x10
	v_bfe_u32 v1, v0, 10, 10
	s_waitcnt lgkmcnt(0)
	s_lshr_b32 s2, s2, 16
	s_mul_i32 s6, s6, s2
	v_add_u32_e32 v1, s6, v1
	v_and_b32_e32 v4, 63, v0
	v_sub_u32_e32 v8, s12, v1
	v_mad_u64_u32 v[0:1], s[2:3], v1, s13, v[4:5]
	v_ashrrev_i32_e32 v1, 31, v0
	v_lshlrev_b64 v[6:7], 2, v[0:1]
	v_mov_b32_e32 v3, s11
	v_add_co_u32_e32 v2, vcc, s10, v6
	v_addc_co_u32_e32 v3, vcc, v3, v7, vcc
	v_mov_b32_e32 v5, s1
	v_add_co_u32_e32 v6, vcc, s0, v6
	v_addc_co_u32_e32 v7, vcc, v5, v7, vcc
	v_cmp_lt_i32_e64 s[6:7], 0, v8
	v_cmp_gt_i32_e32 vcc, s14, v4
	s_and_b64 s[2:3], s[6:7], vcc
	v_mov_b32_e32 v5, 0
	v_mov_b32_e32 v9, 0
	;; [unrolled: 1-line block ×3, first 2 shown]
	s_and_saveexec_b64 s[0:1], s[2:3]
	s_cbranch_execz .LBB610_2
; %bb.1:
	global_load_dword v9, v[2:3], off
	global_load_dword v10, v[6:7], off
.LBB610_2:
	s_or_b64 exec, exec, s[0:1]
	v_or_b32_e32 v11, 64, v4
	v_cmp_gt_i32_e64 s[0:1], s14, v11
	s_and_b64 s[4:5], s[6:7], s[0:1]
	v_mov_b32_e32 v12, 0
	s_and_saveexec_b64 s[2:3], s[4:5]
	s_cbranch_execz .LBB610_4
; %bb.3:
	global_load_dword v5, v[2:3], off offset:256
	global_load_dword v12, v[6:7], off offset:256
.LBB610_4:
	s_or_b64 exec, exec, s[2:3]
	v_or_b32_e32 v11, 0x80, v4
	v_cmp_gt_i32_e64 s[2:3], s14, v11
	s_and_b64 s[10:11], s[6:7], s[2:3]
	v_mov_b32_e32 v11, 0
	v_mov_b32_e32 v13, 0
	;; [unrolled: 1-line block ×3, first 2 shown]
	s_and_saveexec_b64 s[4:5], s[10:11]
	s_cbranch_execz .LBB610_6
; %bb.5:
	global_load_dword v13, v[2:3], off offset:512
	global_load_dword v14, v[6:7], off offset:512
.LBB610_6:
	s_or_b64 exec, exec, s[4:5]
	v_or_b32_e32 v4, 0xc0, v4
	v_cmp_gt_i32_e64 s[4:5], s14, v4
	s_and_b64 s[10:11], s[6:7], s[4:5]
	v_mov_b32_e32 v4, 0
	s_and_saveexec_b64 s[6:7], s[10:11]
	s_cbranch_execz .LBB610_8
; %bb.7:
	global_load_dword v11, v[2:3], off offset:768
	global_load_dword v4, v[6:7], off offset:768
.LBB610_8:
	s_or_b64 exec, exec, s[6:7]
	v_mbcnt_lo_u32_b32 v3, -1, 0
	v_mbcnt_hi_u32_b32 v3, -1, v3
	v_and_b32_e32 v6, 64, v3
	s_waitcnt vmcnt(1)
	v_add_f32_e32 v2, 0, v9
	v_add_u32_e32 v6, 64, v6
	v_xor_b32_e32 v7, 32, v3
	v_add_f32_e32 v2, v2, v5
	v_cmp_lt_i32_e64 s[6:7], v7, v6
	v_add_f32_e32 v2, v2, v13
	v_cndmask_b32_e64 v7, v3, v7, s[6:7]
	v_add_f32_e32 v2, v2, v11
	v_lshlrev_b32_e32 v7, 2, v7
	ds_bpermute_b32 v7, v7, v2
	s_waitcnt lgkmcnt(0)
	v_add_f32_e32 v2, v2, v7
	v_xor_b32_e32 v7, 16, v3
	v_cmp_lt_i32_e64 s[6:7], v7, v6
	v_cndmask_b32_e64 v7, v3, v7, s[6:7]
	v_lshlrev_b32_e32 v7, 2, v7
	ds_bpermute_b32 v7, v7, v2
	s_waitcnt lgkmcnt(0)
	v_add_f32_e32 v2, v2, v7
	v_xor_b32_e32 v7, 8, v3
	v_cmp_lt_i32_e64 s[6:7], v7, v6
	v_cndmask_b32_e64 v7, v3, v7, s[6:7]
	;; [unrolled: 7-line block ×5, first 2 shown]
	v_lshlrev_b32_e32 v3, 2, v3
	ds_bpermute_b32 v3, v3, v2
	v_cmp_lt_i32_e64 s[6:7], 0, v8
	s_and_saveexec_b64 s[10:11], s[6:7]
	s_cbranch_execz .LBB610_14
; %bb.9:
	v_lshlrev_b64 v[0:1], 1, v[0:1]
	v_mov_b32_e32 v6, s9
	v_add_co_u32_e64 v0, s[6:7], s8, v0
	v_addc_co_u32_e64 v1, s[6:7], v6, v1, s[6:7]
	s_waitcnt lgkmcnt(0)
	v_add_f32_e32 v2, v2, v3
	s_and_saveexec_b64 s[6:7], vcc
	s_cbranch_execnz .LBB610_15
; %bb.10:
	s_or_b64 exec, exec, s[6:7]
	s_and_saveexec_b64 s[6:7], s[0:1]
	s_cbranch_execnz .LBB610_16
.LBB610_11:
	s_or_b64 exec, exec, s[6:7]
	s_and_saveexec_b64 s[0:1], s[2:3]
	s_cbranch_execnz .LBB610_17
.LBB610_12:
	s_or_b64 exec, exec, s[0:1]
	s_and_b64 exec, exec, s[4:5]
	s_cbranch_execz .LBB610_14
.LBB610_13:
	s_waitcnt vmcnt(0)
	v_fma_mixlo_f16 v2, -v2, v4, v11
	global_store_short v[0:1], v2, off offset:384
.LBB610_14:
	s_endpgm
.LBB610_15:
	s_waitcnt vmcnt(0)
	v_fma_mixlo_f16 v3, -v2, v10, v9
	global_store_short v[0:1], v3, off
	s_or_b64 exec, exec, s[6:7]
	s_and_saveexec_b64 s[6:7], s[0:1]
	s_cbranch_execz .LBB610_11
.LBB610_16:
	s_waitcnt vmcnt(0)
	v_fma_mixlo_f16 v3, -v2, v12, v5
	global_store_short v[0:1], v3, off offset:128
	s_or_b64 exec, exec, s[6:7]
	s_and_saveexec_b64 s[0:1], s[2:3]
	s_cbranch_execz .LBB610_12
.LBB610_17:
	s_waitcnt vmcnt(0)
	v_fma_mixlo_f16 v3, -v2, v14, v13
	global_store_short v[0:1], v3, off offset:256
	s_or_b64 exec, exec, s[0:1]
	s_and_b64 exec, exec, s[4:5]
	s_cbranch_execnz .LBB610_13
	s_branch .LBB610_14
	.section	.rodata,"a",@progbits
	.p2align	6, 0x0
	.amdhsa_kernel _ZN12_GLOBAL__N_121softmax_warp_backwardIfN3c104HalfEfLi8ELb0ELb0ELi64EEEvPT0_PKT_S7_iiiPKb
		.amdhsa_group_segment_fixed_size 0
		.amdhsa_private_segment_fixed_size 0
		.amdhsa_kernarg_size 304
		.amdhsa_user_sgpr_count 6
		.amdhsa_user_sgpr_private_segment_buffer 1
		.amdhsa_user_sgpr_dispatch_ptr 0
		.amdhsa_user_sgpr_queue_ptr 0
		.amdhsa_user_sgpr_kernarg_segment_ptr 1
		.amdhsa_user_sgpr_dispatch_id 0
		.amdhsa_user_sgpr_flat_scratch_init 0
		.amdhsa_user_sgpr_kernarg_preload_length 0
		.amdhsa_user_sgpr_kernarg_preload_offset 0
		.amdhsa_user_sgpr_private_segment_size 0
		.amdhsa_uses_dynamic_stack 0
		.amdhsa_system_sgpr_private_segment_wavefront_offset 0
		.amdhsa_system_sgpr_workgroup_id_x 1
		.amdhsa_system_sgpr_workgroup_id_y 0
		.amdhsa_system_sgpr_workgroup_id_z 0
		.amdhsa_system_sgpr_workgroup_info 0
		.amdhsa_system_vgpr_workitem_id 1
		.amdhsa_next_free_vgpr 15
		.amdhsa_next_free_sgpr 16
		.amdhsa_accum_offset 16
		.amdhsa_reserve_vcc 1
		.amdhsa_reserve_flat_scratch 0
		.amdhsa_float_round_mode_32 0
		.amdhsa_float_round_mode_16_64 0
		.amdhsa_float_denorm_mode_32 3
		.amdhsa_float_denorm_mode_16_64 3
		.amdhsa_dx10_clamp 1
		.amdhsa_ieee_mode 1
		.amdhsa_fp16_overflow 0
		.amdhsa_tg_split 0
		.amdhsa_exception_fp_ieee_invalid_op 0
		.amdhsa_exception_fp_denorm_src 0
		.amdhsa_exception_fp_ieee_div_zero 0
		.amdhsa_exception_fp_ieee_overflow 0
		.amdhsa_exception_fp_ieee_underflow 0
		.amdhsa_exception_fp_ieee_inexact 0
		.amdhsa_exception_int_div_zero 0
	.end_amdhsa_kernel
	.section	.text._ZN12_GLOBAL__N_121softmax_warp_backwardIfN3c104HalfEfLi8ELb0ELb0ELi64EEEvPT0_PKT_S7_iiiPKb,"axG",@progbits,_ZN12_GLOBAL__N_121softmax_warp_backwardIfN3c104HalfEfLi8ELb0ELb0ELi64EEEvPT0_PKT_S7_iiiPKb,comdat
.Lfunc_end610:
	.size	_ZN12_GLOBAL__N_121softmax_warp_backwardIfN3c104HalfEfLi8ELb0ELb0ELi64EEEvPT0_PKT_S7_iiiPKb, .Lfunc_end610-_ZN12_GLOBAL__N_121softmax_warp_backwardIfN3c104HalfEfLi8ELb0ELb0ELi64EEEvPT0_PKT_S7_iiiPKb
                                        ; -- End function
	.section	.AMDGPU.csdata,"",@progbits
; Kernel info:
; codeLenInByte = 820
; NumSgprs: 20
; NumVgprs: 15
; NumAgprs: 0
; TotalNumVgprs: 15
; ScratchSize: 0
; MemoryBound: 0
; FloatMode: 240
; IeeeMode: 1
; LDSByteSize: 0 bytes/workgroup (compile time only)
; SGPRBlocks: 2
; VGPRBlocks: 1
; NumSGPRsForWavesPerEU: 20
; NumVGPRsForWavesPerEU: 15
; AccumOffset: 16
; Occupancy: 8
; WaveLimiterHint : 0
; COMPUTE_PGM_RSRC2:SCRATCH_EN: 0
; COMPUTE_PGM_RSRC2:USER_SGPR: 6
; COMPUTE_PGM_RSRC2:TRAP_HANDLER: 0
; COMPUTE_PGM_RSRC2:TGID_X_EN: 1
; COMPUTE_PGM_RSRC2:TGID_Y_EN: 0
; COMPUTE_PGM_RSRC2:TGID_Z_EN: 0
; COMPUTE_PGM_RSRC2:TIDIG_COMP_CNT: 1
; COMPUTE_PGM_RSRC3_GFX90A:ACCUM_OFFSET: 3
; COMPUTE_PGM_RSRC3_GFX90A:TG_SPLIT: 0
	.section	.text._ZN12_GLOBAL__N_121softmax_warp_backwardIfN3c104HalfEfLi8ELb0ELb0ELi32EEEvPT0_PKT_S7_iiiPKb,"axG",@progbits,_ZN12_GLOBAL__N_121softmax_warp_backwardIfN3c104HalfEfLi8ELb0ELb0ELi32EEEvPT0_PKT_S7_iiiPKb,comdat
	.globl	_ZN12_GLOBAL__N_121softmax_warp_backwardIfN3c104HalfEfLi8ELb0ELb0ELi32EEEvPT0_PKT_S7_iiiPKb ; -- Begin function _ZN12_GLOBAL__N_121softmax_warp_backwardIfN3c104HalfEfLi8ELb0ELb0ELi32EEEvPT0_PKT_S7_iiiPKb
	.p2align	8
	.type	_ZN12_GLOBAL__N_121softmax_warp_backwardIfN3c104HalfEfLi8ELb0ELb0ELi32EEEvPT0_PKT_S7_iiiPKb,@function
_ZN12_GLOBAL__N_121softmax_warp_backwardIfN3c104HalfEfLi8ELb0ELb0ELi32EEEvPT0_PKT_S7_iiiPKb: ; @_ZN12_GLOBAL__N_121softmax_warp_backwardIfN3c104HalfEfLi8ELb0ELb0ELi32EEEvPT0_PKT_S7_iiiPKb
; %bb.0:
	s_load_dword s2, s[4:5], 0x3c
	s_load_dwordx4 s[20:23], s[4:5], 0x18
	s_load_dwordx4 s[16:19], s[4:5], 0x0
	s_load_dwordx2 s[0:1], s[4:5], 0x10
	v_bfe_u32 v1, v0, 10, 10
	s_waitcnt lgkmcnt(0)
	s_lshr_b32 s2, s2, 16
	s_mul_i32 s6, s6, s2
	v_add_u32_e32 v1, s6, v1
	v_and_b32_e32 v4, 31, v0
	v_sub_u32_e32 v8, s20, v1
	v_mad_u64_u32 v[0:1], s[2:3], v1, s21, v[4:5]
	v_ashrrev_i32_e32 v1, 31, v0
	v_lshlrev_b64 v[6:7], 2, v[0:1]
	v_mov_b32_e32 v3, s19
	v_add_co_u32_e32 v2, vcc, s18, v6
	v_addc_co_u32_e32 v3, vcc, v3, v7, vcc
	v_mov_b32_e32 v5, s1
	v_add_co_u32_e32 v6, vcc, s0, v6
	v_addc_co_u32_e32 v7, vcc, v5, v7, vcc
	v_cmp_lt_i32_e64 s[14:15], 0, v8
	v_cmp_gt_i32_e32 vcc, s22, v4
	s_and_b64 s[2:3], s[14:15], vcc
	v_mov_b32_e32 v5, 0
	v_mov_b32_e32 v9, 0
	;; [unrolled: 1-line block ×3, first 2 shown]
	s_and_saveexec_b64 s[0:1], s[2:3]
	s_cbranch_execz .LBB611_2
; %bb.1:
	global_load_dword v9, v[2:3], off
	global_load_dword v10, v[6:7], off
.LBB611_2:
	s_or_b64 exec, exec, s[0:1]
	v_or_b32_e32 v11, 32, v4
	v_cmp_gt_i32_e64 s[0:1], s22, v11
	s_and_b64 s[4:5], s[14:15], s[0:1]
	v_mov_b32_e32 v12, 0
	s_and_saveexec_b64 s[2:3], s[4:5]
	s_cbranch_execz .LBB611_4
; %bb.3:
	global_load_dword v5, v[2:3], off offset:128
	global_load_dword v12, v[6:7], off offset:128
.LBB611_4:
	s_or_b64 exec, exec, s[2:3]
	v_or_b32_e32 v11, 64, v4
	v_cmp_gt_i32_e64 s[2:3], s22, v11
	s_and_b64 s[6:7], s[14:15], s[2:3]
	v_mov_b32_e32 v11, 0
	v_mov_b32_e32 v13, 0
	v_mov_b32_e32 v14, 0
	s_and_saveexec_b64 s[4:5], s[6:7]
	s_cbranch_execz .LBB611_6
; %bb.5:
	global_load_dword v13, v[2:3], off offset:256
	global_load_dword v14, v[6:7], off offset:256
.LBB611_6:
	s_or_b64 exec, exec, s[4:5]
	v_or_b32_e32 v15, 0x60, v4
	v_cmp_gt_i32_e64 s[4:5], s22, v15
	s_and_b64 s[8:9], s[14:15], s[4:5]
	v_mov_b32_e32 v16, 0
	s_and_saveexec_b64 s[6:7], s[8:9]
	s_cbranch_execz .LBB611_8
; %bb.7:
	global_load_dword v11, v[2:3], off offset:384
	global_load_dword v16, v[6:7], off offset:384
.LBB611_8:
	s_or_b64 exec, exec, s[6:7]
	v_or_b32_e32 v15, 0x80, v4
	v_cmp_gt_i32_e64 s[6:7], s22, v15
	s_and_b64 s[10:11], s[14:15], s[6:7]
	v_mov_b32_e32 v15, 0
	v_mov_b32_e32 v17, 0
	v_mov_b32_e32 v18, 0
	s_and_saveexec_b64 s[8:9], s[10:11]
	s_cbranch_execz .LBB611_10
; %bb.9:
	global_load_dword v17, v[2:3], off offset:512
	global_load_dword v18, v[6:7], off offset:512
.LBB611_10:
	;; [unrolled: 24-line block ×3, first 2 shown]
	s_or_b64 exec, exec, s[12:13]
	v_or_b32_e32 v4, 0xe0, v4
	v_cmp_gt_i32_e64 s[12:13], s22, v4
	s_and_b64 s[18:19], s[14:15], s[12:13]
	v_mov_b32_e32 v4, 0
	s_and_saveexec_b64 s[14:15], s[18:19]
	s_cbranch_execz .LBB611_16
; %bb.15:
	global_load_dword v19, v[2:3], off offset:896
	global_load_dword v4, v[6:7], off offset:896
.LBB611_16:
	s_or_b64 exec, exec, s[14:15]
	s_waitcnt vmcnt(1)
	v_add_f32_e32 v2, 0, v9
	v_add_f32_e32 v2, v2, v5
	v_mbcnt_lo_u32_b32 v3, -1, 0
	v_add_f32_e32 v2, v2, v13
	v_mbcnt_hi_u32_b32 v3, -1, v3
	v_add_f32_e32 v2, v2, v11
	v_and_b32_e32 v6, 0x60, v3
	v_add_f32_e32 v2, v2, v17
	v_add_u32_e32 v6, 32, v6
	v_xor_b32_e32 v7, 16, v3
	v_add_f32_e32 v2, v2, v15
	v_cmp_lt_i32_e64 s[14:15], v7, v6
	v_add_f32_e32 v2, v2, v21
	v_cndmask_b32_e64 v7, v3, v7, s[14:15]
	v_add_f32_e32 v2, v2, v19
	v_lshlrev_b32_e32 v7, 2, v7
	ds_bpermute_b32 v7, v7, v2
	s_waitcnt lgkmcnt(0)
	v_add_f32_e32 v2, v2, v7
	v_xor_b32_e32 v7, 8, v3
	v_cmp_lt_i32_e64 s[14:15], v7, v6
	v_cndmask_b32_e64 v7, v3, v7, s[14:15]
	v_lshlrev_b32_e32 v7, 2, v7
	ds_bpermute_b32 v7, v7, v2
	s_waitcnt lgkmcnt(0)
	v_add_f32_e32 v2, v2, v7
	v_xor_b32_e32 v7, 4, v3
	v_cmp_lt_i32_e64 s[14:15], v7, v6
	v_cndmask_b32_e64 v7, v3, v7, s[14:15]
	;; [unrolled: 7-line block ×4, first 2 shown]
	v_lshlrev_b32_e32 v3, 2, v3
	ds_bpermute_b32 v3, v3, v2
	v_cmp_lt_i32_e64 s[14:15], 0, v8
	s_and_saveexec_b64 s[18:19], s[14:15]
	s_cbranch_execz .LBB611_26
; %bb.17:
	v_lshlrev_b64 v[0:1], 1, v[0:1]
	v_mov_b32_e32 v6, s17
	v_add_co_u32_e64 v0, s[14:15], s16, v0
	v_addc_co_u32_e64 v1, s[14:15], v6, v1, s[14:15]
	s_waitcnt lgkmcnt(0)
	v_add_f32_e32 v2, v2, v3
	s_and_saveexec_b64 s[14:15], vcc
	s_cbranch_execnz .LBB611_27
; %bb.18:
	s_or_b64 exec, exec, s[14:15]
	s_and_saveexec_b64 s[14:15], s[0:1]
	s_cbranch_execnz .LBB611_28
.LBB611_19:
	s_or_b64 exec, exec, s[14:15]
	s_and_saveexec_b64 s[0:1], s[2:3]
	s_cbranch_execnz .LBB611_29
.LBB611_20:
	s_or_b64 exec, exec, s[0:1]
	s_and_saveexec_b64 s[0:1], s[4:5]
	s_cbranch_execnz .LBB611_30
.LBB611_21:
	s_or_b64 exec, exec, s[0:1]
	s_and_saveexec_b64 s[0:1], s[6:7]
	s_cbranch_execnz .LBB611_31
.LBB611_22:
	s_or_b64 exec, exec, s[0:1]
	s_and_saveexec_b64 s[0:1], s[8:9]
	s_cbranch_execnz .LBB611_32
.LBB611_23:
	s_or_b64 exec, exec, s[0:1]
	s_and_saveexec_b64 s[0:1], s[10:11]
	s_cbranch_execnz .LBB611_33
.LBB611_24:
	s_or_b64 exec, exec, s[0:1]
	s_and_b64 exec, exec, s[12:13]
	s_cbranch_execz .LBB611_26
.LBB611_25:
	s_waitcnt vmcnt(0)
	v_fma_mixlo_f16 v2, -v2, v4, v19
	global_store_short v[0:1], v2, off offset:448
.LBB611_26:
	s_endpgm
.LBB611_27:
	s_waitcnt vmcnt(0)
	v_fma_mixlo_f16 v3, -v2, v10, v9
	global_store_short v[0:1], v3, off
	s_or_b64 exec, exec, s[14:15]
	s_and_saveexec_b64 s[14:15], s[0:1]
	s_cbranch_execz .LBB611_19
.LBB611_28:
	s_waitcnt vmcnt(0)
	v_fma_mixlo_f16 v3, -v2, v12, v5
	global_store_short v[0:1], v3, off offset:64
	s_or_b64 exec, exec, s[14:15]
	s_and_saveexec_b64 s[0:1], s[2:3]
	s_cbranch_execz .LBB611_20
.LBB611_29:
	s_waitcnt vmcnt(0)
	v_fma_mixlo_f16 v3, -v2, v14, v13
	global_store_short v[0:1], v3, off offset:128
	s_or_b64 exec, exec, s[0:1]
	s_and_saveexec_b64 s[0:1], s[4:5]
	s_cbranch_execz .LBB611_21
.LBB611_30:
	s_waitcnt vmcnt(0)
	v_fma_mixlo_f16 v3, -v2, v16, v11
	global_store_short v[0:1], v3, off offset:192
	s_or_b64 exec, exec, s[0:1]
	s_and_saveexec_b64 s[0:1], s[6:7]
	s_cbranch_execz .LBB611_22
.LBB611_31:
	s_waitcnt vmcnt(0)
	v_fma_mixlo_f16 v3, -v2, v18, v17
	global_store_short v[0:1], v3, off offset:256
	s_or_b64 exec, exec, s[0:1]
	s_and_saveexec_b64 s[0:1], s[8:9]
	s_cbranch_execz .LBB611_23
.LBB611_32:
	s_waitcnt vmcnt(0)
	v_fma_mixlo_f16 v3, -v2, v20, v15
	global_store_short v[0:1], v3, off offset:320
	s_or_b64 exec, exec, s[0:1]
	s_and_saveexec_b64 s[0:1], s[10:11]
	s_cbranch_execz .LBB611_24
.LBB611_33:
	s_waitcnt vmcnt(0)
	v_fma_mixlo_f16 v3, -v2, v22, v21
	global_store_short v[0:1], v3, off offset:384
	s_or_b64 exec, exec, s[0:1]
	s_and_b64 exec, exec, s[12:13]
	s_cbranch_execnz .LBB611_25
	s_branch .LBB611_26
	.section	.rodata,"a",@progbits
	.p2align	6, 0x0
	.amdhsa_kernel _ZN12_GLOBAL__N_121softmax_warp_backwardIfN3c104HalfEfLi8ELb0ELb0ELi32EEEvPT0_PKT_S7_iiiPKb
		.amdhsa_group_segment_fixed_size 0
		.amdhsa_private_segment_fixed_size 0
		.amdhsa_kernarg_size 304
		.amdhsa_user_sgpr_count 6
		.amdhsa_user_sgpr_private_segment_buffer 1
		.amdhsa_user_sgpr_dispatch_ptr 0
		.amdhsa_user_sgpr_queue_ptr 0
		.amdhsa_user_sgpr_kernarg_segment_ptr 1
		.amdhsa_user_sgpr_dispatch_id 0
		.amdhsa_user_sgpr_flat_scratch_init 0
		.amdhsa_user_sgpr_kernarg_preload_length 0
		.amdhsa_user_sgpr_kernarg_preload_offset 0
		.amdhsa_user_sgpr_private_segment_size 0
		.amdhsa_uses_dynamic_stack 0
		.amdhsa_system_sgpr_private_segment_wavefront_offset 0
		.amdhsa_system_sgpr_workgroup_id_x 1
		.amdhsa_system_sgpr_workgroup_id_y 0
		.amdhsa_system_sgpr_workgroup_id_z 0
		.amdhsa_system_sgpr_workgroup_info 0
		.amdhsa_system_vgpr_workitem_id 1
		.amdhsa_next_free_vgpr 23
		.amdhsa_next_free_sgpr 24
		.amdhsa_accum_offset 24
		.amdhsa_reserve_vcc 1
		.amdhsa_reserve_flat_scratch 0
		.amdhsa_float_round_mode_32 0
		.amdhsa_float_round_mode_16_64 0
		.amdhsa_float_denorm_mode_32 3
		.amdhsa_float_denorm_mode_16_64 3
		.amdhsa_dx10_clamp 1
		.amdhsa_ieee_mode 1
		.amdhsa_fp16_overflow 0
		.amdhsa_tg_split 0
		.amdhsa_exception_fp_ieee_invalid_op 0
		.amdhsa_exception_fp_denorm_src 0
		.amdhsa_exception_fp_ieee_div_zero 0
		.amdhsa_exception_fp_ieee_overflow 0
		.amdhsa_exception_fp_ieee_underflow 0
		.amdhsa_exception_fp_ieee_inexact 0
		.amdhsa_exception_int_div_zero 0
	.end_amdhsa_kernel
	.section	.text._ZN12_GLOBAL__N_121softmax_warp_backwardIfN3c104HalfEfLi8ELb0ELb0ELi32EEEvPT0_PKT_S7_iiiPKb,"axG",@progbits,_ZN12_GLOBAL__N_121softmax_warp_backwardIfN3c104HalfEfLi8ELb0ELb0ELi32EEEvPT0_PKT_S7_iiiPKb,comdat
.Lfunc_end611:
	.size	_ZN12_GLOBAL__N_121softmax_warp_backwardIfN3c104HalfEfLi8ELb0ELb0ELi32EEEvPT0_PKT_S7_iiiPKb, .Lfunc_end611-_ZN12_GLOBAL__N_121softmax_warp_backwardIfN3c104HalfEfLi8ELb0ELb0ELi32EEEvPT0_PKT_S7_iiiPKb
                                        ; -- End function
	.section	.AMDGPU.csdata,"",@progbits
; Kernel info:
; codeLenInByte = 1196
; NumSgprs: 28
; NumVgprs: 23
; NumAgprs: 0
; TotalNumVgprs: 23
; ScratchSize: 0
; MemoryBound: 0
; FloatMode: 240
; IeeeMode: 1
; LDSByteSize: 0 bytes/workgroup (compile time only)
; SGPRBlocks: 3
; VGPRBlocks: 2
; NumSGPRsForWavesPerEU: 28
; NumVGPRsForWavesPerEU: 23
; AccumOffset: 24
; Occupancy: 8
; WaveLimiterHint : 0
; COMPUTE_PGM_RSRC2:SCRATCH_EN: 0
; COMPUTE_PGM_RSRC2:USER_SGPR: 6
; COMPUTE_PGM_RSRC2:TRAP_HANDLER: 0
; COMPUTE_PGM_RSRC2:TGID_X_EN: 1
; COMPUTE_PGM_RSRC2:TGID_Y_EN: 0
; COMPUTE_PGM_RSRC2:TGID_Z_EN: 0
; COMPUTE_PGM_RSRC2:TIDIG_COMP_CNT: 1
; COMPUTE_PGM_RSRC3_GFX90A:ACCUM_OFFSET: 5
; COMPUTE_PGM_RSRC3_GFX90A:TG_SPLIT: 0
	.section	.text._ZN12_GLOBAL__N_121softmax_warp_backwardIfN3c104HalfEfLi9ELb0ELb0ELi64EEEvPT0_PKT_S7_iiiPKb,"axG",@progbits,_ZN12_GLOBAL__N_121softmax_warp_backwardIfN3c104HalfEfLi9ELb0ELb0ELi64EEEvPT0_PKT_S7_iiiPKb,comdat
	.globl	_ZN12_GLOBAL__N_121softmax_warp_backwardIfN3c104HalfEfLi9ELb0ELb0ELi64EEEvPT0_PKT_S7_iiiPKb ; -- Begin function _ZN12_GLOBAL__N_121softmax_warp_backwardIfN3c104HalfEfLi9ELb0ELb0ELi64EEEvPT0_PKT_S7_iiiPKb
	.p2align	8
	.type	_ZN12_GLOBAL__N_121softmax_warp_backwardIfN3c104HalfEfLi9ELb0ELb0ELi64EEEvPT0_PKT_S7_iiiPKb,@function
_ZN12_GLOBAL__N_121softmax_warp_backwardIfN3c104HalfEfLi9ELb0ELb0ELi64EEEvPT0_PKT_S7_iiiPKb: ; @_ZN12_GLOBAL__N_121softmax_warp_backwardIfN3c104HalfEfLi9ELb0ELb0ELi64EEEvPT0_PKT_S7_iiiPKb
; %bb.0:
	s_load_dword s2, s[4:5], 0x3c
	s_load_dwordx4 s[20:23], s[4:5], 0x18
	s_load_dwordx4 s[16:19], s[4:5], 0x0
	s_load_dwordx2 s[0:1], s[4:5], 0x10
	v_bfe_u32 v1, v0, 10, 10
	s_waitcnt lgkmcnt(0)
	s_lshr_b32 s2, s2, 16
	s_mul_i32 s6, s6, s2
	v_add_u32_e32 v1, s6, v1
	v_and_b32_e32 v4, 63, v0
	v_sub_u32_e32 v8, s20, v1
	v_mad_u64_u32 v[0:1], s[2:3], v1, s21, v[4:5]
	v_ashrrev_i32_e32 v1, 31, v0
	v_lshlrev_b64 v[6:7], 2, v[0:1]
	v_mov_b32_e32 v3, s19
	v_add_co_u32_e32 v2, vcc, s18, v6
	v_addc_co_u32_e32 v3, vcc, v3, v7, vcc
	v_mov_b32_e32 v5, s1
	v_add_co_u32_e32 v6, vcc, s0, v6
	v_addc_co_u32_e32 v7, vcc, v5, v7, vcc
	v_cmp_lt_i32_e64 s[14:15], 0, v8
	v_cmp_gt_i32_e32 vcc, s22, v4
	s_and_b64 s[2:3], s[14:15], vcc
	v_mov_b32_e32 v5, 0
	v_mov_b32_e32 v9, 0
	;; [unrolled: 1-line block ×3, first 2 shown]
	s_and_saveexec_b64 s[0:1], s[2:3]
	s_cbranch_execz .LBB612_2
; %bb.1:
	global_load_dword v9, v[2:3], off
	global_load_dword v10, v[6:7], off
.LBB612_2:
	s_or_b64 exec, exec, s[0:1]
	v_or_b32_e32 v11, 64, v4
	v_cmp_gt_i32_e64 s[0:1], s22, v11
	s_and_b64 s[4:5], s[14:15], s[0:1]
	v_mov_b32_e32 v12, 0
	s_and_saveexec_b64 s[2:3], s[4:5]
	s_cbranch_execz .LBB612_4
; %bb.3:
	global_load_dword v5, v[2:3], off offset:256
	global_load_dword v12, v[6:7], off offset:256
.LBB612_4:
	s_or_b64 exec, exec, s[2:3]
	v_or_b32_e32 v11, 0x80, v4
	v_cmp_gt_i32_e64 s[2:3], s22, v11
	s_and_b64 s[6:7], s[14:15], s[2:3]
	v_mov_b32_e32 v11, 0
	v_mov_b32_e32 v13, 0
	v_mov_b32_e32 v14, 0
	s_and_saveexec_b64 s[4:5], s[6:7]
	s_cbranch_execz .LBB612_6
; %bb.5:
	global_load_dword v13, v[2:3], off offset:512
	global_load_dword v14, v[6:7], off offset:512
.LBB612_6:
	s_or_b64 exec, exec, s[4:5]
	v_or_b32_e32 v15, 0xc0, v4
	v_cmp_gt_i32_e64 s[4:5], s22, v15
	s_and_b64 s[8:9], s[14:15], s[4:5]
	v_mov_b32_e32 v16, 0
	s_and_saveexec_b64 s[6:7], s[8:9]
	s_cbranch_execz .LBB612_8
; %bb.7:
	global_load_dword v11, v[2:3], off offset:768
	global_load_dword v16, v[6:7], off offset:768
.LBB612_8:
	s_or_b64 exec, exec, s[6:7]
	v_or_b32_e32 v15, 0x100, v4
	v_cmp_gt_i32_e64 s[6:7], s22, v15
	s_and_b64 s[10:11], s[14:15], s[6:7]
	v_mov_b32_e32 v15, 0
	v_mov_b32_e32 v17, 0
	v_mov_b32_e32 v18, 0
	s_and_saveexec_b64 s[8:9], s[10:11]
	s_cbranch_execz .LBB612_10
; %bb.9:
	global_load_dword v17, v[2:3], off offset:1024
	global_load_dword v18, v[6:7], off offset:1024
.LBB612_10:
	;; [unrolled: 24-line block ×3, first 2 shown]
	s_or_b64 exec, exec, s[12:13]
	v_or_b32_e32 v4, 0x1c0, v4
	v_cmp_gt_i32_e64 s[12:13], s22, v4
	s_and_b64 s[18:19], s[14:15], s[12:13]
	v_mov_b32_e32 v4, 0
	s_and_saveexec_b64 s[14:15], s[18:19]
	s_cbranch_execz .LBB612_16
; %bb.15:
	global_load_dword v19, v[2:3], off offset:1792
	global_load_dword v4, v[6:7], off offset:1792
.LBB612_16:
	s_or_b64 exec, exec, s[14:15]
	s_waitcnt vmcnt(1)
	v_add_f32_e32 v2, 0, v9
	v_add_f32_e32 v2, v2, v5
	v_mbcnt_lo_u32_b32 v3, -1, 0
	v_add_f32_e32 v2, v2, v13
	v_mbcnt_hi_u32_b32 v3, -1, v3
	v_add_f32_e32 v2, v2, v11
	v_and_b32_e32 v6, 64, v3
	v_add_f32_e32 v2, v2, v17
	v_add_u32_e32 v6, 64, v6
	v_xor_b32_e32 v7, 32, v3
	v_add_f32_e32 v2, v2, v15
	v_cmp_lt_i32_e64 s[14:15], v7, v6
	v_add_f32_e32 v2, v2, v21
	v_cndmask_b32_e64 v7, v3, v7, s[14:15]
	v_add_f32_e32 v2, v2, v19
	v_lshlrev_b32_e32 v7, 2, v7
	ds_bpermute_b32 v7, v7, v2
	s_waitcnt lgkmcnt(0)
	v_add_f32_e32 v2, v2, v7
	v_xor_b32_e32 v7, 16, v3
	v_cmp_lt_i32_e64 s[14:15], v7, v6
	v_cndmask_b32_e64 v7, v3, v7, s[14:15]
	v_lshlrev_b32_e32 v7, 2, v7
	ds_bpermute_b32 v7, v7, v2
	s_waitcnt lgkmcnt(0)
	v_add_f32_e32 v2, v2, v7
	v_xor_b32_e32 v7, 8, v3
	v_cmp_lt_i32_e64 s[14:15], v7, v6
	v_cndmask_b32_e64 v7, v3, v7, s[14:15]
	;; [unrolled: 7-line block ×5, first 2 shown]
	v_lshlrev_b32_e32 v3, 2, v3
	ds_bpermute_b32 v3, v3, v2
	v_cmp_lt_i32_e64 s[14:15], 0, v8
	s_and_saveexec_b64 s[18:19], s[14:15]
	s_cbranch_execz .LBB612_26
; %bb.17:
	v_lshlrev_b64 v[0:1], 1, v[0:1]
	v_mov_b32_e32 v6, s17
	v_add_co_u32_e64 v0, s[14:15], s16, v0
	v_addc_co_u32_e64 v1, s[14:15], v6, v1, s[14:15]
	s_waitcnt lgkmcnt(0)
	v_add_f32_e32 v2, v2, v3
	s_and_saveexec_b64 s[14:15], vcc
	s_cbranch_execnz .LBB612_27
; %bb.18:
	s_or_b64 exec, exec, s[14:15]
	s_and_saveexec_b64 s[14:15], s[0:1]
	s_cbranch_execnz .LBB612_28
.LBB612_19:
	s_or_b64 exec, exec, s[14:15]
	s_and_saveexec_b64 s[0:1], s[2:3]
	s_cbranch_execnz .LBB612_29
.LBB612_20:
	s_or_b64 exec, exec, s[0:1]
	s_and_saveexec_b64 s[0:1], s[4:5]
	s_cbranch_execnz .LBB612_30
.LBB612_21:
	s_or_b64 exec, exec, s[0:1]
	s_and_saveexec_b64 s[0:1], s[6:7]
	s_cbranch_execnz .LBB612_31
.LBB612_22:
	s_or_b64 exec, exec, s[0:1]
	s_and_saveexec_b64 s[0:1], s[8:9]
	s_cbranch_execnz .LBB612_32
.LBB612_23:
	s_or_b64 exec, exec, s[0:1]
	s_and_saveexec_b64 s[0:1], s[10:11]
	s_cbranch_execnz .LBB612_33
.LBB612_24:
	s_or_b64 exec, exec, s[0:1]
	s_and_b64 exec, exec, s[12:13]
	s_cbranch_execz .LBB612_26
.LBB612_25:
	s_waitcnt vmcnt(0)
	v_fma_mixlo_f16 v2, -v2, v4, v19
	global_store_short v[0:1], v2, off offset:896
.LBB612_26:
	s_endpgm
.LBB612_27:
	s_waitcnt vmcnt(0)
	v_fma_mixlo_f16 v3, -v2, v10, v9
	global_store_short v[0:1], v3, off
	s_or_b64 exec, exec, s[14:15]
	s_and_saveexec_b64 s[14:15], s[0:1]
	s_cbranch_execz .LBB612_19
.LBB612_28:
	s_waitcnt vmcnt(0)
	v_fma_mixlo_f16 v3, -v2, v12, v5
	global_store_short v[0:1], v3, off offset:128
	s_or_b64 exec, exec, s[14:15]
	s_and_saveexec_b64 s[0:1], s[2:3]
	s_cbranch_execz .LBB612_20
.LBB612_29:
	s_waitcnt vmcnt(0)
	v_fma_mixlo_f16 v3, -v2, v14, v13
	global_store_short v[0:1], v3, off offset:256
	s_or_b64 exec, exec, s[0:1]
	s_and_saveexec_b64 s[0:1], s[4:5]
	s_cbranch_execz .LBB612_21
.LBB612_30:
	s_waitcnt vmcnt(0)
	v_fma_mixlo_f16 v3, -v2, v16, v11
	global_store_short v[0:1], v3, off offset:384
	s_or_b64 exec, exec, s[0:1]
	s_and_saveexec_b64 s[0:1], s[6:7]
	s_cbranch_execz .LBB612_22
.LBB612_31:
	s_waitcnt vmcnt(0)
	v_fma_mixlo_f16 v3, -v2, v18, v17
	global_store_short v[0:1], v3, off offset:512
	s_or_b64 exec, exec, s[0:1]
	s_and_saveexec_b64 s[0:1], s[8:9]
	s_cbranch_execz .LBB612_23
.LBB612_32:
	s_waitcnt vmcnt(0)
	v_fma_mixlo_f16 v3, -v2, v20, v15
	global_store_short v[0:1], v3, off offset:640
	s_or_b64 exec, exec, s[0:1]
	s_and_saveexec_b64 s[0:1], s[10:11]
	s_cbranch_execz .LBB612_24
.LBB612_33:
	s_waitcnt vmcnt(0)
	v_fma_mixlo_f16 v3, -v2, v22, v21
	global_store_short v[0:1], v3, off offset:768
	s_or_b64 exec, exec, s[0:1]
	s_and_b64 exec, exec, s[12:13]
	s_cbranch_execnz .LBB612_25
	s_branch .LBB612_26
	.section	.rodata,"a",@progbits
	.p2align	6, 0x0
	.amdhsa_kernel _ZN12_GLOBAL__N_121softmax_warp_backwardIfN3c104HalfEfLi9ELb0ELb0ELi64EEEvPT0_PKT_S7_iiiPKb
		.amdhsa_group_segment_fixed_size 0
		.amdhsa_private_segment_fixed_size 0
		.amdhsa_kernarg_size 304
		.amdhsa_user_sgpr_count 6
		.amdhsa_user_sgpr_private_segment_buffer 1
		.amdhsa_user_sgpr_dispatch_ptr 0
		.amdhsa_user_sgpr_queue_ptr 0
		.amdhsa_user_sgpr_kernarg_segment_ptr 1
		.amdhsa_user_sgpr_dispatch_id 0
		.amdhsa_user_sgpr_flat_scratch_init 0
		.amdhsa_user_sgpr_kernarg_preload_length 0
		.amdhsa_user_sgpr_kernarg_preload_offset 0
		.amdhsa_user_sgpr_private_segment_size 0
		.amdhsa_uses_dynamic_stack 0
		.amdhsa_system_sgpr_private_segment_wavefront_offset 0
		.amdhsa_system_sgpr_workgroup_id_x 1
		.amdhsa_system_sgpr_workgroup_id_y 0
		.amdhsa_system_sgpr_workgroup_id_z 0
		.amdhsa_system_sgpr_workgroup_info 0
		.amdhsa_system_vgpr_workitem_id 1
		.amdhsa_next_free_vgpr 23
		.amdhsa_next_free_sgpr 24
		.amdhsa_accum_offset 24
		.amdhsa_reserve_vcc 1
		.amdhsa_reserve_flat_scratch 0
		.amdhsa_float_round_mode_32 0
		.amdhsa_float_round_mode_16_64 0
		.amdhsa_float_denorm_mode_32 3
		.amdhsa_float_denorm_mode_16_64 3
		.amdhsa_dx10_clamp 1
		.amdhsa_ieee_mode 1
		.amdhsa_fp16_overflow 0
		.amdhsa_tg_split 0
		.amdhsa_exception_fp_ieee_invalid_op 0
		.amdhsa_exception_fp_denorm_src 0
		.amdhsa_exception_fp_ieee_div_zero 0
		.amdhsa_exception_fp_ieee_overflow 0
		.amdhsa_exception_fp_ieee_underflow 0
		.amdhsa_exception_fp_ieee_inexact 0
		.amdhsa_exception_int_div_zero 0
	.end_amdhsa_kernel
	.section	.text._ZN12_GLOBAL__N_121softmax_warp_backwardIfN3c104HalfEfLi9ELb0ELb0ELi64EEEvPT0_PKT_S7_iiiPKb,"axG",@progbits,_ZN12_GLOBAL__N_121softmax_warp_backwardIfN3c104HalfEfLi9ELb0ELb0ELi64EEEvPT0_PKT_S7_iiiPKb,comdat
.Lfunc_end612:
	.size	_ZN12_GLOBAL__N_121softmax_warp_backwardIfN3c104HalfEfLi9ELb0ELb0ELi64EEEvPT0_PKT_S7_iiiPKb, .Lfunc_end612-_ZN12_GLOBAL__N_121softmax_warp_backwardIfN3c104HalfEfLi9ELb0ELb0ELi64EEEvPT0_PKT_S7_iiiPKb
                                        ; -- End function
	.section	.AMDGPU.csdata,"",@progbits
; Kernel info:
; codeLenInByte = 1236
; NumSgprs: 28
; NumVgprs: 23
; NumAgprs: 0
; TotalNumVgprs: 23
; ScratchSize: 0
; MemoryBound: 0
; FloatMode: 240
; IeeeMode: 1
; LDSByteSize: 0 bytes/workgroup (compile time only)
; SGPRBlocks: 3
; VGPRBlocks: 2
; NumSGPRsForWavesPerEU: 28
; NumVGPRsForWavesPerEU: 23
; AccumOffset: 24
; Occupancy: 8
; WaveLimiterHint : 0
; COMPUTE_PGM_RSRC2:SCRATCH_EN: 0
; COMPUTE_PGM_RSRC2:USER_SGPR: 6
; COMPUTE_PGM_RSRC2:TRAP_HANDLER: 0
; COMPUTE_PGM_RSRC2:TGID_X_EN: 1
; COMPUTE_PGM_RSRC2:TGID_Y_EN: 0
; COMPUTE_PGM_RSRC2:TGID_Z_EN: 0
; COMPUTE_PGM_RSRC2:TIDIG_COMP_CNT: 1
; COMPUTE_PGM_RSRC3_GFX90A:ACCUM_OFFSET: 5
; COMPUTE_PGM_RSRC3_GFX90A:TG_SPLIT: 0
	.section	.text._ZN12_GLOBAL__N_121softmax_warp_backwardIfN3c104HalfEfLi9ELb0ELb0ELi32EEEvPT0_PKT_S7_iiiPKb,"axG",@progbits,_ZN12_GLOBAL__N_121softmax_warp_backwardIfN3c104HalfEfLi9ELb0ELb0ELi32EEEvPT0_PKT_S7_iiiPKb,comdat
	.globl	_ZN12_GLOBAL__N_121softmax_warp_backwardIfN3c104HalfEfLi9ELb0ELb0ELi32EEEvPT0_PKT_S7_iiiPKb ; -- Begin function _ZN12_GLOBAL__N_121softmax_warp_backwardIfN3c104HalfEfLi9ELb0ELb0ELi32EEEvPT0_PKT_S7_iiiPKb
	.p2align	8
	.type	_ZN12_GLOBAL__N_121softmax_warp_backwardIfN3c104HalfEfLi9ELb0ELb0ELi32EEEvPT0_PKT_S7_iiiPKb,@function
_ZN12_GLOBAL__N_121softmax_warp_backwardIfN3c104HalfEfLi9ELb0ELb0ELi32EEEvPT0_PKT_S7_iiiPKb: ; @_ZN12_GLOBAL__N_121softmax_warp_backwardIfN3c104HalfEfLi9ELb0ELb0ELi32EEEvPT0_PKT_S7_iiiPKb
; %bb.0:
	s_load_dword s2, s[4:5], 0x3c
	s_load_dwordx4 s[28:31], s[4:5], 0x18
	s_load_dwordx4 s[36:39], s[4:5], 0x0
	s_load_dwordx2 s[0:1], s[4:5], 0x10
	v_bfe_u32 v1, v0, 10, 10
	s_waitcnt lgkmcnt(0)
	s_lshr_b32 s2, s2, 16
	s_mul_i32 s6, s6, s2
	v_add_u32_e32 v1, s6, v1
	v_and_b32_e32 v4, 31, v0
	v_sub_u32_e32 v8, s28, v1
	v_mad_u64_u32 v[0:1], s[2:3], v1, s29, v[4:5]
	v_ashrrev_i32_e32 v1, 31, v0
	v_lshlrev_b64 v[6:7], 2, v[0:1]
	v_mov_b32_e32 v3, s39
	v_add_co_u32_e32 v2, vcc, s38, v6
	v_addc_co_u32_e32 v3, vcc, v3, v7, vcc
	v_mov_b32_e32 v5, s1
	v_add_co_u32_e32 v6, vcc, s0, v6
	v_addc_co_u32_e32 v7, vcc, v5, v7, vcc
	v_cmp_lt_i32_e64 s[16:17], 0, v8
	v_cmp_gt_i32_e32 vcc, s30, v4
	s_and_b64 s[2:3], s[16:17], vcc
	v_mov_b32_e32 v5, 0
	v_mov_b32_e32 v9, 0
	;; [unrolled: 1-line block ×3, first 2 shown]
	s_and_saveexec_b64 s[0:1], s[2:3]
	s_cbranch_execz .LBB613_2
; %bb.1:
	global_load_dword v9, v[2:3], off
	global_load_dword v10, v[6:7], off
.LBB613_2:
	s_or_b64 exec, exec, s[0:1]
	v_or_b32_e32 v11, 32, v4
	v_cmp_gt_i32_e64 s[0:1], s30, v11
	s_and_b64 s[4:5], s[16:17], s[0:1]
	v_mov_b32_e32 v12, 0
	s_and_saveexec_b64 s[2:3], s[4:5]
	s_cbranch_execz .LBB613_4
; %bb.3:
	global_load_dword v5, v[2:3], off offset:128
	global_load_dword v12, v[6:7], off offset:128
.LBB613_4:
	s_or_b64 exec, exec, s[2:3]
	v_or_b32_e32 v11, 64, v4
	v_cmp_gt_i32_e64 s[2:3], s30, v11
	s_and_b64 s[6:7], s[16:17], s[2:3]
	v_mov_b32_e32 v11, 0
	v_mov_b32_e32 v13, 0
	v_mov_b32_e32 v14, 0
	s_and_saveexec_b64 s[4:5], s[6:7]
	s_cbranch_execz .LBB613_6
; %bb.5:
	global_load_dword v13, v[2:3], off offset:256
	global_load_dword v14, v[6:7], off offset:256
.LBB613_6:
	s_or_b64 exec, exec, s[4:5]
	v_or_b32_e32 v15, 0x60, v4
	v_cmp_gt_i32_e64 s[4:5], s30, v15
	s_and_b64 s[8:9], s[16:17], s[4:5]
	v_mov_b32_e32 v16, 0
	s_and_saveexec_b64 s[6:7], s[8:9]
	s_cbranch_execz .LBB613_8
; %bb.7:
	global_load_dword v11, v[2:3], off offset:384
	global_load_dword v16, v[6:7], off offset:384
.LBB613_8:
	s_or_b64 exec, exec, s[6:7]
	v_or_b32_e32 v15, 0x80, v4
	v_cmp_gt_i32_e64 s[6:7], s30, v15
	s_and_b64 s[10:11], s[16:17], s[6:7]
	v_mov_b32_e32 v15, 0
	v_mov_b32_e32 v17, 0
	v_mov_b32_e32 v18, 0
	s_and_saveexec_b64 s[8:9], s[10:11]
	s_cbranch_execz .LBB613_10
; %bb.9:
	global_load_dword v17, v[2:3], off offset:512
	global_load_dword v18, v[6:7], off offset:512
.LBB613_10:
	;; [unrolled: 24-line block ×7, first 2 shown]
	s_or_b64 exec, exec, s[34:35]
	v_or_b32_e32 v4, 0x1e0, v4
	v_cmp_gt_i32_e64 s[30:31], s30, v4
	s_and_b64 s[34:35], s[16:17], s[30:31]
	v_mov_b32_e32 v4, 0
	s_and_saveexec_b64 s[16:17], s[34:35]
	s_cbranch_execz .LBB613_32
; %bb.31:
	global_load_dword v35, v[2:3], off offset:1920
	global_load_dword v4, v[6:7], off offset:1920
.LBB613_32:
	s_or_b64 exec, exec, s[16:17]
	s_waitcnt vmcnt(1)
	v_add_f32_e32 v2, 0, v9
	v_add_f32_e32 v2, v2, v5
	;; [unrolled: 1-line block ×10, first 2 shown]
	v_mbcnt_lo_u32_b32 v3, -1, 0
	v_add_f32_e32 v2, v2, v29
	v_mbcnt_hi_u32_b32 v3, -1, v3
	v_add_f32_e32 v2, v2, v27
	v_and_b32_e32 v6, 0x60, v3
	v_add_f32_e32 v2, v2, v33
	v_add_u32_e32 v6, 32, v6
	v_xor_b32_e32 v7, 16, v3
	v_add_f32_e32 v2, v2, v31
	v_cmp_lt_i32_e64 s[16:17], v7, v6
	v_add_f32_e32 v2, v2, v37
	v_cndmask_b32_e64 v7, v3, v7, s[16:17]
	v_add_f32_e32 v2, v2, v35
	v_lshlrev_b32_e32 v7, 2, v7
	ds_bpermute_b32 v7, v7, v2
	s_waitcnt lgkmcnt(0)
	v_add_f32_e32 v2, v2, v7
	v_xor_b32_e32 v7, 8, v3
	v_cmp_lt_i32_e64 s[16:17], v7, v6
	v_cndmask_b32_e64 v7, v3, v7, s[16:17]
	v_lshlrev_b32_e32 v7, 2, v7
	ds_bpermute_b32 v7, v7, v2
	s_waitcnt lgkmcnt(0)
	v_add_f32_e32 v2, v2, v7
	v_xor_b32_e32 v7, 4, v3
	v_cmp_lt_i32_e64 s[16:17], v7, v6
	v_cndmask_b32_e64 v7, v3, v7, s[16:17]
	;; [unrolled: 7-line block ×4, first 2 shown]
	v_lshlrev_b32_e32 v3, 2, v3
	ds_bpermute_b32 v3, v3, v2
	v_cmp_lt_i32_e64 s[16:17], 0, v8
	s_and_saveexec_b64 s[34:35], s[16:17]
	s_cbranch_execz .LBB613_50
; %bb.33:
	v_lshlrev_b64 v[0:1], 1, v[0:1]
	v_mov_b32_e32 v6, s37
	v_add_co_u32_e64 v0, s[16:17], s36, v0
	v_addc_co_u32_e64 v1, s[16:17], v6, v1, s[16:17]
	s_waitcnt lgkmcnt(0)
	v_add_f32_e32 v2, v2, v3
	s_and_saveexec_b64 s[16:17], vcc
	s_cbranch_execnz .LBB613_51
; %bb.34:
	s_or_b64 exec, exec, s[16:17]
	s_and_saveexec_b64 s[16:17], s[0:1]
	s_cbranch_execnz .LBB613_52
.LBB613_35:
	s_or_b64 exec, exec, s[16:17]
	s_and_saveexec_b64 s[0:1], s[2:3]
	s_cbranch_execnz .LBB613_53
.LBB613_36:
	s_or_b64 exec, exec, s[0:1]
	s_and_saveexec_b64 s[0:1], s[4:5]
	s_cbranch_execnz .LBB613_54
.LBB613_37:
	s_or_b64 exec, exec, s[0:1]
	s_and_saveexec_b64 s[0:1], s[6:7]
	s_cbranch_execnz .LBB613_55
.LBB613_38:
	s_or_b64 exec, exec, s[0:1]
	s_and_saveexec_b64 s[0:1], s[8:9]
	s_cbranch_execnz .LBB613_56
.LBB613_39:
	s_or_b64 exec, exec, s[0:1]
	s_and_saveexec_b64 s[0:1], s[10:11]
	s_cbranch_execnz .LBB613_57
.LBB613_40:
	s_or_b64 exec, exec, s[0:1]
	s_and_saveexec_b64 s[0:1], s[12:13]
	s_cbranch_execnz .LBB613_58
.LBB613_41:
	s_or_b64 exec, exec, s[0:1]
	s_and_saveexec_b64 s[0:1], s[14:15]
	s_cbranch_execnz .LBB613_59
.LBB613_42:
	s_or_b64 exec, exec, s[0:1]
	s_and_saveexec_b64 s[0:1], s[18:19]
	s_cbranch_execnz .LBB613_60
.LBB613_43:
	s_or_b64 exec, exec, s[0:1]
	s_and_saveexec_b64 s[0:1], s[20:21]
	s_cbranch_execnz .LBB613_61
.LBB613_44:
	s_or_b64 exec, exec, s[0:1]
	s_and_saveexec_b64 s[0:1], s[22:23]
	s_cbranch_execnz .LBB613_62
.LBB613_45:
	s_or_b64 exec, exec, s[0:1]
	s_and_saveexec_b64 s[0:1], s[24:25]
	s_cbranch_execnz .LBB613_63
.LBB613_46:
	s_or_b64 exec, exec, s[0:1]
	s_and_saveexec_b64 s[0:1], s[26:27]
	s_cbranch_execnz .LBB613_64
.LBB613_47:
	s_or_b64 exec, exec, s[0:1]
	s_and_saveexec_b64 s[0:1], s[28:29]
	s_cbranch_execnz .LBB613_65
.LBB613_48:
	s_or_b64 exec, exec, s[0:1]
	s_and_b64 exec, exec, s[30:31]
	s_cbranch_execz .LBB613_50
.LBB613_49:
	s_waitcnt vmcnt(0)
	v_fma_mixlo_f16 v2, -v2, v4, v35
	global_store_short v[0:1], v2, off offset:960
.LBB613_50:
	s_endpgm
.LBB613_51:
	s_waitcnt vmcnt(0)
	v_fma_mixlo_f16 v3, -v2, v10, v9
	global_store_short v[0:1], v3, off
	s_or_b64 exec, exec, s[16:17]
	s_and_saveexec_b64 s[16:17], s[0:1]
	s_cbranch_execz .LBB613_35
.LBB613_52:
	s_waitcnt vmcnt(0)
	v_fma_mixlo_f16 v3, -v2, v12, v5
	global_store_short v[0:1], v3, off offset:64
	s_or_b64 exec, exec, s[16:17]
	s_and_saveexec_b64 s[0:1], s[2:3]
	s_cbranch_execz .LBB613_36
.LBB613_53:
	s_waitcnt vmcnt(0)
	v_fma_mixlo_f16 v3, -v2, v14, v13
	global_store_short v[0:1], v3, off offset:128
	s_or_b64 exec, exec, s[0:1]
	s_and_saveexec_b64 s[0:1], s[4:5]
	s_cbranch_execz .LBB613_37
.LBB613_54:
	s_waitcnt vmcnt(0)
	v_fma_mixlo_f16 v3, -v2, v16, v11
	global_store_short v[0:1], v3, off offset:192
	s_or_b64 exec, exec, s[0:1]
	s_and_saveexec_b64 s[0:1], s[6:7]
	s_cbranch_execz .LBB613_38
.LBB613_55:
	s_waitcnt vmcnt(0)
	v_fma_mixlo_f16 v3, -v2, v18, v17
	global_store_short v[0:1], v3, off offset:256
	s_or_b64 exec, exec, s[0:1]
	s_and_saveexec_b64 s[0:1], s[8:9]
	s_cbranch_execz .LBB613_39
.LBB613_56:
	s_waitcnt vmcnt(0)
	v_fma_mixlo_f16 v3, -v2, v20, v15
	global_store_short v[0:1], v3, off offset:320
	s_or_b64 exec, exec, s[0:1]
	s_and_saveexec_b64 s[0:1], s[10:11]
	s_cbranch_execz .LBB613_40
.LBB613_57:
	s_waitcnt vmcnt(0)
	v_fma_mixlo_f16 v3, -v2, v22, v21
	global_store_short v[0:1], v3, off offset:384
	s_or_b64 exec, exec, s[0:1]
	s_and_saveexec_b64 s[0:1], s[12:13]
	s_cbranch_execz .LBB613_41
.LBB613_58:
	s_waitcnt vmcnt(0)
	v_fma_mixlo_f16 v3, -v2, v24, v19
	global_store_short v[0:1], v3, off offset:448
	s_or_b64 exec, exec, s[0:1]
	s_and_saveexec_b64 s[0:1], s[14:15]
	s_cbranch_execz .LBB613_42
.LBB613_59:
	s_waitcnt vmcnt(0)
	v_fma_mixlo_f16 v3, -v2, v26, v25
	global_store_short v[0:1], v3, off offset:512
	s_or_b64 exec, exec, s[0:1]
	s_and_saveexec_b64 s[0:1], s[18:19]
	s_cbranch_execz .LBB613_43
.LBB613_60:
	s_waitcnt vmcnt(0)
	v_fma_mixlo_f16 v3, -v2, v28, v23
	global_store_short v[0:1], v3, off offset:576
	s_or_b64 exec, exec, s[0:1]
	s_and_saveexec_b64 s[0:1], s[20:21]
	s_cbranch_execz .LBB613_44
.LBB613_61:
	s_waitcnt vmcnt(0)
	v_fma_mixlo_f16 v3, -v2, v30, v29
	global_store_short v[0:1], v3, off offset:640
	s_or_b64 exec, exec, s[0:1]
	s_and_saveexec_b64 s[0:1], s[22:23]
	s_cbranch_execz .LBB613_45
.LBB613_62:
	s_waitcnt vmcnt(0)
	v_fma_mixlo_f16 v3, -v2, v32, v27
	global_store_short v[0:1], v3, off offset:704
	s_or_b64 exec, exec, s[0:1]
	s_and_saveexec_b64 s[0:1], s[24:25]
	s_cbranch_execz .LBB613_46
.LBB613_63:
	s_waitcnt vmcnt(0)
	v_fma_mixlo_f16 v3, -v2, v34, v33
	global_store_short v[0:1], v3, off offset:768
	s_or_b64 exec, exec, s[0:1]
	s_and_saveexec_b64 s[0:1], s[26:27]
	s_cbranch_execz .LBB613_47
.LBB613_64:
	s_waitcnt vmcnt(0)
	v_fma_mixlo_f16 v3, -v2, v36, v31
	global_store_short v[0:1], v3, off offset:832
	s_or_b64 exec, exec, s[0:1]
	s_and_saveexec_b64 s[0:1], s[28:29]
	s_cbranch_execz .LBB613_48
.LBB613_65:
	s_waitcnt vmcnt(0)
	v_fma_mixlo_f16 v3, -v2, v38, v37
	global_store_short v[0:1], v3, off offset:896
	s_or_b64 exec, exec, s[0:1]
	s_and_b64 exec, exec, s[30:31]
	s_cbranch_execnz .LBB613_49
	s_branch .LBB613_50
	.section	.rodata,"a",@progbits
	.p2align	6, 0x0
	.amdhsa_kernel _ZN12_GLOBAL__N_121softmax_warp_backwardIfN3c104HalfEfLi9ELb0ELb0ELi32EEEvPT0_PKT_S7_iiiPKb
		.amdhsa_group_segment_fixed_size 0
		.amdhsa_private_segment_fixed_size 0
		.amdhsa_kernarg_size 304
		.amdhsa_user_sgpr_count 6
		.amdhsa_user_sgpr_private_segment_buffer 1
		.amdhsa_user_sgpr_dispatch_ptr 0
		.amdhsa_user_sgpr_queue_ptr 0
		.amdhsa_user_sgpr_kernarg_segment_ptr 1
		.amdhsa_user_sgpr_dispatch_id 0
		.amdhsa_user_sgpr_flat_scratch_init 0
		.amdhsa_user_sgpr_kernarg_preload_length 0
		.amdhsa_user_sgpr_kernarg_preload_offset 0
		.amdhsa_user_sgpr_private_segment_size 0
		.amdhsa_uses_dynamic_stack 0
		.amdhsa_system_sgpr_private_segment_wavefront_offset 0
		.amdhsa_system_sgpr_workgroup_id_x 1
		.amdhsa_system_sgpr_workgroup_id_y 0
		.amdhsa_system_sgpr_workgroup_id_z 0
		.amdhsa_system_sgpr_workgroup_info 0
		.amdhsa_system_vgpr_workitem_id 1
		.amdhsa_next_free_vgpr 39
		.amdhsa_next_free_sgpr 40
		.amdhsa_accum_offset 40
		.amdhsa_reserve_vcc 1
		.amdhsa_reserve_flat_scratch 0
		.amdhsa_float_round_mode_32 0
		.amdhsa_float_round_mode_16_64 0
		.amdhsa_float_denorm_mode_32 3
		.amdhsa_float_denorm_mode_16_64 3
		.amdhsa_dx10_clamp 1
		.amdhsa_ieee_mode 1
		.amdhsa_fp16_overflow 0
		.amdhsa_tg_split 0
		.amdhsa_exception_fp_ieee_invalid_op 0
		.amdhsa_exception_fp_denorm_src 0
		.amdhsa_exception_fp_ieee_div_zero 0
		.amdhsa_exception_fp_ieee_overflow 0
		.amdhsa_exception_fp_ieee_underflow 0
		.amdhsa_exception_fp_ieee_inexact 0
		.amdhsa_exception_int_div_zero 0
	.end_amdhsa_kernel
	.section	.text._ZN12_GLOBAL__N_121softmax_warp_backwardIfN3c104HalfEfLi9ELb0ELb0ELi32EEEvPT0_PKT_S7_iiiPKb,"axG",@progbits,_ZN12_GLOBAL__N_121softmax_warp_backwardIfN3c104HalfEfLi9ELb0ELb0ELi32EEEvPT0_PKT_S7_iiiPKb,comdat
.Lfunc_end613:
	.size	_ZN12_GLOBAL__N_121softmax_warp_backwardIfN3c104HalfEfLi9ELb0ELb0ELi32EEEvPT0_PKT_S7_iiiPKb, .Lfunc_end613-_ZN12_GLOBAL__N_121softmax_warp_backwardIfN3c104HalfEfLi9ELb0ELb0ELi32EEEvPT0_PKT_S7_iiiPKb
                                        ; -- End function
	.section	.AMDGPU.csdata,"",@progbits
; Kernel info:
; codeLenInByte = 2028
; NumSgprs: 44
; NumVgprs: 39
; NumAgprs: 0
; TotalNumVgprs: 39
; ScratchSize: 0
; MemoryBound: 0
; FloatMode: 240
; IeeeMode: 1
; LDSByteSize: 0 bytes/workgroup (compile time only)
; SGPRBlocks: 5
; VGPRBlocks: 4
; NumSGPRsForWavesPerEU: 44
; NumVGPRsForWavesPerEU: 39
; AccumOffset: 40
; Occupancy: 8
; WaveLimiterHint : 0
; COMPUTE_PGM_RSRC2:SCRATCH_EN: 0
; COMPUTE_PGM_RSRC2:USER_SGPR: 6
; COMPUTE_PGM_RSRC2:TRAP_HANDLER: 0
; COMPUTE_PGM_RSRC2:TGID_X_EN: 1
; COMPUTE_PGM_RSRC2:TGID_Y_EN: 0
; COMPUTE_PGM_RSRC2:TGID_Z_EN: 0
; COMPUTE_PGM_RSRC2:TIDIG_COMP_CNT: 1
; COMPUTE_PGM_RSRC3_GFX90A:ACCUM_OFFSET: 9
; COMPUTE_PGM_RSRC3_GFX90A:TG_SPLIT: 0
	.section	.text._ZN12_GLOBAL__N_121softmax_warp_backwardIfN3c104HalfEfLi10ELb0ELb0ELi64EEEvPT0_PKT_S7_iiiPKb,"axG",@progbits,_ZN12_GLOBAL__N_121softmax_warp_backwardIfN3c104HalfEfLi10ELb0ELb0ELi64EEEvPT0_PKT_S7_iiiPKb,comdat
	.globl	_ZN12_GLOBAL__N_121softmax_warp_backwardIfN3c104HalfEfLi10ELb0ELb0ELi64EEEvPT0_PKT_S7_iiiPKb ; -- Begin function _ZN12_GLOBAL__N_121softmax_warp_backwardIfN3c104HalfEfLi10ELb0ELb0ELi64EEEvPT0_PKT_S7_iiiPKb
	.p2align	8
	.type	_ZN12_GLOBAL__N_121softmax_warp_backwardIfN3c104HalfEfLi10ELb0ELb0ELi64EEEvPT0_PKT_S7_iiiPKb,@function
_ZN12_GLOBAL__N_121softmax_warp_backwardIfN3c104HalfEfLi10ELb0ELb0ELi64EEEvPT0_PKT_S7_iiiPKb: ; @_ZN12_GLOBAL__N_121softmax_warp_backwardIfN3c104HalfEfLi10ELb0ELb0ELi64EEEvPT0_PKT_S7_iiiPKb
; %bb.0:
	s_load_dword s2, s[4:5], 0x3c
	s_load_dwordx4 s[28:31], s[4:5], 0x18
	s_load_dwordx4 s[36:39], s[4:5], 0x0
	s_load_dwordx2 s[0:1], s[4:5], 0x10
	v_bfe_u32 v1, v0, 10, 10
	s_waitcnt lgkmcnt(0)
	s_lshr_b32 s2, s2, 16
	s_mul_i32 s6, s6, s2
	v_and_b32_e32 v25, 0x3ff, v0
	v_add_u32_e32 v1, s6, v1
	v_and_b32_e32 v6, 63, v25
	v_sub_u32_e32 v8, s28, v1
	v_mad_u64_u32 v[0:1], s[2:3], v1, s29, v[6:7]
	v_ashrrev_i32_e32 v1, 31, v0
	v_lshlrev_b64 v[4:5], 2, v[0:1]
	v_mov_b32_e32 v3, s39
	v_add_co_u32_e32 v2, vcc, s38, v4
	v_addc_co_u32_e32 v3, vcc, v3, v5, vcc
	v_mov_b32_e32 v7, s1
	v_add_co_u32_e32 v4, vcc, s0, v4
	v_addc_co_u32_e32 v5, vcc, v7, v5, vcc
	v_cmp_lt_i32_e64 s[18:19], 0, v8
	v_cmp_gt_i32_e32 vcc, s30, v6
	s_and_b64 s[2:3], s[18:19], vcc
	v_mov_b32_e32 v7, 0
	v_mov_b32_e32 v9, 0
	;; [unrolled: 1-line block ×3, first 2 shown]
	s_and_saveexec_b64 s[0:1], s[2:3]
	s_cbranch_execz .LBB614_2
; %bb.1:
	global_load_dword v9, v[2:3], off
	global_load_dword v10, v[4:5], off
.LBB614_2:
	s_or_b64 exec, exec, s[0:1]
	v_or_b32_e32 v11, 64, v6
	v_cmp_gt_i32_e64 s[0:1], s30, v11
	s_and_b64 s[4:5], s[18:19], s[0:1]
	v_mov_b32_e32 v12, 0
	s_and_saveexec_b64 s[2:3], s[4:5]
	s_cbranch_execz .LBB614_4
; %bb.3:
	global_load_dword v7, v[2:3], off offset:256
	global_load_dword v12, v[4:5], off offset:256
.LBB614_4:
	s_or_b64 exec, exec, s[2:3]
	v_or_b32_e32 v11, 0x80, v6
	v_cmp_gt_i32_e64 s[2:3], s30, v11
	s_and_b64 s[6:7], s[18:19], s[2:3]
	v_mov_b32_e32 v11, 0
	v_mov_b32_e32 v13, 0
	v_mov_b32_e32 v14, 0
	s_and_saveexec_b64 s[4:5], s[6:7]
	s_cbranch_execz .LBB614_6
; %bb.5:
	global_load_dword v13, v[2:3], off offset:512
	global_load_dword v14, v[4:5], off offset:512
.LBB614_6:
	s_or_b64 exec, exec, s[4:5]
	v_or_b32_e32 v15, 0xc0, v6
	v_cmp_gt_i32_e64 s[4:5], s30, v15
	s_and_b64 s[8:9], s[18:19], s[4:5]
	v_mov_b32_e32 v16, 0
	s_and_saveexec_b64 s[6:7], s[8:9]
	s_cbranch_execz .LBB614_8
; %bb.7:
	global_load_dword v11, v[2:3], off offset:768
	global_load_dword v16, v[4:5], off offset:768
.LBB614_8:
	s_or_b64 exec, exec, s[6:7]
	v_or_b32_e32 v15, 0x100, v6
	v_cmp_gt_i32_e64 s[6:7], s30, v15
	s_and_b64 s[10:11], s[18:19], s[6:7]
	v_mov_b32_e32 v15, 0
	v_mov_b32_e32 v17, 0
	v_mov_b32_e32 v18, 0
	s_and_saveexec_b64 s[8:9], s[10:11]
	s_cbranch_execz .LBB614_10
; %bb.9:
	global_load_dword v17, v[2:3], off offset:1024
	global_load_dword v18, v[4:5], off offset:1024
.LBB614_10:
	;; [unrolled: 24-line block ×7, first 2 shown]
	s_or_b64 exec, exec, s[34:35]
	v_or_b32_e32 v25, 0x3c0, v25
	v_cmp_gt_i32_e64 s[30:31], s30, v25
	s_and_b64 s[34:35], s[18:19], s[30:31]
	v_mov_b32_e32 v25, 0
	s_and_saveexec_b64 s[18:19], s[34:35]
	s_cbranch_execz .LBB614_32
; %bb.31:
	global_load_dword v6, v[2:3], off offset:3840
	global_load_dword v25, v[4:5], off offset:3840
.LBB614_32:
	s_or_b64 exec, exec, s[18:19]
	s_waitcnt vmcnt(1)
	v_add_f32_e32 v2, 0, v9
	v_add_f32_e32 v2, v2, v7
	;; [unrolled: 1-line block ×10, first 2 shown]
	v_mbcnt_lo_u32_b32 v3, -1, 0
	v_add_f32_e32 v2, v2, v30
	v_mbcnt_hi_u32_b32 v3, -1, v3
	v_add_f32_e32 v2, v2, v28
	v_and_b32_e32 v4, 64, v3
	v_add_f32_e32 v2, v2, v34
	v_add_u32_e32 v4, 64, v4
	v_xor_b32_e32 v5, 32, v3
	v_add_f32_e32 v2, v2, v32
	v_cmp_lt_i32_e64 s[18:19], v5, v4
	v_add_f32_e32 v2, v2, v37
	v_cndmask_b32_e64 v5, v3, v5, s[18:19]
	v_add_f32_e32 v2, v2, v6
	v_lshlrev_b32_e32 v5, 2, v5
	ds_bpermute_b32 v5, v5, v2
	s_waitcnt lgkmcnt(0)
	v_add_f32_e32 v2, v2, v5
	v_xor_b32_e32 v5, 16, v3
	v_cmp_lt_i32_e64 s[18:19], v5, v4
	v_cndmask_b32_e64 v5, v3, v5, s[18:19]
	v_lshlrev_b32_e32 v5, 2, v5
	ds_bpermute_b32 v5, v5, v2
	s_waitcnt lgkmcnt(0)
	v_add_f32_e32 v2, v2, v5
	v_xor_b32_e32 v5, 8, v3
	v_cmp_lt_i32_e64 s[18:19], v5, v4
	v_cndmask_b32_e64 v5, v3, v5, s[18:19]
	;; [unrolled: 7-line block ×5, first 2 shown]
	v_lshlrev_b32_e32 v3, 2, v3
	ds_bpermute_b32 v3, v3, v2
	v_cmp_lt_i32_e64 s[18:19], 0, v8
	s_and_saveexec_b64 s[34:35], s[18:19]
	s_cbranch_execz .LBB614_50
; %bb.33:
	v_lshlrev_b64 v[0:1], 1, v[0:1]
	v_mov_b32_e32 v4, s37
	v_add_co_u32_e64 v0, s[18:19], s36, v0
	v_addc_co_u32_e64 v1, s[18:19], v4, v1, s[18:19]
	s_waitcnt lgkmcnt(0)
	v_add_f32_e32 v2, v2, v3
	s_and_saveexec_b64 s[18:19], vcc
	s_cbranch_execnz .LBB614_51
; %bb.34:
	s_or_b64 exec, exec, s[18:19]
	s_and_saveexec_b64 s[18:19], s[0:1]
	s_cbranch_execnz .LBB614_52
.LBB614_35:
	s_or_b64 exec, exec, s[18:19]
	s_and_saveexec_b64 s[0:1], s[2:3]
	s_cbranch_execnz .LBB614_53
.LBB614_36:
	s_or_b64 exec, exec, s[0:1]
	s_and_saveexec_b64 s[0:1], s[4:5]
	s_cbranch_execnz .LBB614_54
.LBB614_37:
	s_or_b64 exec, exec, s[0:1]
	s_and_saveexec_b64 s[0:1], s[6:7]
	s_cbranch_execnz .LBB614_55
.LBB614_38:
	s_or_b64 exec, exec, s[0:1]
	s_and_saveexec_b64 s[0:1], s[8:9]
	s_cbranch_execnz .LBB614_56
.LBB614_39:
	s_or_b64 exec, exec, s[0:1]
	s_and_saveexec_b64 s[0:1], s[10:11]
	s_cbranch_execnz .LBB614_57
.LBB614_40:
	s_or_b64 exec, exec, s[0:1]
	s_and_saveexec_b64 s[0:1], s[12:13]
	s_cbranch_execnz .LBB614_58
.LBB614_41:
	s_or_b64 exec, exec, s[0:1]
	s_and_saveexec_b64 s[0:1], s[14:15]
	s_cbranch_execnz .LBB614_59
.LBB614_42:
	s_or_b64 exec, exec, s[0:1]
	s_and_saveexec_b64 s[0:1], s[16:17]
	s_cbranch_execnz .LBB614_60
.LBB614_43:
	s_or_b64 exec, exec, s[0:1]
	s_and_saveexec_b64 s[0:1], s[20:21]
	s_cbranch_execnz .LBB614_61
.LBB614_44:
	s_or_b64 exec, exec, s[0:1]
	s_and_saveexec_b64 s[0:1], s[22:23]
	s_cbranch_execnz .LBB614_62
.LBB614_45:
	s_or_b64 exec, exec, s[0:1]
	s_and_saveexec_b64 s[0:1], s[24:25]
	s_cbranch_execnz .LBB614_63
.LBB614_46:
	s_or_b64 exec, exec, s[0:1]
	s_and_saveexec_b64 s[0:1], s[26:27]
	s_cbranch_execnz .LBB614_64
.LBB614_47:
	s_or_b64 exec, exec, s[0:1]
	s_and_saveexec_b64 s[0:1], s[28:29]
	s_cbranch_execnz .LBB614_65
.LBB614_48:
	s_or_b64 exec, exec, s[0:1]
	s_and_b64 exec, exec, s[30:31]
	s_cbranch_execz .LBB614_50
.LBB614_49:
	s_waitcnt vmcnt(0)
	v_fma_mixlo_f16 v2, -v2, v25, v6
	global_store_short v[0:1], v2, off offset:1920
.LBB614_50:
	s_endpgm
.LBB614_51:
	s_waitcnt vmcnt(0)
	v_fma_mixlo_f16 v3, -v2, v10, v9
	global_store_short v[0:1], v3, off
	s_or_b64 exec, exec, s[18:19]
	s_and_saveexec_b64 s[18:19], s[0:1]
	s_cbranch_execz .LBB614_35
.LBB614_52:
	s_waitcnt vmcnt(0)
	v_fma_mixlo_f16 v3, -v2, v12, v7
	global_store_short v[0:1], v3, off offset:128
	s_or_b64 exec, exec, s[18:19]
	s_and_saveexec_b64 s[0:1], s[2:3]
	s_cbranch_execz .LBB614_36
.LBB614_53:
	s_waitcnt vmcnt(0)
	v_fma_mixlo_f16 v3, -v2, v14, v13
	global_store_short v[0:1], v3, off offset:256
	s_or_b64 exec, exec, s[0:1]
	s_and_saveexec_b64 s[0:1], s[4:5]
	s_cbranch_execz .LBB614_37
.LBB614_54:
	s_waitcnt vmcnt(0)
	v_fma_mixlo_f16 v3, -v2, v16, v11
	global_store_short v[0:1], v3, off offset:384
	s_or_b64 exec, exec, s[0:1]
	s_and_saveexec_b64 s[0:1], s[6:7]
	s_cbranch_execz .LBB614_38
.LBB614_55:
	s_waitcnt vmcnt(0)
	v_fma_mixlo_f16 v3, -v2, v18, v17
	global_store_short v[0:1], v3, off offset:512
	s_or_b64 exec, exec, s[0:1]
	s_and_saveexec_b64 s[0:1], s[8:9]
	s_cbranch_execz .LBB614_39
.LBB614_56:
	s_waitcnt vmcnt(0)
	v_fma_mixlo_f16 v3, -v2, v20, v15
	global_store_short v[0:1], v3, off offset:640
	s_or_b64 exec, exec, s[0:1]
	s_and_saveexec_b64 s[0:1], s[10:11]
	s_cbranch_execz .LBB614_40
.LBB614_57:
	s_waitcnt vmcnt(0)
	v_fma_mixlo_f16 v3, -v2, v22, v21
	global_store_short v[0:1], v3, off offset:768
	s_or_b64 exec, exec, s[0:1]
	s_and_saveexec_b64 s[0:1], s[12:13]
	s_cbranch_execz .LBB614_41
.LBB614_58:
	s_waitcnt vmcnt(0)
	v_fma_mixlo_f16 v3, -v2, v24, v19
	global_store_short v[0:1], v3, off offset:896
	s_or_b64 exec, exec, s[0:1]
	s_and_saveexec_b64 s[0:1], s[14:15]
	s_cbranch_execz .LBB614_42
.LBB614_59:
	s_waitcnt vmcnt(0)
	v_fma_mixlo_f16 v3, -v2, v27, v26
	global_store_short v[0:1], v3, off offset:1024
	s_or_b64 exec, exec, s[0:1]
	s_and_saveexec_b64 s[0:1], s[16:17]
	s_cbranch_execz .LBB614_43
.LBB614_60:
	s_waitcnt vmcnt(0)
	v_fma_mixlo_f16 v3, -v2, v29, v23
	global_store_short v[0:1], v3, off offset:1152
	s_or_b64 exec, exec, s[0:1]
	s_and_saveexec_b64 s[0:1], s[20:21]
	s_cbranch_execz .LBB614_44
.LBB614_61:
	s_waitcnt vmcnt(0)
	v_fma_mixlo_f16 v3, -v2, v31, v30
	global_store_short v[0:1], v3, off offset:1280
	s_or_b64 exec, exec, s[0:1]
	s_and_saveexec_b64 s[0:1], s[22:23]
	s_cbranch_execz .LBB614_45
.LBB614_62:
	s_waitcnt vmcnt(0)
	v_fma_mixlo_f16 v3, -v2, v33, v28
	global_store_short v[0:1], v3, off offset:1408
	s_or_b64 exec, exec, s[0:1]
	s_and_saveexec_b64 s[0:1], s[24:25]
	s_cbranch_execz .LBB614_46
.LBB614_63:
	s_waitcnt vmcnt(0)
	v_fma_mixlo_f16 v3, -v2, v35, v34
	global_store_short v[0:1], v3, off offset:1536
	s_or_b64 exec, exec, s[0:1]
	s_and_saveexec_b64 s[0:1], s[26:27]
	s_cbranch_execz .LBB614_47
.LBB614_64:
	s_waitcnt vmcnt(0)
	v_fma_mixlo_f16 v3, -v2, v36, v32
	global_store_short v[0:1], v3, off offset:1664
	s_or_b64 exec, exec, s[0:1]
	s_and_saveexec_b64 s[0:1], s[28:29]
	s_cbranch_execz .LBB614_48
.LBB614_65:
	s_waitcnt vmcnt(0)
	v_fma_mixlo_f16 v3, -v2, v38, v37
	global_store_short v[0:1], v3, off offset:1792
	s_or_b64 exec, exec, s[0:1]
	s_and_b64 exec, exec, s[30:31]
	s_cbranch_execnz .LBB614_49
	s_branch .LBB614_50
	.section	.rodata,"a",@progbits
	.p2align	6, 0x0
	.amdhsa_kernel _ZN12_GLOBAL__N_121softmax_warp_backwardIfN3c104HalfEfLi10ELb0ELb0ELi64EEEvPT0_PKT_S7_iiiPKb
		.amdhsa_group_segment_fixed_size 0
		.amdhsa_private_segment_fixed_size 0
		.amdhsa_kernarg_size 304
		.amdhsa_user_sgpr_count 6
		.amdhsa_user_sgpr_private_segment_buffer 1
		.amdhsa_user_sgpr_dispatch_ptr 0
		.amdhsa_user_sgpr_queue_ptr 0
		.amdhsa_user_sgpr_kernarg_segment_ptr 1
		.amdhsa_user_sgpr_dispatch_id 0
		.amdhsa_user_sgpr_flat_scratch_init 0
		.amdhsa_user_sgpr_kernarg_preload_length 0
		.amdhsa_user_sgpr_kernarg_preload_offset 0
		.amdhsa_user_sgpr_private_segment_size 0
		.amdhsa_uses_dynamic_stack 0
		.amdhsa_system_sgpr_private_segment_wavefront_offset 0
		.amdhsa_system_sgpr_workgroup_id_x 1
		.amdhsa_system_sgpr_workgroup_id_y 0
		.amdhsa_system_sgpr_workgroup_id_z 0
		.amdhsa_system_sgpr_workgroup_info 0
		.amdhsa_system_vgpr_workitem_id 1
		.amdhsa_next_free_vgpr 39
		.amdhsa_next_free_sgpr 40
		.amdhsa_accum_offset 40
		.amdhsa_reserve_vcc 1
		.amdhsa_reserve_flat_scratch 0
		.amdhsa_float_round_mode_32 0
		.amdhsa_float_round_mode_16_64 0
		.amdhsa_float_denorm_mode_32 3
		.amdhsa_float_denorm_mode_16_64 3
		.amdhsa_dx10_clamp 1
		.amdhsa_ieee_mode 1
		.amdhsa_fp16_overflow 0
		.amdhsa_tg_split 0
		.amdhsa_exception_fp_ieee_invalid_op 0
		.amdhsa_exception_fp_denorm_src 0
		.amdhsa_exception_fp_ieee_div_zero 0
		.amdhsa_exception_fp_ieee_overflow 0
		.amdhsa_exception_fp_ieee_underflow 0
		.amdhsa_exception_fp_ieee_inexact 0
		.amdhsa_exception_int_div_zero 0
	.end_amdhsa_kernel
	.section	.text._ZN12_GLOBAL__N_121softmax_warp_backwardIfN3c104HalfEfLi10ELb0ELb0ELi64EEEvPT0_PKT_S7_iiiPKb,"axG",@progbits,_ZN12_GLOBAL__N_121softmax_warp_backwardIfN3c104HalfEfLi10ELb0ELb0ELi64EEEvPT0_PKT_S7_iiiPKb,comdat
.Lfunc_end614:
	.size	_ZN12_GLOBAL__N_121softmax_warp_backwardIfN3c104HalfEfLi10ELb0ELb0ELi64EEEvPT0_PKT_S7_iiiPKb, .Lfunc_end614-_ZN12_GLOBAL__N_121softmax_warp_backwardIfN3c104HalfEfLi10ELb0ELb0ELi64EEEvPT0_PKT_S7_iiiPKb
                                        ; -- End function
	.section	.AMDGPU.csdata,"",@progbits
; Kernel info:
; codeLenInByte = 2076
; NumSgprs: 44
; NumVgprs: 39
; NumAgprs: 0
; TotalNumVgprs: 39
; ScratchSize: 0
; MemoryBound: 0
; FloatMode: 240
; IeeeMode: 1
; LDSByteSize: 0 bytes/workgroup (compile time only)
; SGPRBlocks: 5
; VGPRBlocks: 4
; NumSGPRsForWavesPerEU: 44
; NumVGPRsForWavesPerEU: 39
; AccumOffset: 40
; Occupancy: 8
; WaveLimiterHint : 0
; COMPUTE_PGM_RSRC2:SCRATCH_EN: 0
; COMPUTE_PGM_RSRC2:USER_SGPR: 6
; COMPUTE_PGM_RSRC2:TRAP_HANDLER: 0
; COMPUTE_PGM_RSRC2:TGID_X_EN: 1
; COMPUTE_PGM_RSRC2:TGID_Y_EN: 0
; COMPUTE_PGM_RSRC2:TGID_Z_EN: 0
; COMPUTE_PGM_RSRC2:TIDIG_COMP_CNT: 1
; COMPUTE_PGM_RSRC3_GFX90A:ACCUM_OFFSET: 9
; COMPUTE_PGM_RSRC3_GFX90A:TG_SPLIT: 0
	.section	.text._ZN12_GLOBAL__N_121softmax_warp_backwardIfN3c104HalfEfLi10ELb0ELb0ELi32EEEvPT0_PKT_S7_iiiPKb,"axG",@progbits,_ZN12_GLOBAL__N_121softmax_warp_backwardIfN3c104HalfEfLi10ELb0ELb0ELi32EEEvPT0_PKT_S7_iiiPKb,comdat
	.globl	_ZN12_GLOBAL__N_121softmax_warp_backwardIfN3c104HalfEfLi10ELb0ELb0ELi32EEEvPT0_PKT_S7_iiiPKb ; -- Begin function _ZN12_GLOBAL__N_121softmax_warp_backwardIfN3c104HalfEfLi10ELb0ELb0ELi32EEEvPT0_PKT_S7_iiiPKb
	.p2align	8
	.type	_ZN12_GLOBAL__N_121softmax_warp_backwardIfN3c104HalfEfLi10ELb0ELb0ELi32EEEvPT0_PKT_S7_iiiPKb,@function
_ZN12_GLOBAL__N_121softmax_warp_backwardIfN3c104HalfEfLi10ELb0ELb0ELi32EEEvPT0_PKT_S7_iiiPKb: ; @_ZN12_GLOBAL__N_121softmax_warp_backwardIfN3c104HalfEfLi10ELb0ELb0ELi32EEEvPT0_PKT_S7_iiiPKb
; %bb.0:
	s_load_dword s2, s[4:5], 0x3c
	s_load_dwordx4 s[64:67], s[4:5], 0x18
	s_load_dwordx4 s[68:71], s[4:5], 0x0
	s_load_dwordx2 s[0:1], s[4:5], 0x10
	v_bfe_u32 v1, v0, 10, 10
	s_waitcnt lgkmcnt(0)
	s_lshr_b32 s2, s2, 16
	s_mul_i32 s6, s6, s2
	v_and_b32_e32 v27, 0x3ff, v0
	v_add_u32_e32 v1, s6, v1
	v_and_b32_e32 v6, 31, v27
	v_sub_u32_e32 v8, s64, v1
	v_mad_u64_u32 v[0:1], s[2:3], v1, s65, v[6:7]
	v_ashrrev_i32_e32 v1, 31, v0
	v_lshlrev_b64 v[4:5], 2, v[0:1]
	v_mov_b32_e32 v3, s71
	v_add_co_u32_e32 v2, vcc, s70, v4
	v_addc_co_u32_e32 v3, vcc, v3, v5, vcc
	v_mov_b32_e32 v7, s1
	v_add_co_u32_e32 v4, vcc, s0, v4
	v_addc_co_u32_e32 v5, vcc, v7, v5, vcc
	v_cmp_lt_i32_e64 s[20:21], 0, v8
	v_cmp_gt_i32_e32 vcc, s66, v6
	s_and_b64 s[2:3], s[20:21], vcc
	v_mov_b32_e32 v7, 0
	v_mov_b32_e32 v9, 0
	;; [unrolled: 1-line block ×3, first 2 shown]
	s_and_saveexec_b64 s[0:1], s[2:3]
	s_cbranch_execz .LBB615_2
; %bb.1:
	global_load_dword v9, v[2:3], off
	global_load_dword v10, v[4:5], off
.LBB615_2:
	s_or_b64 exec, exec, s[0:1]
	v_or_b32_e32 v11, 32, v6
	v_cmp_gt_i32_e64 s[0:1], s66, v11
	s_and_b64 s[4:5], s[20:21], s[0:1]
	v_mov_b32_e32 v12, 0
	s_and_saveexec_b64 s[2:3], s[4:5]
	s_cbranch_execz .LBB615_4
; %bb.3:
	global_load_dword v7, v[2:3], off offset:128
	global_load_dword v12, v[4:5], off offset:128
.LBB615_4:
	s_or_b64 exec, exec, s[2:3]
	v_or_b32_e32 v11, 64, v6
	v_cmp_gt_i32_e64 s[2:3], s66, v11
	s_and_b64 s[6:7], s[20:21], s[2:3]
	v_mov_b32_e32 v11, 0
	v_mov_b32_e32 v13, 0
	v_mov_b32_e32 v14, 0
	s_and_saveexec_b64 s[4:5], s[6:7]
	s_cbranch_execz .LBB615_6
; %bb.5:
	global_load_dword v13, v[2:3], off offset:256
	global_load_dword v14, v[4:5], off offset:256
.LBB615_6:
	s_or_b64 exec, exec, s[4:5]
	v_or_b32_e32 v15, 0x60, v6
	v_cmp_gt_i32_e64 s[4:5], s66, v15
	s_and_b64 s[8:9], s[20:21], s[4:5]
	v_mov_b32_e32 v16, 0
	s_and_saveexec_b64 s[6:7], s[8:9]
	s_cbranch_execz .LBB615_8
; %bb.7:
	global_load_dword v11, v[2:3], off offset:384
	global_load_dword v16, v[4:5], off offset:384
.LBB615_8:
	s_or_b64 exec, exec, s[6:7]
	v_or_b32_e32 v15, 0x80, v6
	v_cmp_gt_i32_e64 s[6:7], s66, v15
	s_and_b64 s[10:11], s[20:21], s[6:7]
	v_mov_b32_e32 v15, 0
	v_mov_b32_e32 v17, 0
	v_mov_b32_e32 v18, 0
	s_and_saveexec_b64 s[8:9], s[10:11]
	s_cbranch_execz .LBB615_10
; %bb.9:
	global_load_dword v17, v[2:3], off offset:512
	global_load_dword v18, v[4:5], off offset:512
.LBB615_10:
	;; [unrolled: 24-line block ×15, first 2 shown]
	s_or_b64 exec, exec, s[64:65]
	v_or_b32_e32 v27, 0x3e0, v27
	v_cmp_gt_i32_e64 s[64:65], s66, v27
	s_and_b64 s[66:67], s[20:21], s[64:65]
	v_mov_b32_e32 v27, 0
	s_and_saveexec_b64 s[20:21], s[66:67]
	s_cbranch_execz .LBB615_64
; %bb.63:
	global_load_dword v6, v[2:3], off offset:3968
	global_load_dword v27, v[4:5], off offset:3968
.LBB615_64:
	s_or_b64 exec, exec, s[20:21]
	s_waitcnt vmcnt(1)
	v_add_f32_e32 v2, 0, v9
	v_add_f32_e32 v2, v2, v7
	;; [unrolled: 1-line block ×26, first 2 shown]
	v_mbcnt_lo_u32_b32 v3, -1, 0
	v_add_f32_e32 v2, v2, v62
	v_mbcnt_hi_u32_b32 v3, -1, v3
	v_add_f32_e32 v2, v2, v60
	v_and_b32_e32 v4, 0x60, v3
	v_add_f32_e32 v2, v2, v66
	v_add_u32_e32 v4, 32, v4
	v_xor_b32_e32 v5, 16, v3
	v_add_f32_e32 v2, v2, v64
	v_cmp_lt_i32_e64 s[20:21], v5, v4
	v_add_f32_e32 v2, v2, v69
	v_cndmask_b32_e64 v5, v3, v5, s[20:21]
	v_add_f32_e32 v2, v2, v6
	v_lshlrev_b32_e32 v5, 2, v5
	ds_bpermute_b32 v5, v5, v2
	s_waitcnt lgkmcnt(0)
	v_add_f32_e32 v2, v2, v5
	v_xor_b32_e32 v5, 8, v3
	v_cmp_lt_i32_e64 s[20:21], v5, v4
	v_cndmask_b32_e64 v5, v3, v5, s[20:21]
	v_lshlrev_b32_e32 v5, 2, v5
	ds_bpermute_b32 v5, v5, v2
	s_waitcnt lgkmcnt(0)
	v_add_f32_e32 v2, v2, v5
	v_xor_b32_e32 v5, 4, v3
	v_cmp_lt_i32_e64 s[20:21], v5, v4
	v_cndmask_b32_e64 v5, v3, v5, s[20:21]
	;; [unrolled: 7-line block ×4, first 2 shown]
	v_lshlrev_b32_e32 v3, 2, v3
	ds_bpermute_b32 v3, v3, v2
	v_cmp_lt_i32_e64 s[20:21], 0, v8
	s_and_saveexec_b64 s[66:67], s[20:21]
	s_cbranch_execz .LBB615_98
; %bb.65:
	v_lshlrev_b64 v[0:1], 1, v[0:1]
	v_mov_b32_e32 v4, s69
	v_add_co_u32_e64 v0, s[20:21], s68, v0
	v_addc_co_u32_e64 v1, s[20:21], v4, v1, s[20:21]
	s_waitcnt lgkmcnt(0)
	v_add_f32_e32 v2, v2, v3
	s_and_saveexec_b64 s[20:21], vcc
	s_cbranch_execnz .LBB615_99
; %bb.66:
	s_or_b64 exec, exec, s[20:21]
	s_and_saveexec_b64 s[20:21], s[0:1]
	s_cbranch_execnz .LBB615_100
.LBB615_67:
	s_or_b64 exec, exec, s[20:21]
	s_and_saveexec_b64 s[0:1], s[2:3]
	s_cbranch_execnz .LBB615_101
.LBB615_68:
	s_or_b64 exec, exec, s[0:1]
	s_and_saveexec_b64 s[0:1], s[4:5]
	s_cbranch_execnz .LBB615_102
.LBB615_69:
	s_or_b64 exec, exec, s[0:1]
	s_and_saveexec_b64 s[0:1], s[6:7]
	s_cbranch_execnz .LBB615_103
.LBB615_70:
	s_or_b64 exec, exec, s[0:1]
	s_and_saveexec_b64 s[0:1], s[8:9]
	s_cbranch_execnz .LBB615_104
.LBB615_71:
	s_or_b64 exec, exec, s[0:1]
	s_and_saveexec_b64 s[0:1], s[10:11]
	s_cbranch_execnz .LBB615_105
.LBB615_72:
	s_or_b64 exec, exec, s[0:1]
	s_and_saveexec_b64 s[0:1], s[12:13]
	s_cbranch_execnz .LBB615_106
.LBB615_73:
	s_or_b64 exec, exec, s[0:1]
	s_and_saveexec_b64 s[0:1], s[14:15]
	s_cbranch_execnz .LBB615_107
.LBB615_74:
	s_or_b64 exec, exec, s[0:1]
	s_and_saveexec_b64 s[0:1], s[16:17]
	s_cbranch_execnz .LBB615_108
.LBB615_75:
	s_or_b64 exec, exec, s[0:1]
	s_and_saveexec_b64 s[0:1], s[18:19]
	s_cbranch_execnz .LBB615_109
.LBB615_76:
	s_or_b64 exec, exec, s[0:1]
	s_and_saveexec_b64 s[0:1], s[22:23]
	s_cbranch_execnz .LBB615_110
.LBB615_77:
	s_or_b64 exec, exec, s[0:1]
	s_and_saveexec_b64 s[0:1], s[24:25]
	s_cbranch_execnz .LBB615_111
.LBB615_78:
	s_or_b64 exec, exec, s[0:1]
	s_and_saveexec_b64 s[0:1], s[26:27]
	s_cbranch_execnz .LBB615_112
.LBB615_79:
	s_or_b64 exec, exec, s[0:1]
	s_and_saveexec_b64 s[0:1], s[28:29]
	s_cbranch_execnz .LBB615_113
.LBB615_80:
	s_or_b64 exec, exec, s[0:1]
	s_and_saveexec_b64 s[0:1], s[30:31]
	s_cbranch_execnz .LBB615_114
.LBB615_81:
	s_or_b64 exec, exec, s[0:1]
	s_and_saveexec_b64 s[0:1], s[34:35]
	s_cbranch_execnz .LBB615_115
.LBB615_82:
	s_or_b64 exec, exec, s[0:1]
	s_and_saveexec_b64 s[0:1], s[36:37]
	s_cbranch_execnz .LBB615_116
.LBB615_83:
	s_or_b64 exec, exec, s[0:1]
	s_and_saveexec_b64 s[0:1], s[38:39]
	s_cbranch_execnz .LBB615_117
.LBB615_84:
	s_or_b64 exec, exec, s[0:1]
	s_and_saveexec_b64 s[0:1], s[40:41]
	s_cbranch_execnz .LBB615_118
.LBB615_85:
	s_or_b64 exec, exec, s[0:1]
	s_and_saveexec_b64 s[0:1], s[42:43]
	s_cbranch_execnz .LBB615_119
.LBB615_86:
	s_or_b64 exec, exec, s[0:1]
	s_and_saveexec_b64 s[0:1], s[44:45]
	s_cbranch_execnz .LBB615_120
.LBB615_87:
	s_or_b64 exec, exec, s[0:1]
	s_and_saveexec_b64 s[0:1], s[46:47]
	s_cbranch_execnz .LBB615_121
.LBB615_88:
	s_or_b64 exec, exec, s[0:1]
	s_and_saveexec_b64 s[0:1], s[48:49]
	s_cbranch_execnz .LBB615_122
.LBB615_89:
	s_or_b64 exec, exec, s[0:1]
	s_and_saveexec_b64 s[0:1], s[50:51]
	s_cbranch_execnz .LBB615_123
.LBB615_90:
	s_or_b64 exec, exec, s[0:1]
	s_and_saveexec_b64 s[0:1], s[52:53]
	s_cbranch_execnz .LBB615_124
.LBB615_91:
	s_or_b64 exec, exec, s[0:1]
	s_and_saveexec_b64 s[0:1], s[54:55]
	s_cbranch_execnz .LBB615_125
.LBB615_92:
	s_or_b64 exec, exec, s[0:1]
	s_and_saveexec_b64 s[0:1], s[56:57]
	s_cbranch_execnz .LBB615_126
.LBB615_93:
	s_or_b64 exec, exec, s[0:1]
	s_and_saveexec_b64 s[0:1], s[58:59]
	s_cbranch_execnz .LBB615_127
.LBB615_94:
	s_or_b64 exec, exec, s[0:1]
	s_and_saveexec_b64 s[0:1], s[60:61]
	s_cbranch_execnz .LBB615_128
.LBB615_95:
	s_or_b64 exec, exec, s[0:1]
	s_and_saveexec_b64 s[0:1], s[62:63]
	s_cbranch_execnz .LBB615_129
.LBB615_96:
	s_or_b64 exec, exec, s[0:1]
	s_and_b64 exec, exec, s[64:65]
	s_cbranch_execz .LBB615_98
.LBB615_97:
	s_waitcnt vmcnt(0)
	v_fma_mixlo_f16 v2, -v2, v27, v6
	global_store_short v[0:1], v2, off offset:1984
.LBB615_98:
	s_endpgm
.LBB615_99:
	s_waitcnt vmcnt(0)
	v_fma_mixlo_f16 v3, -v2, v10, v9
	global_store_short v[0:1], v3, off
	s_or_b64 exec, exec, s[20:21]
	s_and_saveexec_b64 s[20:21], s[0:1]
	s_cbranch_execz .LBB615_67
.LBB615_100:
	s_waitcnt vmcnt(0)
	v_fma_mixlo_f16 v3, -v2, v12, v7
	global_store_short v[0:1], v3, off offset:64
	s_or_b64 exec, exec, s[20:21]
	s_and_saveexec_b64 s[0:1], s[2:3]
	s_cbranch_execz .LBB615_68
.LBB615_101:
	s_waitcnt vmcnt(0)
	v_fma_mixlo_f16 v3, -v2, v14, v13
	global_store_short v[0:1], v3, off offset:128
	s_or_b64 exec, exec, s[0:1]
	s_and_saveexec_b64 s[0:1], s[4:5]
	s_cbranch_execz .LBB615_69
.LBB615_102:
	s_waitcnt vmcnt(0)
	v_fma_mixlo_f16 v3, -v2, v16, v11
	global_store_short v[0:1], v3, off offset:192
	s_or_b64 exec, exec, s[0:1]
	s_and_saveexec_b64 s[0:1], s[6:7]
	s_cbranch_execz .LBB615_70
.LBB615_103:
	s_waitcnt vmcnt(0)
	v_fma_mixlo_f16 v3, -v2, v18, v17
	global_store_short v[0:1], v3, off offset:256
	s_or_b64 exec, exec, s[0:1]
	s_and_saveexec_b64 s[0:1], s[8:9]
	s_cbranch_execz .LBB615_71
.LBB615_104:
	s_waitcnt vmcnt(0)
	v_fma_mixlo_f16 v3, -v2, v20, v15
	global_store_short v[0:1], v3, off offset:320
	s_or_b64 exec, exec, s[0:1]
	s_and_saveexec_b64 s[0:1], s[10:11]
	s_cbranch_execz .LBB615_72
.LBB615_105:
	s_waitcnt vmcnt(0)
	v_fma_mixlo_f16 v3, -v2, v22, v21
	global_store_short v[0:1], v3, off offset:384
	s_or_b64 exec, exec, s[0:1]
	s_and_saveexec_b64 s[0:1], s[12:13]
	s_cbranch_execz .LBB615_73
.LBB615_106:
	s_waitcnt vmcnt(0)
	v_fma_mixlo_f16 v3, -v2, v24, v19
	global_store_short v[0:1], v3, off offset:448
	s_or_b64 exec, exec, s[0:1]
	s_and_saveexec_b64 s[0:1], s[14:15]
	s_cbranch_execz .LBB615_74
.LBB615_107:
	s_waitcnt vmcnt(0)
	v_fma_mixlo_f16 v3, -v2, v26, v25
	global_store_short v[0:1], v3, off offset:512
	s_or_b64 exec, exec, s[0:1]
	s_and_saveexec_b64 s[0:1], s[16:17]
	s_cbranch_execz .LBB615_75
.LBB615_108:
	s_waitcnt vmcnt(0)
	v_fma_mixlo_f16 v3, -v2, v29, v23
	global_store_short v[0:1], v3, off offset:576
	s_or_b64 exec, exec, s[0:1]
	s_and_saveexec_b64 s[0:1], s[18:19]
	s_cbranch_execz .LBB615_76
.LBB615_109:
	s_waitcnt vmcnt(0)
	v_fma_mixlo_f16 v3, -v2, v31, v30
	global_store_short v[0:1], v3, off offset:640
	s_or_b64 exec, exec, s[0:1]
	s_and_saveexec_b64 s[0:1], s[22:23]
	s_cbranch_execz .LBB615_77
.LBB615_110:
	s_waitcnt vmcnt(0)
	v_fma_mixlo_f16 v3, -v2, v33, v28
	global_store_short v[0:1], v3, off offset:704
	s_or_b64 exec, exec, s[0:1]
	s_and_saveexec_b64 s[0:1], s[24:25]
	s_cbranch_execz .LBB615_78
.LBB615_111:
	s_waitcnt vmcnt(0)
	v_fma_mixlo_f16 v3, -v2, v35, v34
	global_store_short v[0:1], v3, off offset:768
	s_or_b64 exec, exec, s[0:1]
	s_and_saveexec_b64 s[0:1], s[26:27]
	s_cbranch_execz .LBB615_79
.LBB615_112:
	s_waitcnt vmcnt(0)
	v_fma_mixlo_f16 v3, -v2, v37, v32
	global_store_short v[0:1], v3, off offset:832
	s_or_b64 exec, exec, s[0:1]
	s_and_saveexec_b64 s[0:1], s[28:29]
	s_cbranch_execz .LBB615_80
.LBB615_113:
	s_waitcnt vmcnt(0)
	v_fma_mixlo_f16 v3, -v2, v39, v38
	global_store_short v[0:1], v3, off offset:896
	s_or_b64 exec, exec, s[0:1]
	s_and_saveexec_b64 s[0:1], s[30:31]
	s_cbranch_execz .LBB615_81
.LBB615_114:
	s_waitcnt vmcnt(0)
	v_fma_mixlo_f16 v3, -v2, v41, v36
	global_store_short v[0:1], v3, off offset:960
	s_or_b64 exec, exec, s[0:1]
	s_and_saveexec_b64 s[0:1], s[34:35]
	s_cbranch_execz .LBB615_82
.LBB615_115:
	s_waitcnt vmcnt(0)
	v_fma_mixlo_f16 v3, -v2, v43, v42
	global_store_short v[0:1], v3, off offset:1024
	s_or_b64 exec, exec, s[0:1]
	s_and_saveexec_b64 s[0:1], s[36:37]
	s_cbranch_execz .LBB615_83
.LBB615_116:
	s_waitcnt vmcnt(0)
	v_fma_mixlo_f16 v3, -v2, v45, v40
	global_store_short v[0:1], v3, off offset:1088
	s_or_b64 exec, exec, s[0:1]
	s_and_saveexec_b64 s[0:1], s[38:39]
	s_cbranch_execz .LBB615_84
.LBB615_117:
	s_waitcnt vmcnt(0)
	v_fma_mixlo_f16 v3, -v2, v47, v46
	global_store_short v[0:1], v3, off offset:1152
	s_or_b64 exec, exec, s[0:1]
	s_and_saveexec_b64 s[0:1], s[40:41]
	s_cbranch_execz .LBB615_85
.LBB615_118:
	s_waitcnt vmcnt(0)
	v_fma_mixlo_f16 v3, -v2, v49, v44
	global_store_short v[0:1], v3, off offset:1216
	s_or_b64 exec, exec, s[0:1]
	s_and_saveexec_b64 s[0:1], s[42:43]
	s_cbranch_execz .LBB615_86
.LBB615_119:
	s_waitcnt vmcnt(0)
	v_fma_mixlo_f16 v3, -v2, v51, v50
	global_store_short v[0:1], v3, off offset:1280
	s_or_b64 exec, exec, s[0:1]
	s_and_saveexec_b64 s[0:1], s[44:45]
	s_cbranch_execz .LBB615_87
.LBB615_120:
	s_waitcnt vmcnt(0)
	v_fma_mixlo_f16 v3, -v2, v53, v48
	global_store_short v[0:1], v3, off offset:1344
	s_or_b64 exec, exec, s[0:1]
	s_and_saveexec_b64 s[0:1], s[46:47]
	s_cbranch_execz .LBB615_88
.LBB615_121:
	s_waitcnt vmcnt(0)
	v_fma_mixlo_f16 v3, -v2, v55, v54
	global_store_short v[0:1], v3, off offset:1408
	s_or_b64 exec, exec, s[0:1]
	s_and_saveexec_b64 s[0:1], s[48:49]
	s_cbranch_execz .LBB615_89
.LBB615_122:
	s_waitcnt vmcnt(0)
	v_fma_mixlo_f16 v3, -v2, v57, v52
	global_store_short v[0:1], v3, off offset:1472
	s_or_b64 exec, exec, s[0:1]
	s_and_saveexec_b64 s[0:1], s[50:51]
	s_cbranch_execz .LBB615_90
.LBB615_123:
	s_waitcnt vmcnt(0)
	v_fma_mixlo_f16 v3, -v2, v59, v58
	global_store_short v[0:1], v3, off offset:1536
	s_or_b64 exec, exec, s[0:1]
	s_and_saveexec_b64 s[0:1], s[52:53]
	s_cbranch_execz .LBB615_91
.LBB615_124:
	s_waitcnt vmcnt(0)
	v_fma_mixlo_f16 v3, -v2, v61, v56
	global_store_short v[0:1], v3, off offset:1600
	s_or_b64 exec, exec, s[0:1]
	s_and_saveexec_b64 s[0:1], s[54:55]
	s_cbranch_execz .LBB615_92
.LBB615_125:
	s_waitcnt vmcnt(0)
	v_fma_mixlo_f16 v3, -v2, v63, v62
	global_store_short v[0:1], v3, off offset:1664
	s_or_b64 exec, exec, s[0:1]
	s_and_saveexec_b64 s[0:1], s[56:57]
	s_cbranch_execz .LBB615_93
.LBB615_126:
	s_waitcnt vmcnt(0)
	v_fma_mixlo_f16 v3, -v2, v65, v60
	global_store_short v[0:1], v3, off offset:1728
	s_or_b64 exec, exec, s[0:1]
	s_and_saveexec_b64 s[0:1], s[58:59]
	s_cbranch_execz .LBB615_94
.LBB615_127:
	s_waitcnt vmcnt(0)
	v_fma_mixlo_f16 v3, -v2, v67, v66
	global_store_short v[0:1], v3, off offset:1792
	s_or_b64 exec, exec, s[0:1]
	s_and_saveexec_b64 s[0:1], s[60:61]
	s_cbranch_execz .LBB615_95
.LBB615_128:
	s_waitcnt vmcnt(0)
	v_fma_mixlo_f16 v3, -v2, v68, v64
	global_store_short v[0:1], v3, off offset:1856
	s_or_b64 exec, exec, s[0:1]
	s_and_saveexec_b64 s[0:1], s[62:63]
	s_cbranch_execz .LBB615_96
.LBB615_129:
	s_waitcnt vmcnt(0)
	v_fma_mixlo_f16 v3, -v2, v70, v69
	global_store_short v[0:1], v3, off offset:1920
	s_or_b64 exec, exec, s[0:1]
	s_and_b64 exec, exec, s[64:65]
	s_cbranch_execnz .LBB615_97
	s_branch .LBB615_98
	.section	.rodata,"a",@progbits
	.p2align	6, 0x0
	.amdhsa_kernel _ZN12_GLOBAL__N_121softmax_warp_backwardIfN3c104HalfEfLi10ELb0ELb0ELi32EEEvPT0_PKT_S7_iiiPKb
		.amdhsa_group_segment_fixed_size 0
		.amdhsa_private_segment_fixed_size 0
		.amdhsa_kernarg_size 304
		.amdhsa_user_sgpr_count 6
		.amdhsa_user_sgpr_private_segment_buffer 1
		.amdhsa_user_sgpr_dispatch_ptr 0
		.amdhsa_user_sgpr_queue_ptr 0
		.amdhsa_user_sgpr_kernarg_segment_ptr 1
		.amdhsa_user_sgpr_dispatch_id 0
		.amdhsa_user_sgpr_flat_scratch_init 0
		.amdhsa_user_sgpr_kernarg_preload_length 0
		.amdhsa_user_sgpr_kernarg_preload_offset 0
		.amdhsa_user_sgpr_private_segment_size 0
		.amdhsa_uses_dynamic_stack 0
		.amdhsa_system_sgpr_private_segment_wavefront_offset 0
		.amdhsa_system_sgpr_workgroup_id_x 1
		.amdhsa_system_sgpr_workgroup_id_y 0
		.amdhsa_system_sgpr_workgroup_id_z 0
		.amdhsa_system_sgpr_workgroup_info 0
		.amdhsa_system_vgpr_workitem_id 1
		.amdhsa_next_free_vgpr 71
		.amdhsa_next_free_sgpr 72
		.amdhsa_accum_offset 72
		.amdhsa_reserve_vcc 1
		.amdhsa_reserve_flat_scratch 0
		.amdhsa_float_round_mode_32 0
		.amdhsa_float_round_mode_16_64 0
		.amdhsa_float_denorm_mode_32 3
		.amdhsa_float_denorm_mode_16_64 3
		.amdhsa_dx10_clamp 1
		.amdhsa_ieee_mode 1
		.amdhsa_fp16_overflow 0
		.amdhsa_tg_split 0
		.amdhsa_exception_fp_ieee_invalid_op 0
		.amdhsa_exception_fp_denorm_src 0
		.amdhsa_exception_fp_ieee_div_zero 0
		.amdhsa_exception_fp_ieee_overflow 0
		.amdhsa_exception_fp_ieee_underflow 0
		.amdhsa_exception_fp_ieee_inexact 0
		.amdhsa_exception_int_div_zero 0
	.end_amdhsa_kernel
	.section	.text._ZN12_GLOBAL__N_121softmax_warp_backwardIfN3c104HalfEfLi10ELb0ELb0ELi32EEEvPT0_PKT_S7_iiiPKb,"axG",@progbits,_ZN12_GLOBAL__N_121softmax_warp_backwardIfN3c104HalfEfLi10ELb0ELb0ELi32EEEvPT0_PKT_S7_iiiPKb,comdat
.Lfunc_end615:
	.size	_ZN12_GLOBAL__N_121softmax_warp_backwardIfN3c104HalfEfLi10ELb0ELb0ELi32EEEvPT0_PKT_S7_iiiPKb, .Lfunc_end615-_ZN12_GLOBAL__N_121softmax_warp_backwardIfN3c104HalfEfLi10ELb0ELb0ELi32EEEvPT0_PKT_S7_iiiPKb
                                        ; -- End function
	.section	.AMDGPU.csdata,"",@progbits
; Kernel info:
; codeLenInByte = 3700
; NumSgprs: 76
; NumVgprs: 71
; NumAgprs: 0
; TotalNumVgprs: 71
; ScratchSize: 0
; MemoryBound: 0
; FloatMode: 240
; IeeeMode: 1
; LDSByteSize: 0 bytes/workgroup (compile time only)
; SGPRBlocks: 9
; VGPRBlocks: 8
; NumSGPRsForWavesPerEU: 76
; NumVGPRsForWavesPerEU: 71
; AccumOffset: 72
; Occupancy: 7
; WaveLimiterHint : 0
; COMPUTE_PGM_RSRC2:SCRATCH_EN: 0
; COMPUTE_PGM_RSRC2:USER_SGPR: 6
; COMPUTE_PGM_RSRC2:TRAP_HANDLER: 0
; COMPUTE_PGM_RSRC2:TGID_X_EN: 1
; COMPUTE_PGM_RSRC2:TGID_Y_EN: 0
; COMPUTE_PGM_RSRC2:TGID_Z_EN: 0
; COMPUTE_PGM_RSRC2:TIDIG_COMP_CNT: 1
; COMPUTE_PGM_RSRC3_GFX90A:ACCUM_OFFSET: 17
; COMPUTE_PGM_RSRC3_GFX90A:TG_SPLIT: 0
	.section	.text._ZN2at6native12_GLOBAL__N_124cunn_SoftMaxBackwardSmemILi4EN3c104HalfEffNS1_23SoftMaxBackwardEpilogueEEEvPT0_PKT2_SA_l,"axG",@progbits,_ZN2at6native12_GLOBAL__N_124cunn_SoftMaxBackwardSmemILi4EN3c104HalfEffNS1_23SoftMaxBackwardEpilogueEEEvPT0_PKT2_SA_l,comdat
	.globl	_ZN2at6native12_GLOBAL__N_124cunn_SoftMaxBackwardSmemILi4EN3c104HalfEffNS1_23SoftMaxBackwardEpilogueEEEvPT0_PKT2_SA_l ; -- Begin function _ZN2at6native12_GLOBAL__N_124cunn_SoftMaxBackwardSmemILi4EN3c104HalfEffNS1_23SoftMaxBackwardEpilogueEEEvPT0_PKT2_SA_l
	.p2align	8
	.type	_ZN2at6native12_GLOBAL__N_124cunn_SoftMaxBackwardSmemILi4EN3c104HalfEffNS1_23SoftMaxBackwardEpilogueEEEvPT0_PKT2_SA_l,@function
_ZN2at6native12_GLOBAL__N_124cunn_SoftMaxBackwardSmemILi4EN3c104HalfEffNS1_23SoftMaxBackwardEpilogueEEEvPT0_PKT2_SA_l: ; @_ZN2at6native12_GLOBAL__N_124cunn_SoftMaxBackwardSmemILi4EN3c104HalfEffNS1_23SoftMaxBackwardEpilogueEEEvPT0_PKT2_SA_l
; %bb.0:
	s_load_dwordx8 s[8:15], s[4:5], 0x0
	v_lshlrev_b32_e32 v2, 2, v0
	v_mov_b32_e32 v3, 0
	v_lshl_add_u32 v8, v0, 4, 0
	s_waitcnt lgkmcnt(0)
	s_mul_i32 s0, s6, s15
	s_mul_hi_u32 s1, s6, s14
	s_mul_i32 s2, s6, s14
	s_add_i32 s3, s1, s0
	v_cmp_gt_i64_e32 vcc, s[14:15], v[2:3]
	s_and_saveexec_b64 s[6:7], vcc
	s_cbranch_execz .LBB616_4
; %bb.1:
	s_load_dword s17, s[4:5], 0x2c
	s_lshl_b64 s[0:1], s[2:3], 2
	s_add_u32 s16, s12, s0
	s_addc_u32 s0, s13, s1
	v_lshl_add_u32 v1, v0, 4, 0
	s_waitcnt lgkmcnt(0)
	s_and_b32 s17, s17, 0xffff
	v_add_lshl_u32 v4, v0, s17, 2
	s_lshl_b32 s18, s17, 2
	s_lshl_b32 s19, s17, 4
	s_mov_b64 s[12:13], 0
	v_mov_b32_e32 v3, 0
	v_mov_b32_e32 v2, s0
	;; [unrolled: 1-line block ×3, first 2 shown]
.LBB616_2:                              ; =>This Inner Loop Header: Depth=1
	v_ashrrev_i32_e32 v7, 31, v6
	v_lshlrev_b64 v[10:11], 4, v[6:7]
	v_add_co_u32_e64 v10, s[0:1], s16, v10
	v_addc_co_u32_e64 v11, s[0:1], v2, v11, s[0:1]
	global_load_dwordx4 v[10:13], v[10:11], off
	v_ashrrev_i32_e32 v5, 31, v4
	v_cmp_le_i64_e64 s[0:1], s[14:15], v[4:5]
	v_add_u32_e32 v6, s17, v6
	v_add_u32_e32 v4, s18, v4
	s_or_b64 s[12:13], s[0:1], s[12:13]
	s_waitcnt vmcnt(0)
	v_add_f32_e32 v3, v3, v10
	v_add_f32_e32 v3, v3, v11
	;; [unrolled: 1-line block ×3, first 2 shown]
	ds_write_b128 v1, v[10:13]
	v_add_u32_e32 v1, s19, v1
	v_add_f32_e32 v3, v3, v13
	s_andn2_b64 exec, exec, s[12:13]
	s_cbranch_execnz .LBB616_2
; %bb.3:
	s_or_b64 exec, exec, s[12:13]
.LBB616_4:
	s_or_b64 exec, exec, s[6:7]
	v_mbcnt_lo_u32_b32 v1, -1, 0
	v_mbcnt_hi_u32_b32 v6, -1, v1
	v_and_b32_e32 v10, 63, v6
	v_cmp_gt_u32_e64 s[0:1], 32, v10
	v_cndmask_b32_e64 v1, 0, 1, s[0:1]
	v_lshlrev_b32_e32 v1, 5, v1
	v_add_lshl_u32 v1, v1, v6, 2
	ds_bpermute_b32 v2, v1, v3
	v_cmp_gt_u32_e64 s[0:1], 48, v10
	v_cndmask_b32_e64 v4, 0, 1, s[0:1]
	v_lshlrev_b32_e32 v4, 4, v4
	v_cmp_gt_u32_e64 s[0:1], 56, v10
	s_waitcnt lgkmcnt(0)
	v_add_f32_e32 v3, v3, v2
	v_add_lshl_u32 v2, v4, v6, 2
	ds_bpermute_b32 v4, v2, v3
	v_cndmask_b32_e64 v5, 0, 1, s[0:1]
	v_lshlrev_b32_e32 v5, 3, v5
	v_cmp_gt_u32_e64 s[0:1], 60, v10
	v_cndmask_b32_e64 v7, 0, 1, s[0:1]
	s_waitcnt lgkmcnt(0)
	v_add_f32_e32 v4, v3, v4
	v_add_lshl_u32 v3, v5, v6, 2
	ds_bpermute_b32 v5, v3, v4
	v_lshlrev_b32_e32 v7, 2, v7
	v_cmp_gt_u32_e64 s[0:1], 62, v10
	v_cndmask_b32_e64 v9, 0, 1, s[0:1]
	v_lshlrev_b32_e32 v9, 1, v9
	s_waitcnt lgkmcnt(0)
	v_add_f32_e32 v5, v4, v5
	v_add_lshl_u32 v4, v7, v6, 2
	ds_bpermute_b32 v7, v4, v5
	s_lshl_b32 s0, s14, 2
	s_add_i32 s12, s0, 0
	v_cmp_ne_u32_e64 s[0:1], 63, v10
	s_waitcnt lgkmcnt(0)
	v_add_f32_e32 v11, v5, v7
	v_add_lshl_u32 v5, v9, v6, 2
	ds_bpermute_b32 v9, v5, v11
	v_addc_co_u32_e64 v6, s[0:1], 0, v6, s[0:1]
	v_lshlrev_b32_e32 v6, 2, v6
	v_and_b32_e32 v7, 63, v0
	s_waitcnt lgkmcnt(0)
	v_add_f32_e32 v9, v11, v9
	ds_bpermute_b32 v10, v6, v9
	v_cmp_eq_u32_e64 s[0:1], 0, v7
	s_barrier
	s_waitcnt lgkmcnt(0)
	s_and_saveexec_b64 s[6:7], s[0:1]
	s_cbranch_execz .LBB616_6
; %bb.5:
	v_lshrrev_b32_e32 v11, 4, v0
	v_add_u32_e32 v11, s12, v11
	v_add_f32_e32 v9, v9, v10
	ds_write_b32 v11, v9
.LBB616_6:
	s_or_b64 exec, exec, s[6:7]
	s_waitcnt lgkmcnt(0)
	s_barrier
	s_load_dword s6, s[4:5], 0x2c
	v_mov_b32_e32 v9, 0
	s_waitcnt lgkmcnt(0)
	s_bfe_u32 s0, s6, 0xa0006
	v_cmp_gt_u32_e64 s[0:1], s0, v0
	s_and_saveexec_b64 s[4:5], s[0:1]
	s_cbranch_execnz .LBB616_14
; %bb.7:
	s_or_b64 exec, exec, s[4:5]
	v_cmp_gt_u32_e64 s[0:1], 64, v0
	s_and_saveexec_b64 s[4:5], s[0:1]
	s_cbranch_execnz .LBB616_15
.LBB616_8:
	s_or_b64 exec, exec, s[4:5]
	v_cmp_eq_u32_e64 s[0:1], 0, v0
	s_and_saveexec_b64 s[4:5], s[0:1]
	s_cbranch_execz .LBB616_10
.LBB616_9:
	v_mov_b32_e32 v1, s12
	s_waitcnt lgkmcnt(0)
	ds_write_b32 v1, v9
.LBB616_10:
	s_or_b64 exec, exec, s[4:5]
	s_waitcnt lgkmcnt(0)
	s_barrier
	s_and_saveexec_b64 s[0:1], vcc
	s_cbranch_execz .LBB616_13
; %bb.11:
	v_mov_b32_e32 v1, s12
	ds_read_b32 v2, v1
	s_and_b32 s4, s6, 0xffff
	s_lshl_b64 s[0:1], s[2:3], 1
	s_add_u32 s5, s8, s0
	s_addc_u32 s9, s9, s1
	s_lshl_b64 s[0:1], s[2:3], 2
	s_add_u32 s6, s10, s0
	s_addc_u32 s0, s11, s1
	s_waitcnt lgkmcnt(0)
	v_xor_b32_e32 v6, 0x80000000, v2
	v_mov_b32_e32 v3, v2
	v_add_lshl_u32 v4, v0, s4, 2
	s_lshl_b32 s7, s4, 2
	s_lshl_b32 s8, s4, 4
	s_mov_b64 s[2:3], 0
	v_mov_b32_e32 v9, s0
	v_mov_b32_e32 v10, s9
	;; [unrolled: 1-line block ×3, first 2 shown]
.LBB616_12:                             ; =>This Inner Loop Header: Depth=1
	v_ashrrev_i32_e32 v1, 31, v0
	v_lshlrev_b64 v[12:13], 4, v[0:1]
	v_add_co_u32_e32 v12, vcc, s6, v12
	v_addc_co_u32_e32 v13, vcc, v9, v13, vcc
	global_load_dwordx4 v[12:15], v[12:13], off
	ds_read_b128 v[16:19], v8
	v_ashrrev_i32_e32 v5, 31, v4
	v_lshlrev_b64 v[20:21], 3, v[0:1]
	v_cmp_le_i64_e32 vcc, s[14:15], v[4:5]
	v_add_co_u32_e64 v20, s[0:1], s5, v20
	v_add_u32_e32 v8, s8, v8
	v_add_u32_e32 v0, s4, v0
	v_add_u32_e32 v4, s7, v4
	v_addc_co_u32_e64 v21, s[0:1], v10, v21, s[0:1]
	s_or_b64 s[2:3], vcc, s[2:3]
	s_waitcnt vmcnt(0) lgkmcnt(0)
	v_pk_fma_f32 v[14:15], v[6:7], v[14:15], v[18:19]
	v_pk_fma_f32 v[12:13], v[2:3], v[12:13], v[16:17] neg_lo:[1,0,0] neg_hi:[1,0,0]
	v_cvt_f16_f32_e32 v1, v15
	v_cvt_f16_f32_e32 v5, v14
	;; [unrolled: 1-line block ×4, first 2 shown]
	v_pack_b32_f16 v13, v5, v1
	v_pack_b32_f16 v12, v12, v11
	global_store_dwordx2 v[20:21], v[12:13], off
	s_andn2_b64 exec, exec, s[2:3]
	s_cbranch_execnz .LBB616_12
.LBB616_13:
	s_endpgm
.LBB616_14:
	v_lshl_add_u32 v7, v7, 2, s12
	ds_read_b32 v9, v7
	s_or_b64 exec, exec, s[4:5]
	v_cmp_gt_u32_e64 s[0:1], 64, v0
	s_and_saveexec_b64 s[4:5], s[0:1]
	s_cbranch_execz .LBB616_8
.LBB616_15:
	s_waitcnt lgkmcnt(0)
	ds_bpermute_b32 v1, v1, v9
	s_waitcnt lgkmcnt(0)
	v_add_f32_e32 v1, v9, v1
	ds_bpermute_b32 v2, v2, v1
	s_waitcnt lgkmcnt(0)
	v_add_f32_e32 v1, v1, v2
	;; [unrolled: 3-line block ×6, first 2 shown]
	s_or_b64 exec, exec, s[4:5]
	v_cmp_eq_u32_e64 s[0:1], 0, v0
	s_and_saveexec_b64 s[4:5], s[0:1]
	s_cbranch_execnz .LBB616_9
	s_branch .LBB616_10
	.section	.rodata,"a",@progbits
	.p2align	6, 0x0
	.amdhsa_kernel _ZN2at6native12_GLOBAL__N_124cunn_SoftMaxBackwardSmemILi4EN3c104HalfEffNS1_23SoftMaxBackwardEpilogueEEEvPT0_PKT2_SA_l
		.amdhsa_group_segment_fixed_size 0
		.amdhsa_private_segment_fixed_size 0
		.amdhsa_kernarg_size 288
		.amdhsa_user_sgpr_count 6
		.amdhsa_user_sgpr_private_segment_buffer 1
		.amdhsa_user_sgpr_dispatch_ptr 0
		.amdhsa_user_sgpr_queue_ptr 0
		.amdhsa_user_sgpr_kernarg_segment_ptr 1
		.amdhsa_user_sgpr_dispatch_id 0
		.amdhsa_user_sgpr_flat_scratch_init 0
		.amdhsa_user_sgpr_kernarg_preload_length 0
		.amdhsa_user_sgpr_kernarg_preload_offset 0
		.amdhsa_user_sgpr_private_segment_size 0
		.amdhsa_uses_dynamic_stack 0
		.amdhsa_system_sgpr_private_segment_wavefront_offset 0
		.amdhsa_system_sgpr_workgroup_id_x 1
		.amdhsa_system_sgpr_workgroup_id_y 0
		.amdhsa_system_sgpr_workgroup_id_z 0
		.amdhsa_system_sgpr_workgroup_info 0
		.amdhsa_system_vgpr_workitem_id 0
		.amdhsa_next_free_vgpr 22
		.amdhsa_next_free_sgpr 20
		.amdhsa_accum_offset 24
		.amdhsa_reserve_vcc 1
		.amdhsa_reserve_flat_scratch 0
		.amdhsa_float_round_mode_32 0
		.amdhsa_float_round_mode_16_64 0
		.amdhsa_float_denorm_mode_32 3
		.amdhsa_float_denorm_mode_16_64 3
		.amdhsa_dx10_clamp 1
		.amdhsa_ieee_mode 1
		.amdhsa_fp16_overflow 0
		.amdhsa_tg_split 0
		.amdhsa_exception_fp_ieee_invalid_op 0
		.amdhsa_exception_fp_denorm_src 0
		.amdhsa_exception_fp_ieee_div_zero 0
		.amdhsa_exception_fp_ieee_overflow 0
		.amdhsa_exception_fp_ieee_underflow 0
		.amdhsa_exception_fp_ieee_inexact 0
		.amdhsa_exception_int_div_zero 0
	.end_amdhsa_kernel
	.section	.text._ZN2at6native12_GLOBAL__N_124cunn_SoftMaxBackwardSmemILi4EN3c104HalfEffNS1_23SoftMaxBackwardEpilogueEEEvPT0_PKT2_SA_l,"axG",@progbits,_ZN2at6native12_GLOBAL__N_124cunn_SoftMaxBackwardSmemILi4EN3c104HalfEffNS1_23SoftMaxBackwardEpilogueEEEvPT0_PKT2_SA_l,comdat
.Lfunc_end616:
	.size	_ZN2at6native12_GLOBAL__N_124cunn_SoftMaxBackwardSmemILi4EN3c104HalfEffNS1_23SoftMaxBackwardEpilogueEEEvPT0_PKT2_SA_l, .Lfunc_end616-_ZN2at6native12_GLOBAL__N_124cunn_SoftMaxBackwardSmemILi4EN3c104HalfEffNS1_23SoftMaxBackwardEpilogueEEEvPT0_PKT2_SA_l
                                        ; -- End function
	.section	.AMDGPU.csdata,"",@progbits
; Kernel info:
; codeLenInByte = 1096
; NumSgprs: 24
; NumVgprs: 22
; NumAgprs: 0
; TotalNumVgprs: 22
; ScratchSize: 0
; MemoryBound: 0
; FloatMode: 240
; IeeeMode: 1
; LDSByteSize: 0 bytes/workgroup (compile time only)
; SGPRBlocks: 2
; VGPRBlocks: 2
; NumSGPRsForWavesPerEU: 24
; NumVGPRsForWavesPerEU: 22
; AccumOffset: 24
; Occupancy: 8
; WaveLimiterHint : 0
; COMPUTE_PGM_RSRC2:SCRATCH_EN: 0
; COMPUTE_PGM_RSRC2:USER_SGPR: 6
; COMPUTE_PGM_RSRC2:TRAP_HANDLER: 0
; COMPUTE_PGM_RSRC2:TGID_X_EN: 1
; COMPUTE_PGM_RSRC2:TGID_Y_EN: 0
; COMPUTE_PGM_RSRC2:TGID_Z_EN: 0
; COMPUTE_PGM_RSRC2:TIDIG_COMP_CNT: 0
; COMPUTE_PGM_RSRC3_GFX90A:ACCUM_OFFSET: 5
; COMPUTE_PGM_RSRC3_GFX90A:TG_SPLIT: 0
	.section	.text._ZN2at6native12_GLOBAL__N_120cunn_SoftMaxBackwardILi4EN3c104HalfEffNS1_23SoftMaxBackwardEpilogueEEEvPT0_PKT2_SA_l,"axG",@progbits,_ZN2at6native12_GLOBAL__N_120cunn_SoftMaxBackwardILi4EN3c104HalfEffNS1_23SoftMaxBackwardEpilogueEEEvPT0_PKT2_SA_l,comdat
	.globl	_ZN2at6native12_GLOBAL__N_120cunn_SoftMaxBackwardILi4EN3c104HalfEffNS1_23SoftMaxBackwardEpilogueEEEvPT0_PKT2_SA_l ; -- Begin function _ZN2at6native12_GLOBAL__N_120cunn_SoftMaxBackwardILi4EN3c104HalfEffNS1_23SoftMaxBackwardEpilogueEEEvPT0_PKT2_SA_l
	.p2align	8
	.type	_ZN2at6native12_GLOBAL__N_120cunn_SoftMaxBackwardILi4EN3c104HalfEffNS1_23SoftMaxBackwardEpilogueEEEvPT0_PKT2_SA_l,@function
_ZN2at6native12_GLOBAL__N_120cunn_SoftMaxBackwardILi4EN3c104HalfEffNS1_23SoftMaxBackwardEpilogueEEEvPT0_PKT2_SA_l: ; @_ZN2at6native12_GLOBAL__N_120cunn_SoftMaxBackwardILi4EN3c104HalfEffNS1_23SoftMaxBackwardEpilogueEEEvPT0_PKT2_SA_l
; %bb.0:
	s_load_dwordx8 s[20:27], s[4:5], 0x0
	v_mov_b32_e32 v2, 0x7ffffffe
	v_mov_b32_e32 v3, 0
	s_mov_b32 s11, 0
	s_waitcnt lgkmcnt(0)
	s_mul_i32 s0, s6, s27
	s_mul_hi_u32 s1, s6, s26
	s_mul_i32 s8, s6, s26
	s_add_i32 s9, s1, s0
	s_lshl_b64 s[42:43], s[8:9], 2
	s_add_u32 s18, s24, s42
	s_addc_u32 s19, s25, s43
	s_bfe_u32 s10, s18, 0x20002
	v_cmp_gt_i64_e64 s[0:1], s[26:27], v[2:3]
	s_cmp_lg_u32 s10, 0
	s_cselect_b64 s[2:3], -1, 0
	s_and_b64 vcc, exec, s[0:1]
	s_cbranch_vccz .LBB617_16
; %bb.1:
	v_mov_b32_e32 v1, 0
	s_and_b64 vcc, exec, s[2:3]
	s_cbranch_vccz .LBB617_39
; %bb.2:
	s_lshl_b32 s7, s10, 2
	s_sub_u32 s14, s18, s7
	s_subb_u32 s15, s19, 0
	v_cmp_le_u64_e32 vcc, s[10:11], v[0:1]
	v_mov_b32_e32 v8, v1
	s_and_saveexec_b64 s[12:13], vcc
	s_cbranch_execz .LBB617_4
; %bb.3:
	v_lshlrev_b32_e32 v2, 2, v0
	global_load_dword v2, v2, s[14:15]
	s_waitcnt vmcnt(0)
	v_add_f32_e32 v8, 0, v2
.LBB617_4:
	s_or_b64 exec, exec, s[12:13]
	s_load_dword s7, s[4:5], 0x2c
	s_add_u32 s12, s10, s26
	s_addc_u32 s13, 0, s27
	s_add_u32 s16, s4, 32
	s_addc_u32 s17, s5, 0
	s_waitcnt lgkmcnt(0)
	s_and_b32 s7, s7, 0xffff
	s_sub_u32 s12, s12, s7
	s_subb_u32 s13, s13, 0
	s_lshl_b32 s7, s7, 2
	s_add_u32 s14, s14, s7
	s_addc_u32 s15, s15, 0
	s_branch .LBB617_6
.LBB617_5:
	s_add_u32 s16, s4, 32
	s_addc_u32 s17, s5, 0
	v_mov_b32_e32 v8, 0
	s_mov_b64 s[12:13], s[26:27]
	s_mov_b64 s[14:15], s[18:19]
.LBB617_6:
	s_load_dword s7, s[16:17], 0x0
	v_mov_b32_e32 v2, 0
	s_waitcnt lgkmcnt(0)
	s_cmp_lt_u32 s6, s7
	s_cselect_b32 s7, 12, 18
	s_add_u32 s16, s16, s7
	s_addc_u32 s17, s17, 0
	global_load_ushort v2, v2, s[16:17]
	s_mov_b32 s16, 0
	s_mov_b32 s17, s13
	s_waitcnt vmcnt(0)
	v_readfirstlane_b32 s7, v2
	s_and_b32 s7, 0xffff, s7
	s_lshl_b32 s7, s7, 2
	s_cmp_lg_u64 s[16:17], 0
	v_and_b32_e32 v9, 0xffff, v2
	s_cbranch_scc0 .LBB617_40
; %bb.7:
	v_cvt_f32_u32_e32 v2, s7
	v_mov_b32_e32 v3, 0x4f800000
	s_sub_u32 s28, 0, s7
	s_subb_u32 s29, 0, 0
	v_mac_f32_e32 v2, 0, v3
	v_rcp_f32_e32 v2, v2
	v_mul_f32_e32 v2, 0x5f7ffffc, v2
	v_mul_f32_e32 v3, 0x2f800000, v2
	v_trunc_f32_e32 v3, v3
	v_madmk_f32 v2, v3, 0xcf800000, v2
	v_cvt_u32_f32_e32 v3, v3
	v_cvt_u32_f32_e32 v2, v2
	v_readfirstlane_b32 s30, v3
	v_readfirstlane_b32 s31, v2
	s_mul_i32 s33, s28, s30
	s_mul_hi_u32 s35, s28, s31
	s_mul_i32 s34, s29, s31
	s_add_i32 s33, s35, s33
	s_add_i32 s33, s33, s34
	s_mul_i32 s36, s28, s31
	s_mul_hi_u32 s34, s31, s33
	s_mul_i32 s35, s31, s33
	s_mul_hi_u32 s31, s31, s36
	s_add_u32 s31, s31, s35
	s_addc_u32 s34, 0, s34
	s_mul_hi_u32 s37, s30, s36
	s_mul_i32 s36, s30, s36
	s_add_u32 s31, s31, s36
	s_mul_hi_u32 s35, s30, s33
	s_addc_u32 s31, s34, s37
	s_addc_u32 s34, s35, 0
	s_mul_i32 s33, s30, s33
	s_add_u32 s31, s31, s33
	s_addc_u32 s33, 0, s34
	v_add_co_u32_e32 v2, vcc, s31, v2
	s_cmp_lg_u64 vcc, 0
	s_addc_u32 s30, s30, s33
	v_readfirstlane_b32 s33, v2
	s_mul_i32 s31, s28, s30
	s_mul_hi_u32 s34, s28, s33
	s_add_i32 s31, s34, s31
	s_mul_i32 s29, s29, s33
	s_add_i32 s31, s31, s29
	s_mul_i32 s28, s28, s33
	s_mul_hi_u32 s34, s30, s28
	s_mul_i32 s35, s30, s28
	s_mul_i32 s37, s33, s31
	s_mul_hi_u32 s28, s33, s28
	s_mul_hi_u32 s36, s33, s31
	s_add_u32 s28, s28, s37
	s_addc_u32 s33, 0, s36
	s_add_u32 s28, s28, s35
	s_mul_hi_u32 s29, s30, s31
	s_addc_u32 s28, s33, s34
	s_addc_u32 s29, s29, 0
	s_mul_i32 s31, s30, s31
	s_add_u32 s28, s28, s31
	s_addc_u32 s29, 0, s29
	v_add_co_u32_e32 v2, vcc, s28, v2
	s_cmp_lg_u64 vcc, 0
	s_addc_u32 s28, s30, s29
	v_readfirstlane_b32 s31, v2
	s_mul_i32 s30, s12, s28
	s_mul_hi_u32 s33, s12, s31
	s_mul_hi_u32 s29, s12, s28
	s_add_u32 s30, s33, s30
	s_addc_u32 s29, 0, s29
	s_mul_hi_u32 s34, s13, s31
	s_mul_i32 s31, s13, s31
	s_add_u32 s30, s30, s31
	s_mul_hi_u32 s33, s13, s28
	s_addc_u32 s29, s29, s34
	s_addc_u32 s30, s33, 0
	s_mul_i32 s28, s13, s28
	s_add_u32 s28, s29, s28
	s_addc_u32 s29, 0, s30
	s_mul_hi_u32 s30, s7, s28
	s_mul_i32 s28, s7, s28
	s_mul_i32 s29, s7, s29
	v_mov_b32_e32 v2, s28
	s_add_i32 s30, s30, s29
	v_sub_co_u32_e32 v2, vcc, s12, v2
	s_cmp_lg_u64 vcc, 0
	s_subb_u32 s28, s13, s30
	v_subrev_co_u32_e32 v3, vcc, s7, v2
	s_cmp_lg_u64 vcc, 0
	s_subb_u32 s29, s28, 0
	v_subrev_co_u32_e32 v4, vcc, s7, v3
	s_cmp_lg_u64 vcc, 0
	s_subb_u32 s30, s29, 0
	v_cmp_le_u32_e32 vcc, s7, v3
	s_cmp_eq_u32 s29, 0
	v_cndmask_b32_e64 v5, 0, -1, vcc
	s_cselect_b64 vcc, -1, 0
	v_cndmask_b32_e32 v5, -1, v5, vcc
	v_mov_b32_e32 v6, s29
	v_mov_b32_e32 v7, s30
	v_cmp_ne_u32_e32 vcc, 0, v5
	v_cndmask_b32_e32 v5, v6, v7, vcc
	v_cndmask_b32_e32 v4, v3, v4, vcc
	v_cmp_le_u32_e32 vcc, s7, v2
	s_cmp_eq_u32 s28, 0
	v_cndmask_b32_e64 v3, 0, -1, vcc
	s_cselect_b64 vcc, -1, 0
	v_cndmask_b32_e32 v3, -1, v3, vcc
	v_mov_b32_e32 v6, s28
	v_cmp_ne_u32_e32 vcc, 0, v3
	v_cndmask_b32_e32 v3, v6, v5, vcc
	v_cndmask_b32_e32 v2, v2, v4, vcc
	s_cbranch_execnz .LBB617_9
.LBB617_8:
	v_cvt_f32_u32_e32 v2, s7
	s_sub_i32 s16, 0, s7
	v_rcp_iflag_f32_e32 v2, v2
	v_mul_f32_e32 v2, 0x4f7ffffe, v2
	v_cvt_u32_f32_e32 v2, v2
	v_mul_lo_u32 v3, s16, v2
	v_mul_hi_u32 v3, v2, v3
	v_add_u32_e32 v2, v2, v3
	v_mul_hi_u32 v2, s12, v2
	v_mul_lo_u32 v2, v2, s7
	v_sub_u32_e32 v2, s12, v2
	v_subrev_u32_e32 v3, s7, v2
	v_cmp_le_u32_e32 vcc, s7, v2
	v_cndmask_b32_e32 v2, v2, v3, vcc
	v_subrev_u32_e32 v3, s7, v2
	v_cmp_le_u32_e32 vcc, s7, v2
	v_cndmask_b32_e32 v2, v2, v3, vcc
	v_mov_b32_e32 v3, 0
.LBB617_9:
	v_mov_b32_e32 v4, s13
	v_sub_co_u32_e32 v2, vcc, s12, v2
	v_subb_co_u32_e32 v3, vcc, v4, v3, vcc
	v_lshlrev_b32_e32 v4, 4, v0
	v_mov_b32_e32 v5, s15
	v_add_co_u32_e32 v4, vcc, s14, v4
	v_addc_co_u32_e32 v5, vcc, 0, v5, vcc
	v_add_co_u32_e32 v4, vcc, 8, v4
	v_addc_co_u32_e32 v5, vcc, 0, v5, vcc
	v_lshlrev_b32_e32 v10, 4, v9
	s_mov_b64 s[16:17], 0
	v_pk_mov_b32 v[6:7], v[0:1], v[0:1] op_sel:[0,1]
.LBB617_10:                             ; =>This Inner Loop Header: Depth=1
	global_load_dwordx4 v[12:15], v[4:5], off offset:-8
	v_add_co_u32_e32 v6, vcc, v6, v9
	v_addc_co_u32_e32 v7, vcc, 0, v7, vcc
	v_add_co_u32_e32 v4, vcc, v4, v10
	v_addc_co_u32_e32 v5, vcc, 0, v5, vcc
	v_lshlrev_b64 v[16:17], 2, v[6:7]
	v_cmp_ge_i64_e32 vcc, v[16:17], v[2:3]
	s_or_b64 s[16:17], vcc, s[16:17]
	s_waitcnt vmcnt(0)
	v_add_f32_e32 v1, v8, v12
	v_add_f32_e32 v1, v1, v13
	;; [unrolled: 1-line block ×4, first 2 shown]
	s_andn2_b64 exec, exec, s[16:17]
	s_cbranch_execnz .LBB617_10
; %bb.11:
	s_or_b64 exec, exec, s[16:17]
	v_add_co_u32_e32 v2, vcc, v2, v0
	v_addc_co_u32_e32 v3, vcc, 0, v3, vcc
	v_cmp_gt_i64_e32 vcc, s[12:13], v[2:3]
	s_and_saveexec_b64 s[16:17], vcc
	s_cbranch_execz .LBB617_15
; %bb.12:
	s_mov_b64 s[28:29], 0
	v_mov_b32_e32 v1, s15
.LBB617_13:                             ; =>This Inner Loop Header: Depth=1
	v_lshlrev_b64 v[4:5], 2, v[2:3]
	v_add_co_u32_e32 v4, vcc, s14, v4
	v_addc_co_u32_e32 v5, vcc, v1, v5, vcc
	global_load_dword v4, v[4:5], off
	v_add_co_u32_e32 v2, vcc, v2, v9
	v_addc_co_u32_e32 v3, vcc, 0, v3, vcc
	v_cmp_le_i64_e32 vcc, s[12:13], v[2:3]
	s_or_b64 s[28:29], vcc, s[28:29]
	s_waitcnt vmcnt(0)
	v_add_f32_e32 v8, v8, v4
	s_andn2_b64 exec, exec, s[28:29]
	s_cbranch_execnz .LBB617_13
; %bb.14:
	s_or_b64 exec, exec, s[28:29]
.LBB617_15:
	s_or_b64 exec, exec, s[16:17]
	s_branch .LBB617_31
.LBB617_16:
                                        ; kill: def $vgpr1 killed $sgpr0 killed $exec
                                        ; implicit-def: $vgpr8
	s_cbranch_execz .LBB617_31
; %bb.17:
	s_and_b64 vcc, exec, s[2:3]
	s_cbranch_vccz .LBB617_41
; %bb.18:
	s_lshl_b64 s[2:3], s[10:11], 2
	s_sub_u32 s14, s18, s2
	s_subb_u32 s15, s19, s3
	s_add_i32 s7, s10, s26
	v_cmp_le_u32_e32 vcc, s10, v0
	v_cmp_gt_i32_e64 s[2:3], s7, v0
	s_and_b64 s[12:13], vcc, s[2:3]
	v_mov_b32_e32 v8, 0
	s_and_saveexec_b64 s[2:3], s[12:13]
	s_cbranch_execz .LBB617_20
; %bb.19:
	v_lshlrev_b32_e32 v1, 2, v0
	global_load_dword v1, v1, s[14:15]
	s_waitcnt vmcnt(0)
	v_add_f32_e32 v8, 0, v1
.LBB617_20:
	s_or_b64 exec, exec, s[2:3]
	s_load_dword s2, s[4:5], 0x2c
	s_add_u32 s12, s4, 32
	s_addc_u32 s13, s5, 0
	s_waitcnt lgkmcnt(0)
	s_and_b32 s2, s2, 0xffff
	v_mov_b32_e32 v1, s2
	s_lshl_b32 s2, s2, 2
	v_sub_u32_e64 v1, s7, v1 clamp
	s_add_u32 s2, s14, s2
	v_readfirstlane_b32 s7, v1
	s_addc_u32 s3, s15, 0
	s_branch .LBB617_22
.LBB617_21:
	s_add_u32 s12, s4, 32
	s_addc_u32 s13, s5, 0
	v_mov_b32_e32 v8, 0
	s_mov_b32 s7, s26
	s_mov_b64 s[2:3], s[18:19]
.LBB617_22:
	s_load_dword s14, s[12:13], 0x0
	v_mov_b32_e32 v1, 0
	s_waitcnt lgkmcnt(0)
	s_cmp_lt_u32 s6, s14
	s_cselect_b32 s14, 12, 18
	s_add_u32 s12, s12, s14
	s_addc_u32 s13, s13, 0
	global_load_ushort v1, v1, s[12:13]
	s_waitcnt vmcnt(0)
	v_readfirstlane_b32 s12, v1
	s_lshl_b32 s12, s12, 2
	v_cvt_f32_u32_e32 v2, s12
	s_sub_i32 s13, 0, s12
	v_rcp_iflag_f32_e32 v2, v2
	v_mul_f32_e32 v2, 0x4f7ffffe, v2
	v_cvt_u32_f32_e32 v2, v2
	v_readfirstlane_b32 s14, v2
	s_mul_i32 s13, s13, s14
	s_mul_hi_u32 s13, s14, s13
	s_add_i32 s14, s14, s13
	s_mul_hi_u32 s13, s7, s14
	s_mul_i32 s13, s13, s12
	s_sub_i32 s13, s7, s13
	s_sub_i32 s14, s13, s12
	s_cmp_ge_u32 s13, s12
	s_cselect_b32 s13, s14, s13
	s_sub_i32 s14, s13, s12
	s_cmp_ge_u32 s13, s12
	s_cselect_b32 s12, s14, s13
	s_sub_i32 s16, s7, s12
	v_lshlrev_b32_e32 v2, 2, v0
	v_cmp_gt_i32_e32 vcc, s16, v2
	s_and_saveexec_b64 s[12:13], vcc
	s_cbranch_execz .LBB617_26
; %bb.23:
	s_mov_b64 s[14:15], 0
	v_mov_b32_e32 v4, s3
	v_mov_b32_e32 v2, v0
.LBB617_24:                             ; =>This Inner Loop Header: Depth=1
	v_ashrrev_i32_e32 v3, 31, v2
	v_lshlrev_b64 v[6:7], 4, v[2:3]
	v_add_co_u32_e32 v6, vcc, s2, v6
	v_addc_co_u32_e32 v7, vcc, v4, v7, vcc
	global_load_dwordx4 v[10:13], v[6:7], off
	v_add_u32_e32 v2, v2, v1
	v_lshlrev_b32_e32 v3, 2, v2
	v_cmp_le_i32_e32 vcc, s16, v3
	s_or_b64 s[14:15], vcc, s[14:15]
	s_waitcnt vmcnt(0)
	v_add_f32_e32 v3, v8, v10
	v_add_f32_e32 v3, v3, v11
	v_add_f32_e32 v3, v3, v12
	v_add_f32_e32 v8, v3, v13
	s_andn2_b64 exec, exec, s[14:15]
	s_cbranch_execnz .LBB617_24
; %bb.25:
	s_or_b64 exec, exec, s[14:15]
.LBB617_26:
	s_or_b64 exec, exec, s[12:13]
	v_add_u32_e32 v2, s16, v0
	v_cmp_gt_i32_e32 vcc, s7, v2
	s_and_saveexec_b64 s[12:13], vcc
	s_cbranch_execz .LBB617_30
; %bb.27:
	s_mov_b64 s[14:15], 0
	v_mov_b32_e32 v4, s3
.LBB617_28:                             ; =>This Inner Loop Header: Depth=1
	v_ashrrev_i32_e32 v3, 31, v2
	v_lshlrev_b64 v[6:7], 2, v[2:3]
	v_add_co_u32_e32 v6, vcc, s2, v6
	v_addc_co_u32_e32 v7, vcc, v4, v7, vcc
	global_load_dword v3, v[6:7], off
	v_add_u32_e32 v2, v2, v1
	v_cmp_le_i32_e32 vcc, s7, v2
	s_or_b64 s[14:15], vcc, s[14:15]
	s_waitcnt vmcnt(0)
	v_add_f32_e32 v8, v8, v3
	s_andn2_b64 exec, exec, s[14:15]
	s_cbranch_execnz .LBB617_28
; %bb.29:
	s_or_b64 exec, exec, s[14:15]
.LBB617_30:
	s_or_b64 exec, exec, s[12:13]
.LBB617_31:
	v_lshl_add_u32 v1, v0, 2, 0
	s_barrier
	ds_write_b32 v1, v8
	s_waitcnt lgkmcnt(0)
	s_barrier
	s_load_dword s7, s[4:5], 0x2c
	s_add_u32 s28, s4, 32
	s_addc_u32 s29, s5, 0
	s_waitcnt lgkmcnt(0)
	s_bfe_u32 s4, s7, 0xa0006
	s_min_u32 s2, s4, 64
	v_cmp_gt_u32_e32 vcc, s2, v0
	s_and_saveexec_b64 s[2:3], vcc
	s_cbranch_execz .LBB617_33
; %bb.32:
	s_movk_i32 s5, 0xfc
	v_mad_u32_u24 v10, v0, s5, v1
	ds_read2_b32 v[2:3], v10 offset1:1
	ds_read2_b32 v[4:5], v10 offset0:2 offset1:3
	ds_read2_b32 v[6:7], v10 offset0:4 offset1:5
	ds_read2_b32 v[8:9], v10 offset0:6 offset1:7
	s_waitcnt lgkmcnt(3)
	v_add_f32_e32 v2, 0, v2
	v_add_f32_e32 v2, v2, v3
	s_waitcnt lgkmcnt(2)
	v_add_f32_e32 v2, v2, v4
	v_add_f32_e32 v2, v2, v5
	s_waitcnt lgkmcnt(1)
	v_add_f32_e32 v2, v2, v6
	v_add_f32_e32 v2, v2, v7
	s_waitcnt lgkmcnt(0)
	v_add_f32_e32 v4, v2, v8
	ds_read2_b32 v[2:3], v10 offset0:8 offset1:9
	v_add_f32_e32 v11, v4, v9
	ds_read2_b32 v[4:5], v10 offset0:10 offset1:11
	ds_read2_b32 v[6:7], v10 offset0:12 offset1:13
	ds_read2_b32 v[8:9], v10 offset0:14 offset1:15
	s_waitcnt lgkmcnt(3)
	v_add_f32_e32 v2, v11, v2
	v_add_f32_e32 v2, v2, v3
	s_waitcnt lgkmcnt(2)
	v_add_f32_e32 v2, v2, v4
	v_add_f32_e32 v2, v2, v5
	s_waitcnt lgkmcnt(1)
	v_add_f32_e32 v2, v2, v6
	v_add_f32_e32 v2, v2, v7
	s_waitcnt lgkmcnt(0)
	v_add_f32_e32 v4, v2, v8
	ds_read2_b32 v[2:3], v10 offset0:16 offset1:17
	v_add_f32_e32 v11, v4, v9
	;; [unrolled: 16-line block ×7, first 2 shown]
	ds_read2_b32 v[4:5], v10 offset0:58 offset1:59
	ds_read2_b32 v[6:7], v10 offset0:60 offset1:61
	;; [unrolled: 1-line block ×3, first 2 shown]
	s_waitcnt lgkmcnt(3)
	v_add_f32_e32 v2, v11, v2
	v_add_f32_e32 v2, v2, v3
	s_waitcnt lgkmcnt(2)
	v_add_f32_e32 v2, v2, v4
	v_add_f32_e32 v2, v2, v5
	;; [unrolled: 3-line block ×4, first 2 shown]
	ds_write_b32 v1, v2
.LBB617_33:
	s_or_b64 exec, exec, s[2:3]
	s_and_b32 s36, s7, 0xffff
	v_cmp_eq_u32_e32 vcc, 0, v0
	s_waitcnt lgkmcnt(0)
	s_barrier
	s_and_saveexec_b64 s[2:3], vcc
	s_cbranch_execz .LBB617_46
; %bb.34:
	s_cmp_lt_u32 s36, 64
	v_mov_b32_e32 v1, 0
	s_cbranch_scc1 .LBB617_45
; %bb.35:
	s_add_i32 s5, s4, -1
	s_cmp_lt_u32 s5, 7
	s_cbranch_scc1 .LBB617_42
; %bb.36:
	s_and_b32 s5, s4, 0x3f8
	s_mov_b32 s7, 0
	s_mov_b32 s12, 0
	v_mov_b32_e32 v1, 0
.LBB617_37:                             ; =>This Inner Loop Header: Depth=1
	v_mov_b32_e32 v8, s12
	ds_read2_b32 v[2:3], v8 offset1:1
	ds_read2_b32 v[4:5], v8 offset0:2 offset1:3
	ds_read2_b32 v[6:7], v8 offset0:4 offset1:5
	;; [unrolled: 1-line block ×3, first 2 shown]
	s_add_i32 s7, s7, 8
	s_waitcnt lgkmcnt(3)
	v_add_f32_e32 v1, v1, v2
	v_add_f32_e32 v1, v1, v3
	s_waitcnt lgkmcnt(2)
	v_add_f32_e32 v1, v1, v4
	v_add_f32_e32 v1, v1, v5
	;; [unrolled: 3-line block ×3, first 2 shown]
	s_add_i32 s12, s12, 32
	s_waitcnt lgkmcnt(0)
	v_add_f32_e32 v1, v1, v8
	s_cmp_eq_u32 s5, s7
	v_add_f32_e32 v1, v1, v9
	s_cbranch_scc0 .LBB617_37
; %bb.38:
	s_and_b32 s4, s4, 7
	s_cmp_eq_u32 s4, 0
	s_cbranch_scc0 .LBB617_43
	s_branch .LBB617_45
.LBB617_39:
                                        ; implicit-def: $sgpr14_sgpr15
                                        ; implicit-def: $sgpr12_sgpr13
                                        ; implicit-def: $vgpr8
                                        ; implicit-def: $sgpr16_sgpr17
	s_cbranch_execnz .LBB617_5
	s_branch .LBB617_6
.LBB617_40:
                                        ; implicit-def: $vgpr2_vgpr3
	s_branch .LBB617_8
.LBB617_41:
                                        ; kill: def $vgpr1 killed $sgpr0 killed $exec
                                        ; implicit-def: $sgpr2_sgpr3
                                        ; implicit-def: $sgpr7
                                        ; implicit-def: $vgpr8
                                        ; implicit-def: $sgpr12_sgpr13
	s_cbranch_execnz .LBB617_21
	s_branch .LBB617_22
.LBB617_42:
	s_mov_b32 s5, 0
	v_mov_b32_e32 v1, 0
	s_and_b32 s4, s4, 7
	s_cmp_eq_u32 s4, 0
	s_cbranch_scc1 .LBB617_45
.LBB617_43:
	s_lshl_b32 s5, s5, 2
	s_add_i32 s5, s5, 0
.LBB617_44:                             ; =>This Inner Loop Header: Depth=1
	v_mov_b32_e32 v2, s5
	ds_read_b32 v2, v2
	s_add_i32 s5, s5, 4
	s_add_i32 s4, s4, -1
	s_cmp_lg_u32 s4, 0
	s_waitcnt lgkmcnt(0)
	v_add_f32_e32 v1, v1, v2
	s_cbranch_scc1 .LBB617_44
.LBB617_45:
	v_mov_b32_e32 v2, 0
	ds_write_b32 v2, v1
.LBB617_46:
	s_or_b64 exec, exec, s[2:3]
	s_lshl_b64 s[46:47], s[8:9], 1
	s_add_u32 s34, s20, s46
	s_addc_u32 s35, s21, s47
	s_add_u32 s38, s22, s42
	v_mov_b32_e32 v1, 0
	s_mov_b32 s41, 0
	s_addc_u32 s39, s23, s43
	s_waitcnt lgkmcnt(0)
	s_barrier
	ds_read_b32 v1, v1
	s_bfe_u32 s40, s34, 0x30001
	s_bfe_u32 s2, s38, 0x20002
	s_mov_b32 s3, s41
	s_cmp_eq_u64 s[40:41], s[2:3]
	s_cselect_b64 s[2:3], -1, 0
	s_cmp_eq_u64 s[40:41], s[10:11]
	s_cselect_b64 s[4:5], -1, 0
	s_and_b64 s[2:3], s[2:3], s[4:5]
	s_waitcnt lgkmcnt(0)
	v_readfirstlane_b32 s30, v1
	s_andn2_b64 vcc, exec, s[2:3]
	s_mov_b64 s[2:3], -1
	s_cbranch_vccz .LBB617_76
; %bb.47:
	s_and_b64 vcc, exec, s[0:1]
	s_cbranch_vccz .LBB617_67
; %bb.48:
	s_lshl_b32 s7, s36, 2
	v_cvt_f32_u32_e32 v1, s7
	s_sub_i32 s3, 0, s7
	s_mov_b32 s2, 0
	v_rcp_iflag_f32_e32 v1, v1
	v_mul_f32_e32 v1, 0x4f7ffffe, v1
	v_cvt_u32_f32_e32 v2, v1
	v_mov_b32_e32 v1, 0
	v_readfirstlane_b32 s4, v2
	s_mul_i32 s3, s3, s4
	s_mul_hi_u32 s3, s4, s3
	s_add_i32 s4, s4, s3
	s_mul_hi_u32 s3, s26, s4
	s_mul_i32 s3, s3, s7
	s_sub_i32 s3, s26, s3
	s_sub_i32 s4, s3, s7
	s_cmp_ge_u32 s3, s7
	s_cselect_b32 s3, s4, s3
	s_sub_i32 s4, s3, s7
	s_cmp_ge_u32 s3, s7
	s_cselect_b32 s3, s4, s3
	s_bfe_i64 s[44:45], s[26:27], 0x200000
	s_sub_u32 s48, s44, s3
	s_subb_u32 s49, s45, 0
	v_cmp_gt_i64_e32 vcc, s[48:49], v[0:1]
	v_pk_mov_b32 v[2:3], v[0:1], v[0:1] op_sel:[0,1]
	s_and_saveexec_b64 s[50:51], vcc
	s_cbranch_execz .LBB617_52
; %bb.49:
	s_lshl_b32 s31, s36, 1
	s_lshl_b32 s33, s36, 4
	s_lshl_b64 s[4:5], s[8:9], 2
	s_add_u32 s10, s4, s7
	s_addc_u32 s11, s5, 0
	s_add_u32 s37, s22, s10
	s_addc_u32 s58, s23, s11
	s_lshl_b32 s59, s36, 3
	s_add_u32 s13, s4, s59
	s_addc_u32 s14, s5, 0
	s_add_u32 s60, s22, s13
	s_addc_u32 s61, s23, s14
	s_mul_i32 s15, s36, 12
	s_add_u32 s4, s4, s15
	s_addc_u32 s5, s5, 0
	s_add_u32 s62, s22, s4
	s_addc_u32 s63, s23, s5
	;; [unrolled: 2-line block ×5, first 2 shown]
	s_lshl_b64 s[4:5], s[8:9], 1
	s_add_u32 s4, s20, s4
	v_lshlrev_b64 v[2:3], 1, v[0:1]
	s_addc_u32 s5, s21, s5
	v_mov_b32_e32 v7, s5
	v_add_co_u32_e32 v6, vcc, s4, v2
	v_lshlrev_b64 v[4:5], 2, v[0:1]
	v_addc_co_u32_e32 v7, vcc, v7, v3, vcc
	s_mul_i32 s70, s36, 6
	s_mov_b64 s[52:53], 0
	v_mov_b32_e32 v8, s2
	v_mov_b32_e32 v9, s2
	;; [unrolled: 1-line block ×4, first 2 shown]
	s_mov_b64 s[54:55], s[18:19]
	s_mov_b64 s[56:57], s[38:39]
	v_pk_mov_b32 v[2:3], v[0:1], v[0:1] op_sel:[0,1]
.LBB617_50:                             ; =>This Inner Loop Header: Depth=1
	v_mov_b32_e32 v1, s57
	v_mov_b32_e32 v13, s55
	v_add_co_u32_e32 v12, vcc, s54, v4
	v_mov_b32_e32 v19, s61
	v_add_co_u32_e64 v18, s[8:9], s60, v4
	v_mov_b32_e32 v21, s67
	v_add_co_u32_e64 v20, s[10:11], s66, v4
	v_add_co_u32_e64 v26, s[16:17], s56, v4
	v_mov_b32_e32 v15, s58
	v_add_co_u32_e64 v14, s[2:3], s37, v4
	v_mov_b32_e32 v17, s65
	;; [unrolled: 2-line block ×4, first 2 shown]
	v_add_co_u32_e64 v24, s[14:15], s68, v4
	v_addc_co_u32_e64 v27, s[16:17], v1, v5, s[16:17]
	v_addc_co_u32_e32 v13, vcc, v13, v5, vcc
	v_addc_co_u32_e64 v19, vcc, v19, v5, s[8:9]
	v_addc_co_u32_e64 v21, vcc, v21, v5, s[10:11]
	;; [unrolled: 1-line block ×6, first 2 shown]
	global_load_dword v1, v[26:27], off
	s_nop 0
	global_load_dword v26, v[12:13], off
	global_load_dword v27, v[14:15], off
	;; [unrolled: 1-line block ×3, first 2 shown]
	s_nop 0
	global_load_dword v18, v[18:19], off
	s_nop 0
	global_load_dword v19, v[20:21], off
	;; [unrolled: 2-line block ×3, first 2 shown]
	global_load_dword v21, v[24:25], off
	s_add_u32 s56, s56, s33
	s_addc_u32 s57, s57, 0
	s_add_u32 s37, s37, s33
	s_addc_u32 s58, s58, 0
	;; [unrolled: 2-line block ×3, first 2 shown]
	s_add_u32 s62, s62, s33
	v_add_co_u32_e32 v12, vcc, s31, v6
	s_addc_u32 s63, s63, 0
	v_addc_co_u32_e32 v13, vcc, v7, v8, vcc
	s_add_u32 s54, s54, s33
	v_add_co_u32_e32 v14, vcc, s7, v6
	s_addc_u32 s55, s55, 0
	v_addc_co_u32_e32 v15, vcc, v7, v9, vcc
	s_add_u32 s64, s64, s33
	v_add_co_u32_e32 v16, vcc, s70, v6
	s_addc_u32 s65, s65, 0
	v_addc_co_u32_e32 v17, vcc, v7, v10, vcc
	s_add_u32 s66, s66, s33
	v_add_co_u32_e32 v2, vcc, s7, v2
	s_addc_u32 s67, s67, 0
	v_addc_co_u32_e32 v3, vcc, v3, v9, vcc
	s_add_u32 s68, s68, s33
	v_cmp_le_i64_e32 vcc, s[48:49], v[2:3]
	s_addc_u32 s69, s69, 0
	s_or_b64 s[52:53], vcc, s[52:53]
	s_waitcnt vmcnt(6)
	v_fma_mixlo_f16 v1, -s30, v1, v26
	s_waitcnt vmcnt(4)
	v_fma_mixlo_f16 v22, -s30, v27, v28
	;; [unrolled: 2-line block ×4, first 2 shown]
	global_store_short v[6:7], v1, off
	global_store_short v[12:13], v22, off
	;; [unrolled: 1-line block ×4, first 2 shown]
	v_add_co_u32_e32 v6, vcc, s59, v6
	v_addc_co_u32_e32 v7, vcc, v7, v11, vcc
	s_andn2_b64 exec, exec, s[52:53]
	s_cbranch_execnz .LBB617_50
; %bb.51:
	s_or_b64 exec, exec, s[52:53]
.LBB617_52:
	s_or_b64 exec, exec, s[50:51]
	v_cmp_gt_i64_e32 vcc, s[44:45], v[2:3]
	s_and_saveexec_b64 s[4:5], vcc
	s_cbranch_execz .LBB617_66
; %bb.53:
	v_add_co_u32_e32 v6, vcc, s36, v2
	v_addc_co_u32_e32 v7, vcc, 0, v3, vcc
	v_mov_b32_e32 v1, s45
	v_cmp_lt_i64_e32 vcc, s[44:45], v[6:7]
	v_cndmask_b32_e32 v5, v1, v7, vcc
	v_mov_b32_e32 v1, s44
	v_cndmask_b32_e32 v1, v1, v6, vcc
	v_cmp_gt_i64_e32 vcc, s[44:45], v[6:7]
	v_cndmask_b32_e64 v4, 0, 1, vcc
	v_add_co_u32_e32 v6, vcc, v6, v4
	v_addc_co_u32_e32 v7, vcc, 0, v7, vcc
	v_sub_co_u32_e32 v1, vcc, v1, v6
	v_subb_co_u32_e32 v7, vcc, v5, v7, vcc
	v_mov_b32_e32 v6, 0
	s_mov_b32 s7, 0
	v_cmp_ne_u64_e32 vcc, 0, v[6:7]
                                        ; implicit-def: $vgpr8_vgpr9
	s_and_saveexec_b64 s[2:3], vcc
	s_xor_b64 s[8:9], exec, s[2:3]
	s_cbranch_execz .LBB617_55
; %bb.54:
	v_cvt_f32_u32_e32 v5, s36
	v_mov_b32_e32 v6, 0x4f800000
	s_sub_u32 s2, 0, s36
	s_subb_u32 s3, 0, 0
	v_mac_f32_e32 v5, 0, v6
	v_rcp_f32_e32 v5, v5
	v_mul_f32_e32 v5, 0x5f7ffffc, v5
	v_mul_f32_e32 v6, 0x2f800000, v5
	v_trunc_f32_e32 v6, v6
	v_madmk_f32 v5, v6, 0xcf800000, v5
	v_cvt_u32_f32_e32 v6, v6
	v_cvt_u32_f32_e32 v5, v5
	v_mul_lo_u32 v8, s2, v6
	v_mul_hi_u32 v10, s2, v5
	v_mul_lo_u32 v9, s3, v5
	v_add_u32_e32 v8, v10, v8
	v_mul_lo_u32 v11, s2, v5
	v_add_u32_e32 v8, v8, v9
	v_mul_hi_u32 v10, v5, v11
	v_mul_lo_u32 v12, v5, v8
	v_mul_hi_u32 v9, v5, v8
	v_add_co_u32_e32 v10, vcc, v10, v12
	v_addc_co_u32_e32 v9, vcc, 0, v9, vcc
	v_mul_hi_u32 v13, v6, v11
	v_mul_lo_u32 v11, v6, v11
	v_add_co_u32_e32 v10, vcc, v10, v11
	v_mul_hi_u32 v12, v6, v8
	v_addc_co_u32_e32 v9, vcc, v9, v13, vcc
	v_addc_co_u32_e32 v10, vcc, 0, v12, vcc
	v_mul_lo_u32 v8, v6, v8
	v_add_co_u32_e32 v8, vcc, v9, v8
	v_addc_co_u32_e32 v9, vcc, 0, v10, vcc
	v_add_co_u32_e32 v5, vcc, v5, v8
	v_addc_co_u32_e32 v6, vcc, v6, v9, vcc
	v_mul_lo_u32 v8, s2, v6
	v_mul_hi_u32 v9, s2, v5
	v_add_u32_e32 v8, v9, v8
	v_mul_lo_u32 v9, s3, v5
	v_add_u32_e32 v8, v8, v9
	v_mul_lo_u32 v10, s2, v5
	v_mul_hi_u32 v11, v6, v10
	v_mul_lo_u32 v12, v6, v10
	v_mul_lo_u32 v14, v5, v8
	v_mul_hi_u32 v10, v5, v10
	v_mul_hi_u32 v13, v5, v8
	v_add_co_u32_e32 v10, vcc, v10, v14
	v_addc_co_u32_e32 v13, vcc, 0, v13, vcc
	v_add_co_u32_e32 v10, vcc, v10, v12
	v_mul_hi_u32 v9, v6, v8
	v_addc_co_u32_e32 v10, vcc, v13, v11, vcc
	v_addc_co_u32_e32 v9, vcc, 0, v9, vcc
	v_mul_lo_u32 v8, v6, v8
	v_add_co_u32_e32 v8, vcc, v10, v8
	v_addc_co_u32_e32 v9, vcc, 0, v9, vcc
	v_add_co_u32_e32 v5, vcc, v5, v8
	v_addc_co_u32_e32 v6, vcc, v6, v9, vcc
	v_mad_u64_u32 v[8:9], s[2:3], v1, v6, 0
	v_mul_hi_u32 v10, v1, v5
	v_add_co_u32_e32 v12, vcc, v10, v8
	v_addc_co_u32_e32 v13, vcc, 0, v9, vcc
	v_mad_u64_u32 v[10:11], s[2:3], v7, v5, 0
	v_add_co_u32_e32 v5, vcc, v12, v10
	v_mad_u64_u32 v[8:9], s[2:3], v7, v6, 0
	v_addc_co_u32_e32 v5, vcc, v13, v11, vcc
	v_addc_co_u32_e32 v6, vcc, 0, v9, vcc
	v_add_co_u32_e32 v5, vcc, v5, v8
	v_mad_u64_u32 v[8:9], s[2:3], s36, v5, 0
	v_addc_co_u32_e32 v12, vcc, 0, v6, vcc
	v_mov_b32_e32 v6, v9
	v_mad_u64_u32 v[10:11], s[2:3], s36, v12, v[6:7]
	v_sub_co_u32_e32 v1, vcc, v1, v8
	v_subb_co_u32_e32 v6, vcc, v7, v10, vcc
	v_subrev_co_u32_e32 v7, vcc, s36, v1
	v_subbrev_co_u32_e32 v8, vcc, 0, v6, vcc
	v_cmp_le_u32_e32 vcc, s36, v7
	v_cndmask_b32_e64 v7, 0, -1, vcc
	v_cmp_eq_u32_e32 vcc, 0, v8
	v_cndmask_b32_e32 v7, -1, v7, vcc
	v_add_co_u32_e32 v8, vcc, 2, v5
	v_addc_co_u32_e32 v9, vcc, 0, v12, vcc
	v_add_co_u32_e32 v10, vcc, 1, v5
	v_cmp_le_u32_e64 s[2:3], s36, v1
	v_addc_co_u32_e32 v11, vcc, 0, v12, vcc
	v_cndmask_b32_e64 v1, 0, -1, s[2:3]
	v_cmp_eq_u32_e64 s[2:3], 0, v6
	v_cmp_ne_u32_e32 vcc, 0, v7
	v_cndmask_b32_e64 v1, -1, v1, s[2:3]
	v_cndmask_b32_e32 v7, v11, v9, vcc
	v_cmp_ne_u32_e64 s[2:3], 0, v1
	v_cndmask_b32_e32 v1, v10, v8, vcc
	v_cndmask_b32_e64 v9, v12, v7, s[2:3]
	v_cndmask_b32_e64 v8, v5, v1, s[2:3]
                                        ; implicit-def: $vgpr1
.LBB617_55:
	s_andn2_saveexec_b64 s[2:3], s[8:9]
	s_cbranch_execz .LBB617_57
; %bb.56:
	v_cvt_f32_u32_e32 v5, s36
	s_sub_i32 s8, 0, s36
	v_mov_b32_e32 v9, 0
	v_rcp_iflag_f32_e32 v5, v5
	v_mul_f32_e32 v5, 0x4f7ffffe, v5
	v_cvt_u32_f32_e32 v5, v5
	v_mul_lo_u32 v6, s8, v5
	v_mul_hi_u32 v6, v5, v6
	v_add_u32_e32 v5, v5, v6
	v_mul_hi_u32 v5, v1, v5
	v_mul_lo_u32 v6, v5, s36
	v_sub_u32_e32 v1, v1, v6
	v_add_u32_e32 v7, 1, v5
	v_subrev_u32_e32 v6, s36, v1
	v_cmp_le_u32_e32 vcc, s36, v1
	v_cndmask_b32_e32 v1, v1, v6, vcc
	v_cndmask_b32_e32 v5, v5, v7, vcc
	v_add_u32_e32 v6, 1, v5
	v_cmp_le_u32_e32 vcc, s36, v1
	v_cndmask_b32_e32 v8, v5, v6, vcc
.LBB617_57:
	s_or_b64 exec, exec, s[2:3]
	v_add_co_u32_e32 v1, vcc, v8, v4
	v_addc_co_u32_e32 v5, vcc, 0, v9, vcc
	v_add_co_u32_e32 v4, vcc, 1, v1
	v_addc_co_u32_e32 v5, vcc, 0, v5, vcc
	s_cmp_lg_u32 s36, 1
	v_cmp_gt_u64_e32 vcc, 4, v[4:5]
	s_cselect_b64 s[2:3], -1, 0
                                        ; kill: def $vgpr6_vgpr7 killed $sgpr0_sgpr1 killed $exec
	s_or_b64 s[8:9], vcc, s[2:3]
	s_mov_b64 s[2:3], 0
	v_mov_b32_e32 v7, v5
	s_and_saveexec_b64 s[10:11], s[8:9]
	s_xor_b64 s[8:9], exec, s[10:11]
; %bb.58:
	s_mov_b64 s[2:3], exec
                                        ; implicit-def: $vgpr4_vgpr5
                                        ; implicit-def: $vgpr7
; %bb.59:
	s_or_saveexec_b64 s[8:9], s[8:9]
	v_pk_mov_b32 v[10:11], s[42:43], s[42:43] op_sel:[0,1]
	v_pk_mov_b32 v[8:9], s[46:47], s[46:47] op_sel:[0,1]
	s_xor_b64 exec, exec, s[8:9]
	s_cbranch_execz .LBB617_63
; %bb.60:
	v_lshlrev_b64 v[8:9], 2, v[2:3]
	s_lshl_b32 s12, s36, 4
	v_mov_b32_e32 v1, s43
	v_add_co_u32_e32 v8, vcc, s42, v8
	s_add_u32 s10, s20, s46
	v_addc_co_u32_e32 v1, vcc, v1, v9, vcc
	v_lshlrev_b64 v[10:11], 1, v[2:3]
	s_addc_u32 s11, s21, s47
	v_mov_b32_e32 v9, s11
	v_add_co_u32_e32 v10, vcc, s10, v10
	v_addc_co_u32_e32 v9, vcc, v9, v11, vcc
	v_and_b32_e32 v6, -4, v4
	s_mov_b32 s14, 0
	v_add_co_u32_e32 v10, vcc, 4, v10
	s_mov_b32 s31, s30
	v_addc_co_u32_e32 v11, vcc, 0, v9, vcc
	s_lshl_b32 s13, s36, 3
	s_mov_b64 s[10:11], 0
	v_mov_b32_e32 v9, s25
	v_mov_b32_e32 v14, s23
	v_mov_b32_e32 v15, s14
	v_mov_b32_e32 v16, s14
	v_pk_mov_b32 v[12:13], v[6:7], v[6:7] op_sel:[0,1]
.LBB617_61:                             ; =>This Inner Loop Header: Depth=1
	v_add_co_u32_e32 v26, vcc, s24, v8
	v_addc_co_u32_e32 v27, vcc, v9, v1, vcc
	v_add_co_u32_e32 v28, vcc, s22, v8
	v_addc_co_u32_e32 v29, vcc, v14, v1, vcc
	global_load_dwordx4 v[18:21], v[26:27], off
	global_load_dwordx4 v[22:25], v[28:29], off
	v_add_co_u32_e32 v12, vcc, -4, v12
	v_addc_co_u32_e32 v13, vcc, -1, v13, vcc
	v_add_co_u32_e32 v8, vcc, s12, v8
	v_addc_co_u32_e32 v1, vcc, v1, v15, vcc
	v_cmp_eq_u64_e32 vcc, 0, v[12:13]
	s_or_b64 s[10:11], vcc, s[10:11]
	s_waitcnt vmcnt(0)
	v_pk_fma_f32 v[18:19], s[30:31], v[22:23], v[18:19] neg_lo:[1,0,0] neg_hi:[1,0,0]
	v_pk_fma_f32 v[20:21], s[30:31], v[24:25], v[20:21] neg_lo:[1,0,0] neg_hi:[1,0,0]
	v_cvt_f16_f32_e32 v17, v19
	v_cvt_f16_f32_e32 v19, v21
	;; [unrolled: 1-line block ×4, first 2 shown]
	v_pack_b32_f16 v19, v20, v19
	v_pack_b32_f16 v18, v18, v17
	global_store_dwordx2 v[10:11], v[18:19], off offset:-4
	v_add_co_u32_e32 v10, vcc, s13, v10
	v_addc_co_u32_e32 v11, vcc, v11, v16, vcc
	s_andn2_b64 exec, exec, s[10:11]
	s_cbranch_execnz .LBB617_61
; %bb.62:
	s_or_b64 exec, exec, s[10:11]
	v_mad_u64_u32 v[2:3], s[10:11], v6, s36, v[2:3]
	v_mov_b32_e32 v8, v3
	v_mad_u64_u32 v[8:9], s[10:11], v7, s36, v[8:9]
	v_cmp_ne_u64_e32 vcc, v[4:5], v[6:7]
	s_andn2_b64 s[2:3], s[2:3], exec
	s_and_b64 s[10:11], vcc, exec
	v_mov_b32_e32 v3, v8
	v_pk_mov_b32 v[10:11], s[42:43], s[42:43] op_sel:[0,1]
	v_pk_mov_b32 v[8:9], s[46:47], s[46:47] op_sel:[0,1]
	s_or_b64 s[2:3], s[2:3], s[10:11]
                                        ; kill: def $vgpr1 killed $sgpr0 killed $exec
.LBB617_63:
	s_or_b64 exec, exec, s[8:9]
	s_and_b64 exec, exec, s[2:3]
	s_cbranch_execz .LBB617_66
; %bb.64:
	v_lshlrev_b64 v[4:5], 2, v[2:3]
	v_add_co_u32_e32 v4, vcc, v10, v4
	v_addc_co_u32_e32 v1, vcc, v11, v5, vcc
	v_lshlrev_b64 v[6:7], 1, v[2:3]
	v_add_co_u32_e32 v5, vcc, v8, v6
	v_addc_co_u32_e32 v7, vcc, v9, v7, vcc
	s_mov_b32 s10, 0
	v_mov_b32_e32 v8, s21
	v_add_co_u32_e32 v6, vcc, s20, v5
	s_lshl_b32 s8, s36, 2
	v_addc_co_u32_e32 v7, vcc, v8, v7, vcc
	s_lshl_b32 s9, s36, 1
	s_mov_b64 s[2:3], 0
	v_mov_b32_e32 v5, s25
	v_mov_b32_e32 v8, s23
	;; [unrolled: 1-line block ×5, first 2 shown]
.LBB617_65:                             ; =>This Inner Loop Header: Depth=1
	v_add_co_u32_e32 v12, vcc, s24, v4
	v_addc_co_u32_e32 v13, vcc, v5, v1, vcc
	v_add_co_u32_e32 v14, vcc, s22, v4
	v_addc_co_u32_e32 v15, vcc, v8, v1, vcc
	global_load_dword v16, v[12:13], off
	global_load_dword v17, v[14:15], off
	v_add_co_u32_e32 v2, vcc, s36, v2
	v_addc_co_u32_e32 v3, vcc, v3, v9, vcc
	v_add_co_u32_e32 v4, vcc, s8, v4
	v_addc_co_u32_e32 v1, vcc, v1, v10, vcc
	v_cmp_le_i64_e32 vcc, s[44:45], v[2:3]
	s_or_b64 s[2:3], vcc, s[2:3]
	s_waitcnt vmcnt(0)
	v_fma_mixlo_f16 v12, -s30, v17, v16
	global_store_short v[6:7], v12, off
	v_add_co_u32_e32 v6, vcc, s9, v6
	v_addc_co_u32_e32 v7, vcc, v7, v11, vcc
	s_andn2_b64 exec, exec, s[2:3]
	s_cbranch_execnz .LBB617_65
.LBB617_66:
	s_or_b64 exec, exec, s[4:5]
	s_mov_b64 s[2:3], 0
.LBB617_67:
	s_and_b64 vcc, exec, s[2:3]
	s_cbranch_vccz .LBB617_112
; %bb.68:
	s_lshl_b32 s2, s36, 2
	v_cvt_f32_u32_e32 v1, s2
	s_sub_i32 s3, 0, s2
	v_mov_b32_e32 v2, v0
	v_rcp_iflag_f32_e32 v1, v1
	v_mul_f32_e32 v1, 0x4f7ffffe, v1
	v_cvt_u32_f32_e32 v1, v1
	v_readfirstlane_b32 s4, v1
	s_mul_i32 s3, s3, s4
	s_mul_hi_u32 s3, s4, s3
	s_add_i32 s4, s4, s3
	s_mul_hi_u32 s3, s26, s4
	s_mul_i32 s3, s3, s2
	s_sub_i32 s3, s26, s3
	s_sub_i32 s4, s3, s2
	s_cmp_ge_u32 s3, s2
	s_cselect_b32 s3, s4, s3
	s_sub_i32 s4, s3, s2
	s_cmp_ge_u32 s3, s2
	s_cselect_b32 s2, s4, s3
	s_sub_i32 s7, s26, s2
	v_cmp_gt_i32_e32 vcc, s7, v0
	s_and_saveexec_b64 s[2:3], vcc
	s_cbranch_execz .LBB617_72
; %bb.69:
	s_add_i32 s10, s36, s36
	s_lshl_b32 s8, s36, 1
	s_mul_i32 s9, s36, 3
	s_mov_b64 s[4:5], 0
	v_mov_b32_e32 v1, s39
	v_mov_b32_e32 v4, s19
	;; [unrolled: 1-line block ×3, first 2 shown]
	s_add_i32 s10, s10, s36
	v_mov_b32_e32 v3, 0
	v_mov_b32_e32 v2, v0
.LBB617_70:                             ; =>This Inner Loop Header: Depth=1
	v_lshlrev_b64 v[6:7], 2, v[2:3]
	v_add_co_u32_e32 v14, vcc, s38, v6
	v_addc_co_u32_e32 v15, vcc, v1, v7, vcc
	v_add_u32_e32 v8, s36, v2
	v_mov_b32_e32 v9, v3
	v_add_co_u32_e32 v6, vcc, s18, v6
	v_addc_co_u32_e32 v7, vcc, v4, v7, vcc
	v_lshlrev_b64 v[16:17], 2, v[8:9]
	global_load_dword v24, v[14:15], off
	global_load_dword v25, v[6:7], off
	v_add_co_u32_e32 v6, vcc, s38, v16
	v_addc_co_u32_e32 v7, vcc, v1, v17, vcc
	v_add_u32_e32 v10, s8, v2
	v_mov_b32_e32 v11, v3
	v_add_co_u32_e32 v14, vcc, s18, v16
	v_lshlrev_b64 v[18:19], 2, v[10:11]
	v_addc_co_u32_e32 v15, vcc, v4, v17, vcc
	v_add_co_u32_e32 v16, vcc, s38, v18
	v_addc_co_u32_e32 v17, vcc, v1, v19, vcc
	v_add_u32_e32 v12, s9, v2
	v_mov_b32_e32 v13, v3
	v_add_co_u32_e32 v18, vcc, s18, v18
	v_lshlrev_b64 v[20:21], 2, v[12:13]
	v_addc_co_u32_e32 v19, vcc, v4, v19, vcc
	v_add_co_u32_e32 v22, vcc, s38, v20
	v_addc_co_u32_e32 v23, vcc, v1, v21, vcc
	v_add_co_u32_e32 v20, vcc, s18, v20
	v_addc_co_u32_e32 v21, vcc, v4, v21, vcc
	global_load_dword v26, v[6:7], off
	global_load_dword v27, v[14:15], off
	;; [unrolled: 1-line block ×6, first 2 shown]
	v_lshlrev_b64 v[6:7], 1, v[2:3]
	v_add_co_u32_e32 v6, vcc, s34, v6
	v_addc_co_u32_e32 v7, vcc, v5, v7, vcc
	v_lshlrev_b64 v[14:15], 1, v[8:9]
	v_add_u32_e32 v2, s10, v8
	v_add_co_u32_e32 v8, vcc, s34, v14
	v_lshlrev_b64 v[10:11], 1, v[10:11]
	v_addc_co_u32_e32 v9, vcc, v5, v15, vcc
	v_add_co_u32_e32 v10, vcc, s34, v10
	v_lshlrev_b64 v[12:13], 1, v[12:13]
	v_addc_co_u32_e32 v11, vcc, v5, v11, vcc
	v_add_co_u32_e32 v12, vcc, s34, v12
	v_addc_co_u32_e32 v13, vcc, v5, v13, vcc
	v_cmp_le_i32_e32 vcc, s7, v2
	s_or_b64 s[4:5], vcc, s[4:5]
	s_waitcnt vmcnt(6)
	v_fma_mixlo_f16 v14, -s30, v24, v25
	global_store_short v[6:7], v14, off
	s_waitcnt vmcnt(5)
	v_fma_mixlo_f16 v6, -s30, v26, v27
	s_waitcnt vmcnt(3)
	v_fma_mixlo_f16 v7, -s30, v28, v29
	;; [unrolled: 2-line block ×3, first 2 shown]
	global_store_short v[8:9], v6, off
	global_store_short v[10:11], v7, off
	;; [unrolled: 1-line block ×3, first 2 shown]
	s_andn2_b64 exec, exec, s[4:5]
	s_cbranch_execnz .LBB617_70
; %bb.71:
	s_or_b64 exec, exec, s[4:5]
.LBB617_72:
	s_or_b64 exec, exec, s[2:3]
	v_cmp_gt_i32_e32 vcc, s26, v2
	s_and_saveexec_b64 s[2:3], vcc
	s_cbranch_execz .LBB617_75
; %bb.73:
	s_mov_b64 s[4:5], 0
	v_mov_b32_e32 v1, s19
	v_mov_b32_e32 v4, s39
	v_mov_b32_e32 v5, s35
                                        ; kill: def $vgpr3 killed $sgpr0 killed $exec
.LBB617_74:                             ; =>This Inner Loop Header: Depth=1
	v_ashrrev_i32_e32 v3, 31, v2
	v_lshlrev_b64 v[6:7], 2, v[2:3]
	v_add_co_u32_e32 v8, vcc, s18, v6
	v_addc_co_u32_e32 v9, vcc, v1, v7, vcc
	v_add_co_u32_e32 v6, vcc, s38, v6
	v_addc_co_u32_e32 v7, vcc, v4, v7, vcc
	global_load_dword v8, v[8:9], off
	s_nop 0
	global_load_dword v9, v[6:7], off
	v_lshlrev_b64 v[6:7], 1, v[2:3]
	v_add_co_u32_e32 v6, vcc, s34, v6
	v_add_u32_e32 v2, s36, v2
	v_addc_co_u32_e32 v7, vcc, v5, v7, vcc
	v_cmp_le_i32_e32 vcc, s26, v2
	s_or_b64 s[4:5], vcc, s[4:5]
	s_waitcnt vmcnt(0)
	v_fma_mixlo_f16 v3, -s30, v9, v8
	global_store_short v[6:7], v3, off
	s_andn2_b64 exec, exec, s[4:5]
	s_cbranch_execnz .LBB617_74
.LBB617_75:
	s_or_b64 exec, exec, s[2:3]
	s_mov_b64 s[2:3], 0
.LBB617_76:
	s_andn2_b64 vcc, exec, s[2:3]
	s_cbranch_vccnz .LBB617_113
.LBB617_77:
	s_cmp_lg_u64 s[40:41], 0
	s_cselect_b64 s[4:5], -1, 0
	v_cndmask_b32_e64 v1, 0, 1, s[4:5]
	s_mov_b64 s[2:3], -1
	s_and_b64 vcc, exec, s[0:1]
	v_cmp_ne_u32_e64 s[0:1], 1, v1
	s_cbranch_vccz .LBB617_101
; %bb.78:
	v_mov_b32_e32 v1, 0
	s_and_b64 vcc, exec, s[0:1]
	s_mov_b64 s[4:5], s[26:27]
	s_mov_b64 s[12:13], s[34:35]
	;; [unrolled: 1-line block ×4, first 2 shown]
	s_cbranch_vccnz .LBB617_82
; %bb.79:
	s_lshl_b32 s2, s40, 1
	s_sub_u32 s10, s34, s2
	s_subb_u32 s13, s35, 0
	s_lshl_b32 s2, s40, 2
	s_sub_u32 s8, s38, s2
	s_subb_u32 s9, s39, 0
	s_sub_u32 s7, s18, s2
	s_mov_b32 s37, 0
	s_subb_u32 s11, s19, 0
	v_cmp_le_u64_e32 vcc, s[40:41], v[0:1]
	s_and_saveexec_b64 s[2:3], vcc
	s_cbranch_execz .LBB617_81
; %bb.80:
	v_lshlrev_b64 v[2:3], 2, v[0:1]
	v_mov_b32_e32 v5, s11
	v_add_co_u32_e32 v4, vcc, s7, v2
	v_addc_co_u32_e32 v5, vcc, v5, v3, vcc
	global_load_dword v4, v[4:5], off
	v_mov_b32_e32 v5, s9
	v_add_co_u32_e32 v2, vcc, s8, v2
	v_addc_co_u32_e32 v3, vcc, v5, v3, vcc
	global_load_dword v5, v[2:3], off
	v_lshlrev_b64 v[2:3], 1, v[0:1]
	v_mov_b32_e32 v6, s13
	v_add_co_u32_e32 v2, vcc, s10, v2
	v_addc_co_u32_e32 v3, vcc, v6, v3, vcc
	s_waitcnt vmcnt(0)
	v_fma_mixlo_f16 v4, -s30, v5, v4
	global_store_short v[2:3], v4, off
.LBB617_81:
	s_or_b64 exec, exec, s[2:3]
	s_add_u32 s2, s40, s26
	s_addc_u32 s3, 0, s27
	v_pk_mov_b32 v[2:3], s[36:37], s[36:37] op_sel:[0,1]
	v_cmp_lt_i64_e32 vcc, s[2:3], v[2:3]
	s_and_b64 s[4:5], vcc, exec
	s_cselect_b32 s4, s2, s36
	s_cselect_b32 s5, s3, 0
	s_sub_u32 s4, s2, s4
	s_subb_u32 s5, s3, s5
	s_lshl_b32 s2, s36, 1
	s_add_u32 s12, s10, s2
	s_addc_u32 s13, s13, 0
	s_lshl_b32 s2, s36, 2
	s_add_u32 s8, s8, s2
	s_addc_u32 s9, s9, 0
	s_add_u32 s10, s7, s2
	s_addc_u32 s11, s11, 0
.LBB617_82:
	s_load_dword s2, s[28:29], 0x0
	v_mov_b32_e32 v2, 0
	s_mov_b32 s21, 0
	s_waitcnt lgkmcnt(0)
	s_cmp_lt_u32 s6, s2
	s_cselect_b32 s2, 12, 18
	s_add_u32 s2, s28, s2
	s_addc_u32 s3, s29, 0
	global_load_ushort v2, v2, s[2:3]
	s_mov_b32 s2, s21
	s_waitcnt vmcnt(0)
	v_readfirstlane_b32 s3, v2
	s_and_b32 s7, s3, 0xffff
	s_lshl_b32 s20, s7, 2
	s_mov_b32 s3, s5
	s_cmp_lg_u64 s[2:3], 0
	s_cbranch_scc0 .LBB617_114
; %bb.83:
	v_cvt_f32_u32_e32 v2, s20
	v_cvt_f32_ubyte0_e32 v3, 0
	s_sub_u32 s14, 0, s20
	s_subb_u32 s15, 0, 0
	v_madmk_f32 v2, v3, 0x4f800000, v2
	v_rcp_f32_e32 v2, v2
	v_mul_f32_e32 v2, 0x5f7ffffc, v2
	v_mul_f32_e32 v3, 0x2f800000, v2
	v_trunc_f32_e32 v3, v3
	v_madmk_f32 v2, v3, 0xcf800000, v2
	v_cvt_u32_f32_e32 v3, v3
	v_cvt_u32_f32_e32 v2, v2
	v_readfirstlane_b32 s16, v3
	v_readfirstlane_b32 s17, v2
	s_mul_i32 s22, s14, s16
	s_mul_hi_u32 s24, s14, s17
	s_mul_i32 s23, s15, s17
	s_add_i32 s22, s24, s22
	s_add_i32 s22, s22, s23
	s_mul_i32 s25, s14, s17
	s_mul_hi_u32 s23, s17, s22
	s_mul_i32 s24, s17, s22
	s_mul_hi_u32 s17, s17, s25
	s_add_u32 s17, s17, s24
	s_addc_u32 s23, 0, s23
	s_mul_hi_u32 s27, s16, s25
	s_mul_i32 s25, s16, s25
	s_add_u32 s17, s17, s25
	s_mul_hi_u32 s24, s16, s22
	s_addc_u32 s17, s23, s27
	s_addc_u32 s23, s24, 0
	s_mul_i32 s22, s16, s22
	s_add_u32 s17, s17, s22
	s_addc_u32 s22, 0, s23
	v_add_co_u32_e32 v2, vcc, s17, v2
	s_cmp_lg_u64 vcc, 0
	s_addc_u32 s16, s16, s22
	v_readfirstlane_b32 s22, v2
	s_mul_i32 s17, s14, s16
	s_mul_hi_u32 s23, s14, s22
	s_add_i32 s17, s23, s17
	s_mul_i32 s15, s15, s22
	s_add_i32 s17, s17, s15
	s_mul_i32 s14, s14, s22
	s_mul_hi_u32 s23, s16, s14
	s_mul_i32 s24, s16, s14
	s_mul_i32 s27, s22, s17
	s_mul_hi_u32 s14, s22, s14
	s_mul_hi_u32 s25, s22, s17
	s_add_u32 s14, s14, s27
	s_addc_u32 s22, 0, s25
	s_add_u32 s14, s14, s24
	s_mul_hi_u32 s15, s16, s17
	s_addc_u32 s14, s22, s23
	s_addc_u32 s15, s15, 0
	s_mul_i32 s17, s16, s17
	s_add_u32 s14, s14, s17
	s_addc_u32 s15, 0, s15
	v_add_co_u32_e32 v2, vcc, s14, v2
	s_cmp_lg_u64 vcc, 0
	s_addc_u32 s22, s16, s15
	s_ashr_i32 s14, s5, 31
	s_add_u32 s16, s4, s14
	s_mov_b32 s15, s14
	s_addc_u32 s17, s5, s14
	s_xor_b64 s[16:17], s[16:17], s[14:15]
	v_readfirstlane_b32 s24, v2
	s_mul_i32 s23, s16, s22
	s_mul_hi_u32 s25, s16, s24
	s_mul_hi_u32 s15, s16, s22
	s_add_u32 s23, s25, s23
	s_addc_u32 s15, 0, s15
	s_mul_hi_u32 s27, s17, s24
	s_mul_i32 s24, s17, s24
	s_add_u32 s23, s23, s24
	s_mul_hi_u32 s25, s17, s22
	s_addc_u32 s15, s15, s27
	s_addc_u32 s23, s25, 0
	s_mul_i32 s22, s17, s22
	s_add_u32 s15, s15, s22
	s_addc_u32 s22, 0, s23
	s_mul_hi_u32 s23, s20, s15
	s_mul_i32 s15, s20, s15
	s_mul_i32 s22, s20, s22
	v_mov_b32_e32 v2, s15
	s_add_i32 s23, s23, s22
	v_sub_co_u32_e32 v2, vcc, s16, v2
	s_cmp_lg_u64 vcc, 0
	s_subb_u32 s15, s17, s23
	v_subrev_co_u32_e32 v3, vcc, s20, v2
	s_cmp_lg_u64 vcc, 0
	s_subb_u32 s16, s15, 0
	v_subrev_co_u32_e32 v4, vcc, s20, v3
	s_cmp_lg_u64 vcc, 0
	s_subb_u32 s17, s16, 0
	v_cmp_le_u32_e32 vcc, s20, v3
	s_cmp_eq_u32 s16, 0
	v_cndmask_b32_e64 v5, 0, -1, vcc
	s_cselect_b64 vcc, -1, 0
	v_cndmask_b32_e32 v5, -1, v5, vcc
	v_mov_b32_e32 v6, s16
	v_mov_b32_e32 v7, s17
	v_cmp_ne_u32_e32 vcc, 0, v5
	v_cndmask_b32_e32 v5, v6, v7, vcc
	v_cndmask_b32_e32 v3, v3, v4, vcc
	v_cmp_le_u32_e32 vcc, s20, v2
	s_cmp_eq_u32 s15, 0
	v_cndmask_b32_e64 v4, 0, -1, vcc
	s_cselect_b64 vcc, -1, 0
	v_cndmask_b32_e32 v4, -1, v4, vcc
	v_cmp_ne_u32_e32 vcc, 0, v4
	v_mov_b32_e32 v6, s15
	v_cndmask_b32_e32 v2, v2, v3, vcc
	v_cndmask_b32_e32 v4, v6, v5, vcc
	v_xor_b32_e32 v2, s14, v2
	v_xor_b32_e32 v3, s14, v4
	v_mov_b32_e32 v5, s14
	v_subrev_co_u32_e32 v4, vcc, s14, v2
	v_subb_co_u32_e32 v5, vcc, v3, v5, vcc
	s_cbranch_execnz .LBB617_85
.LBB617_84:
	v_cvt_f32_u32_e32 v2, s20
	s_sub_i32 s2, 0, s20
	v_mov_b32_e32 v5, 0
	v_rcp_iflag_f32_e32 v2, v2
	v_mul_f32_e32 v2, 0x4f7ffffe, v2
	v_cvt_u32_f32_e32 v2, v2
	v_mul_lo_u32 v3, s2, v2
	v_mul_hi_u32 v3, v2, v3
	v_add_u32_e32 v2, v2, v3
	v_mul_hi_u32 v2, s4, v2
	v_mul_lo_u32 v2, v2, s20
	v_sub_u32_e32 v2, s4, v2
	v_subrev_u32_e32 v3, s20, v2
	v_cmp_le_u32_e32 vcc, s20, v2
	v_cndmask_b32_e32 v2, v2, v3, vcc
	v_subrev_u32_e32 v3, s20, v2
	v_cmp_le_u32_e32 vcc, s20, v2
	v_cndmask_b32_e32 v4, v2, v3, vcc
.LBB617_85:
	v_mov_b32_e32 v3, s5
	v_sub_co_u32_e32 v2, vcc, s4, v4
	v_subb_co_u32_e32 v3, vcc, v3, v5, vcc
	v_lshlrev_b64 v[6:7], 2, v[0:1]
	v_cmp_lt_i64_e32 vcc, v[6:7], v[2:3]
	s_and_saveexec_b64 s[2:3], vcc
	s_cbranch_execz .LBB617_88
; %bb.86:
	v_lshlrev_b64 v[8:9], 3, v[0:1]
	s_mov_b32 s24, 0
	v_mov_b32_e32 v10, s13
	v_add_co_u32_e32 v8, vcc, s12, v8
	s_mov_b32 s31, s30
	v_lshlrev_b64 v[6:7], 4, v[0:1]
	s_lshl_b32 s22, s7, 4
	v_addc_co_u32_e32 v9, vcc, v10, v9, vcc
	s_lshl_b32 s23, s7, 3
	s_mov_b64 s[14:15], 0
	v_mov_b32_e32 v12, s9
	v_mov_b32_e32 v13, s11
	s_xor_b32 s17, s30, 0x80000000
	s_xor_b32 s16, s30, 0x80000000
	v_mov_b32_e32 v14, s21
	v_mov_b32_e32 v15, s24
	;; [unrolled: 1-line block ×3, first 2 shown]
	v_pk_mov_b32 v[10:11], v[0:1], v[0:1] op_sel:[0,1]
	s_mov_b32 s25, s24
.LBB617_87:                             ; =>This Inner Loop Header: Depth=1
	v_add_co_u32_e32 v26, vcc, s8, v6
	v_addc_co_u32_e32 v27, vcc, v12, v7, vcc
	v_add_co_u32_e32 v28, vcc, s10, v6
	v_addc_co_u32_e32 v29, vcc, v13, v7, vcc
	global_load_dwordx4 v[18:21], v[26:27], off
	global_load_dwordx4 v[22:25], v[28:29], off
	v_add_co_u32_e32 v10, vcc, s7, v10
	v_addc_co_u32_e32 v11, vcc, v11, v14, vcc
	v_add_co_u32_e32 v6, vcc, s22, v6
	v_addc_co_u32_e32 v7, vcc, v7, v15, vcc
	v_lshlrev_b64 v[26:27], 2, v[10:11]
	v_cmp_ge_i64_e32 vcc, v[26:27], v[2:3]
	s_or_b64 s[14:15], vcc, s[14:15]
	s_waitcnt vmcnt(0)
	v_pk_fma_f32 v[20:21], s[16:17], v[20:21], v[24:25]
	v_pk_fma_f32 v[18:19], s[30:31], v[18:19], v[22:23] neg_lo:[1,0,0] neg_hi:[1,0,0]
	v_cvt_f16_f32_e32 v1, v21
	v_cvt_f16_f32_e32 v17, v20
	;; [unrolled: 1-line block ×4, first 2 shown]
	v_pack_b32_f16 v19, v17, v1
	v_pack_b32_f16 v18, v18, v20
	global_store_dwordx2 v[8:9], v[18:19], off
	v_add_co_u32_e32 v8, vcc, s23, v8
	v_addc_co_u32_e32 v9, vcc, v9, v16, vcc
	s_andn2_b64 exec, exec, s[14:15]
	s_cbranch_execnz .LBB617_87
.LBB617_88:
	s_or_b64 exec, exec, s[2:3]
	v_add_co_u32_e32 v2, vcc, v2, v0
	v_addc_co_u32_e32 v3, vcc, 0, v3, vcc
	v_cmp_gt_i64_e32 vcc, s[4:5], v[2:3]
	s_and_saveexec_b64 s[14:15], vcc
	s_cbranch_execz .LBB617_100
; %bb.89:
	v_mov_b32_e32 v1, s21
	v_add_co_u32_e32 v6, vcc, s7, v0
	v_addc_co_u32_e32 v7, vcc, 0, v1, vcc
	v_mov_b32_e32 v1, s5
	v_add_co_u32_e32 v8, vcc, s4, v6
	v_addc_co_u32_e32 v9, vcc, v7, v1, vcc
	v_sub_co_u32_e32 v8, vcc, v8, v4
	v_subb_co_u32_e32 v9, vcc, v9, v5, vcc
	v_mov_b32_e32 v10, s5
	v_cmp_gt_i64_e32 vcc, s[4:5], v[8:9]
	v_cndmask_b32_e32 v9, v9, v10, vcc
	v_mov_b32_e32 v10, s4
	v_cndmask_b32_e32 v8, v8, v10, vcc
	v_add_co_u32_e32 v4, vcc, v4, v8
	v_addc_co_u32_e32 v5, vcc, v5, v9, vcc
	v_subrev_co_u32_e32 v8, vcc, s4, v4
	v_subb_co_u32_e32 v9, vcc, v5, v1, vcc
	v_cmp_ne_u64_e32 vcc, v[8:9], v[6:7]
	v_cndmask_b32_e64 v4, 0, 1, vcc
	v_add_co_u32_e32 v1, vcc, v6, v4
	v_addc_co_u32_e32 v5, vcc, 0, v7, vcc
	v_sub_co_u32_e32 v1, vcc, v8, v1
	v_subb_co_u32_e32 v7, vcc, v9, v5, vcc
	v_mov_b32_e32 v6, 0
	v_cmp_ne_u64_e32 vcc, 0, v[6:7]
                                        ; implicit-def: $vgpr8_vgpr9
	s_and_saveexec_b64 s[2:3], vcc
	s_xor_b64 s[16:17], exec, s[2:3]
	s_cbranch_execz .LBB617_91
; %bb.90:
	v_cvt_f32_u32_e32 v5, s7
	v_mov_b32_e32 v6, 0x4f800000
	s_sub_u32 s2, 0, s7
	s_subb_u32 s3, 0, 0
	v_mac_f32_e32 v5, 0, v6
	v_rcp_f32_e32 v5, v5
	v_mul_f32_e32 v5, 0x5f7ffffc, v5
	v_mul_f32_e32 v6, 0x2f800000, v5
	v_trunc_f32_e32 v6, v6
	v_madmk_f32 v5, v6, 0xcf800000, v5
	v_cvt_u32_f32_e32 v6, v6
	v_cvt_u32_f32_e32 v5, v5
	v_mul_lo_u32 v8, s2, v6
	v_mul_hi_u32 v10, s2, v5
	v_mul_lo_u32 v9, s3, v5
	v_add_u32_e32 v8, v10, v8
	v_mul_lo_u32 v11, s2, v5
	v_add_u32_e32 v8, v8, v9
	v_mul_hi_u32 v10, v5, v11
	v_mul_lo_u32 v12, v5, v8
	v_mul_hi_u32 v9, v5, v8
	v_add_co_u32_e32 v10, vcc, v10, v12
	v_addc_co_u32_e32 v9, vcc, 0, v9, vcc
	v_mul_hi_u32 v13, v6, v11
	v_mul_lo_u32 v11, v6, v11
	v_add_co_u32_e32 v10, vcc, v10, v11
	v_mul_hi_u32 v12, v6, v8
	v_addc_co_u32_e32 v9, vcc, v9, v13, vcc
	v_addc_co_u32_e32 v10, vcc, 0, v12, vcc
	v_mul_lo_u32 v8, v6, v8
	v_add_co_u32_e32 v8, vcc, v9, v8
	v_addc_co_u32_e32 v9, vcc, 0, v10, vcc
	v_add_co_u32_e32 v5, vcc, v5, v8
	v_addc_co_u32_e32 v6, vcc, v6, v9, vcc
	v_mul_lo_u32 v8, s2, v6
	v_mul_hi_u32 v9, s2, v5
	v_add_u32_e32 v8, v9, v8
	v_mul_lo_u32 v9, s3, v5
	v_add_u32_e32 v8, v8, v9
	v_mul_lo_u32 v10, s2, v5
	v_mul_hi_u32 v11, v6, v10
	v_mul_lo_u32 v12, v6, v10
	v_mul_lo_u32 v14, v5, v8
	v_mul_hi_u32 v10, v5, v10
	v_mul_hi_u32 v13, v5, v8
	v_add_co_u32_e32 v10, vcc, v10, v14
	v_addc_co_u32_e32 v13, vcc, 0, v13, vcc
	v_add_co_u32_e32 v10, vcc, v10, v12
	v_mul_hi_u32 v9, v6, v8
	v_addc_co_u32_e32 v10, vcc, v13, v11, vcc
	v_addc_co_u32_e32 v9, vcc, 0, v9, vcc
	v_mul_lo_u32 v8, v6, v8
	v_add_co_u32_e32 v8, vcc, v10, v8
	v_addc_co_u32_e32 v9, vcc, 0, v9, vcc
	v_add_co_u32_e32 v5, vcc, v5, v8
	v_addc_co_u32_e32 v6, vcc, v6, v9, vcc
	v_mad_u64_u32 v[8:9], s[2:3], v1, v6, 0
	v_mul_hi_u32 v10, v1, v5
	v_add_co_u32_e32 v12, vcc, v10, v8
	v_addc_co_u32_e32 v13, vcc, 0, v9, vcc
	v_mad_u64_u32 v[10:11], s[2:3], v7, v5, 0
	v_add_co_u32_e32 v5, vcc, v12, v10
	v_mad_u64_u32 v[8:9], s[2:3], v7, v6, 0
	v_addc_co_u32_e32 v5, vcc, v13, v11, vcc
	v_addc_co_u32_e32 v6, vcc, 0, v9, vcc
	v_add_co_u32_e32 v5, vcc, v5, v8
	v_mad_u64_u32 v[8:9], s[2:3], s7, v5, 0
	v_addc_co_u32_e32 v12, vcc, 0, v6, vcc
	v_mov_b32_e32 v6, v9
	v_mad_u64_u32 v[10:11], s[2:3], s7, v12, v[6:7]
	v_sub_co_u32_e32 v1, vcc, v1, v8
	v_subb_co_u32_e32 v6, vcc, v7, v10, vcc
	v_subrev_co_u32_e32 v7, vcc, s7, v1
	v_subbrev_co_u32_e32 v8, vcc, 0, v6, vcc
	v_cmp_le_u32_e32 vcc, s7, v7
	v_cndmask_b32_e64 v7, 0, -1, vcc
	v_cmp_eq_u32_e32 vcc, 0, v8
	v_cndmask_b32_e32 v7, -1, v7, vcc
	v_add_co_u32_e32 v8, vcc, 2, v5
	v_addc_co_u32_e32 v9, vcc, 0, v12, vcc
	v_add_co_u32_e32 v10, vcc, 1, v5
	v_cmp_le_u32_e64 s[2:3], s7, v1
	v_addc_co_u32_e32 v11, vcc, 0, v12, vcc
	v_cndmask_b32_e64 v1, 0, -1, s[2:3]
	v_cmp_eq_u32_e64 s[2:3], 0, v6
	v_cmp_ne_u32_e32 vcc, 0, v7
	v_cndmask_b32_e64 v1, -1, v1, s[2:3]
	v_cndmask_b32_e32 v7, v11, v9, vcc
	v_cmp_ne_u32_e64 s[2:3], 0, v1
	v_cndmask_b32_e32 v1, v10, v8, vcc
	v_cndmask_b32_e64 v9, v12, v7, s[2:3]
	v_cndmask_b32_e64 v8, v5, v1, s[2:3]
                                        ; implicit-def: $vgpr1
.LBB617_91:
	s_andn2_saveexec_b64 s[2:3], s[16:17]
	s_cbranch_execz .LBB617_93
; %bb.92:
	v_cvt_f32_u32_e32 v5, s7
	s_sub_i32 s16, 0, s7
	v_mov_b32_e32 v9, 0
	v_rcp_iflag_f32_e32 v5, v5
	v_mul_f32_e32 v5, 0x4f7ffffe, v5
	v_cvt_u32_f32_e32 v5, v5
	v_mul_lo_u32 v6, s16, v5
	v_mul_hi_u32 v6, v5, v6
	v_add_u32_e32 v5, v5, v6
	v_mul_hi_u32 v5, v1, v5
	v_mul_lo_u32 v6, v5, s7
	v_sub_u32_e32 v1, v1, v6
	v_add_u32_e32 v7, 1, v5
	v_subrev_u32_e32 v6, s7, v1
	v_cmp_le_u32_e32 vcc, s7, v1
	v_cndmask_b32_e32 v1, v1, v6, vcc
	v_cndmask_b32_e32 v5, v5, v7, vcc
	v_add_u32_e32 v6, 1, v5
	v_cmp_le_u32_e32 vcc, s7, v1
	v_cndmask_b32_e32 v8, v5, v6, vcc
.LBB617_93:
	s_or_b64 exec, exec, s[2:3]
	v_add_co_u32_e32 v1, vcc, v8, v4
	v_addc_co_u32_e32 v5, vcc, 0, v9, vcc
	v_add_co_u32_e32 v4, vcc, 1, v1
	v_addc_co_u32_e32 v5, vcc, 0, v5, vcc
	v_cmp_lt_u64_e32 vcc, 3, v[4:5]
	v_cmp_eq_u16_e64 s[2:3], s7, 1
	s_and_b64 s[22:23], vcc, s[2:3]
	s_mov_b64 s[16:17], -1
	s_and_saveexec_b64 s[2:3], s[22:23]
	s_cbranch_execz .LBB617_97
; %bb.94:
	v_lshlrev_b64 v[10:11], 1, v[2:3]
	v_mov_b32_e32 v1, s13
	v_add_co_u32_e32 v10, vcc, s12, v10
	v_addc_co_u32_e32 v1, vcc, v11, v1, vcc
	v_and_b32_e32 v6, -4, v4
	v_mov_b32_e32 v7, v5
	s_mov_b32 s24, 0
	v_add_co_u32_e32 v10, vcc, 4, v10
	s_mov_b32 s31, s30
	v_lshlrev_b64 v[8:9], 2, v[2:3]
	s_lshl_b32 s22, s7, 4
	v_addc_co_u32_e32 v11, vcc, 0, v1, vcc
	s_lshl_b32 s23, s7, 3
	s_mov_b64 s[16:17], 0
	v_mov_b32_e32 v1, s11
	v_mov_b32_e32 v14, s9
	;; [unrolled: 1-line block ×4, first 2 shown]
	v_pk_mov_b32 v[12:13], v[6:7], v[6:7] op_sel:[0,1]
	s_mov_b32 s25, s24
.LBB617_95:                             ; =>This Inner Loop Header: Depth=1
	v_add_co_u32_e32 v26, vcc, s10, v8
	v_addc_co_u32_e32 v27, vcc, v1, v9, vcc
	v_add_co_u32_e32 v28, vcc, s8, v8
	v_addc_co_u32_e32 v29, vcc, v14, v9, vcc
	global_load_dwordx4 v[18:21], v[26:27], off
	global_load_dwordx4 v[22:25], v[28:29], off
	v_add_co_u32_e32 v12, vcc, -4, v12
	v_addc_co_u32_e32 v13, vcc, -1, v13, vcc
	v_add_co_u32_e32 v8, vcc, s22, v8
	v_addc_co_u32_e32 v9, vcc, v9, v15, vcc
	v_cmp_eq_u64_e32 vcc, 0, v[12:13]
	s_or_b64 s[16:17], vcc, s[16:17]
	s_waitcnt vmcnt(0)
	v_pk_fma_f32 v[18:19], s[30:31], v[22:23], v[18:19] neg_lo:[1,0,0] neg_hi:[1,0,0]
	v_pk_fma_f32 v[20:21], s[30:31], v[24:25], v[20:21] neg_lo:[1,0,0] neg_hi:[1,0,0]
	v_cvt_f16_f32_e32 v17, v19
	v_cvt_f16_f32_e32 v19, v21
	;; [unrolled: 1-line block ×4, first 2 shown]
	v_pack_b32_f16 v19, v20, v19
	v_pack_b32_f16 v18, v18, v17
	global_store_dwordx2 v[10:11], v[18:19], off offset:-4
	v_add_co_u32_e32 v10, vcc, s23, v10
	v_addc_co_u32_e32 v11, vcc, v11, v16, vcc
	s_andn2_b64 exec, exec, s[16:17]
	s_cbranch_execnz .LBB617_95
; %bb.96:
	s_or_b64 exec, exec, s[16:17]
	v_mad_u64_u32 v[2:3], s[16:17], v6, s7, v[2:3]
	v_mov_b32_e32 v8, v3
	v_mad_u64_u32 v[8:9], s[16:17], v7, s7, v[8:9]
	v_cmp_ne_u64_e32 vcc, v[4:5], v[6:7]
	v_mov_b32_e32 v3, v8
	s_orn2_b64 s[16:17], vcc, exec
                                        ; kill: def $vgpr1 killed $sgpr0 killed $exec
.LBB617_97:
	s_or_b64 exec, exec, s[2:3]
	s_and_b64 exec, exec, s[16:17]
	s_cbranch_execz .LBB617_100
; %bb.98:
	v_lshlrev_b64 v[6:7], 1, v[2:3]
	v_mov_b32_e32 v1, s13
	v_add_co_u32_e32 v6, vcc, s12, v6
	s_mov_b32 s13, 0
	v_lshlrev_b64 v[4:5], 2, v[2:3]
	v_addc_co_u32_e32 v7, vcc, v1, v7, vcc
	s_lshl_b32 s12, s7, 1
	s_mov_b64 s[2:3], 0
	v_mov_b32_e32 v1, s11
	v_mov_b32_e32 v8, s9
	;; [unrolled: 1-line block ×4, first 2 shown]
.LBB617_99:                             ; =>This Inner Loop Header: Depth=1
	v_add_co_u32_e32 v12, vcc, s10, v4
	v_addc_co_u32_e32 v13, vcc, v1, v5, vcc
	v_add_co_u32_e32 v14, vcc, s8, v4
	v_addc_co_u32_e32 v15, vcc, v8, v5, vcc
	global_load_dword v11, v[12:13], off
	global_load_dword v16, v[14:15], off
	v_add_co_u32_e32 v2, vcc, s7, v2
	v_addc_co_u32_e32 v3, vcc, v3, v9, vcc
	v_add_co_u32_e32 v4, vcc, s20, v4
	v_addc_co_u32_e32 v5, vcc, 0, v5, vcc
	v_cmp_le_i64_e32 vcc, s[4:5], v[2:3]
	s_or_b64 s[2:3], vcc, s[2:3]
	s_waitcnt vmcnt(0)
	v_fma_mixlo_f16 v11, -s30, v16, v11
	global_store_short v[6:7], v11, off
	v_add_co_u32_e32 v6, vcc, s12, v6
	v_addc_co_u32_e32 v7, vcc, v7, v10, vcc
	s_andn2_b64 exec, exec, s[2:3]
	s_cbranch_execnz .LBB617_99
.LBB617_100:
	s_or_b64 exec, exec, s[14:15]
	s_mov_b64 s[2:3], 0
.LBB617_101:
	s_and_b64 vcc, exec, s[2:3]
	s_cbranch_vccz .LBB617_113
; %bb.102:
	s_and_b64 vcc, exec, s[0:1]
	s_cbranch_vccnz .LBB617_106
; %bb.103:
	s_lshl_b32 s0, s40, 1
	s_sub_u32 s7, s34, s0
	s_subb_u32 s8, s35, 0
	s_lshl_b32 s0, s40, 2
	s_sub_u32 s4, s38, s0
	s_subb_u32 s5, s39, 0
	s_sub_u32 s2, s18, s0
	s_subb_u32 s3, s19, 0
	v_cmp_le_u32_e32 vcc, s40, v0
	s_and_saveexec_b64 s[0:1], vcc
	s_cbranch_execz .LBB617_105
; %bb.104:
	v_mov_b32_e32 v1, 0
	v_lshlrev_b64 v[2:3], 2, v[0:1]
	v_mov_b32_e32 v5, s3
	v_add_co_u32_e32 v4, vcc, s2, v2
	v_addc_co_u32_e32 v5, vcc, v5, v3, vcc
	global_load_dword v4, v[4:5], off
	v_mov_b32_e32 v5, s5
	v_add_co_u32_e32 v2, vcc, s4, v2
	v_addc_co_u32_e32 v3, vcc, v5, v3, vcc
	global_load_dword v5, v[2:3], off
	v_lshlrev_b64 v[2:3], 1, v[0:1]
	v_mov_b32_e32 v6, s8
	v_add_co_u32_e32 v2, vcc, s7, v2
	v_addc_co_u32_e32 v3, vcc, v6, v3, vcc
	s_waitcnt vmcnt(0)
	v_fma_mixlo_f16 v1, -s30, v5, v4
	global_store_short v[2:3], v1, off
.LBB617_105:
	s_or_b64 exec, exec, s[0:1]
	s_add_i32 s0, s40, s26
	v_mov_b32_e32 v1, s36
	v_sub_u32_e64 v1, s0, v1 clamp
	s_lshl_b32 s0, s36, 1
	s_add_u32 s34, s7, s0
	s_addc_u32 s35, s8, 0
	s_lshl_b32 s0, s36, 2
	s_add_u32 s38, s4, s0
	s_addc_u32 s39, s5, 0
	s_add_u32 s18, s2, s0
	v_readfirstlane_b32 s26, v1
	s_addc_u32 s19, s3, 0
.LBB617_106:
	s_load_dword s0, s[28:29], 0x0
	v_mov_b32_e32 v1, 0
	s_waitcnt lgkmcnt(0)
	s_cmp_lt_u32 s6, s0
	s_cselect_b32 s0, 12, 18
	s_add_u32 s0, s28, s0
	s_addc_u32 s1, s29, 0
	global_load_ushort v4, v1, s[0:1]
	s_waitcnt vmcnt(0)
	v_readfirstlane_b32 s0, v4
	s_lshl_b32 s0, s0, 2
	v_cvt_f32_u32_e32 v1, s0
	s_sub_i32 s1, 0, s0
	v_rcp_iflag_f32_e32 v1, v1
	v_mul_f32_e32 v1, 0x4f7ffffe, v1
	v_cvt_u32_f32_e32 v1, v1
	v_readfirstlane_b32 s2, v1
	s_mul_i32 s1, s1, s2
	s_mul_hi_u32 s1, s2, s1
	s_add_i32 s2, s2, s1
	s_mul_hi_u32 s1, s26, s2
	s_mul_i32 s1, s1, s0
	s_sub_i32 s1, s26, s1
	s_sub_i32 s2, s1, s0
	s_cmp_ge_u32 s1, s0
	s_cselect_b32 s1, s2, s1
	s_sub_i32 s2, s1, s0
	s_cmp_ge_u32 s1, s0
	s_cselect_b32 s0, s2, s1
	s_sub_i32 s6, s26, s0
	v_lshlrev_b32_e32 v1, 2, v0
	v_cmp_gt_i32_e32 vcc, s6, v1
	s_and_saveexec_b64 s[0:1], vcc
	s_cbranch_execz .LBB617_109
; %bb.107:
	s_mov_b32 s31, s30
	s_mov_b64 s[2:3], 0
	v_mov_b32_e32 v1, s39
	v_mov_b32_e32 v5, s19
	;; [unrolled: 1-line block ×3, first 2 shown]
	s_xor_b32 s5, s30, 0x80000000
	s_xor_b32 s4, s30, 0x80000000
	v_mov_b32_e32 v2, v0
.LBB617_108:                            ; =>This Inner Loop Header: Depth=1
	v_ashrrev_i32_e32 v3, 31, v2
	v_lshlrev_b64 v[8:9], 4, v[2:3]
	v_add_co_u32_e32 v16, vcc, s38, v8
	v_addc_co_u32_e32 v17, vcc, v1, v9, vcc
	v_add_co_u32_e32 v18, vcc, s18, v8
	v_addc_co_u32_e32 v19, vcc, v5, v9, vcc
	global_load_dwordx4 v[8:11], v[16:17], off
	global_load_dwordx4 v[12:15], v[18:19], off
	v_lshlrev_b64 v[16:17], 3, v[2:3]
	v_add_u32_e32 v2, v2, v4
	v_add_co_u32_e32 v16, vcc, s34, v16
	v_addc_co_u32_e32 v17, vcc, v6, v17, vcc
	s_waitcnt vmcnt(0)
	v_pk_fma_f32 v[10:11], s[4:5], v[10:11], v[14:15]
	v_pk_fma_f32 v[8:9], s[30:31], v[8:9], v[12:13] neg_lo:[1,0,0] neg_hi:[1,0,0]
	v_cvt_f16_f32_e32 v3, v11
	v_cvt_f16_f32_e32 v7, v10
	;; [unrolled: 1-line block ×4, first 2 shown]
	v_lshlrev_b32_e32 v9, 2, v2
	v_cmp_le_i32_e32 vcc, s6, v9
	v_pack_b32_f16 v9, v7, v3
	v_pack_b32_f16 v8, v8, v10
	s_or_b64 s[2:3], vcc, s[2:3]
	global_store_dwordx2 v[16:17], v[8:9], off
	s_andn2_b64 exec, exec, s[2:3]
	s_cbranch_execnz .LBB617_108
.LBB617_109:
	s_or_b64 exec, exec, s[0:1]
	v_add_u32_e32 v0, s6, v0
	v_cmp_gt_i32_e32 vcc, s26, v0
	s_and_saveexec_b64 s[0:1], vcc
	s_cbranch_execz .LBB617_113
; %bb.110:
	s_mov_b64 s[0:1], 0
	v_mov_b32_e32 v2, s19
	v_mov_b32_e32 v3, s39
	;; [unrolled: 1-line block ×3, first 2 shown]
                                        ; kill: def $vgpr1 killed $sgpr0 killed $exec
.LBB617_111:                            ; =>This Inner Loop Header: Depth=1
	v_ashrrev_i32_e32 v1, 31, v0
	v_lshlrev_b64 v[6:7], 2, v[0:1]
	v_add_co_u32_e32 v8, vcc, s18, v6
	v_addc_co_u32_e32 v9, vcc, v2, v7, vcc
	v_add_co_u32_e32 v6, vcc, s38, v6
	v_addc_co_u32_e32 v7, vcc, v3, v7, vcc
	global_load_dword v8, v[8:9], off
	s_nop 0
	global_load_dword v9, v[6:7], off
	v_lshlrev_b64 v[6:7], 1, v[0:1]
	v_add_co_u32_e32 v6, vcc, s34, v6
	v_add_u32_e32 v0, v0, v4
	v_addc_co_u32_e32 v7, vcc, v5, v7, vcc
	v_cmp_le_i32_e32 vcc, s26, v0
	s_or_b64 s[0:1], vcc, s[0:1]
	s_waitcnt vmcnt(0)
	v_fma_mixlo_f16 v1, -s30, v9, v8
	global_store_short v[6:7], v1, off
	s_andn2_b64 exec, exec, s[0:1]
	s_cbranch_execnz .LBB617_111
	s_branch .LBB617_113
.LBB617_112:
	s_cbranch_execz .LBB617_77
.LBB617_113:
	s_endpgm
.LBB617_114:
                                        ; implicit-def: $vgpr4_vgpr5
	s_branch .LBB617_84
	.section	.rodata,"a",@progbits
	.p2align	6, 0x0
	.amdhsa_kernel _ZN2at6native12_GLOBAL__N_120cunn_SoftMaxBackwardILi4EN3c104HalfEffNS1_23SoftMaxBackwardEpilogueEEEvPT0_PKT2_SA_l
		.amdhsa_group_segment_fixed_size 0
		.amdhsa_private_segment_fixed_size 0
		.amdhsa_kernarg_size 288
		.amdhsa_user_sgpr_count 6
		.amdhsa_user_sgpr_private_segment_buffer 1
		.amdhsa_user_sgpr_dispatch_ptr 0
		.amdhsa_user_sgpr_queue_ptr 0
		.amdhsa_user_sgpr_kernarg_segment_ptr 1
		.amdhsa_user_sgpr_dispatch_id 0
		.amdhsa_user_sgpr_flat_scratch_init 0
		.amdhsa_user_sgpr_kernarg_preload_length 0
		.amdhsa_user_sgpr_kernarg_preload_offset 0
		.amdhsa_user_sgpr_private_segment_size 0
		.amdhsa_uses_dynamic_stack 0
		.amdhsa_system_sgpr_private_segment_wavefront_offset 0
		.amdhsa_system_sgpr_workgroup_id_x 1
		.amdhsa_system_sgpr_workgroup_id_y 0
		.amdhsa_system_sgpr_workgroup_id_z 0
		.amdhsa_system_sgpr_workgroup_info 0
		.amdhsa_system_vgpr_workitem_id 0
		.amdhsa_next_free_vgpr 32
		.amdhsa_next_free_sgpr 71
		.amdhsa_accum_offset 32
		.amdhsa_reserve_vcc 1
		.amdhsa_reserve_flat_scratch 0
		.amdhsa_float_round_mode_32 0
		.amdhsa_float_round_mode_16_64 0
		.amdhsa_float_denorm_mode_32 3
		.amdhsa_float_denorm_mode_16_64 3
		.amdhsa_dx10_clamp 1
		.amdhsa_ieee_mode 1
		.amdhsa_fp16_overflow 0
		.amdhsa_tg_split 0
		.amdhsa_exception_fp_ieee_invalid_op 0
		.amdhsa_exception_fp_denorm_src 0
		.amdhsa_exception_fp_ieee_div_zero 0
		.amdhsa_exception_fp_ieee_overflow 0
		.amdhsa_exception_fp_ieee_underflow 0
		.amdhsa_exception_fp_ieee_inexact 0
		.amdhsa_exception_int_div_zero 0
	.end_amdhsa_kernel
	.section	.text._ZN2at6native12_GLOBAL__N_120cunn_SoftMaxBackwardILi4EN3c104HalfEffNS1_23SoftMaxBackwardEpilogueEEEvPT0_PKT2_SA_l,"axG",@progbits,_ZN2at6native12_GLOBAL__N_120cunn_SoftMaxBackwardILi4EN3c104HalfEffNS1_23SoftMaxBackwardEpilogueEEEvPT0_PKT2_SA_l,comdat
.Lfunc_end617:
	.size	_ZN2at6native12_GLOBAL__N_120cunn_SoftMaxBackwardILi4EN3c104HalfEffNS1_23SoftMaxBackwardEpilogueEEEvPT0_PKT2_SA_l, .Lfunc_end617-_ZN2at6native12_GLOBAL__N_120cunn_SoftMaxBackwardILi4EN3c104HalfEffNS1_23SoftMaxBackwardEpilogueEEEvPT0_PKT2_SA_l
                                        ; -- End function
	.section	.AMDGPU.csdata,"",@progbits
; Kernel info:
; codeLenInByte = 8592
; NumSgprs: 75
; NumVgprs: 32
; NumAgprs: 0
; TotalNumVgprs: 32
; ScratchSize: 0
; MemoryBound: 0
; FloatMode: 240
; IeeeMode: 1
; LDSByteSize: 0 bytes/workgroup (compile time only)
; SGPRBlocks: 9
; VGPRBlocks: 3
; NumSGPRsForWavesPerEU: 75
; NumVGPRsForWavesPerEU: 32
; AccumOffset: 32
; Occupancy: 8
; WaveLimiterHint : 0
; COMPUTE_PGM_RSRC2:SCRATCH_EN: 0
; COMPUTE_PGM_RSRC2:USER_SGPR: 6
; COMPUTE_PGM_RSRC2:TRAP_HANDLER: 0
; COMPUTE_PGM_RSRC2:TGID_X_EN: 1
; COMPUTE_PGM_RSRC2:TGID_Y_EN: 0
; COMPUTE_PGM_RSRC2:TGID_Z_EN: 0
; COMPUTE_PGM_RSRC2:TIDIG_COMP_CNT: 0
; COMPUTE_PGM_RSRC3_GFX90A:ACCUM_OFFSET: 7
; COMPUTE_PGM_RSRC3_GFX90A:TG_SPLIT: 0
	.section	.text._ZN12_GLOBAL__N_121softmax_warp_backwardIN3c108BFloat16ES2_fLi0ELb0ELb0ELi64EEEvPT0_PKT_S7_iiiPKb,"axG",@progbits,_ZN12_GLOBAL__N_121softmax_warp_backwardIN3c108BFloat16ES2_fLi0ELb0ELb0ELi64EEEvPT0_PKT_S7_iiiPKb,comdat
	.globl	_ZN12_GLOBAL__N_121softmax_warp_backwardIN3c108BFloat16ES2_fLi0ELb0ELb0ELi64EEEvPT0_PKT_S7_iiiPKb ; -- Begin function _ZN12_GLOBAL__N_121softmax_warp_backwardIN3c108BFloat16ES2_fLi0ELb0ELb0ELi64EEEvPT0_PKT_S7_iiiPKb
	.p2align	8
	.type	_ZN12_GLOBAL__N_121softmax_warp_backwardIN3c108BFloat16ES2_fLi0ELb0ELb0ELi64EEEvPT0_PKT_S7_iiiPKb,@function
_ZN12_GLOBAL__N_121softmax_warp_backwardIN3c108BFloat16ES2_fLi0ELb0ELb0ELi64EEEvPT0_PKT_S7_iiiPKb: ; @_ZN12_GLOBAL__N_121softmax_warp_backwardIN3c108BFloat16ES2_fLi0ELb0ELb0ELi64EEEvPT0_PKT_S7_iiiPKb
; %bb.0:
	s_load_dword s2, s[4:5], 0x3c
	s_load_dwordx4 s[8:11], s[4:5], 0x18
	s_load_dwordx4 s[12:15], s[4:5], 0x0
	s_load_dwordx2 s[0:1], s[4:5], 0x10
	v_bfe_u32 v0, v0, 10, 10
	s_waitcnt lgkmcnt(0)
	s_lshr_b32 s2, s2, 16
	s_mul_i32 s6, s6, s2
	v_add_lshl_u32 v0, s6, v0, 1
	v_sub_u32_e32 v6, s8, v0
	v_mul_lo_u32 v0, v0, s9
	v_ashrrev_i32_e32 v1, 31, v0
	v_lshlrev_b64 v[0:1], 1, v[0:1]
	v_mov_b32_e32 v3, s15
	v_add_co_u32_e32 v2, vcc, s14, v0
	v_addc_co_u32_e32 v3, vcc, v3, v1, vcc
	v_mov_b32_e32 v5, s1
	v_add_co_u32_e32 v4, vcc, s0, v0
	v_addc_co_u32_e32 v5, vcc, v5, v1, vcc
	s_cmp_gt_i32 s10, 0
	s_cselect_b64 s[2:3], -1, 0
	v_cmp_lt_i32_e32 vcc, 0, v6
	s_and_b64 s[4:5], s[2:3], vcc
	v_mov_b32_e32 v7, 0
	v_mov_b32_e32 v8, 0
	;; [unrolled: 1-line block ×3, first 2 shown]
	s_and_saveexec_b64 s[0:1], s[4:5]
	s_cbranch_execz .LBB618_2
; %bb.1:
	global_load_ushort v8, v[4:5], off
	global_load_ushort v9, v[2:3], off
	s_waitcnt vmcnt(1)
	v_lshlrev_b32_e32 v8, 16, v8
	s_waitcnt vmcnt(0)
	v_lshlrev_b32_e32 v9, 16, v9
.LBB618_2:
	s_or_b64 exec, exec, s[0:1]
	v_cmp_lt_i32_e64 s[0:1], 1, v6
	s_and_b64 s[0:1], s[2:3], s[0:1]
	s_mov_b32 s11, 0
	v_mov_b32_e32 v10, 0
	s_and_saveexec_b64 s[4:5], s[0:1]
	s_cbranch_execz .LBB618_4
; %bb.3:
	s_lshl_b64 s[6:7], s[10:11], 1
	v_mov_b32_e32 v7, s7
	v_add_co_u32_e64 v2, s[0:1], s6, v2
	v_addc_co_u32_e64 v3, s[0:1], v3, v7, s[0:1]
	v_add_co_u32_e64 v4, s[0:1], s6, v4
	v_addc_co_u32_e64 v5, s[0:1], v5, v7, s[0:1]
	global_load_ushort v7, v[4:5], off
	global_load_ushort v10, v[2:3], off
	s_waitcnt vmcnt(1)
	v_lshlrev_b32_e32 v7, 16, v7
	s_waitcnt vmcnt(0)
	v_lshlrev_b32_e32 v10, 16, v10
.LBB618_4:
	s_or_b64 exec, exec, s[4:5]
	s_and_saveexec_b64 s[0:1], vcc
	s_cbranch_execz .LBB618_10
; %bb.5:
	v_mov_b32_e32 v2, s13
	v_cndmask_b32_e64 v3, 0, 1, s[2:3]
	s_andn2_b64 vcc, exec, s[2:3]
	v_add_co_u32_e64 v0, s[2:3], s12, v0
	v_cmp_ne_u32_e64 s[0:1], 1, v3
	v_addc_co_u32_e64 v1, s[2:3], v2, v1, s[2:3]
	s_cbranch_vccnz .LBB618_7
; %bb.6:
	v_add_f32_e32 v2, 0, v9
	v_fma_f32 v2, -v2, v8, v9
	v_bfe_u32 v3, v2, 16, 1
	s_movk_i32 s2, 0x7fff
	v_add3_u32 v3, v2, v3, s2
	v_lshrrev_b32_e32 v3, 16, v3
	v_mov_b32_e32 v4, 0x7fc0
	v_cmp_o_f32_e32 vcc, v2, v2
	v_cndmask_b32_e32 v2, v4, v3, vcc
	global_store_short v[0:1], v2, off
.LBB618_7:
	v_cmp_ne_u32_e32 vcc, 1, v6
	s_and_b64 exec, exec, vcc
	s_cbranch_execz .LBB618_10
; %bb.8:
	s_and_b64 vcc, exec, s[0:1]
	s_cbranch_vccnz .LBB618_10
; %bb.9:
	v_add_f32_e32 v2, 0, v10
	v_fma_f32 v2, -v2, v7, v10
	v_bfe_u32 v3, v2, 16, 1
	s_movk_i32 s0, 0x7fff
	v_add3_u32 v3, v2, v3, s0
	v_lshrrev_b32_e32 v3, 16, v3
	v_mov_b32_e32 v4, 0x7fc0
	v_cmp_o_f32_e32 vcc, v2, v2
	s_lshl_b64 s[0:1], s[10:11], 1
	v_cndmask_b32_e32 v2, v4, v3, vcc
	v_mov_b32_e32 v3, s1
	v_add_co_u32_e32 v0, vcc, s0, v0
	v_addc_co_u32_e32 v1, vcc, v1, v3, vcc
	global_store_short v[0:1], v2, off
.LBB618_10:
	s_endpgm
	.section	.rodata,"a",@progbits
	.p2align	6, 0x0
	.amdhsa_kernel _ZN12_GLOBAL__N_121softmax_warp_backwardIN3c108BFloat16ES2_fLi0ELb0ELb0ELi64EEEvPT0_PKT_S7_iiiPKb
		.amdhsa_group_segment_fixed_size 0
		.amdhsa_private_segment_fixed_size 0
		.amdhsa_kernarg_size 304
		.amdhsa_user_sgpr_count 6
		.amdhsa_user_sgpr_private_segment_buffer 1
		.amdhsa_user_sgpr_dispatch_ptr 0
		.amdhsa_user_sgpr_queue_ptr 0
		.amdhsa_user_sgpr_kernarg_segment_ptr 1
		.amdhsa_user_sgpr_dispatch_id 0
		.amdhsa_user_sgpr_flat_scratch_init 0
		.amdhsa_user_sgpr_kernarg_preload_length 0
		.amdhsa_user_sgpr_kernarg_preload_offset 0
		.amdhsa_user_sgpr_private_segment_size 0
		.amdhsa_uses_dynamic_stack 0
		.amdhsa_system_sgpr_private_segment_wavefront_offset 0
		.amdhsa_system_sgpr_workgroup_id_x 1
		.amdhsa_system_sgpr_workgroup_id_y 0
		.amdhsa_system_sgpr_workgroup_id_z 0
		.amdhsa_system_sgpr_workgroup_info 0
		.amdhsa_system_vgpr_workitem_id 1
		.amdhsa_next_free_vgpr 11
		.amdhsa_next_free_sgpr 16
		.amdhsa_accum_offset 12
		.amdhsa_reserve_vcc 1
		.amdhsa_reserve_flat_scratch 0
		.amdhsa_float_round_mode_32 0
		.amdhsa_float_round_mode_16_64 0
		.amdhsa_float_denorm_mode_32 3
		.amdhsa_float_denorm_mode_16_64 3
		.amdhsa_dx10_clamp 1
		.amdhsa_ieee_mode 1
		.amdhsa_fp16_overflow 0
		.amdhsa_tg_split 0
		.amdhsa_exception_fp_ieee_invalid_op 0
		.amdhsa_exception_fp_denorm_src 0
		.amdhsa_exception_fp_ieee_div_zero 0
		.amdhsa_exception_fp_ieee_overflow 0
		.amdhsa_exception_fp_ieee_underflow 0
		.amdhsa_exception_fp_ieee_inexact 0
		.amdhsa_exception_int_div_zero 0
	.end_amdhsa_kernel
	.section	.text._ZN12_GLOBAL__N_121softmax_warp_backwardIN3c108BFloat16ES2_fLi0ELb0ELb0ELi64EEEvPT0_PKT_S7_iiiPKb,"axG",@progbits,_ZN12_GLOBAL__N_121softmax_warp_backwardIN3c108BFloat16ES2_fLi0ELb0ELb0ELi64EEEvPT0_PKT_S7_iiiPKb,comdat
.Lfunc_end618:
	.size	_ZN12_GLOBAL__N_121softmax_warp_backwardIN3c108BFloat16ES2_fLi0ELb0ELb0ELi64EEEvPT0_PKT_S7_iiiPKb, .Lfunc_end618-_ZN12_GLOBAL__N_121softmax_warp_backwardIN3c108BFloat16ES2_fLi0ELb0ELb0ELi64EEEvPT0_PKT_S7_iiiPKb
                                        ; -- End function
	.section	.AMDGPU.csdata,"",@progbits
; Kernel info:
; codeLenInByte = 496
; NumSgprs: 20
; NumVgprs: 11
; NumAgprs: 0
; TotalNumVgprs: 11
; ScratchSize: 0
; MemoryBound: 0
; FloatMode: 240
; IeeeMode: 1
; LDSByteSize: 0 bytes/workgroup (compile time only)
; SGPRBlocks: 2
; VGPRBlocks: 1
; NumSGPRsForWavesPerEU: 20
; NumVGPRsForWavesPerEU: 11
; AccumOffset: 12
; Occupancy: 8
; WaveLimiterHint : 0
; COMPUTE_PGM_RSRC2:SCRATCH_EN: 0
; COMPUTE_PGM_RSRC2:USER_SGPR: 6
; COMPUTE_PGM_RSRC2:TRAP_HANDLER: 0
; COMPUTE_PGM_RSRC2:TGID_X_EN: 1
; COMPUTE_PGM_RSRC2:TGID_Y_EN: 0
; COMPUTE_PGM_RSRC2:TGID_Z_EN: 0
; COMPUTE_PGM_RSRC2:TIDIG_COMP_CNT: 1
; COMPUTE_PGM_RSRC3_GFX90A:ACCUM_OFFSET: 2
; COMPUTE_PGM_RSRC3_GFX90A:TG_SPLIT: 0
	.section	.text._ZN12_GLOBAL__N_121softmax_warp_backwardIN3c108BFloat16ES2_fLi0ELb0ELb0ELi32EEEvPT0_PKT_S7_iiiPKb,"axG",@progbits,_ZN12_GLOBAL__N_121softmax_warp_backwardIN3c108BFloat16ES2_fLi0ELb0ELb0ELi32EEEvPT0_PKT_S7_iiiPKb,comdat
	.globl	_ZN12_GLOBAL__N_121softmax_warp_backwardIN3c108BFloat16ES2_fLi0ELb0ELb0ELi32EEEvPT0_PKT_S7_iiiPKb ; -- Begin function _ZN12_GLOBAL__N_121softmax_warp_backwardIN3c108BFloat16ES2_fLi0ELb0ELb0ELi32EEEvPT0_PKT_S7_iiiPKb
	.p2align	8
	.type	_ZN12_GLOBAL__N_121softmax_warp_backwardIN3c108BFloat16ES2_fLi0ELb0ELb0ELi32EEEvPT0_PKT_S7_iiiPKb,@function
_ZN12_GLOBAL__N_121softmax_warp_backwardIN3c108BFloat16ES2_fLi0ELb0ELb0ELi32EEEvPT0_PKT_S7_iiiPKb: ; @_ZN12_GLOBAL__N_121softmax_warp_backwardIN3c108BFloat16ES2_fLi0ELb0ELb0ELi32EEEvPT0_PKT_S7_iiiPKb
; %bb.0:
	s_load_dword s2, s[4:5], 0x3c
	s_load_dwordx4 s[8:11], s[4:5], 0x18
	s_load_dwordx4 s[12:15], s[4:5], 0x0
	s_load_dwordx2 s[0:1], s[4:5], 0x10
	v_bfe_u32 v0, v0, 10, 10
	s_waitcnt lgkmcnt(0)
	s_lshr_b32 s2, s2, 16
	s_mul_i32 s6, s6, s2
	v_add_lshl_u32 v0, s6, v0, 1
	v_sub_u32_e32 v6, s8, v0
	v_mul_lo_u32 v0, v0, s9
	v_ashrrev_i32_e32 v1, 31, v0
	v_lshlrev_b64 v[0:1], 1, v[0:1]
	v_mov_b32_e32 v3, s15
	v_add_co_u32_e32 v2, vcc, s14, v0
	v_addc_co_u32_e32 v3, vcc, v3, v1, vcc
	v_mov_b32_e32 v5, s1
	v_add_co_u32_e32 v4, vcc, s0, v0
	v_addc_co_u32_e32 v5, vcc, v5, v1, vcc
	s_cmp_gt_i32 s10, 0
	s_cselect_b64 s[2:3], -1, 0
	v_cmp_lt_i32_e32 vcc, 0, v6
	s_and_b64 s[4:5], s[2:3], vcc
	v_mov_b32_e32 v7, 0
	v_mov_b32_e32 v8, 0
	;; [unrolled: 1-line block ×3, first 2 shown]
	s_and_saveexec_b64 s[0:1], s[4:5]
	s_cbranch_execz .LBB619_2
; %bb.1:
	global_load_ushort v8, v[4:5], off
	global_load_ushort v9, v[2:3], off
	s_waitcnt vmcnt(1)
	v_lshlrev_b32_e32 v8, 16, v8
	s_waitcnt vmcnt(0)
	v_lshlrev_b32_e32 v9, 16, v9
.LBB619_2:
	s_or_b64 exec, exec, s[0:1]
	v_cmp_lt_i32_e64 s[0:1], 1, v6
	s_and_b64 s[0:1], s[2:3], s[0:1]
	s_mov_b32 s11, 0
	v_mov_b32_e32 v10, 0
	s_and_saveexec_b64 s[4:5], s[0:1]
	s_cbranch_execz .LBB619_4
; %bb.3:
	s_lshl_b64 s[6:7], s[10:11], 1
	v_mov_b32_e32 v7, s7
	v_add_co_u32_e64 v2, s[0:1], s6, v2
	v_addc_co_u32_e64 v3, s[0:1], v3, v7, s[0:1]
	v_add_co_u32_e64 v4, s[0:1], s6, v4
	v_addc_co_u32_e64 v5, s[0:1], v5, v7, s[0:1]
	global_load_ushort v7, v[4:5], off
	global_load_ushort v10, v[2:3], off
	s_waitcnt vmcnt(1)
	v_lshlrev_b32_e32 v7, 16, v7
	s_waitcnt vmcnt(0)
	v_lshlrev_b32_e32 v10, 16, v10
.LBB619_4:
	s_or_b64 exec, exec, s[4:5]
	s_and_saveexec_b64 s[0:1], vcc
	s_cbranch_execz .LBB619_10
; %bb.5:
	v_mov_b32_e32 v2, s13
	v_cndmask_b32_e64 v3, 0, 1, s[2:3]
	s_andn2_b64 vcc, exec, s[2:3]
	v_add_co_u32_e64 v0, s[2:3], s12, v0
	v_cmp_ne_u32_e64 s[0:1], 1, v3
	v_addc_co_u32_e64 v1, s[2:3], v2, v1, s[2:3]
	s_cbranch_vccnz .LBB619_7
; %bb.6:
	v_add_f32_e32 v2, 0, v9
	v_fma_f32 v2, -v2, v8, v9
	v_bfe_u32 v3, v2, 16, 1
	s_movk_i32 s2, 0x7fff
	v_add3_u32 v3, v2, v3, s2
	v_lshrrev_b32_e32 v3, 16, v3
	v_mov_b32_e32 v4, 0x7fc0
	v_cmp_o_f32_e32 vcc, v2, v2
	v_cndmask_b32_e32 v2, v4, v3, vcc
	global_store_short v[0:1], v2, off
.LBB619_7:
	v_cmp_ne_u32_e32 vcc, 1, v6
	s_and_b64 exec, exec, vcc
	s_cbranch_execz .LBB619_10
; %bb.8:
	s_and_b64 vcc, exec, s[0:1]
	s_cbranch_vccnz .LBB619_10
; %bb.9:
	v_add_f32_e32 v2, 0, v10
	v_fma_f32 v2, -v2, v7, v10
	v_bfe_u32 v3, v2, 16, 1
	s_movk_i32 s0, 0x7fff
	v_add3_u32 v3, v2, v3, s0
	v_lshrrev_b32_e32 v3, 16, v3
	v_mov_b32_e32 v4, 0x7fc0
	v_cmp_o_f32_e32 vcc, v2, v2
	s_lshl_b64 s[0:1], s[10:11], 1
	v_cndmask_b32_e32 v2, v4, v3, vcc
	v_mov_b32_e32 v3, s1
	v_add_co_u32_e32 v0, vcc, s0, v0
	v_addc_co_u32_e32 v1, vcc, v1, v3, vcc
	global_store_short v[0:1], v2, off
.LBB619_10:
	s_endpgm
	.section	.rodata,"a",@progbits
	.p2align	6, 0x0
	.amdhsa_kernel _ZN12_GLOBAL__N_121softmax_warp_backwardIN3c108BFloat16ES2_fLi0ELb0ELb0ELi32EEEvPT0_PKT_S7_iiiPKb
		.amdhsa_group_segment_fixed_size 0
		.amdhsa_private_segment_fixed_size 0
		.amdhsa_kernarg_size 304
		.amdhsa_user_sgpr_count 6
		.amdhsa_user_sgpr_private_segment_buffer 1
		.amdhsa_user_sgpr_dispatch_ptr 0
		.amdhsa_user_sgpr_queue_ptr 0
		.amdhsa_user_sgpr_kernarg_segment_ptr 1
		.amdhsa_user_sgpr_dispatch_id 0
		.amdhsa_user_sgpr_flat_scratch_init 0
		.amdhsa_user_sgpr_kernarg_preload_length 0
		.amdhsa_user_sgpr_kernarg_preload_offset 0
		.amdhsa_user_sgpr_private_segment_size 0
		.amdhsa_uses_dynamic_stack 0
		.amdhsa_system_sgpr_private_segment_wavefront_offset 0
		.amdhsa_system_sgpr_workgroup_id_x 1
		.amdhsa_system_sgpr_workgroup_id_y 0
		.amdhsa_system_sgpr_workgroup_id_z 0
		.amdhsa_system_sgpr_workgroup_info 0
		.amdhsa_system_vgpr_workitem_id 1
		.amdhsa_next_free_vgpr 11
		.amdhsa_next_free_sgpr 16
		.amdhsa_accum_offset 12
		.amdhsa_reserve_vcc 1
		.amdhsa_reserve_flat_scratch 0
		.amdhsa_float_round_mode_32 0
		.amdhsa_float_round_mode_16_64 0
		.amdhsa_float_denorm_mode_32 3
		.amdhsa_float_denorm_mode_16_64 3
		.amdhsa_dx10_clamp 1
		.amdhsa_ieee_mode 1
		.amdhsa_fp16_overflow 0
		.amdhsa_tg_split 0
		.amdhsa_exception_fp_ieee_invalid_op 0
		.amdhsa_exception_fp_denorm_src 0
		.amdhsa_exception_fp_ieee_div_zero 0
		.amdhsa_exception_fp_ieee_overflow 0
		.amdhsa_exception_fp_ieee_underflow 0
		.amdhsa_exception_fp_ieee_inexact 0
		.amdhsa_exception_int_div_zero 0
	.end_amdhsa_kernel
	.section	.text._ZN12_GLOBAL__N_121softmax_warp_backwardIN3c108BFloat16ES2_fLi0ELb0ELb0ELi32EEEvPT0_PKT_S7_iiiPKb,"axG",@progbits,_ZN12_GLOBAL__N_121softmax_warp_backwardIN3c108BFloat16ES2_fLi0ELb0ELb0ELi32EEEvPT0_PKT_S7_iiiPKb,comdat
.Lfunc_end619:
	.size	_ZN12_GLOBAL__N_121softmax_warp_backwardIN3c108BFloat16ES2_fLi0ELb0ELb0ELi32EEEvPT0_PKT_S7_iiiPKb, .Lfunc_end619-_ZN12_GLOBAL__N_121softmax_warp_backwardIN3c108BFloat16ES2_fLi0ELb0ELb0ELi32EEEvPT0_PKT_S7_iiiPKb
                                        ; -- End function
	.section	.AMDGPU.csdata,"",@progbits
; Kernel info:
; codeLenInByte = 496
; NumSgprs: 20
; NumVgprs: 11
; NumAgprs: 0
; TotalNumVgprs: 11
; ScratchSize: 0
; MemoryBound: 0
; FloatMode: 240
; IeeeMode: 1
; LDSByteSize: 0 bytes/workgroup (compile time only)
; SGPRBlocks: 2
; VGPRBlocks: 1
; NumSGPRsForWavesPerEU: 20
; NumVGPRsForWavesPerEU: 11
; AccumOffset: 12
; Occupancy: 8
; WaveLimiterHint : 0
; COMPUTE_PGM_RSRC2:SCRATCH_EN: 0
; COMPUTE_PGM_RSRC2:USER_SGPR: 6
; COMPUTE_PGM_RSRC2:TRAP_HANDLER: 0
; COMPUTE_PGM_RSRC2:TGID_X_EN: 1
; COMPUTE_PGM_RSRC2:TGID_Y_EN: 0
; COMPUTE_PGM_RSRC2:TGID_Z_EN: 0
; COMPUTE_PGM_RSRC2:TIDIG_COMP_CNT: 1
; COMPUTE_PGM_RSRC3_GFX90A:ACCUM_OFFSET: 2
; COMPUTE_PGM_RSRC3_GFX90A:TG_SPLIT: 0
	.section	.text._ZN12_GLOBAL__N_121softmax_warp_backwardIN3c108BFloat16ES2_fLi1ELb0ELb0ELi64EEEvPT0_PKT_S7_iiiPKb,"axG",@progbits,_ZN12_GLOBAL__N_121softmax_warp_backwardIN3c108BFloat16ES2_fLi1ELb0ELb0ELi64EEEvPT0_PKT_S7_iiiPKb,comdat
	.globl	_ZN12_GLOBAL__N_121softmax_warp_backwardIN3c108BFloat16ES2_fLi1ELb0ELb0ELi64EEEvPT0_PKT_S7_iiiPKb ; -- Begin function _ZN12_GLOBAL__N_121softmax_warp_backwardIN3c108BFloat16ES2_fLi1ELb0ELb0ELi64EEEvPT0_PKT_S7_iiiPKb
	.p2align	8
	.type	_ZN12_GLOBAL__N_121softmax_warp_backwardIN3c108BFloat16ES2_fLi1ELb0ELb0ELi64EEEvPT0_PKT_S7_iiiPKb,@function
_ZN12_GLOBAL__N_121softmax_warp_backwardIN3c108BFloat16ES2_fLi1ELb0ELb0ELi64EEEvPT0_PKT_S7_iiiPKb: ; @_ZN12_GLOBAL__N_121softmax_warp_backwardIN3c108BFloat16ES2_fLi1ELb0ELb0ELi64EEEvPT0_PKT_S7_iiiPKb
; %bb.0:
	s_load_dword s2, s[4:5], 0x3c
	s_load_dwordx4 s[8:11], s[4:5], 0x18
	s_load_dwordx4 s[12:15], s[4:5], 0x0
	s_load_dwordx2 s[0:1], s[4:5], 0x10
	v_bfe_u32 v1, v0, 10, 10
	s_waitcnt lgkmcnt(0)
	s_lshr_b32 s2, s2, 16
	s_mul_i32 s6, s6, s2
	v_add_lshl_u32 v1, s6, v1, 1
	v_sub_u32_e32 v8, s8, v1
	v_mul_lo_u32 v1, v1, s9
	v_and_b32_e32 v9, 1, v0
	v_or_b32_e32 v0, v1, v9
	v_ashrrev_i32_e32 v1, 31, v0
	v_lshlrev_b64 v[2:3], 1, v[0:1]
	v_mov_b32_e32 v0, s15
	v_add_co_u32_e32 v4, vcc, s14, v2
	v_addc_co_u32_e32 v5, vcc, v0, v3, vcc
	v_mov_b32_e32 v0, s1
	v_add_co_u32_e32 v6, vcc, s0, v2
	v_addc_co_u32_e32 v7, vcc, v0, v3, vcc
	v_cmp_gt_i32_e32 vcc, s10, v9
	v_cmp_lt_i32_e64 s[0:1], 0, v8
	s_and_b64 s[4:5], vcc, s[0:1]
	v_mov_b32_e32 v9, 0
	v_mov_b32_e32 v10, 0
	;; [unrolled: 1-line block ×3, first 2 shown]
	s_and_saveexec_b64 s[2:3], s[4:5]
	s_cbranch_execz .LBB620_2
; %bb.1:
	global_load_ushort v0, v[6:7], off
	global_load_ushort v1, v[4:5], off
	s_waitcnt vmcnt(1)
	v_lshlrev_b32_e32 v10, 16, v0
	s_waitcnt vmcnt(0)
	v_lshlrev_b32_e32 v0, 16, v1
.LBB620_2:
	s_or_b64 exec, exec, s[2:3]
	v_cmp_lt_i32_e64 s[2:3], 1, v8
	s_and_b64 s[2:3], vcc, s[2:3]
	s_mov_b32 s11, 0
	v_mov_b32_e32 v1, 0
	s_and_saveexec_b64 s[4:5], s[2:3]
	s_cbranch_execz .LBB620_4
; %bb.3:
	s_lshl_b64 s[6:7], s[10:11], 1
	v_mov_b32_e32 v1, s7
	v_add_co_u32_e64 v4, s[2:3], s6, v4
	v_addc_co_u32_e64 v5, s[2:3], v5, v1, s[2:3]
	v_add_co_u32_e64 v6, s[2:3], s6, v6
	v_addc_co_u32_e64 v7, s[2:3], v7, v1, s[2:3]
	global_load_ushort v1, v[6:7], off
	global_load_ushort v11, v[4:5], off
	s_waitcnt vmcnt(1)
	v_lshlrev_b32_e32 v9, 16, v1
	s_waitcnt vmcnt(0)
	v_lshlrev_b32_e32 v1, 16, v11
.LBB620_4:
	s_or_b64 exec, exec, s[4:5]
	v_mbcnt_lo_u32_b32 v4, -1, 0
	v_mbcnt_hi_u32_b32 v4, -1, v4
	v_and_b32_e32 v6, 0x7e, v4
	v_xor_b32_e32 v5, 1, v4
	v_add_u32_e32 v6, 2, v6
	v_cmp_lt_i32_e64 s[2:3], v5, v6
	v_cndmask_b32_e64 v4, v4, v5, s[2:3]
	v_lshlrev_b32_e32 v7, 2, v4
	v_pk_add_f32 v[4:5], v[0:1], 0 op_sel_hi:[1,0]
	ds_bpermute_b32 v6, v7, v4
	ds_bpermute_b32 v7, v7, v5
	s_and_saveexec_b64 s[2:3], s[0:1]
	s_cbranch_execz .LBB620_10
; %bb.5:
	v_mov_b32_e32 v11, s13
	v_add_co_u32_e64 v2, s[0:1], s12, v2
	v_addc_co_u32_e64 v3, s[0:1], v11, v3, s[0:1]
	s_waitcnt lgkmcnt(0)
	v_pk_add_f32 v[4:5], v[4:5], v[6:7]
	s_and_saveexec_b64 s[2:3], vcc
	s_cbranch_execz .LBB620_7
; %bb.6:
	v_fma_f32 v0, -v4, v10, v0
	v_bfe_u32 v4, v0, 16, 1
	s_movk_i32 s0, 0x7fff
	v_add3_u32 v4, v0, v4, s0
	v_lshrrev_b32_e32 v4, 16, v4
	v_mov_b32_e32 v6, 0x7fc0
	v_cmp_o_f32_e64 s[0:1], v0, v0
	v_cndmask_b32_e64 v0, v6, v4, s[0:1]
	global_store_short v[2:3], v0, off
.LBB620_7:
	s_or_b64 exec, exec, s[2:3]
	v_cmp_ne_u32_e64 s[0:1], 1, v8
	s_and_b64 exec, exec, s[0:1]
	s_cbranch_execz .LBB620_10
; %bb.8:
	s_and_b64 exec, exec, vcc
	s_cbranch_execz .LBB620_10
; %bb.9:
	v_fma_f32 v0, -v5, v9, v1
	v_bfe_u32 v1, v0, 16, 1
	s_movk_i32 s0, 0x7fff
	v_add3_u32 v1, v0, v1, s0
	v_lshrrev_b32_e32 v1, 16, v1
	v_mov_b32_e32 v4, 0x7fc0
	v_cmp_o_f32_e32 vcc, v0, v0
	s_lshl_b64 s[0:1], s[10:11], 1
	v_cndmask_b32_e32 v4, v4, v1, vcc
	v_mov_b32_e32 v1, s1
	v_add_co_u32_e32 v0, vcc, s0, v2
	v_addc_co_u32_e32 v1, vcc, v3, v1, vcc
	global_store_short v[0:1], v4, off
.LBB620_10:
	s_endpgm
	.section	.rodata,"a",@progbits
	.p2align	6, 0x0
	.amdhsa_kernel _ZN12_GLOBAL__N_121softmax_warp_backwardIN3c108BFloat16ES2_fLi1ELb0ELb0ELi64EEEvPT0_PKT_S7_iiiPKb
		.amdhsa_group_segment_fixed_size 0
		.amdhsa_private_segment_fixed_size 0
		.amdhsa_kernarg_size 304
		.amdhsa_user_sgpr_count 6
		.amdhsa_user_sgpr_private_segment_buffer 1
		.amdhsa_user_sgpr_dispatch_ptr 0
		.amdhsa_user_sgpr_queue_ptr 0
		.amdhsa_user_sgpr_kernarg_segment_ptr 1
		.amdhsa_user_sgpr_dispatch_id 0
		.amdhsa_user_sgpr_flat_scratch_init 0
		.amdhsa_user_sgpr_kernarg_preload_length 0
		.amdhsa_user_sgpr_kernarg_preload_offset 0
		.amdhsa_user_sgpr_private_segment_size 0
		.amdhsa_uses_dynamic_stack 0
		.amdhsa_system_sgpr_private_segment_wavefront_offset 0
		.amdhsa_system_sgpr_workgroup_id_x 1
		.amdhsa_system_sgpr_workgroup_id_y 0
		.amdhsa_system_sgpr_workgroup_id_z 0
		.amdhsa_system_sgpr_workgroup_info 0
		.amdhsa_system_vgpr_workitem_id 1
		.amdhsa_next_free_vgpr 12
		.amdhsa_next_free_sgpr 16
		.amdhsa_accum_offset 12
		.amdhsa_reserve_vcc 1
		.amdhsa_reserve_flat_scratch 0
		.amdhsa_float_round_mode_32 0
		.amdhsa_float_round_mode_16_64 0
		.amdhsa_float_denorm_mode_32 3
		.amdhsa_float_denorm_mode_16_64 3
		.amdhsa_dx10_clamp 1
		.amdhsa_ieee_mode 1
		.amdhsa_fp16_overflow 0
		.amdhsa_tg_split 0
		.amdhsa_exception_fp_ieee_invalid_op 0
		.amdhsa_exception_fp_denorm_src 0
		.amdhsa_exception_fp_ieee_div_zero 0
		.amdhsa_exception_fp_ieee_overflow 0
		.amdhsa_exception_fp_ieee_underflow 0
		.amdhsa_exception_fp_ieee_inexact 0
		.amdhsa_exception_int_div_zero 0
	.end_amdhsa_kernel
	.section	.text._ZN12_GLOBAL__N_121softmax_warp_backwardIN3c108BFloat16ES2_fLi1ELb0ELb0ELi64EEEvPT0_PKT_S7_iiiPKb,"axG",@progbits,_ZN12_GLOBAL__N_121softmax_warp_backwardIN3c108BFloat16ES2_fLi1ELb0ELb0ELi64EEEvPT0_PKT_S7_iiiPKb,comdat
.Lfunc_end620:
	.size	_ZN12_GLOBAL__N_121softmax_warp_backwardIN3c108BFloat16ES2_fLi1ELb0ELb0ELi64EEEvPT0_PKT_S7_iiiPKb, .Lfunc_end620-_ZN12_GLOBAL__N_121softmax_warp_backwardIN3c108BFloat16ES2_fLi1ELb0ELb0ELi64EEEvPT0_PKT_S7_iiiPKb
                                        ; -- End function
	.section	.AMDGPU.csdata,"",@progbits
; Kernel info:
; codeLenInByte = 584
; NumSgprs: 20
; NumVgprs: 12
; NumAgprs: 0
; TotalNumVgprs: 12
; ScratchSize: 0
; MemoryBound: 0
; FloatMode: 240
; IeeeMode: 1
; LDSByteSize: 0 bytes/workgroup (compile time only)
; SGPRBlocks: 2
; VGPRBlocks: 1
; NumSGPRsForWavesPerEU: 20
; NumVGPRsForWavesPerEU: 12
; AccumOffset: 12
; Occupancy: 8
; WaveLimiterHint : 0
; COMPUTE_PGM_RSRC2:SCRATCH_EN: 0
; COMPUTE_PGM_RSRC2:USER_SGPR: 6
; COMPUTE_PGM_RSRC2:TRAP_HANDLER: 0
; COMPUTE_PGM_RSRC2:TGID_X_EN: 1
; COMPUTE_PGM_RSRC2:TGID_Y_EN: 0
; COMPUTE_PGM_RSRC2:TGID_Z_EN: 0
; COMPUTE_PGM_RSRC2:TIDIG_COMP_CNT: 1
; COMPUTE_PGM_RSRC3_GFX90A:ACCUM_OFFSET: 2
; COMPUTE_PGM_RSRC3_GFX90A:TG_SPLIT: 0
	.section	.text._ZN12_GLOBAL__N_121softmax_warp_backwardIN3c108BFloat16ES2_fLi1ELb0ELb0ELi32EEEvPT0_PKT_S7_iiiPKb,"axG",@progbits,_ZN12_GLOBAL__N_121softmax_warp_backwardIN3c108BFloat16ES2_fLi1ELb0ELb0ELi32EEEvPT0_PKT_S7_iiiPKb,comdat
	.globl	_ZN12_GLOBAL__N_121softmax_warp_backwardIN3c108BFloat16ES2_fLi1ELb0ELb0ELi32EEEvPT0_PKT_S7_iiiPKb ; -- Begin function _ZN12_GLOBAL__N_121softmax_warp_backwardIN3c108BFloat16ES2_fLi1ELb0ELb0ELi32EEEvPT0_PKT_S7_iiiPKb
	.p2align	8
	.type	_ZN12_GLOBAL__N_121softmax_warp_backwardIN3c108BFloat16ES2_fLi1ELb0ELb0ELi32EEEvPT0_PKT_S7_iiiPKb,@function
_ZN12_GLOBAL__N_121softmax_warp_backwardIN3c108BFloat16ES2_fLi1ELb0ELb0ELi32EEEvPT0_PKT_S7_iiiPKb: ; @_ZN12_GLOBAL__N_121softmax_warp_backwardIN3c108BFloat16ES2_fLi1ELb0ELb0ELi32EEEvPT0_PKT_S7_iiiPKb
; %bb.0:
	s_load_dword s2, s[4:5], 0x3c
	s_load_dwordx4 s[8:11], s[4:5], 0x18
	s_load_dwordx4 s[12:15], s[4:5], 0x0
	s_load_dwordx2 s[0:1], s[4:5], 0x10
	v_bfe_u32 v1, v0, 10, 10
	s_waitcnt lgkmcnt(0)
	s_lshr_b32 s2, s2, 16
	s_mul_i32 s6, s6, s2
	v_add_lshl_u32 v1, s6, v1, 1
	v_sub_u32_e32 v8, s8, v1
	v_mul_lo_u32 v1, v1, s9
	v_and_b32_e32 v9, 1, v0
	v_or_b32_e32 v0, v1, v9
	v_ashrrev_i32_e32 v1, 31, v0
	v_lshlrev_b64 v[2:3], 1, v[0:1]
	v_mov_b32_e32 v0, s15
	v_add_co_u32_e32 v4, vcc, s14, v2
	v_addc_co_u32_e32 v5, vcc, v0, v3, vcc
	v_mov_b32_e32 v0, s1
	v_add_co_u32_e32 v6, vcc, s0, v2
	v_addc_co_u32_e32 v7, vcc, v0, v3, vcc
	v_cmp_gt_i32_e32 vcc, s10, v9
	v_cmp_lt_i32_e64 s[0:1], 0, v8
	s_and_b64 s[4:5], vcc, s[0:1]
	v_mov_b32_e32 v9, 0
	v_mov_b32_e32 v10, 0
	;; [unrolled: 1-line block ×3, first 2 shown]
	s_and_saveexec_b64 s[2:3], s[4:5]
	s_cbranch_execz .LBB621_2
; %bb.1:
	global_load_ushort v0, v[6:7], off
	global_load_ushort v1, v[4:5], off
	s_waitcnt vmcnt(1)
	v_lshlrev_b32_e32 v10, 16, v0
	s_waitcnt vmcnt(0)
	v_lshlrev_b32_e32 v0, 16, v1
.LBB621_2:
	s_or_b64 exec, exec, s[2:3]
	v_cmp_lt_i32_e64 s[2:3], 1, v8
	s_and_b64 s[2:3], vcc, s[2:3]
	s_mov_b32 s11, 0
	v_mov_b32_e32 v1, 0
	s_and_saveexec_b64 s[4:5], s[2:3]
	s_cbranch_execz .LBB621_4
; %bb.3:
	s_lshl_b64 s[6:7], s[10:11], 1
	v_mov_b32_e32 v1, s7
	v_add_co_u32_e64 v4, s[2:3], s6, v4
	v_addc_co_u32_e64 v5, s[2:3], v5, v1, s[2:3]
	v_add_co_u32_e64 v6, s[2:3], s6, v6
	v_addc_co_u32_e64 v7, s[2:3], v7, v1, s[2:3]
	global_load_ushort v1, v[6:7], off
	global_load_ushort v11, v[4:5], off
	s_waitcnt vmcnt(1)
	v_lshlrev_b32_e32 v9, 16, v1
	s_waitcnt vmcnt(0)
	v_lshlrev_b32_e32 v1, 16, v11
.LBB621_4:
	s_or_b64 exec, exec, s[4:5]
	v_mbcnt_lo_u32_b32 v4, -1, 0
	v_mbcnt_hi_u32_b32 v4, -1, v4
	v_and_b32_e32 v6, 0x7e, v4
	v_xor_b32_e32 v5, 1, v4
	v_add_u32_e32 v6, 2, v6
	v_cmp_lt_i32_e64 s[2:3], v5, v6
	v_cndmask_b32_e64 v4, v4, v5, s[2:3]
	v_lshlrev_b32_e32 v7, 2, v4
	v_pk_add_f32 v[4:5], v[0:1], 0 op_sel_hi:[1,0]
	ds_bpermute_b32 v6, v7, v4
	ds_bpermute_b32 v7, v7, v5
	s_and_saveexec_b64 s[2:3], s[0:1]
	s_cbranch_execz .LBB621_10
; %bb.5:
	v_mov_b32_e32 v11, s13
	v_add_co_u32_e64 v2, s[0:1], s12, v2
	v_addc_co_u32_e64 v3, s[0:1], v11, v3, s[0:1]
	s_waitcnt lgkmcnt(0)
	v_pk_add_f32 v[4:5], v[4:5], v[6:7]
	s_and_saveexec_b64 s[2:3], vcc
	s_cbranch_execz .LBB621_7
; %bb.6:
	v_fma_f32 v0, -v4, v10, v0
	v_bfe_u32 v4, v0, 16, 1
	s_movk_i32 s0, 0x7fff
	v_add3_u32 v4, v0, v4, s0
	v_lshrrev_b32_e32 v4, 16, v4
	v_mov_b32_e32 v6, 0x7fc0
	v_cmp_o_f32_e64 s[0:1], v0, v0
	v_cndmask_b32_e64 v0, v6, v4, s[0:1]
	global_store_short v[2:3], v0, off
.LBB621_7:
	s_or_b64 exec, exec, s[2:3]
	v_cmp_ne_u32_e64 s[0:1], 1, v8
	s_and_b64 exec, exec, s[0:1]
	s_cbranch_execz .LBB621_10
; %bb.8:
	s_and_b64 exec, exec, vcc
	s_cbranch_execz .LBB621_10
; %bb.9:
	v_fma_f32 v0, -v5, v9, v1
	v_bfe_u32 v1, v0, 16, 1
	s_movk_i32 s0, 0x7fff
	v_add3_u32 v1, v0, v1, s0
	v_lshrrev_b32_e32 v1, 16, v1
	v_mov_b32_e32 v4, 0x7fc0
	v_cmp_o_f32_e32 vcc, v0, v0
	s_lshl_b64 s[0:1], s[10:11], 1
	v_cndmask_b32_e32 v4, v4, v1, vcc
	v_mov_b32_e32 v1, s1
	v_add_co_u32_e32 v0, vcc, s0, v2
	v_addc_co_u32_e32 v1, vcc, v3, v1, vcc
	global_store_short v[0:1], v4, off
.LBB621_10:
	s_endpgm
	.section	.rodata,"a",@progbits
	.p2align	6, 0x0
	.amdhsa_kernel _ZN12_GLOBAL__N_121softmax_warp_backwardIN3c108BFloat16ES2_fLi1ELb0ELb0ELi32EEEvPT0_PKT_S7_iiiPKb
		.amdhsa_group_segment_fixed_size 0
		.amdhsa_private_segment_fixed_size 0
		.amdhsa_kernarg_size 304
		.amdhsa_user_sgpr_count 6
		.amdhsa_user_sgpr_private_segment_buffer 1
		.amdhsa_user_sgpr_dispatch_ptr 0
		.amdhsa_user_sgpr_queue_ptr 0
		.amdhsa_user_sgpr_kernarg_segment_ptr 1
		.amdhsa_user_sgpr_dispatch_id 0
		.amdhsa_user_sgpr_flat_scratch_init 0
		.amdhsa_user_sgpr_kernarg_preload_length 0
		.amdhsa_user_sgpr_kernarg_preload_offset 0
		.amdhsa_user_sgpr_private_segment_size 0
		.amdhsa_uses_dynamic_stack 0
		.amdhsa_system_sgpr_private_segment_wavefront_offset 0
		.amdhsa_system_sgpr_workgroup_id_x 1
		.amdhsa_system_sgpr_workgroup_id_y 0
		.amdhsa_system_sgpr_workgroup_id_z 0
		.amdhsa_system_sgpr_workgroup_info 0
		.amdhsa_system_vgpr_workitem_id 1
		.amdhsa_next_free_vgpr 12
		.amdhsa_next_free_sgpr 16
		.amdhsa_accum_offset 12
		.amdhsa_reserve_vcc 1
		.amdhsa_reserve_flat_scratch 0
		.amdhsa_float_round_mode_32 0
		.amdhsa_float_round_mode_16_64 0
		.amdhsa_float_denorm_mode_32 3
		.amdhsa_float_denorm_mode_16_64 3
		.amdhsa_dx10_clamp 1
		.amdhsa_ieee_mode 1
		.amdhsa_fp16_overflow 0
		.amdhsa_tg_split 0
		.amdhsa_exception_fp_ieee_invalid_op 0
		.amdhsa_exception_fp_denorm_src 0
		.amdhsa_exception_fp_ieee_div_zero 0
		.amdhsa_exception_fp_ieee_overflow 0
		.amdhsa_exception_fp_ieee_underflow 0
		.amdhsa_exception_fp_ieee_inexact 0
		.amdhsa_exception_int_div_zero 0
	.end_amdhsa_kernel
	.section	.text._ZN12_GLOBAL__N_121softmax_warp_backwardIN3c108BFloat16ES2_fLi1ELb0ELb0ELi32EEEvPT0_PKT_S7_iiiPKb,"axG",@progbits,_ZN12_GLOBAL__N_121softmax_warp_backwardIN3c108BFloat16ES2_fLi1ELb0ELb0ELi32EEEvPT0_PKT_S7_iiiPKb,comdat
.Lfunc_end621:
	.size	_ZN12_GLOBAL__N_121softmax_warp_backwardIN3c108BFloat16ES2_fLi1ELb0ELb0ELi32EEEvPT0_PKT_S7_iiiPKb, .Lfunc_end621-_ZN12_GLOBAL__N_121softmax_warp_backwardIN3c108BFloat16ES2_fLi1ELb0ELb0ELi32EEEvPT0_PKT_S7_iiiPKb
                                        ; -- End function
	.section	.AMDGPU.csdata,"",@progbits
; Kernel info:
; codeLenInByte = 584
; NumSgprs: 20
; NumVgprs: 12
; NumAgprs: 0
; TotalNumVgprs: 12
; ScratchSize: 0
; MemoryBound: 0
; FloatMode: 240
; IeeeMode: 1
; LDSByteSize: 0 bytes/workgroup (compile time only)
; SGPRBlocks: 2
; VGPRBlocks: 1
; NumSGPRsForWavesPerEU: 20
; NumVGPRsForWavesPerEU: 12
; AccumOffset: 12
; Occupancy: 8
; WaveLimiterHint : 0
; COMPUTE_PGM_RSRC2:SCRATCH_EN: 0
; COMPUTE_PGM_RSRC2:USER_SGPR: 6
; COMPUTE_PGM_RSRC2:TRAP_HANDLER: 0
; COMPUTE_PGM_RSRC2:TGID_X_EN: 1
; COMPUTE_PGM_RSRC2:TGID_Y_EN: 0
; COMPUTE_PGM_RSRC2:TGID_Z_EN: 0
; COMPUTE_PGM_RSRC2:TIDIG_COMP_CNT: 1
; COMPUTE_PGM_RSRC3_GFX90A:ACCUM_OFFSET: 2
; COMPUTE_PGM_RSRC3_GFX90A:TG_SPLIT: 0
	.section	.text._ZN12_GLOBAL__N_121softmax_warp_backwardIN3c108BFloat16ES2_fLi2ELb0ELb0ELi64EEEvPT0_PKT_S7_iiiPKb,"axG",@progbits,_ZN12_GLOBAL__N_121softmax_warp_backwardIN3c108BFloat16ES2_fLi2ELb0ELb0ELi64EEEvPT0_PKT_S7_iiiPKb,comdat
	.globl	_ZN12_GLOBAL__N_121softmax_warp_backwardIN3c108BFloat16ES2_fLi2ELb0ELb0ELi64EEEvPT0_PKT_S7_iiiPKb ; -- Begin function _ZN12_GLOBAL__N_121softmax_warp_backwardIN3c108BFloat16ES2_fLi2ELb0ELb0ELi64EEEvPT0_PKT_S7_iiiPKb
	.p2align	8
	.type	_ZN12_GLOBAL__N_121softmax_warp_backwardIN3c108BFloat16ES2_fLi2ELb0ELb0ELi64EEEvPT0_PKT_S7_iiiPKb,@function
_ZN12_GLOBAL__N_121softmax_warp_backwardIN3c108BFloat16ES2_fLi2ELb0ELb0ELi64EEEvPT0_PKT_S7_iiiPKb: ; @_ZN12_GLOBAL__N_121softmax_warp_backwardIN3c108BFloat16ES2_fLi2ELb0ELb0ELi64EEEvPT0_PKT_S7_iiiPKb
; %bb.0:
	s_load_dword s2, s[4:5], 0x3c
	s_load_dwordx4 s[8:11], s[4:5], 0x18
	s_load_dwordx4 s[12:15], s[4:5], 0x0
	s_load_dwordx2 s[0:1], s[4:5], 0x10
	v_bfe_u32 v1, v0, 10, 10
	s_waitcnt lgkmcnt(0)
	s_lshr_b32 s2, s2, 16
	s_mul_i32 s6, s6, s2
	v_add_lshl_u32 v1, s6, v1, 1
	v_and_b32_e32 v0, 3, v0
	v_mad_u64_u32 v[2:3], s[2:3], v1, s9, v[0:1]
	v_ashrrev_i32_e32 v3, 31, v2
	v_lshlrev_b64 v[2:3], 1, v[2:3]
	v_sub_u32_e32 v8, s8, v1
	v_mov_b32_e32 v1, s15
	v_add_co_u32_e32 v4, vcc, s14, v2
	v_addc_co_u32_e32 v5, vcc, v1, v3, vcc
	v_mov_b32_e32 v1, s1
	v_add_co_u32_e32 v6, vcc, s0, v2
	v_addc_co_u32_e32 v7, vcc, v1, v3, vcc
	v_cmp_gt_i32_e32 vcc, s10, v0
	v_cmp_lt_i32_e64 s[0:1], 0, v8
	s_and_b64 s[4:5], vcc, s[0:1]
	v_mov_b32_e32 v9, 0
	v_mov_b32_e32 v10, 0
	;; [unrolled: 1-line block ×3, first 2 shown]
	s_and_saveexec_b64 s[2:3], s[4:5]
	s_cbranch_execz .LBB622_2
; %bb.1:
	global_load_ushort v0, v[6:7], off
	global_load_ushort v1, v[4:5], off
	s_waitcnt vmcnt(1)
	v_lshlrev_b32_e32 v10, 16, v0
	s_waitcnt vmcnt(0)
	v_lshlrev_b32_e32 v0, 16, v1
.LBB622_2:
	s_or_b64 exec, exec, s[2:3]
	v_cmp_lt_i32_e64 s[2:3], 1, v8
	s_and_b64 s[2:3], vcc, s[2:3]
	s_mov_b32 s11, 0
	v_mov_b32_e32 v1, 0
	s_and_saveexec_b64 s[4:5], s[2:3]
	s_cbranch_execz .LBB622_4
; %bb.3:
	s_lshl_b64 s[6:7], s[10:11], 1
	v_mov_b32_e32 v1, s7
	v_add_co_u32_e64 v4, s[2:3], s6, v4
	v_addc_co_u32_e64 v5, s[2:3], v5, v1, s[2:3]
	v_add_co_u32_e64 v6, s[2:3], s6, v6
	v_addc_co_u32_e64 v7, s[2:3], v7, v1, s[2:3]
	global_load_ushort v1, v[6:7], off
	global_load_ushort v11, v[4:5], off
	s_waitcnt vmcnt(1)
	v_lshlrev_b32_e32 v9, 16, v1
	s_waitcnt vmcnt(0)
	v_lshlrev_b32_e32 v1, 16, v11
.LBB622_4:
	s_or_b64 exec, exec, s[4:5]
	v_mbcnt_lo_u32_b32 v4, -1, 0
	v_mbcnt_hi_u32_b32 v11, -1, v4
	v_and_b32_e32 v4, 0x7c, v11
	v_add_u32_e32 v12, 4, v4
	v_xor_b32_e32 v4, 2, v11
	v_cmp_lt_i32_e64 s[2:3], v4, v12
	v_cndmask_b32_e64 v4, v11, v4, s[2:3]
	v_lshlrev_b32_e32 v7, 2, v4
	v_pk_add_f32 v[4:5], v[0:1], 0 op_sel_hi:[1,0]
	ds_bpermute_b32 v6, v7, v4
	ds_bpermute_b32 v7, v7, v5
	v_xor_b32_e32 v13, 1, v11
	v_cmp_lt_i32_e64 s[2:3], v13, v12
	v_cndmask_b32_e64 v11, v11, v13, s[2:3]
	v_lshlrev_b32_e32 v11, 2, v11
	s_waitcnt lgkmcnt(0)
	v_pk_add_f32 v[4:5], v[4:5], v[6:7]
	ds_bpermute_b32 v6, v11, v4
	ds_bpermute_b32 v7, v11, v5
	s_and_saveexec_b64 s[2:3], s[0:1]
	s_cbranch_execz .LBB622_10
; %bb.5:
	v_mov_b32_e32 v11, s13
	v_add_co_u32_e64 v2, s[0:1], s12, v2
	v_addc_co_u32_e64 v3, s[0:1], v11, v3, s[0:1]
	s_waitcnt lgkmcnt(0)
	v_pk_add_f32 v[4:5], v[4:5], v[6:7]
	s_and_saveexec_b64 s[2:3], vcc
	s_cbranch_execz .LBB622_7
; %bb.6:
	v_fma_f32 v0, -v4, v10, v0
	v_bfe_u32 v4, v0, 16, 1
	s_movk_i32 s0, 0x7fff
	v_add3_u32 v4, v0, v4, s0
	v_lshrrev_b32_e32 v4, 16, v4
	v_mov_b32_e32 v6, 0x7fc0
	v_cmp_o_f32_e64 s[0:1], v0, v0
	v_cndmask_b32_e64 v0, v6, v4, s[0:1]
	global_store_short v[2:3], v0, off
.LBB622_7:
	s_or_b64 exec, exec, s[2:3]
	v_cmp_ne_u32_e64 s[0:1], 1, v8
	s_and_b64 exec, exec, s[0:1]
	s_cbranch_execz .LBB622_10
; %bb.8:
	s_and_b64 exec, exec, vcc
	s_cbranch_execz .LBB622_10
; %bb.9:
	v_fma_f32 v0, -v5, v9, v1
	v_bfe_u32 v1, v0, 16, 1
	s_movk_i32 s0, 0x7fff
	v_add3_u32 v1, v0, v1, s0
	v_lshrrev_b32_e32 v1, 16, v1
	v_mov_b32_e32 v4, 0x7fc0
	v_cmp_o_f32_e32 vcc, v0, v0
	s_lshl_b64 s[0:1], s[10:11], 1
	v_cndmask_b32_e32 v4, v4, v1, vcc
	v_mov_b32_e32 v1, s1
	v_add_co_u32_e32 v0, vcc, s0, v2
	v_addc_co_u32_e32 v1, vcc, v3, v1, vcc
	global_store_short v[0:1], v4, off
.LBB622_10:
	s_endpgm
	.section	.rodata,"a",@progbits
	.p2align	6, 0x0
	.amdhsa_kernel _ZN12_GLOBAL__N_121softmax_warp_backwardIN3c108BFloat16ES2_fLi2ELb0ELb0ELi64EEEvPT0_PKT_S7_iiiPKb
		.amdhsa_group_segment_fixed_size 0
		.amdhsa_private_segment_fixed_size 0
		.amdhsa_kernarg_size 304
		.amdhsa_user_sgpr_count 6
		.amdhsa_user_sgpr_private_segment_buffer 1
		.amdhsa_user_sgpr_dispatch_ptr 0
		.amdhsa_user_sgpr_queue_ptr 0
		.amdhsa_user_sgpr_kernarg_segment_ptr 1
		.amdhsa_user_sgpr_dispatch_id 0
		.amdhsa_user_sgpr_flat_scratch_init 0
		.amdhsa_user_sgpr_kernarg_preload_length 0
		.amdhsa_user_sgpr_kernarg_preload_offset 0
		.amdhsa_user_sgpr_private_segment_size 0
		.amdhsa_uses_dynamic_stack 0
		.amdhsa_system_sgpr_private_segment_wavefront_offset 0
		.amdhsa_system_sgpr_workgroup_id_x 1
		.amdhsa_system_sgpr_workgroup_id_y 0
		.amdhsa_system_sgpr_workgroup_id_z 0
		.amdhsa_system_sgpr_workgroup_info 0
		.amdhsa_system_vgpr_workitem_id 1
		.amdhsa_next_free_vgpr 14
		.amdhsa_next_free_sgpr 16
		.amdhsa_accum_offset 16
		.amdhsa_reserve_vcc 1
		.amdhsa_reserve_flat_scratch 0
		.amdhsa_float_round_mode_32 0
		.amdhsa_float_round_mode_16_64 0
		.amdhsa_float_denorm_mode_32 3
		.amdhsa_float_denorm_mode_16_64 3
		.amdhsa_dx10_clamp 1
		.amdhsa_ieee_mode 1
		.amdhsa_fp16_overflow 0
		.amdhsa_tg_split 0
		.amdhsa_exception_fp_ieee_invalid_op 0
		.amdhsa_exception_fp_denorm_src 0
		.amdhsa_exception_fp_ieee_div_zero 0
		.amdhsa_exception_fp_ieee_overflow 0
		.amdhsa_exception_fp_ieee_underflow 0
		.amdhsa_exception_fp_ieee_inexact 0
		.amdhsa_exception_int_div_zero 0
	.end_amdhsa_kernel
	.section	.text._ZN12_GLOBAL__N_121softmax_warp_backwardIN3c108BFloat16ES2_fLi2ELb0ELb0ELi64EEEvPT0_PKT_S7_iiiPKb,"axG",@progbits,_ZN12_GLOBAL__N_121softmax_warp_backwardIN3c108BFloat16ES2_fLi2ELb0ELb0ELi64EEEvPT0_PKT_S7_iiiPKb,comdat
.Lfunc_end622:
	.size	_ZN12_GLOBAL__N_121softmax_warp_backwardIN3c108BFloat16ES2_fLi2ELb0ELb0ELi64EEEvPT0_PKT_S7_iiiPKb, .Lfunc_end622-_ZN12_GLOBAL__N_121softmax_warp_backwardIN3c108BFloat16ES2_fLi2ELb0ELb0ELi64EEEvPT0_PKT_S7_iiiPKb
                                        ; -- End function
	.section	.AMDGPU.csdata,"",@progbits
; Kernel info:
; codeLenInByte = 632
; NumSgprs: 20
; NumVgprs: 14
; NumAgprs: 0
; TotalNumVgprs: 14
; ScratchSize: 0
; MemoryBound: 0
; FloatMode: 240
; IeeeMode: 1
; LDSByteSize: 0 bytes/workgroup (compile time only)
; SGPRBlocks: 2
; VGPRBlocks: 1
; NumSGPRsForWavesPerEU: 20
; NumVGPRsForWavesPerEU: 14
; AccumOffset: 16
; Occupancy: 8
; WaveLimiterHint : 0
; COMPUTE_PGM_RSRC2:SCRATCH_EN: 0
; COMPUTE_PGM_RSRC2:USER_SGPR: 6
; COMPUTE_PGM_RSRC2:TRAP_HANDLER: 0
; COMPUTE_PGM_RSRC2:TGID_X_EN: 1
; COMPUTE_PGM_RSRC2:TGID_Y_EN: 0
; COMPUTE_PGM_RSRC2:TGID_Z_EN: 0
; COMPUTE_PGM_RSRC2:TIDIG_COMP_CNT: 1
; COMPUTE_PGM_RSRC3_GFX90A:ACCUM_OFFSET: 3
; COMPUTE_PGM_RSRC3_GFX90A:TG_SPLIT: 0
	.section	.text._ZN12_GLOBAL__N_121softmax_warp_backwardIN3c108BFloat16ES2_fLi2ELb0ELb0ELi32EEEvPT0_PKT_S7_iiiPKb,"axG",@progbits,_ZN12_GLOBAL__N_121softmax_warp_backwardIN3c108BFloat16ES2_fLi2ELb0ELb0ELi32EEEvPT0_PKT_S7_iiiPKb,comdat
	.globl	_ZN12_GLOBAL__N_121softmax_warp_backwardIN3c108BFloat16ES2_fLi2ELb0ELb0ELi32EEEvPT0_PKT_S7_iiiPKb ; -- Begin function _ZN12_GLOBAL__N_121softmax_warp_backwardIN3c108BFloat16ES2_fLi2ELb0ELb0ELi32EEEvPT0_PKT_S7_iiiPKb
	.p2align	8
	.type	_ZN12_GLOBAL__N_121softmax_warp_backwardIN3c108BFloat16ES2_fLi2ELb0ELb0ELi32EEEvPT0_PKT_S7_iiiPKb,@function
_ZN12_GLOBAL__N_121softmax_warp_backwardIN3c108BFloat16ES2_fLi2ELb0ELb0ELi32EEEvPT0_PKT_S7_iiiPKb: ; @_ZN12_GLOBAL__N_121softmax_warp_backwardIN3c108BFloat16ES2_fLi2ELb0ELb0ELi32EEEvPT0_PKT_S7_iiiPKb
; %bb.0:
	s_load_dword s2, s[4:5], 0x3c
	s_load_dwordx4 s[8:11], s[4:5], 0x18
	s_load_dwordx4 s[12:15], s[4:5], 0x0
	s_load_dwordx2 s[0:1], s[4:5], 0x10
	v_bfe_u32 v1, v0, 10, 10
	s_waitcnt lgkmcnt(0)
	s_lshr_b32 s2, s2, 16
	s_mul_i32 s6, s6, s2
	v_add_lshl_u32 v1, s6, v1, 1
	v_and_b32_e32 v0, 3, v0
	v_mad_u64_u32 v[2:3], s[2:3], v1, s9, v[0:1]
	v_ashrrev_i32_e32 v3, 31, v2
	v_lshlrev_b64 v[2:3], 1, v[2:3]
	v_sub_u32_e32 v8, s8, v1
	v_mov_b32_e32 v1, s15
	v_add_co_u32_e32 v4, vcc, s14, v2
	v_addc_co_u32_e32 v5, vcc, v1, v3, vcc
	v_mov_b32_e32 v1, s1
	v_add_co_u32_e32 v6, vcc, s0, v2
	v_addc_co_u32_e32 v7, vcc, v1, v3, vcc
	v_cmp_gt_i32_e32 vcc, s10, v0
	v_cmp_lt_i32_e64 s[0:1], 0, v8
	s_and_b64 s[4:5], vcc, s[0:1]
	v_mov_b32_e32 v9, 0
	v_mov_b32_e32 v10, 0
	;; [unrolled: 1-line block ×3, first 2 shown]
	s_and_saveexec_b64 s[2:3], s[4:5]
	s_cbranch_execz .LBB623_2
; %bb.1:
	global_load_ushort v0, v[6:7], off
	global_load_ushort v1, v[4:5], off
	s_waitcnt vmcnt(1)
	v_lshlrev_b32_e32 v10, 16, v0
	s_waitcnt vmcnt(0)
	v_lshlrev_b32_e32 v0, 16, v1
.LBB623_2:
	s_or_b64 exec, exec, s[2:3]
	v_cmp_lt_i32_e64 s[2:3], 1, v8
	s_and_b64 s[2:3], vcc, s[2:3]
	s_mov_b32 s11, 0
	v_mov_b32_e32 v1, 0
	s_and_saveexec_b64 s[4:5], s[2:3]
	s_cbranch_execz .LBB623_4
; %bb.3:
	s_lshl_b64 s[6:7], s[10:11], 1
	v_mov_b32_e32 v1, s7
	v_add_co_u32_e64 v4, s[2:3], s6, v4
	v_addc_co_u32_e64 v5, s[2:3], v5, v1, s[2:3]
	v_add_co_u32_e64 v6, s[2:3], s6, v6
	v_addc_co_u32_e64 v7, s[2:3], v7, v1, s[2:3]
	global_load_ushort v1, v[6:7], off
	global_load_ushort v11, v[4:5], off
	s_waitcnt vmcnt(1)
	v_lshlrev_b32_e32 v9, 16, v1
	s_waitcnt vmcnt(0)
	v_lshlrev_b32_e32 v1, 16, v11
.LBB623_4:
	s_or_b64 exec, exec, s[4:5]
	v_mbcnt_lo_u32_b32 v4, -1, 0
	v_mbcnt_hi_u32_b32 v11, -1, v4
	v_and_b32_e32 v4, 0x7c, v11
	v_add_u32_e32 v12, 4, v4
	v_xor_b32_e32 v4, 2, v11
	v_cmp_lt_i32_e64 s[2:3], v4, v12
	v_cndmask_b32_e64 v4, v11, v4, s[2:3]
	v_lshlrev_b32_e32 v7, 2, v4
	v_pk_add_f32 v[4:5], v[0:1], 0 op_sel_hi:[1,0]
	ds_bpermute_b32 v6, v7, v4
	ds_bpermute_b32 v7, v7, v5
	v_xor_b32_e32 v13, 1, v11
	v_cmp_lt_i32_e64 s[2:3], v13, v12
	v_cndmask_b32_e64 v11, v11, v13, s[2:3]
	v_lshlrev_b32_e32 v11, 2, v11
	s_waitcnt lgkmcnt(0)
	v_pk_add_f32 v[4:5], v[4:5], v[6:7]
	ds_bpermute_b32 v6, v11, v4
	ds_bpermute_b32 v7, v11, v5
	s_and_saveexec_b64 s[2:3], s[0:1]
	s_cbranch_execz .LBB623_10
; %bb.5:
	v_mov_b32_e32 v11, s13
	v_add_co_u32_e64 v2, s[0:1], s12, v2
	v_addc_co_u32_e64 v3, s[0:1], v11, v3, s[0:1]
	s_waitcnt lgkmcnt(0)
	v_pk_add_f32 v[4:5], v[4:5], v[6:7]
	s_and_saveexec_b64 s[2:3], vcc
	s_cbranch_execz .LBB623_7
; %bb.6:
	v_fma_f32 v0, -v4, v10, v0
	v_bfe_u32 v4, v0, 16, 1
	s_movk_i32 s0, 0x7fff
	v_add3_u32 v4, v0, v4, s0
	v_lshrrev_b32_e32 v4, 16, v4
	v_mov_b32_e32 v6, 0x7fc0
	v_cmp_o_f32_e64 s[0:1], v0, v0
	v_cndmask_b32_e64 v0, v6, v4, s[0:1]
	global_store_short v[2:3], v0, off
.LBB623_7:
	s_or_b64 exec, exec, s[2:3]
	v_cmp_ne_u32_e64 s[0:1], 1, v8
	s_and_b64 exec, exec, s[0:1]
	s_cbranch_execz .LBB623_10
; %bb.8:
	s_and_b64 exec, exec, vcc
	s_cbranch_execz .LBB623_10
; %bb.9:
	v_fma_f32 v0, -v5, v9, v1
	v_bfe_u32 v1, v0, 16, 1
	s_movk_i32 s0, 0x7fff
	v_add3_u32 v1, v0, v1, s0
	v_lshrrev_b32_e32 v1, 16, v1
	v_mov_b32_e32 v4, 0x7fc0
	v_cmp_o_f32_e32 vcc, v0, v0
	s_lshl_b64 s[0:1], s[10:11], 1
	v_cndmask_b32_e32 v4, v4, v1, vcc
	v_mov_b32_e32 v1, s1
	v_add_co_u32_e32 v0, vcc, s0, v2
	v_addc_co_u32_e32 v1, vcc, v3, v1, vcc
	global_store_short v[0:1], v4, off
.LBB623_10:
	s_endpgm
	.section	.rodata,"a",@progbits
	.p2align	6, 0x0
	.amdhsa_kernel _ZN12_GLOBAL__N_121softmax_warp_backwardIN3c108BFloat16ES2_fLi2ELb0ELb0ELi32EEEvPT0_PKT_S7_iiiPKb
		.amdhsa_group_segment_fixed_size 0
		.amdhsa_private_segment_fixed_size 0
		.amdhsa_kernarg_size 304
		.amdhsa_user_sgpr_count 6
		.amdhsa_user_sgpr_private_segment_buffer 1
		.amdhsa_user_sgpr_dispatch_ptr 0
		.amdhsa_user_sgpr_queue_ptr 0
		.amdhsa_user_sgpr_kernarg_segment_ptr 1
		.amdhsa_user_sgpr_dispatch_id 0
		.amdhsa_user_sgpr_flat_scratch_init 0
		.amdhsa_user_sgpr_kernarg_preload_length 0
		.amdhsa_user_sgpr_kernarg_preload_offset 0
		.amdhsa_user_sgpr_private_segment_size 0
		.amdhsa_uses_dynamic_stack 0
		.amdhsa_system_sgpr_private_segment_wavefront_offset 0
		.amdhsa_system_sgpr_workgroup_id_x 1
		.amdhsa_system_sgpr_workgroup_id_y 0
		.amdhsa_system_sgpr_workgroup_id_z 0
		.amdhsa_system_sgpr_workgroup_info 0
		.amdhsa_system_vgpr_workitem_id 1
		.amdhsa_next_free_vgpr 14
		.amdhsa_next_free_sgpr 16
		.amdhsa_accum_offset 16
		.amdhsa_reserve_vcc 1
		.amdhsa_reserve_flat_scratch 0
		.amdhsa_float_round_mode_32 0
		.amdhsa_float_round_mode_16_64 0
		.amdhsa_float_denorm_mode_32 3
		.amdhsa_float_denorm_mode_16_64 3
		.amdhsa_dx10_clamp 1
		.amdhsa_ieee_mode 1
		.amdhsa_fp16_overflow 0
		.amdhsa_tg_split 0
		.amdhsa_exception_fp_ieee_invalid_op 0
		.amdhsa_exception_fp_denorm_src 0
		.amdhsa_exception_fp_ieee_div_zero 0
		.amdhsa_exception_fp_ieee_overflow 0
		.amdhsa_exception_fp_ieee_underflow 0
		.amdhsa_exception_fp_ieee_inexact 0
		.amdhsa_exception_int_div_zero 0
	.end_amdhsa_kernel
	.section	.text._ZN12_GLOBAL__N_121softmax_warp_backwardIN3c108BFloat16ES2_fLi2ELb0ELb0ELi32EEEvPT0_PKT_S7_iiiPKb,"axG",@progbits,_ZN12_GLOBAL__N_121softmax_warp_backwardIN3c108BFloat16ES2_fLi2ELb0ELb0ELi32EEEvPT0_PKT_S7_iiiPKb,comdat
.Lfunc_end623:
	.size	_ZN12_GLOBAL__N_121softmax_warp_backwardIN3c108BFloat16ES2_fLi2ELb0ELb0ELi32EEEvPT0_PKT_S7_iiiPKb, .Lfunc_end623-_ZN12_GLOBAL__N_121softmax_warp_backwardIN3c108BFloat16ES2_fLi2ELb0ELb0ELi32EEEvPT0_PKT_S7_iiiPKb
                                        ; -- End function
	.section	.AMDGPU.csdata,"",@progbits
; Kernel info:
; codeLenInByte = 632
; NumSgprs: 20
; NumVgprs: 14
; NumAgprs: 0
; TotalNumVgprs: 14
; ScratchSize: 0
; MemoryBound: 0
; FloatMode: 240
; IeeeMode: 1
; LDSByteSize: 0 bytes/workgroup (compile time only)
; SGPRBlocks: 2
; VGPRBlocks: 1
; NumSGPRsForWavesPerEU: 20
; NumVGPRsForWavesPerEU: 14
; AccumOffset: 16
; Occupancy: 8
; WaveLimiterHint : 0
; COMPUTE_PGM_RSRC2:SCRATCH_EN: 0
; COMPUTE_PGM_RSRC2:USER_SGPR: 6
; COMPUTE_PGM_RSRC2:TRAP_HANDLER: 0
; COMPUTE_PGM_RSRC2:TGID_X_EN: 1
; COMPUTE_PGM_RSRC2:TGID_Y_EN: 0
; COMPUTE_PGM_RSRC2:TGID_Z_EN: 0
; COMPUTE_PGM_RSRC2:TIDIG_COMP_CNT: 1
; COMPUTE_PGM_RSRC3_GFX90A:ACCUM_OFFSET: 3
; COMPUTE_PGM_RSRC3_GFX90A:TG_SPLIT: 0
	.section	.text._ZN12_GLOBAL__N_121softmax_warp_backwardIN3c108BFloat16ES2_fLi3ELb0ELb0ELi64EEEvPT0_PKT_S7_iiiPKb,"axG",@progbits,_ZN12_GLOBAL__N_121softmax_warp_backwardIN3c108BFloat16ES2_fLi3ELb0ELb0ELi64EEEvPT0_PKT_S7_iiiPKb,comdat
	.globl	_ZN12_GLOBAL__N_121softmax_warp_backwardIN3c108BFloat16ES2_fLi3ELb0ELb0ELi64EEEvPT0_PKT_S7_iiiPKb ; -- Begin function _ZN12_GLOBAL__N_121softmax_warp_backwardIN3c108BFloat16ES2_fLi3ELb0ELb0ELi64EEEvPT0_PKT_S7_iiiPKb
	.p2align	8
	.type	_ZN12_GLOBAL__N_121softmax_warp_backwardIN3c108BFloat16ES2_fLi3ELb0ELb0ELi64EEEvPT0_PKT_S7_iiiPKb,@function
_ZN12_GLOBAL__N_121softmax_warp_backwardIN3c108BFloat16ES2_fLi3ELb0ELb0ELi64EEEvPT0_PKT_S7_iiiPKb: ; @_ZN12_GLOBAL__N_121softmax_warp_backwardIN3c108BFloat16ES2_fLi3ELb0ELb0ELi64EEEvPT0_PKT_S7_iiiPKb
; %bb.0:
	s_load_dword s2, s[4:5], 0x3c
	s_load_dwordx4 s[8:11], s[4:5], 0x18
	s_load_dwordx4 s[12:15], s[4:5], 0x0
	s_load_dwordx2 s[0:1], s[4:5], 0x10
	v_bfe_u32 v1, v0, 10, 10
	s_waitcnt lgkmcnt(0)
	s_lshr_b32 s2, s2, 16
	s_mul_i32 s6, s6, s2
	v_add_lshl_u32 v1, s6, v1, 1
	v_and_b32_e32 v0, 7, v0
	v_mad_u64_u32 v[2:3], s[2:3], v1, s9, v[0:1]
	v_ashrrev_i32_e32 v3, 31, v2
	v_lshlrev_b64 v[2:3], 1, v[2:3]
	v_sub_u32_e32 v8, s8, v1
	v_mov_b32_e32 v1, s15
	v_add_co_u32_e32 v4, vcc, s14, v2
	v_addc_co_u32_e32 v5, vcc, v1, v3, vcc
	v_mov_b32_e32 v1, s1
	v_add_co_u32_e32 v6, vcc, s0, v2
	v_addc_co_u32_e32 v7, vcc, v1, v3, vcc
	v_cmp_gt_i32_e32 vcc, s10, v0
	v_cmp_lt_i32_e64 s[0:1], 0, v8
	s_and_b64 s[4:5], vcc, s[0:1]
	v_mov_b32_e32 v9, 0
	v_mov_b32_e32 v10, 0
	;; [unrolled: 1-line block ×3, first 2 shown]
	s_and_saveexec_b64 s[2:3], s[4:5]
	s_cbranch_execz .LBB624_2
; %bb.1:
	global_load_ushort v0, v[6:7], off
	global_load_ushort v1, v[4:5], off
	s_waitcnt vmcnt(1)
	v_lshlrev_b32_e32 v10, 16, v0
	s_waitcnt vmcnt(0)
	v_lshlrev_b32_e32 v0, 16, v1
.LBB624_2:
	s_or_b64 exec, exec, s[2:3]
	v_cmp_lt_i32_e64 s[2:3], 1, v8
	s_and_b64 s[2:3], vcc, s[2:3]
	s_mov_b32 s11, 0
	v_mov_b32_e32 v1, 0
	s_and_saveexec_b64 s[4:5], s[2:3]
	s_cbranch_execz .LBB624_4
; %bb.3:
	s_lshl_b64 s[6:7], s[10:11], 1
	v_mov_b32_e32 v1, s7
	v_add_co_u32_e64 v4, s[2:3], s6, v4
	v_addc_co_u32_e64 v5, s[2:3], v5, v1, s[2:3]
	v_add_co_u32_e64 v6, s[2:3], s6, v6
	v_addc_co_u32_e64 v7, s[2:3], v7, v1, s[2:3]
	global_load_ushort v1, v[6:7], off
	global_load_ushort v11, v[4:5], off
	s_waitcnt vmcnt(1)
	v_lshlrev_b32_e32 v9, 16, v1
	s_waitcnt vmcnt(0)
	v_lshlrev_b32_e32 v1, 16, v11
.LBB624_4:
	s_or_b64 exec, exec, s[4:5]
	v_mbcnt_lo_u32_b32 v4, -1, 0
	v_mbcnt_hi_u32_b32 v11, -1, v4
	v_and_b32_e32 v4, 0x78, v11
	v_add_u32_e32 v12, 8, v4
	v_xor_b32_e32 v4, 4, v11
	v_cmp_lt_i32_e64 s[2:3], v4, v12
	v_cndmask_b32_e64 v4, v11, v4, s[2:3]
	v_lshlrev_b32_e32 v7, 2, v4
	v_pk_add_f32 v[4:5], v[0:1], 0 op_sel_hi:[1,0]
	ds_bpermute_b32 v6, v7, v4
	ds_bpermute_b32 v7, v7, v5
	v_xor_b32_e32 v13, 2, v11
	v_cmp_lt_i32_e64 s[2:3], v13, v12
	v_cndmask_b32_e64 v13, v11, v13, s[2:3]
	v_lshlrev_b32_e32 v13, 2, v13
	s_waitcnt lgkmcnt(0)
	v_pk_add_f32 v[4:5], v[4:5], v[6:7]
	ds_bpermute_b32 v6, v13, v4
	ds_bpermute_b32 v7, v13, v5
	v_xor_b32_e32 v13, 1, v11
	v_cmp_lt_i32_e64 s[2:3], v13, v12
	v_cndmask_b32_e64 v11, v11, v13, s[2:3]
	v_lshlrev_b32_e32 v11, 2, v11
	s_waitcnt lgkmcnt(0)
	v_pk_add_f32 v[4:5], v[4:5], v[6:7]
	ds_bpermute_b32 v6, v11, v4
	ds_bpermute_b32 v7, v11, v5
	s_and_saveexec_b64 s[2:3], s[0:1]
	s_cbranch_execz .LBB624_10
; %bb.5:
	v_mov_b32_e32 v11, s13
	v_add_co_u32_e64 v2, s[0:1], s12, v2
	v_addc_co_u32_e64 v3, s[0:1], v11, v3, s[0:1]
	s_waitcnt lgkmcnt(0)
	v_pk_add_f32 v[4:5], v[4:5], v[6:7]
	s_and_saveexec_b64 s[2:3], vcc
	s_cbranch_execz .LBB624_7
; %bb.6:
	v_fma_f32 v0, -v4, v10, v0
	v_bfe_u32 v4, v0, 16, 1
	s_movk_i32 s0, 0x7fff
	v_add3_u32 v4, v0, v4, s0
	v_lshrrev_b32_e32 v4, 16, v4
	v_mov_b32_e32 v6, 0x7fc0
	v_cmp_o_f32_e64 s[0:1], v0, v0
	v_cndmask_b32_e64 v0, v6, v4, s[0:1]
	global_store_short v[2:3], v0, off
.LBB624_7:
	s_or_b64 exec, exec, s[2:3]
	v_cmp_ne_u32_e64 s[0:1], 1, v8
	s_and_b64 exec, exec, s[0:1]
	s_cbranch_execz .LBB624_10
; %bb.8:
	s_and_b64 exec, exec, vcc
	s_cbranch_execz .LBB624_10
; %bb.9:
	v_fma_f32 v0, -v5, v9, v1
	v_bfe_u32 v1, v0, 16, 1
	s_movk_i32 s0, 0x7fff
	v_add3_u32 v1, v0, v1, s0
	v_lshrrev_b32_e32 v1, 16, v1
	v_mov_b32_e32 v4, 0x7fc0
	v_cmp_o_f32_e32 vcc, v0, v0
	s_lshl_b64 s[0:1], s[10:11], 1
	v_cndmask_b32_e32 v4, v4, v1, vcc
	v_mov_b32_e32 v1, s1
	v_add_co_u32_e32 v0, vcc, s0, v2
	v_addc_co_u32_e32 v1, vcc, v3, v1, vcc
	global_store_short v[0:1], v4, off
.LBB624_10:
	s_endpgm
	.section	.rodata,"a",@progbits
	.p2align	6, 0x0
	.amdhsa_kernel _ZN12_GLOBAL__N_121softmax_warp_backwardIN3c108BFloat16ES2_fLi3ELb0ELb0ELi64EEEvPT0_PKT_S7_iiiPKb
		.amdhsa_group_segment_fixed_size 0
		.amdhsa_private_segment_fixed_size 0
		.amdhsa_kernarg_size 304
		.amdhsa_user_sgpr_count 6
		.amdhsa_user_sgpr_private_segment_buffer 1
		.amdhsa_user_sgpr_dispatch_ptr 0
		.amdhsa_user_sgpr_queue_ptr 0
		.amdhsa_user_sgpr_kernarg_segment_ptr 1
		.amdhsa_user_sgpr_dispatch_id 0
		.amdhsa_user_sgpr_flat_scratch_init 0
		.amdhsa_user_sgpr_kernarg_preload_length 0
		.amdhsa_user_sgpr_kernarg_preload_offset 0
		.amdhsa_user_sgpr_private_segment_size 0
		.amdhsa_uses_dynamic_stack 0
		.amdhsa_system_sgpr_private_segment_wavefront_offset 0
		.amdhsa_system_sgpr_workgroup_id_x 1
		.amdhsa_system_sgpr_workgroup_id_y 0
		.amdhsa_system_sgpr_workgroup_id_z 0
		.amdhsa_system_sgpr_workgroup_info 0
		.amdhsa_system_vgpr_workitem_id 1
		.amdhsa_next_free_vgpr 14
		.amdhsa_next_free_sgpr 16
		.amdhsa_accum_offset 16
		.amdhsa_reserve_vcc 1
		.amdhsa_reserve_flat_scratch 0
		.amdhsa_float_round_mode_32 0
		.amdhsa_float_round_mode_16_64 0
		.amdhsa_float_denorm_mode_32 3
		.amdhsa_float_denorm_mode_16_64 3
		.amdhsa_dx10_clamp 1
		.amdhsa_ieee_mode 1
		.amdhsa_fp16_overflow 0
		.amdhsa_tg_split 0
		.amdhsa_exception_fp_ieee_invalid_op 0
		.amdhsa_exception_fp_denorm_src 0
		.amdhsa_exception_fp_ieee_div_zero 0
		.amdhsa_exception_fp_ieee_overflow 0
		.amdhsa_exception_fp_ieee_underflow 0
		.amdhsa_exception_fp_ieee_inexact 0
		.amdhsa_exception_int_div_zero 0
	.end_amdhsa_kernel
	.section	.text._ZN12_GLOBAL__N_121softmax_warp_backwardIN3c108BFloat16ES2_fLi3ELb0ELb0ELi64EEEvPT0_PKT_S7_iiiPKb,"axG",@progbits,_ZN12_GLOBAL__N_121softmax_warp_backwardIN3c108BFloat16ES2_fLi3ELb0ELb0ELi64EEEvPT0_PKT_S7_iiiPKb,comdat
.Lfunc_end624:
	.size	_ZN12_GLOBAL__N_121softmax_warp_backwardIN3c108BFloat16ES2_fLi3ELb0ELb0ELi64EEEvPT0_PKT_S7_iiiPKb, .Lfunc_end624-_ZN12_GLOBAL__N_121softmax_warp_backwardIN3c108BFloat16ES2_fLi3ELb0ELb0ELi64EEEvPT0_PKT_S7_iiiPKb
                                        ; -- End function
	.section	.AMDGPU.csdata,"",@progbits
; Kernel info:
; codeLenInByte = 684
; NumSgprs: 20
; NumVgprs: 14
; NumAgprs: 0
; TotalNumVgprs: 14
; ScratchSize: 0
; MemoryBound: 0
; FloatMode: 240
; IeeeMode: 1
; LDSByteSize: 0 bytes/workgroup (compile time only)
; SGPRBlocks: 2
; VGPRBlocks: 1
; NumSGPRsForWavesPerEU: 20
; NumVGPRsForWavesPerEU: 14
; AccumOffset: 16
; Occupancy: 8
; WaveLimiterHint : 0
; COMPUTE_PGM_RSRC2:SCRATCH_EN: 0
; COMPUTE_PGM_RSRC2:USER_SGPR: 6
; COMPUTE_PGM_RSRC2:TRAP_HANDLER: 0
; COMPUTE_PGM_RSRC2:TGID_X_EN: 1
; COMPUTE_PGM_RSRC2:TGID_Y_EN: 0
; COMPUTE_PGM_RSRC2:TGID_Z_EN: 0
; COMPUTE_PGM_RSRC2:TIDIG_COMP_CNT: 1
; COMPUTE_PGM_RSRC3_GFX90A:ACCUM_OFFSET: 3
; COMPUTE_PGM_RSRC3_GFX90A:TG_SPLIT: 0
	.section	.text._ZN12_GLOBAL__N_121softmax_warp_backwardIN3c108BFloat16ES2_fLi3ELb0ELb0ELi32EEEvPT0_PKT_S7_iiiPKb,"axG",@progbits,_ZN12_GLOBAL__N_121softmax_warp_backwardIN3c108BFloat16ES2_fLi3ELb0ELb0ELi32EEEvPT0_PKT_S7_iiiPKb,comdat
	.globl	_ZN12_GLOBAL__N_121softmax_warp_backwardIN3c108BFloat16ES2_fLi3ELb0ELb0ELi32EEEvPT0_PKT_S7_iiiPKb ; -- Begin function _ZN12_GLOBAL__N_121softmax_warp_backwardIN3c108BFloat16ES2_fLi3ELb0ELb0ELi32EEEvPT0_PKT_S7_iiiPKb
	.p2align	8
	.type	_ZN12_GLOBAL__N_121softmax_warp_backwardIN3c108BFloat16ES2_fLi3ELb0ELb0ELi32EEEvPT0_PKT_S7_iiiPKb,@function
_ZN12_GLOBAL__N_121softmax_warp_backwardIN3c108BFloat16ES2_fLi3ELb0ELb0ELi32EEEvPT0_PKT_S7_iiiPKb: ; @_ZN12_GLOBAL__N_121softmax_warp_backwardIN3c108BFloat16ES2_fLi3ELb0ELb0ELi32EEEvPT0_PKT_S7_iiiPKb
; %bb.0:
	s_load_dword s2, s[4:5], 0x3c
	s_load_dwordx4 s[8:11], s[4:5], 0x18
	s_load_dwordx4 s[12:15], s[4:5], 0x0
	s_load_dwordx2 s[0:1], s[4:5], 0x10
	v_bfe_u32 v1, v0, 10, 10
	s_waitcnt lgkmcnt(0)
	s_lshr_b32 s2, s2, 16
	s_mul_i32 s6, s6, s2
	v_add_lshl_u32 v1, s6, v1, 1
	v_and_b32_e32 v0, 7, v0
	v_mad_u64_u32 v[2:3], s[2:3], v1, s9, v[0:1]
	v_ashrrev_i32_e32 v3, 31, v2
	v_lshlrev_b64 v[2:3], 1, v[2:3]
	v_sub_u32_e32 v8, s8, v1
	v_mov_b32_e32 v1, s15
	v_add_co_u32_e32 v4, vcc, s14, v2
	v_addc_co_u32_e32 v5, vcc, v1, v3, vcc
	v_mov_b32_e32 v1, s1
	v_add_co_u32_e32 v6, vcc, s0, v2
	v_addc_co_u32_e32 v7, vcc, v1, v3, vcc
	v_cmp_gt_i32_e32 vcc, s10, v0
	v_cmp_lt_i32_e64 s[0:1], 0, v8
	s_and_b64 s[4:5], vcc, s[0:1]
	v_mov_b32_e32 v9, 0
	v_mov_b32_e32 v10, 0
	;; [unrolled: 1-line block ×3, first 2 shown]
	s_and_saveexec_b64 s[2:3], s[4:5]
	s_cbranch_execz .LBB625_2
; %bb.1:
	global_load_ushort v0, v[6:7], off
	global_load_ushort v1, v[4:5], off
	s_waitcnt vmcnt(1)
	v_lshlrev_b32_e32 v10, 16, v0
	s_waitcnt vmcnt(0)
	v_lshlrev_b32_e32 v0, 16, v1
.LBB625_2:
	s_or_b64 exec, exec, s[2:3]
	v_cmp_lt_i32_e64 s[2:3], 1, v8
	s_and_b64 s[2:3], vcc, s[2:3]
	s_mov_b32 s11, 0
	v_mov_b32_e32 v1, 0
	s_and_saveexec_b64 s[4:5], s[2:3]
	s_cbranch_execz .LBB625_4
; %bb.3:
	s_lshl_b64 s[6:7], s[10:11], 1
	v_mov_b32_e32 v1, s7
	v_add_co_u32_e64 v4, s[2:3], s6, v4
	v_addc_co_u32_e64 v5, s[2:3], v5, v1, s[2:3]
	v_add_co_u32_e64 v6, s[2:3], s6, v6
	v_addc_co_u32_e64 v7, s[2:3], v7, v1, s[2:3]
	global_load_ushort v1, v[6:7], off
	global_load_ushort v11, v[4:5], off
	s_waitcnt vmcnt(1)
	v_lshlrev_b32_e32 v9, 16, v1
	s_waitcnt vmcnt(0)
	v_lshlrev_b32_e32 v1, 16, v11
.LBB625_4:
	s_or_b64 exec, exec, s[4:5]
	v_mbcnt_lo_u32_b32 v4, -1, 0
	v_mbcnt_hi_u32_b32 v11, -1, v4
	v_and_b32_e32 v4, 0x78, v11
	v_add_u32_e32 v12, 8, v4
	v_xor_b32_e32 v4, 4, v11
	v_cmp_lt_i32_e64 s[2:3], v4, v12
	v_cndmask_b32_e64 v4, v11, v4, s[2:3]
	v_lshlrev_b32_e32 v7, 2, v4
	v_pk_add_f32 v[4:5], v[0:1], 0 op_sel_hi:[1,0]
	ds_bpermute_b32 v6, v7, v4
	ds_bpermute_b32 v7, v7, v5
	v_xor_b32_e32 v13, 2, v11
	v_cmp_lt_i32_e64 s[2:3], v13, v12
	v_cndmask_b32_e64 v13, v11, v13, s[2:3]
	v_lshlrev_b32_e32 v13, 2, v13
	s_waitcnt lgkmcnt(0)
	v_pk_add_f32 v[4:5], v[4:5], v[6:7]
	ds_bpermute_b32 v6, v13, v4
	ds_bpermute_b32 v7, v13, v5
	v_xor_b32_e32 v13, 1, v11
	v_cmp_lt_i32_e64 s[2:3], v13, v12
	v_cndmask_b32_e64 v11, v11, v13, s[2:3]
	v_lshlrev_b32_e32 v11, 2, v11
	s_waitcnt lgkmcnt(0)
	v_pk_add_f32 v[4:5], v[4:5], v[6:7]
	ds_bpermute_b32 v6, v11, v4
	ds_bpermute_b32 v7, v11, v5
	s_and_saveexec_b64 s[2:3], s[0:1]
	s_cbranch_execz .LBB625_10
; %bb.5:
	v_mov_b32_e32 v11, s13
	v_add_co_u32_e64 v2, s[0:1], s12, v2
	v_addc_co_u32_e64 v3, s[0:1], v11, v3, s[0:1]
	s_waitcnt lgkmcnt(0)
	v_pk_add_f32 v[4:5], v[4:5], v[6:7]
	s_and_saveexec_b64 s[2:3], vcc
	s_cbranch_execz .LBB625_7
; %bb.6:
	v_fma_f32 v0, -v4, v10, v0
	v_bfe_u32 v4, v0, 16, 1
	s_movk_i32 s0, 0x7fff
	v_add3_u32 v4, v0, v4, s0
	v_lshrrev_b32_e32 v4, 16, v4
	v_mov_b32_e32 v6, 0x7fc0
	v_cmp_o_f32_e64 s[0:1], v0, v0
	v_cndmask_b32_e64 v0, v6, v4, s[0:1]
	global_store_short v[2:3], v0, off
.LBB625_7:
	s_or_b64 exec, exec, s[2:3]
	v_cmp_ne_u32_e64 s[0:1], 1, v8
	s_and_b64 exec, exec, s[0:1]
	s_cbranch_execz .LBB625_10
; %bb.8:
	s_and_b64 exec, exec, vcc
	s_cbranch_execz .LBB625_10
; %bb.9:
	v_fma_f32 v0, -v5, v9, v1
	v_bfe_u32 v1, v0, 16, 1
	s_movk_i32 s0, 0x7fff
	v_add3_u32 v1, v0, v1, s0
	v_lshrrev_b32_e32 v1, 16, v1
	v_mov_b32_e32 v4, 0x7fc0
	v_cmp_o_f32_e32 vcc, v0, v0
	s_lshl_b64 s[0:1], s[10:11], 1
	v_cndmask_b32_e32 v4, v4, v1, vcc
	v_mov_b32_e32 v1, s1
	v_add_co_u32_e32 v0, vcc, s0, v2
	v_addc_co_u32_e32 v1, vcc, v3, v1, vcc
	global_store_short v[0:1], v4, off
.LBB625_10:
	s_endpgm
	.section	.rodata,"a",@progbits
	.p2align	6, 0x0
	.amdhsa_kernel _ZN12_GLOBAL__N_121softmax_warp_backwardIN3c108BFloat16ES2_fLi3ELb0ELb0ELi32EEEvPT0_PKT_S7_iiiPKb
		.amdhsa_group_segment_fixed_size 0
		.amdhsa_private_segment_fixed_size 0
		.amdhsa_kernarg_size 304
		.amdhsa_user_sgpr_count 6
		.amdhsa_user_sgpr_private_segment_buffer 1
		.amdhsa_user_sgpr_dispatch_ptr 0
		.amdhsa_user_sgpr_queue_ptr 0
		.amdhsa_user_sgpr_kernarg_segment_ptr 1
		.amdhsa_user_sgpr_dispatch_id 0
		.amdhsa_user_sgpr_flat_scratch_init 0
		.amdhsa_user_sgpr_kernarg_preload_length 0
		.amdhsa_user_sgpr_kernarg_preload_offset 0
		.amdhsa_user_sgpr_private_segment_size 0
		.amdhsa_uses_dynamic_stack 0
		.amdhsa_system_sgpr_private_segment_wavefront_offset 0
		.amdhsa_system_sgpr_workgroup_id_x 1
		.amdhsa_system_sgpr_workgroup_id_y 0
		.amdhsa_system_sgpr_workgroup_id_z 0
		.amdhsa_system_sgpr_workgroup_info 0
		.amdhsa_system_vgpr_workitem_id 1
		.amdhsa_next_free_vgpr 14
		.amdhsa_next_free_sgpr 16
		.amdhsa_accum_offset 16
		.amdhsa_reserve_vcc 1
		.amdhsa_reserve_flat_scratch 0
		.amdhsa_float_round_mode_32 0
		.amdhsa_float_round_mode_16_64 0
		.amdhsa_float_denorm_mode_32 3
		.amdhsa_float_denorm_mode_16_64 3
		.amdhsa_dx10_clamp 1
		.amdhsa_ieee_mode 1
		.amdhsa_fp16_overflow 0
		.amdhsa_tg_split 0
		.amdhsa_exception_fp_ieee_invalid_op 0
		.amdhsa_exception_fp_denorm_src 0
		.amdhsa_exception_fp_ieee_div_zero 0
		.amdhsa_exception_fp_ieee_overflow 0
		.amdhsa_exception_fp_ieee_underflow 0
		.amdhsa_exception_fp_ieee_inexact 0
		.amdhsa_exception_int_div_zero 0
	.end_amdhsa_kernel
	.section	.text._ZN12_GLOBAL__N_121softmax_warp_backwardIN3c108BFloat16ES2_fLi3ELb0ELb0ELi32EEEvPT0_PKT_S7_iiiPKb,"axG",@progbits,_ZN12_GLOBAL__N_121softmax_warp_backwardIN3c108BFloat16ES2_fLi3ELb0ELb0ELi32EEEvPT0_PKT_S7_iiiPKb,comdat
.Lfunc_end625:
	.size	_ZN12_GLOBAL__N_121softmax_warp_backwardIN3c108BFloat16ES2_fLi3ELb0ELb0ELi32EEEvPT0_PKT_S7_iiiPKb, .Lfunc_end625-_ZN12_GLOBAL__N_121softmax_warp_backwardIN3c108BFloat16ES2_fLi3ELb0ELb0ELi32EEEvPT0_PKT_S7_iiiPKb
                                        ; -- End function
	.section	.AMDGPU.csdata,"",@progbits
; Kernel info:
; codeLenInByte = 684
; NumSgprs: 20
; NumVgprs: 14
; NumAgprs: 0
; TotalNumVgprs: 14
; ScratchSize: 0
; MemoryBound: 0
; FloatMode: 240
; IeeeMode: 1
; LDSByteSize: 0 bytes/workgroup (compile time only)
; SGPRBlocks: 2
; VGPRBlocks: 1
; NumSGPRsForWavesPerEU: 20
; NumVGPRsForWavesPerEU: 14
; AccumOffset: 16
; Occupancy: 8
; WaveLimiterHint : 0
; COMPUTE_PGM_RSRC2:SCRATCH_EN: 0
; COMPUTE_PGM_RSRC2:USER_SGPR: 6
; COMPUTE_PGM_RSRC2:TRAP_HANDLER: 0
; COMPUTE_PGM_RSRC2:TGID_X_EN: 1
; COMPUTE_PGM_RSRC2:TGID_Y_EN: 0
; COMPUTE_PGM_RSRC2:TGID_Z_EN: 0
; COMPUTE_PGM_RSRC2:TIDIG_COMP_CNT: 1
; COMPUTE_PGM_RSRC3_GFX90A:ACCUM_OFFSET: 3
; COMPUTE_PGM_RSRC3_GFX90A:TG_SPLIT: 0
	.section	.text._ZN12_GLOBAL__N_121softmax_warp_backwardIN3c108BFloat16ES2_fLi4ELb0ELb0ELi64EEEvPT0_PKT_S7_iiiPKb,"axG",@progbits,_ZN12_GLOBAL__N_121softmax_warp_backwardIN3c108BFloat16ES2_fLi4ELb0ELb0ELi64EEEvPT0_PKT_S7_iiiPKb,comdat
	.globl	_ZN12_GLOBAL__N_121softmax_warp_backwardIN3c108BFloat16ES2_fLi4ELb0ELb0ELi64EEEvPT0_PKT_S7_iiiPKb ; -- Begin function _ZN12_GLOBAL__N_121softmax_warp_backwardIN3c108BFloat16ES2_fLi4ELb0ELb0ELi64EEEvPT0_PKT_S7_iiiPKb
	.p2align	8
	.type	_ZN12_GLOBAL__N_121softmax_warp_backwardIN3c108BFloat16ES2_fLi4ELb0ELb0ELi64EEEvPT0_PKT_S7_iiiPKb,@function
_ZN12_GLOBAL__N_121softmax_warp_backwardIN3c108BFloat16ES2_fLi4ELb0ELb0ELi64EEEvPT0_PKT_S7_iiiPKb: ; @_ZN12_GLOBAL__N_121softmax_warp_backwardIN3c108BFloat16ES2_fLi4ELb0ELb0ELi64EEEvPT0_PKT_S7_iiiPKb
; %bb.0:
	s_load_dword s2, s[4:5], 0x3c
	s_load_dwordx4 s[8:11], s[4:5], 0x18
	s_load_dwordx4 s[12:15], s[4:5], 0x0
	s_load_dwordx2 s[0:1], s[4:5], 0x10
	v_bfe_u32 v1, v0, 10, 10
	s_waitcnt lgkmcnt(0)
	s_lshr_b32 s2, s2, 16
	s_mul_i32 s6, s6, s2
	v_add_lshl_u32 v1, s6, v1, 1
	v_and_b32_e32 v0, 15, v0
	v_mad_u64_u32 v[2:3], s[2:3], v1, s9, v[0:1]
	v_ashrrev_i32_e32 v3, 31, v2
	v_lshlrev_b64 v[2:3], 1, v[2:3]
	v_sub_u32_e32 v8, s8, v1
	v_mov_b32_e32 v1, s15
	v_add_co_u32_e32 v4, vcc, s14, v2
	v_addc_co_u32_e32 v5, vcc, v1, v3, vcc
	v_mov_b32_e32 v1, s1
	v_add_co_u32_e32 v6, vcc, s0, v2
	v_addc_co_u32_e32 v7, vcc, v1, v3, vcc
	v_cmp_gt_i32_e32 vcc, s10, v0
	v_cmp_lt_i32_e64 s[0:1], 0, v8
	s_and_b64 s[4:5], vcc, s[0:1]
	v_mov_b32_e32 v9, 0
	v_mov_b32_e32 v10, 0
	;; [unrolled: 1-line block ×3, first 2 shown]
	s_and_saveexec_b64 s[2:3], s[4:5]
	s_cbranch_execz .LBB626_2
; %bb.1:
	global_load_ushort v0, v[6:7], off
	global_load_ushort v1, v[4:5], off
	s_waitcnt vmcnt(1)
	v_lshlrev_b32_e32 v10, 16, v0
	s_waitcnt vmcnt(0)
	v_lshlrev_b32_e32 v0, 16, v1
.LBB626_2:
	s_or_b64 exec, exec, s[2:3]
	v_cmp_lt_i32_e64 s[2:3], 1, v8
	s_and_b64 s[2:3], vcc, s[2:3]
	s_mov_b32 s11, 0
	v_mov_b32_e32 v1, 0
	s_and_saveexec_b64 s[4:5], s[2:3]
	s_cbranch_execz .LBB626_4
; %bb.3:
	s_lshl_b64 s[6:7], s[10:11], 1
	v_mov_b32_e32 v1, s7
	v_add_co_u32_e64 v4, s[2:3], s6, v4
	v_addc_co_u32_e64 v5, s[2:3], v5, v1, s[2:3]
	v_add_co_u32_e64 v6, s[2:3], s6, v6
	v_addc_co_u32_e64 v7, s[2:3], v7, v1, s[2:3]
	global_load_ushort v1, v[6:7], off
	global_load_ushort v11, v[4:5], off
	s_waitcnt vmcnt(1)
	v_lshlrev_b32_e32 v9, 16, v1
	s_waitcnt vmcnt(0)
	v_lshlrev_b32_e32 v1, 16, v11
.LBB626_4:
	s_or_b64 exec, exec, s[4:5]
	v_mbcnt_lo_u32_b32 v4, -1, 0
	v_mbcnt_hi_u32_b32 v11, -1, v4
	v_and_b32_e32 v4, 0x70, v11
	v_add_u32_e32 v12, 16, v4
	v_xor_b32_e32 v4, 8, v11
	v_cmp_lt_i32_e64 s[2:3], v4, v12
	v_cndmask_b32_e64 v4, v11, v4, s[2:3]
	v_lshlrev_b32_e32 v7, 2, v4
	v_pk_add_f32 v[4:5], v[0:1], 0 op_sel_hi:[1,0]
	ds_bpermute_b32 v6, v7, v4
	ds_bpermute_b32 v7, v7, v5
	v_xor_b32_e32 v13, 4, v11
	v_cmp_lt_i32_e64 s[2:3], v13, v12
	v_cndmask_b32_e64 v13, v11, v13, s[2:3]
	v_lshlrev_b32_e32 v13, 2, v13
	s_waitcnt lgkmcnt(0)
	v_pk_add_f32 v[4:5], v[4:5], v[6:7]
	ds_bpermute_b32 v6, v13, v4
	ds_bpermute_b32 v7, v13, v5
	v_xor_b32_e32 v13, 2, v11
	v_cmp_lt_i32_e64 s[2:3], v13, v12
	v_cndmask_b32_e64 v13, v11, v13, s[2:3]
	v_lshlrev_b32_e32 v13, 2, v13
	s_waitcnt lgkmcnt(0)
	v_pk_add_f32 v[4:5], v[4:5], v[6:7]
	;; [unrolled: 8-line block ×3, first 2 shown]
	ds_bpermute_b32 v6, v11, v4
	ds_bpermute_b32 v7, v11, v5
	s_and_saveexec_b64 s[2:3], s[0:1]
	s_cbranch_execz .LBB626_10
; %bb.5:
	v_mov_b32_e32 v11, s13
	v_add_co_u32_e64 v2, s[0:1], s12, v2
	v_addc_co_u32_e64 v3, s[0:1], v11, v3, s[0:1]
	s_waitcnt lgkmcnt(0)
	v_pk_add_f32 v[4:5], v[4:5], v[6:7]
	s_and_saveexec_b64 s[2:3], vcc
	s_cbranch_execz .LBB626_7
; %bb.6:
	v_fma_f32 v0, -v4, v10, v0
	v_bfe_u32 v4, v0, 16, 1
	s_movk_i32 s0, 0x7fff
	v_add3_u32 v4, v0, v4, s0
	v_lshrrev_b32_e32 v4, 16, v4
	v_mov_b32_e32 v6, 0x7fc0
	v_cmp_o_f32_e64 s[0:1], v0, v0
	v_cndmask_b32_e64 v0, v6, v4, s[0:1]
	global_store_short v[2:3], v0, off
.LBB626_7:
	s_or_b64 exec, exec, s[2:3]
	v_cmp_ne_u32_e64 s[0:1], 1, v8
	s_and_b64 exec, exec, s[0:1]
	s_cbranch_execz .LBB626_10
; %bb.8:
	s_and_b64 exec, exec, vcc
	s_cbranch_execz .LBB626_10
; %bb.9:
	v_fma_f32 v0, -v5, v9, v1
	v_bfe_u32 v1, v0, 16, 1
	s_movk_i32 s0, 0x7fff
	v_add3_u32 v1, v0, v1, s0
	v_lshrrev_b32_e32 v1, 16, v1
	v_mov_b32_e32 v4, 0x7fc0
	v_cmp_o_f32_e32 vcc, v0, v0
	s_lshl_b64 s[0:1], s[10:11], 1
	v_cndmask_b32_e32 v4, v4, v1, vcc
	v_mov_b32_e32 v1, s1
	v_add_co_u32_e32 v0, vcc, s0, v2
	v_addc_co_u32_e32 v1, vcc, v3, v1, vcc
	global_store_short v[0:1], v4, off
.LBB626_10:
	s_endpgm
	.section	.rodata,"a",@progbits
	.p2align	6, 0x0
	.amdhsa_kernel _ZN12_GLOBAL__N_121softmax_warp_backwardIN3c108BFloat16ES2_fLi4ELb0ELb0ELi64EEEvPT0_PKT_S7_iiiPKb
		.amdhsa_group_segment_fixed_size 0
		.amdhsa_private_segment_fixed_size 0
		.amdhsa_kernarg_size 304
		.amdhsa_user_sgpr_count 6
		.amdhsa_user_sgpr_private_segment_buffer 1
		.amdhsa_user_sgpr_dispatch_ptr 0
		.amdhsa_user_sgpr_queue_ptr 0
		.amdhsa_user_sgpr_kernarg_segment_ptr 1
		.amdhsa_user_sgpr_dispatch_id 0
		.amdhsa_user_sgpr_flat_scratch_init 0
		.amdhsa_user_sgpr_kernarg_preload_length 0
		.amdhsa_user_sgpr_kernarg_preload_offset 0
		.amdhsa_user_sgpr_private_segment_size 0
		.amdhsa_uses_dynamic_stack 0
		.amdhsa_system_sgpr_private_segment_wavefront_offset 0
		.amdhsa_system_sgpr_workgroup_id_x 1
		.amdhsa_system_sgpr_workgroup_id_y 0
		.amdhsa_system_sgpr_workgroup_id_z 0
		.amdhsa_system_sgpr_workgroup_info 0
		.amdhsa_system_vgpr_workitem_id 1
		.amdhsa_next_free_vgpr 14
		.amdhsa_next_free_sgpr 16
		.amdhsa_accum_offset 16
		.amdhsa_reserve_vcc 1
		.amdhsa_reserve_flat_scratch 0
		.amdhsa_float_round_mode_32 0
		.amdhsa_float_round_mode_16_64 0
		.amdhsa_float_denorm_mode_32 3
		.amdhsa_float_denorm_mode_16_64 3
		.amdhsa_dx10_clamp 1
		.amdhsa_ieee_mode 1
		.amdhsa_fp16_overflow 0
		.amdhsa_tg_split 0
		.amdhsa_exception_fp_ieee_invalid_op 0
		.amdhsa_exception_fp_denorm_src 0
		.amdhsa_exception_fp_ieee_div_zero 0
		.amdhsa_exception_fp_ieee_overflow 0
		.amdhsa_exception_fp_ieee_underflow 0
		.amdhsa_exception_fp_ieee_inexact 0
		.amdhsa_exception_int_div_zero 0
	.end_amdhsa_kernel
	.section	.text._ZN12_GLOBAL__N_121softmax_warp_backwardIN3c108BFloat16ES2_fLi4ELb0ELb0ELi64EEEvPT0_PKT_S7_iiiPKb,"axG",@progbits,_ZN12_GLOBAL__N_121softmax_warp_backwardIN3c108BFloat16ES2_fLi4ELb0ELb0ELi64EEEvPT0_PKT_S7_iiiPKb,comdat
.Lfunc_end626:
	.size	_ZN12_GLOBAL__N_121softmax_warp_backwardIN3c108BFloat16ES2_fLi4ELb0ELb0ELi64EEEvPT0_PKT_S7_iiiPKb, .Lfunc_end626-_ZN12_GLOBAL__N_121softmax_warp_backwardIN3c108BFloat16ES2_fLi4ELb0ELb0ELi64EEEvPT0_PKT_S7_iiiPKb
                                        ; -- End function
	.section	.AMDGPU.csdata,"",@progbits
; Kernel info:
; codeLenInByte = 736
; NumSgprs: 20
; NumVgprs: 14
; NumAgprs: 0
; TotalNumVgprs: 14
; ScratchSize: 0
; MemoryBound: 0
; FloatMode: 240
; IeeeMode: 1
; LDSByteSize: 0 bytes/workgroup (compile time only)
; SGPRBlocks: 2
; VGPRBlocks: 1
; NumSGPRsForWavesPerEU: 20
; NumVGPRsForWavesPerEU: 14
; AccumOffset: 16
; Occupancy: 8
; WaveLimiterHint : 0
; COMPUTE_PGM_RSRC2:SCRATCH_EN: 0
; COMPUTE_PGM_RSRC2:USER_SGPR: 6
; COMPUTE_PGM_RSRC2:TRAP_HANDLER: 0
; COMPUTE_PGM_RSRC2:TGID_X_EN: 1
; COMPUTE_PGM_RSRC2:TGID_Y_EN: 0
; COMPUTE_PGM_RSRC2:TGID_Z_EN: 0
; COMPUTE_PGM_RSRC2:TIDIG_COMP_CNT: 1
; COMPUTE_PGM_RSRC3_GFX90A:ACCUM_OFFSET: 3
; COMPUTE_PGM_RSRC3_GFX90A:TG_SPLIT: 0
	.section	.text._ZN12_GLOBAL__N_121softmax_warp_backwardIN3c108BFloat16ES2_fLi4ELb0ELb0ELi32EEEvPT0_PKT_S7_iiiPKb,"axG",@progbits,_ZN12_GLOBAL__N_121softmax_warp_backwardIN3c108BFloat16ES2_fLi4ELb0ELb0ELi32EEEvPT0_PKT_S7_iiiPKb,comdat
	.globl	_ZN12_GLOBAL__N_121softmax_warp_backwardIN3c108BFloat16ES2_fLi4ELb0ELb0ELi32EEEvPT0_PKT_S7_iiiPKb ; -- Begin function _ZN12_GLOBAL__N_121softmax_warp_backwardIN3c108BFloat16ES2_fLi4ELb0ELb0ELi32EEEvPT0_PKT_S7_iiiPKb
	.p2align	8
	.type	_ZN12_GLOBAL__N_121softmax_warp_backwardIN3c108BFloat16ES2_fLi4ELb0ELb0ELi32EEEvPT0_PKT_S7_iiiPKb,@function
_ZN12_GLOBAL__N_121softmax_warp_backwardIN3c108BFloat16ES2_fLi4ELb0ELb0ELi32EEEvPT0_PKT_S7_iiiPKb: ; @_ZN12_GLOBAL__N_121softmax_warp_backwardIN3c108BFloat16ES2_fLi4ELb0ELb0ELi32EEEvPT0_PKT_S7_iiiPKb
; %bb.0:
	s_load_dword s2, s[4:5], 0x3c
	s_load_dwordx4 s[8:11], s[4:5], 0x18
	s_load_dwordx4 s[12:15], s[4:5], 0x0
	s_load_dwordx2 s[0:1], s[4:5], 0x10
	v_bfe_u32 v1, v0, 10, 10
	s_waitcnt lgkmcnt(0)
	s_lshr_b32 s2, s2, 16
	s_mul_i32 s6, s6, s2
	v_add_lshl_u32 v1, s6, v1, 1
	v_and_b32_e32 v0, 15, v0
	v_mad_u64_u32 v[2:3], s[2:3], v1, s9, v[0:1]
	v_ashrrev_i32_e32 v3, 31, v2
	v_lshlrev_b64 v[2:3], 1, v[2:3]
	v_sub_u32_e32 v8, s8, v1
	v_mov_b32_e32 v1, s15
	v_add_co_u32_e32 v4, vcc, s14, v2
	v_addc_co_u32_e32 v5, vcc, v1, v3, vcc
	v_mov_b32_e32 v1, s1
	v_add_co_u32_e32 v6, vcc, s0, v2
	v_addc_co_u32_e32 v7, vcc, v1, v3, vcc
	v_cmp_gt_i32_e32 vcc, s10, v0
	v_cmp_lt_i32_e64 s[0:1], 0, v8
	s_and_b64 s[4:5], vcc, s[0:1]
	v_mov_b32_e32 v9, 0
	v_mov_b32_e32 v10, 0
	;; [unrolled: 1-line block ×3, first 2 shown]
	s_and_saveexec_b64 s[2:3], s[4:5]
	s_cbranch_execz .LBB627_2
; %bb.1:
	global_load_ushort v0, v[6:7], off
	global_load_ushort v1, v[4:5], off
	s_waitcnt vmcnt(1)
	v_lshlrev_b32_e32 v10, 16, v0
	s_waitcnt vmcnt(0)
	v_lshlrev_b32_e32 v0, 16, v1
.LBB627_2:
	s_or_b64 exec, exec, s[2:3]
	v_cmp_lt_i32_e64 s[2:3], 1, v8
	s_and_b64 s[2:3], vcc, s[2:3]
	s_mov_b32 s11, 0
	v_mov_b32_e32 v1, 0
	s_and_saveexec_b64 s[4:5], s[2:3]
	s_cbranch_execz .LBB627_4
; %bb.3:
	s_lshl_b64 s[6:7], s[10:11], 1
	v_mov_b32_e32 v1, s7
	v_add_co_u32_e64 v4, s[2:3], s6, v4
	v_addc_co_u32_e64 v5, s[2:3], v5, v1, s[2:3]
	v_add_co_u32_e64 v6, s[2:3], s6, v6
	v_addc_co_u32_e64 v7, s[2:3], v7, v1, s[2:3]
	global_load_ushort v1, v[6:7], off
	global_load_ushort v11, v[4:5], off
	s_waitcnt vmcnt(1)
	v_lshlrev_b32_e32 v9, 16, v1
	s_waitcnt vmcnt(0)
	v_lshlrev_b32_e32 v1, 16, v11
.LBB627_4:
	s_or_b64 exec, exec, s[4:5]
	v_mbcnt_lo_u32_b32 v4, -1, 0
	v_mbcnt_hi_u32_b32 v11, -1, v4
	v_and_b32_e32 v4, 0x70, v11
	v_add_u32_e32 v12, 16, v4
	v_xor_b32_e32 v4, 8, v11
	v_cmp_lt_i32_e64 s[2:3], v4, v12
	v_cndmask_b32_e64 v4, v11, v4, s[2:3]
	v_lshlrev_b32_e32 v7, 2, v4
	v_pk_add_f32 v[4:5], v[0:1], 0 op_sel_hi:[1,0]
	ds_bpermute_b32 v6, v7, v4
	ds_bpermute_b32 v7, v7, v5
	v_xor_b32_e32 v13, 4, v11
	v_cmp_lt_i32_e64 s[2:3], v13, v12
	v_cndmask_b32_e64 v13, v11, v13, s[2:3]
	v_lshlrev_b32_e32 v13, 2, v13
	s_waitcnt lgkmcnt(0)
	v_pk_add_f32 v[4:5], v[4:5], v[6:7]
	ds_bpermute_b32 v6, v13, v4
	ds_bpermute_b32 v7, v13, v5
	v_xor_b32_e32 v13, 2, v11
	v_cmp_lt_i32_e64 s[2:3], v13, v12
	v_cndmask_b32_e64 v13, v11, v13, s[2:3]
	v_lshlrev_b32_e32 v13, 2, v13
	s_waitcnt lgkmcnt(0)
	v_pk_add_f32 v[4:5], v[4:5], v[6:7]
	;; [unrolled: 8-line block ×3, first 2 shown]
	ds_bpermute_b32 v6, v11, v4
	ds_bpermute_b32 v7, v11, v5
	s_and_saveexec_b64 s[2:3], s[0:1]
	s_cbranch_execz .LBB627_10
; %bb.5:
	v_mov_b32_e32 v11, s13
	v_add_co_u32_e64 v2, s[0:1], s12, v2
	v_addc_co_u32_e64 v3, s[0:1], v11, v3, s[0:1]
	s_waitcnt lgkmcnt(0)
	v_pk_add_f32 v[4:5], v[4:5], v[6:7]
	s_and_saveexec_b64 s[2:3], vcc
	s_cbranch_execz .LBB627_7
; %bb.6:
	v_fma_f32 v0, -v4, v10, v0
	v_bfe_u32 v4, v0, 16, 1
	s_movk_i32 s0, 0x7fff
	v_add3_u32 v4, v0, v4, s0
	v_lshrrev_b32_e32 v4, 16, v4
	v_mov_b32_e32 v6, 0x7fc0
	v_cmp_o_f32_e64 s[0:1], v0, v0
	v_cndmask_b32_e64 v0, v6, v4, s[0:1]
	global_store_short v[2:3], v0, off
.LBB627_7:
	s_or_b64 exec, exec, s[2:3]
	v_cmp_ne_u32_e64 s[0:1], 1, v8
	s_and_b64 exec, exec, s[0:1]
	s_cbranch_execz .LBB627_10
; %bb.8:
	s_and_b64 exec, exec, vcc
	s_cbranch_execz .LBB627_10
; %bb.9:
	v_fma_f32 v0, -v5, v9, v1
	v_bfe_u32 v1, v0, 16, 1
	s_movk_i32 s0, 0x7fff
	v_add3_u32 v1, v0, v1, s0
	v_lshrrev_b32_e32 v1, 16, v1
	v_mov_b32_e32 v4, 0x7fc0
	v_cmp_o_f32_e32 vcc, v0, v0
	s_lshl_b64 s[0:1], s[10:11], 1
	v_cndmask_b32_e32 v4, v4, v1, vcc
	v_mov_b32_e32 v1, s1
	v_add_co_u32_e32 v0, vcc, s0, v2
	v_addc_co_u32_e32 v1, vcc, v3, v1, vcc
	global_store_short v[0:1], v4, off
.LBB627_10:
	s_endpgm
	.section	.rodata,"a",@progbits
	.p2align	6, 0x0
	.amdhsa_kernel _ZN12_GLOBAL__N_121softmax_warp_backwardIN3c108BFloat16ES2_fLi4ELb0ELb0ELi32EEEvPT0_PKT_S7_iiiPKb
		.amdhsa_group_segment_fixed_size 0
		.amdhsa_private_segment_fixed_size 0
		.amdhsa_kernarg_size 304
		.amdhsa_user_sgpr_count 6
		.amdhsa_user_sgpr_private_segment_buffer 1
		.amdhsa_user_sgpr_dispatch_ptr 0
		.amdhsa_user_sgpr_queue_ptr 0
		.amdhsa_user_sgpr_kernarg_segment_ptr 1
		.amdhsa_user_sgpr_dispatch_id 0
		.amdhsa_user_sgpr_flat_scratch_init 0
		.amdhsa_user_sgpr_kernarg_preload_length 0
		.amdhsa_user_sgpr_kernarg_preload_offset 0
		.amdhsa_user_sgpr_private_segment_size 0
		.amdhsa_uses_dynamic_stack 0
		.amdhsa_system_sgpr_private_segment_wavefront_offset 0
		.amdhsa_system_sgpr_workgroup_id_x 1
		.amdhsa_system_sgpr_workgroup_id_y 0
		.amdhsa_system_sgpr_workgroup_id_z 0
		.amdhsa_system_sgpr_workgroup_info 0
		.amdhsa_system_vgpr_workitem_id 1
		.amdhsa_next_free_vgpr 14
		.amdhsa_next_free_sgpr 16
		.amdhsa_accum_offset 16
		.amdhsa_reserve_vcc 1
		.amdhsa_reserve_flat_scratch 0
		.amdhsa_float_round_mode_32 0
		.amdhsa_float_round_mode_16_64 0
		.amdhsa_float_denorm_mode_32 3
		.amdhsa_float_denorm_mode_16_64 3
		.amdhsa_dx10_clamp 1
		.amdhsa_ieee_mode 1
		.amdhsa_fp16_overflow 0
		.amdhsa_tg_split 0
		.amdhsa_exception_fp_ieee_invalid_op 0
		.amdhsa_exception_fp_denorm_src 0
		.amdhsa_exception_fp_ieee_div_zero 0
		.amdhsa_exception_fp_ieee_overflow 0
		.amdhsa_exception_fp_ieee_underflow 0
		.amdhsa_exception_fp_ieee_inexact 0
		.amdhsa_exception_int_div_zero 0
	.end_amdhsa_kernel
	.section	.text._ZN12_GLOBAL__N_121softmax_warp_backwardIN3c108BFloat16ES2_fLi4ELb0ELb0ELi32EEEvPT0_PKT_S7_iiiPKb,"axG",@progbits,_ZN12_GLOBAL__N_121softmax_warp_backwardIN3c108BFloat16ES2_fLi4ELb0ELb0ELi32EEEvPT0_PKT_S7_iiiPKb,comdat
.Lfunc_end627:
	.size	_ZN12_GLOBAL__N_121softmax_warp_backwardIN3c108BFloat16ES2_fLi4ELb0ELb0ELi32EEEvPT0_PKT_S7_iiiPKb, .Lfunc_end627-_ZN12_GLOBAL__N_121softmax_warp_backwardIN3c108BFloat16ES2_fLi4ELb0ELb0ELi32EEEvPT0_PKT_S7_iiiPKb
                                        ; -- End function
	.section	.AMDGPU.csdata,"",@progbits
; Kernel info:
; codeLenInByte = 736
; NumSgprs: 20
; NumVgprs: 14
; NumAgprs: 0
; TotalNumVgprs: 14
; ScratchSize: 0
; MemoryBound: 0
; FloatMode: 240
; IeeeMode: 1
; LDSByteSize: 0 bytes/workgroup (compile time only)
; SGPRBlocks: 2
; VGPRBlocks: 1
; NumSGPRsForWavesPerEU: 20
; NumVGPRsForWavesPerEU: 14
; AccumOffset: 16
; Occupancy: 8
; WaveLimiterHint : 0
; COMPUTE_PGM_RSRC2:SCRATCH_EN: 0
; COMPUTE_PGM_RSRC2:USER_SGPR: 6
; COMPUTE_PGM_RSRC2:TRAP_HANDLER: 0
; COMPUTE_PGM_RSRC2:TGID_X_EN: 1
; COMPUTE_PGM_RSRC2:TGID_Y_EN: 0
; COMPUTE_PGM_RSRC2:TGID_Z_EN: 0
; COMPUTE_PGM_RSRC2:TIDIG_COMP_CNT: 1
; COMPUTE_PGM_RSRC3_GFX90A:ACCUM_OFFSET: 3
; COMPUTE_PGM_RSRC3_GFX90A:TG_SPLIT: 0
	.section	.text._ZN12_GLOBAL__N_121softmax_warp_backwardIN3c108BFloat16ES2_fLi5ELb0ELb0ELi64EEEvPT0_PKT_S7_iiiPKb,"axG",@progbits,_ZN12_GLOBAL__N_121softmax_warp_backwardIN3c108BFloat16ES2_fLi5ELb0ELb0ELi64EEEvPT0_PKT_S7_iiiPKb,comdat
	.globl	_ZN12_GLOBAL__N_121softmax_warp_backwardIN3c108BFloat16ES2_fLi5ELb0ELb0ELi64EEEvPT0_PKT_S7_iiiPKb ; -- Begin function _ZN12_GLOBAL__N_121softmax_warp_backwardIN3c108BFloat16ES2_fLi5ELb0ELb0ELi64EEEvPT0_PKT_S7_iiiPKb
	.p2align	8
	.type	_ZN12_GLOBAL__N_121softmax_warp_backwardIN3c108BFloat16ES2_fLi5ELb0ELb0ELi64EEEvPT0_PKT_S7_iiiPKb,@function
_ZN12_GLOBAL__N_121softmax_warp_backwardIN3c108BFloat16ES2_fLi5ELb0ELb0ELi64EEEvPT0_PKT_S7_iiiPKb: ; @_ZN12_GLOBAL__N_121softmax_warp_backwardIN3c108BFloat16ES2_fLi5ELb0ELb0ELi64EEEvPT0_PKT_S7_iiiPKb
; %bb.0:
	s_load_dword s2, s[4:5], 0x3c
	s_load_dwordx4 s[8:11], s[4:5], 0x18
	s_load_dwordx4 s[12:15], s[4:5], 0x0
	s_load_dwordx2 s[0:1], s[4:5], 0x10
	v_bfe_u32 v1, v0, 10, 10
	s_waitcnt lgkmcnt(0)
	s_lshr_b32 s2, s2, 16
	s_mul_i32 s6, s6, s2
	v_add_lshl_u32 v1, s6, v1, 1
	v_and_b32_e32 v0, 31, v0
	v_mad_u64_u32 v[2:3], s[2:3], v1, s9, v[0:1]
	v_ashrrev_i32_e32 v3, 31, v2
	v_lshlrev_b64 v[2:3], 1, v[2:3]
	v_sub_u32_e32 v8, s8, v1
	v_mov_b32_e32 v1, s15
	v_add_co_u32_e32 v4, vcc, s14, v2
	v_addc_co_u32_e32 v5, vcc, v1, v3, vcc
	v_mov_b32_e32 v1, s1
	v_add_co_u32_e32 v6, vcc, s0, v2
	v_addc_co_u32_e32 v7, vcc, v1, v3, vcc
	v_cmp_gt_i32_e32 vcc, s10, v0
	v_cmp_lt_i32_e64 s[0:1], 0, v8
	s_and_b64 s[4:5], vcc, s[0:1]
	v_mov_b32_e32 v9, 0
	v_mov_b32_e32 v10, 0
	;; [unrolled: 1-line block ×3, first 2 shown]
	s_and_saveexec_b64 s[2:3], s[4:5]
	s_cbranch_execz .LBB628_2
; %bb.1:
	global_load_ushort v0, v[6:7], off
	global_load_ushort v1, v[4:5], off
	s_waitcnt vmcnt(1)
	v_lshlrev_b32_e32 v10, 16, v0
	s_waitcnt vmcnt(0)
	v_lshlrev_b32_e32 v0, 16, v1
.LBB628_2:
	s_or_b64 exec, exec, s[2:3]
	v_cmp_lt_i32_e64 s[2:3], 1, v8
	s_and_b64 s[2:3], vcc, s[2:3]
	s_mov_b32 s11, 0
	v_mov_b32_e32 v1, 0
	s_and_saveexec_b64 s[4:5], s[2:3]
	s_cbranch_execz .LBB628_4
; %bb.3:
	s_lshl_b64 s[6:7], s[10:11], 1
	v_mov_b32_e32 v1, s7
	v_add_co_u32_e64 v4, s[2:3], s6, v4
	v_addc_co_u32_e64 v5, s[2:3], v5, v1, s[2:3]
	v_add_co_u32_e64 v6, s[2:3], s6, v6
	v_addc_co_u32_e64 v7, s[2:3], v7, v1, s[2:3]
	global_load_ushort v1, v[6:7], off
	global_load_ushort v11, v[4:5], off
	s_waitcnt vmcnt(1)
	v_lshlrev_b32_e32 v9, 16, v1
	s_waitcnt vmcnt(0)
	v_lshlrev_b32_e32 v1, 16, v11
.LBB628_4:
	s_or_b64 exec, exec, s[4:5]
	v_mbcnt_lo_u32_b32 v4, -1, 0
	v_mbcnt_hi_u32_b32 v11, -1, v4
	v_and_b32_e32 v4, 0x60, v11
	v_add_u32_e32 v12, 32, v4
	v_xor_b32_e32 v4, 16, v11
	v_cmp_lt_i32_e64 s[2:3], v4, v12
	v_cndmask_b32_e64 v4, v11, v4, s[2:3]
	v_lshlrev_b32_e32 v7, 2, v4
	v_pk_add_f32 v[4:5], v[0:1], 0 op_sel_hi:[1,0]
	ds_bpermute_b32 v6, v7, v4
	ds_bpermute_b32 v7, v7, v5
	v_xor_b32_e32 v13, 8, v11
	v_cmp_lt_i32_e64 s[2:3], v13, v12
	v_cndmask_b32_e64 v13, v11, v13, s[2:3]
	v_lshlrev_b32_e32 v13, 2, v13
	s_waitcnt lgkmcnt(0)
	v_pk_add_f32 v[4:5], v[4:5], v[6:7]
	ds_bpermute_b32 v6, v13, v4
	ds_bpermute_b32 v7, v13, v5
	v_xor_b32_e32 v13, 4, v11
	v_cmp_lt_i32_e64 s[2:3], v13, v12
	v_cndmask_b32_e64 v13, v11, v13, s[2:3]
	v_lshlrev_b32_e32 v13, 2, v13
	s_waitcnt lgkmcnt(0)
	v_pk_add_f32 v[4:5], v[4:5], v[6:7]
	;; [unrolled: 8-line block ×4, first 2 shown]
	ds_bpermute_b32 v6, v11, v4
	ds_bpermute_b32 v7, v11, v5
	s_and_saveexec_b64 s[2:3], s[0:1]
	s_cbranch_execz .LBB628_10
; %bb.5:
	v_mov_b32_e32 v11, s13
	v_add_co_u32_e64 v2, s[0:1], s12, v2
	v_addc_co_u32_e64 v3, s[0:1], v11, v3, s[0:1]
	s_waitcnt lgkmcnt(0)
	v_pk_add_f32 v[4:5], v[4:5], v[6:7]
	s_and_saveexec_b64 s[2:3], vcc
	s_cbranch_execz .LBB628_7
; %bb.6:
	v_fma_f32 v0, -v4, v10, v0
	v_bfe_u32 v4, v0, 16, 1
	s_movk_i32 s0, 0x7fff
	v_add3_u32 v4, v0, v4, s0
	v_lshrrev_b32_e32 v4, 16, v4
	v_mov_b32_e32 v6, 0x7fc0
	v_cmp_o_f32_e64 s[0:1], v0, v0
	v_cndmask_b32_e64 v0, v6, v4, s[0:1]
	global_store_short v[2:3], v0, off
.LBB628_7:
	s_or_b64 exec, exec, s[2:3]
	v_cmp_ne_u32_e64 s[0:1], 1, v8
	s_and_b64 exec, exec, s[0:1]
	s_cbranch_execz .LBB628_10
; %bb.8:
	s_and_b64 exec, exec, vcc
	s_cbranch_execz .LBB628_10
; %bb.9:
	v_fma_f32 v0, -v5, v9, v1
	v_bfe_u32 v1, v0, 16, 1
	s_movk_i32 s0, 0x7fff
	v_add3_u32 v1, v0, v1, s0
	v_lshrrev_b32_e32 v1, 16, v1
	v_mov_b32_e32 v4, 0x7fc0
	v_cmp_o_f32_e32 vcc, v0, v0
	s_lshl_b64 s[0:1], s[10:11], 1
	v_cndmask_b32_e32 v4, v4, v1, vcc
	v_mov_b32_e32 v1, s1
	v_add_co_u32_e32 v0, vcc, s0, v2
	v_addc_co_u32_e32 v1, vcc, v3, v1, vcc
	global_store_short v[0:1], v4, off
.LBB628_10:
	s_endpgm
	.section	.rodata,"a",@progbits
	.p2align	6, 0x0
	.amdhsa_kernel _ZN12_GLOBAL__N_121softmax_warp_backwardIN3c108BFloat16ES2_fLi5ELb0ELb0ELi64EEEvPT0_PKT_S7_iiiPKb
		.amdhsa_group_segment_fixed_size 0
		.amdhsa_private_segment_fixed_size 0
		.amdhsa_kernarg_size 304
		.amdhsa_user_sgpr_count 6
		.amdhsa_user_sgpr_private_segment_buffer 1
		.amdhsa_user_sgpr_dispatch_ptr 0
		.amdhsa_user_sgpr_queue_ptr 0
		.amdhsa_user_sgpr_kernarg_segment_ptr 1
		.amdhsa_user_sgpr_dispatch_id 0
		.amdhsa_user_sgpr_flat_scratch_init 0
		.amdhsa_user_sgpr_kernarg_preload_length 0
		.amdhsa_user_sgpr_kernarg_preload_offset 0
		.amdhsa_user_sgpr_private_segment_size 0
		.amdhsa_uses_dynamic_stack 0
		.amdhsa_system_sgpr_private_segment_wavefront_offset 0
		.amdhsa_system_sgpr_workgroup_id_x 1
		.amdhsa_system_sgpr_workgroup_id_y 0
		.amdhsa_system_sgpr_workgroup_id_z 0
		.amdhsa_system_sgpr_workgroup_info 0
		.amdhsa_system_vgpr_workitem_id 1
		.amdhsa_next_free_vgpr 14
		.amdhsa_next_free_sgpr 16
		.amdhsa_accum_offset 16
		.amdhsa_reserve_vcc 1
		.amdhsa_reserve_flat_scratch 0
		.amdhsa_float_round_mode_32 0
		.amdhsa_float_round_mode_16_64 0
		.amdhsa_float_denorm_mode_32 3
		.amdhsa_float_denorm_mode_16_64 3
		.amdhsa_dx10_clamp 1
		.amdhsa_ieee_mode 1
		.amdhsa_fp16_overflow 0
		.amdhsa_tg_split 0
		.amdhsa_exception_fp_ieee_invalid_op 0
		.amdhsa_exception_fp_denorm_src 0
		.amdhsa_exception_fp_ieee_div_zero 0
		.amdhsa_exception_fp_ieee_overflow 0
		.amdhsa_exception_fp_ieee_underflow 0
		.amdhsa_exception_fp_ieee_inexact 0
		.amdhsa_exception_int_div_zero 0
	.end_amdhsa_kernel
	.section	.text._ZN12_GLOBAL__N_121softmax_warp_backwardIN3c108BFloat16ES2_fLi5ELb0ELb0ELi64EEEvPT0_PKT_S7_iiiPKb,"axG",@progbits,_ZN12_GLOBAL__N_121softmax_warp_backwardIN3c108BFloat16ES2_fLi5ELb0ELb0ELi64EEEvPT0_PKT_S7_iiiPKb,comdat
.Lfunc_end628:
	.size	_ZN12_GLOBAL__N_121softmax_warp_backwardIN3c108BFloat16ES2_fLi5ELb0ELb0ELi64EEEvPT0_PKT_S7_iiiPKb, .Lfunc_end628-_ZN12_GLOBAL__N_121softmax_warp_backwardIN3c108BFloat16ES2_fLi5ELb0ELb0ELi64EEEvPT0_PKT_S7_iiiPKb
                                        ; -- End function
	.section	.AMDGPU.csdata,"",@progbits
; Kernel info:
; codeLenInByte = 788
; NumSgprs: 20
; NumVgprs: 14
; NumAgprs: 0
; TotalNumVgprs: 14
; ScratchSize: 0
; MemoryBound: 0
; FloatMode: 240
; IeeeMode: 1
; LDSByteSize: 0 bytes/workgroup (compile time only)
; SGPRBlocks: 2
; VGPRBlocks: 1
; NumSGPRsForWavesPerEU: 20
; NumVGPRsForWavesPerEU: 14
; AccumOffset: 16
; Occupancy: 8
; WaveLimiterHint : 0
; COMPUTE_PGM_RSRC2:SCRATCH_EN: 0
; COMPUTE_PGM_RSRC2:USER_SGPR: 6
; COMPUTE_PGM_RSRC2:TRAP_HANDLER: 0
; COMPUTE_PGM_RSRC2:TGID_X_EN: 1
; COMPUTE_PGM_RSRC2:TGID_Y_EN: 0
; COMPUTE_PGM_RSRC2:TGID_Z_EN: 0
; COMPUTE_PGM_RSRC2:TIDIG_COMP_CNT: 1
; COMPUTE_PGM_RSRC3_GFX90A:ACCUM_OFFSET: 3
; COMPUTE_PGM_RSRC3_GFX90A:TG_SPLIT: 0
	.section	.text._ZN12_GLOBAL__N_121softmax_warp_backwardIN3c108BFloat16ES2_fLi5ELb0ELb0ELi32EEEvPT0_PKT_S7_iiiPKb,"axG",@progbits,_ZN12_GLOBAL__N_121softmax_warp_backwardIN3c108BFloat16ES2_fLi5ELb0ELb0ELi32EEEvPT0_PKT_S7_iiiPKb,comdat
	.globl	_ZN12_GLOBAL__N_121softmax_warp_backwardIN3c108BFloat16ES2_fLi5ELb0ELb0ELi32EEEvPT0_PKT_S7_iiiPKb ; -- Begin function _ZN12_GLOBAL__N_121softmax_warp_backwardIN3c108BFloat16ES2_fLi5ELb0ELb0ELi32EEEvPT0_PKT_S7_iiiPKb
	.p2align	8
	.type	_ZN12_GLOBAL__N_121softmax_warp_backwardIN3c108BFloat16ES2_fLi5ELb0ELb0ELi32EEEvPT0_PKT_S7_iiiPKb,@function
_ZN12_GLOBAL__N_121softmax_warp_backwardIN3c108BFloat16ES2_fLi5ELb0ELb0ELi32EEEvPT0_PKT_S7_iiiPKb: ; @_ZN12_GLOBAL__N_121softmax_warp_backwardIN3c108BFloat16ES2_fLi5ELb0ELb0ELi32EEEvPT0_PKT_S7_iiiPKb
; %bb.0:
	s_load_dword s2, s[4:5], 0x3c
	s_load_dwordx4 s[8:11], s[4:5], 0x18
	s_load_dwordx4 s[12:15], s[4:5], 0x0
	s_load_dwordx2 s[0:1], s[4:5], 0x10
	v_bfe_u32 v1, v0, 10, 10
	s_waitcnt lgkmcnt(0)
	s_lshr_b32 s2, s2, 16
	s_mul_i32 s6, s6, s2
	v_add_lshl_u32 v1, s6, v1, 1
	v_and_b32_e32 v0, 31, v0
	v_mad_u64_u32 v[2:3], s[2:3], v1, s9, v[0:1]
	v_ashrrev_i32_e32 v3, 31, v2
	v_lshlrev_b64 v[2:3], 1, v[2:3]
	v_sub_u32_e32 v8, s8, v1
	v_mov_b32_e32 v1, s15
	v_add_co_u32_e32 v4, vcc, s14, v2
	v_addc_co_u32_e32 v5, vcc, v1, v3, vcc
	v_mov_b32_e32 v1, s1
	v_add_co_u32_e32 v6, vcc, s0, v2
	v_addc_co_u32_e32 v7, vcc, v1, v3, vcc
	v_cmp_gt_i32_e32 vcc, s10, v0
	v_cmp_lt_i32_e64 s[0:1], 0, v8
	s_and_b64 s[4:5], vcc, s[0:1]
	v_mov_b32_e32 v9, 0
	v_mov_b32_e32 v10, 0
	;; [unrolled: 1-line block ×3, first 2 shown]
	s_and_saveexec_b64 s[2:3], s[4:5]
	s_cbranch_execz .LBB629_2
; %bb.1:
	global_load_ushort v0, v[6:7], off
	global_load_ushort v1, v[4:5], off
	s_waitcnt vmcnt(1)
	v_lshlrev_b32_e32 v10, 16, v0
	s_waitcnt vmcnt(0)
	v_lshlrev_b32_e32 v0, 16, v1
.LBB629_2:
	s_or_b64 exec, exec, s[2:3]
	v_cmp_lt_i32_e64 s[2:3], 1, v8
	s_and_b64 s[2:3], vcc, s[2:3]
	s_mov_b32 s11, 0
	v_mov_b32_e32 v1, 0
	s_and_saveexec_b64 s[4:5], s[2:3]
	s_cbranch_execz .LBB629_4
; %bb.3:
	s_lshl_b64 s[6:7], s[10:11], 1
	v_mov_b32_e32 v1, s7
	v_add_co_u32_e64 v4, s[2:3], s6, v4
	v_addc_co_u32_e64 v5, s[2:3], v5, v1, s[2:3]
	v_add_co_u32_e64 v6, s[2:3], s6, v6
	v_addc_co_u32_e64 v7, s[2:3], v7, v1, s[2:3]
	global_load_ushort v1, v[6:7], off
	global_load_ushort v11, v[4:5], off
	s_waitcnt vmcnt(1)
	v_lshlrev_b32_e32 v9, 16, v1
	s_waitcnt vmcnt(0)
	v_lshlrev_b32_e32 v1, 16, v11
.LBB629_4:
	s_or_b64 exec, exec, s[4:5]
	v_mbcnt_lo_u32_b32 v4, -1, 0
	v_mbcnt_hi_u32_b32 v11, -1, v4
	v_and_b32_e32 v4, 0x60, v11
	v_add_u32_e32 v12, 32, v4
	v_xor_b32_e32 v4, 16, v11
	v_cmp_lt_i32_e64 s[2:3], v4, v12
	v_cndmask_b32_e64 v4, v11, v4, s[2:3]
	v_lshlrev_b32_e32 v7, 2, v4
	v_pk_add_f32 v[4:5], v[0:1], 0 op_sel_hi:[1,0]
	ds_bpermute_b32 v6, v7, v4
	ds_bpermute_b32 v7, v7, v5
	v_xor_b32_e32 v13, 8, v11
	v_cmp_lt_i32_e64 s[2:3], v13, v12
	v_cndmask_b32_e64 v13, v11, v13, s[2:3]
	v_lshlrev_b32_e32 v13, 2, v13
	s_waitcnt lgkmcnt(0)
	v_pk_add_f32 v[4:5], v[4:5], v[6:7]
	ds_bpermute_b32 v6, v13, v4
	ds_bpermute_b32 v7, v13, v5
	v_xor_b32_e32 v13, 4, v11
	v_cmp_lt_i32_e64 s[2:3], v13, v12
	v_cndmask_b32_e64 v13, v11, v13, s[2:3]
	v_lshlrev_b32_e32 v13, 2, v13
	s_waitcnt lgkmcnt(0)
	v_pk_add_f32 v[4:5], v[4:5], v[6:7]
	;; [unrolled: 8-line block ×4, first 2 shown]
	ds_bpermute_b32 v6, v11, v4
	ds_bpermute_b32 v7, v11, v5
	s_and_saveexec_b64 s[2:3], s[0:1]
	s_cbranch_execz .LBB629_10
; %bb.5:
	v_mov_b32_e32 v11, s13
	v_add_co_u32_e64 v2, s[0:1], s12, v2
	v_addc_co_u32_e64 v3, s[0:1], v11, v3, s[0:1]
	s_waitcnt lgkmcnt(0)
	v_pk_add_f32 v[4:5], v[4:5], v[6:7]
	s_and_saveexec_b64 s[2:3], vcc
	s_cbranch_execz .LBB629_7
; %bb.6:
	v_fma_f32 v0, -v4, v10, v0
	v_bfe_u32 v4, v0, 16, 1
	s_movk_i32 s0, 0x7fff
	v_add3_u32 v4, v0, v4, s0
	v_lshrrev_b32_e32 v4, 16, v4
	v_mov_b32_e32 v6, 0x7fc0
	v_cmp_o_f32_e64 s[0:1], v0, v0
	v_cndmask_b32_e64 v0, v6, v4, s[0:1]
	global_store_short v[2:3], v0, off
.LBB629_7:
	s_or_b64 exec, exec, s[2:3]
	v_cmp_ne_u32_e64 s[0:1], 1, v8
	s_and_b64 exec, exec, s[0:1]
	s_cbranch_execz .LBB629_10
; %bb.8:
	s_and_b64 exec, exec, vcc
	s_cbranch_execz .LBB629_10
; %bb.9:
	v_fma_f32 v0, -v5, v9, v1
	v_bfe_u32 v1, v0, 16, 1
	s_movk_i32 s0, 0x7fff
	v_add3_u32 v1, v0, v1, s0
	v_lshrrev_b32_e32 v1, 16, v1
	v_mov_b32_e32 v4, 0x7fc0
	v_cmp_o_f32_e32 vcc, v0, v0
	s_lshl_b64 s[0:1], s[10:11], 1
	v_cndmask_b32_e32 v4, v4, v1, vcc
	v_mov_b32_e32 v1, s1
	v_add_co_u32_e32 v0, vcc, s0, v2
	v_addc_co_u32_e32 v1, vcc, v3, v1, vcc
	global_store_short v[0:1], v4, off
.LBB629_10:
	s_endpgm
	.section	.rodata,"a",@progbits
	.p2align	6, 0x0
	.amdhsa_kernel _ZN12_GLOBAL__N_121softmax_warp_backwardIN3c108BFloat16ES2_fLi5ELb0ELb0ELi32EEEvPT0_PKT_S7_iiiPKb
		.amdhsa_group_segment_fixed_size 0
		.amdhsa_private_segment_fixed_size 0
		.amdhsa_kernarg_size 304
		.amdhsa_user_sgpr_count 6
		.amdhsa_user_sgpr_private_segment_buffer 1
		.amdhsa_user_sgpr_dispatch_ptr 0
		.amdhsa_user_sgpr_queue_ptr 0
		.amdhsa_user_sgpr_kernarg_segment_ptr 1
		.amdhsa_user_sgpr_dispatch_id 0
		.amdhsa_user_sgpr_flat_scratch_init 0
		.amdhsa_user_sgpr_kernarg_preload_length 0
		.amdhsa_user_sgpr_kernarg_preload_offset 0
		.amdhsa_user_sgpr_private_segment_size 0
		.amdhsa_uses_dynamic_stack 0
		.amdhsa_system_sgpr_private_segment_wavefront_offset 0
		.amdhsa_system_sgpr_workgroup_id_x 1
		.amdhsa_system_sgpr_workgroup_id_y 0
		.amdhsa_system_sgpr_workgroup_id_z 0
		.amdhsa_system_sgpr_workgroup_info 0
		.amdhsa_system_vgpr_workitem_id 1
		.amdhsa_next_free_vgpr 14
		.amdhsa_next_free_sgpr 16
		.amdhsa_accum_offset 16
		.amdhsa_reserve_vcc 1
		.amdhsa_reserve_flat_scratch 0
		.amdhsa_float_round_mode_32 0
		.amdhsa_float_round_mode_16_64 0
		.amdhsa_float_denorm_mode_32 3
		.amdhsa_float_denorm_mode_16_64 3
		.amdhsa_dx10_clamp 1
		.amdhsa_ieee_mode 1
		.amdhsa_fp16_overflow 0
		.amdhsa_tg_split 0
		.amdhsa_exception_fp_ieee_invalid_op 0
		.amdhsa_exception_fp_denorm_src 0
		.amdhsa_exception_fp_ieee_div_zero 0
		.amdhsa_exception_fp_ieee_overflow 0
		.amdhsa_exception_fp_ieee_underflow 0
		.amdhsa_exception_fp_ieee_inexact 0
		.amdhsa_exception_int_div_zero 0
	.end_amdhsa_kernel
	.section	.text._ZN12_GLOBAL__N_121softmax_warp_backwardIN3c108BFloat16ES2_fLi5ELb0ELb0ELi32EEEvPT0_PKT_S7_iiiPKb,"axG",@progbits,_ZN12_GLOBAL__N_121softmax_warp_backwardIN3c108BFloat16ES2_fLi5ELb0ELb0ELi32EEEvPT0_PKT_S7_iiiPKb,comdat
.Lfunc_end629:
	.size	_ZN12_GLOBAL__N_121softmax_warp_backwardIN3c108BFloat16ES2_fLi5ELb0ELb0ELi32EEEvPT0_PKT_S7_iiiPKb, .Lfunc_end629-_ZN12_GLOBAL__N_121softmax_warp_backwardIN3c108BFloat16ES2_fLi5ELb0ELb0ELi32EEEvPT0_PKT_S7_iiiPKb
                                        ; -- End function
	.section	.AMDGPU.csdata,"",@progbits
; Kernel info:
; codeLenInByte = 788
; NumSgprs: 20
; NumVgprs: 14
; NumAgprs: 0
; TotalNumVgprs: 14
; ScratchSize: 0
; MemoryBound: 0
; FloatMode: 240
; IeeeMode: 1
; LDSByteSize: 0 bytes/workgroup (compile time only)
; SGPRBlocks: 2
; VGPRBlocks: 1
; NumSGPRsForWavesPerEU: 20
; NumVGPRsForWavesPerEU: 14
; AccumOffset: 16
; Occupancy: 8
; WaveLimiterHint : 0
; COMPUTE_PGM_RSRC2:SCRATCH_EN: 0
; COMPUTE_PGM_RSRC2:USER_SGPR: 6
; COMPUTE_PGM_RSRC2:TRAP_HANDLER: 0
; COMPUTE_PGM_RSRC2:TGID_X_EN: 1
; COMPUTE_PGM_RSRC2:TGID_Y_EN: 0
; COMPUTE_PGM_RSRC2:TGID_Z_EN: 0
; COMPUTE_PGM_RSRC2:TIDIG_COMP_CNT: 1
; COMPUTE_PGM_RSRC3_GFX90A:ACCUM_OFFSET: 3
; COMPUTE_PGM_RSRC3_GFX90A:TG_SPLIT: 0
	.section	.text._ZN12_GLOBAL__N_121softmax_warp_backwardIN3c108BFloat16ES2_fLi6ELb0ELb0ELi64EEEvPT0_PKT_S7_iiiPKb,"axG",@progbits,_ZN12_GLOBAL__N_121softmax_warp_backwardIN3c108BFloat16ES2_fLi6ELb0ELb0ELi64EEEvPT0_PKT_S7_iiiPKb,comdat
	.globl	_ZN12_GLOBAL__N_121softmax_warp_backwardIN3c108BFloat16ES2_fLi6ELb0ELb0ELi64EEEvPT0_PKT_S7_iiiPKb ; -- Begin function _ZN12_GLOBAL__N_121softmax_warp_backwardIN3c108BFloat16ES2_fLi6ELb0ELb0ELi64EEEvPT0_PKT_S7_iiiPKb
	.p2align	8
	.type	_ZN12_GLOBAL__N_121softmax_warp_backwardIN3c108BFloat16ES2_fLi6ELb0ELb0ELi64EEEvPT0_PKT_S7_iiiPKb,@function
_ZN12_GLOBAL__N_121softmax_warp_backwardIN3c108BFloat16ES2_fLi6ELb0ELb0ELi64EEEvPT0_PKT_S7_iiiPKb: ; @_ZN12_GLOBAL__N_121softmax_warp_backwardIN3c108BFloat16ES2_fLi6ELb0ELb0ELi64EEEvPT0_PKT_S7_iiiPKb
; %bb.0:
	s_load_dword s2, s[4:5], 0x3c
	s_load_dwordx4 s[8:11], s[4:5], 0x18
	s_load_dwordx4 s[12:15], s[4:5], 0x0
	s_load_dwordx2 s[0:1], s[4:5], 0x10
	v_bfe_u32 v1, v0, 10, 10
	s_waitcnt lgkmcnt(0)
	s_lshr_b32 s2, s2, 16
	s_mul_i32 s6, s6, s2
	v_add_lshl_u32 v1, s6, v1, 1
	v_and_b32_e32 v0, 63, v0
	v_mad_u64_u32 v[2:3], s[2:3], v1, s9, v[0:1]
	v_ashrrev_i32_e32 v3, 31, v2
	v_lshlrev_b64 v[2:3], 1, v[2:3]
	v_sub_u32_e32 v8, s8, v1
	v_mov_b32_e32 v1, s15
	v_add_co_u32_e32 v4, vcc, s14, v2
	v_addc_co_u32_e32 v5, vcc, v1, v3, vcc
	v_mov_b32_e32 v1, s1
	v_add_co_u32_e32 v6, vcc, s0, v2
	v_addc_co_u32_e32 v7, vcc, v1, v3, vcc
	v_cmp_gt_i32_e32 vcc, s10, v0
	v_cmp_lt_i32_e64 s[0:1], 0, v8
	s_and_b64 s[4:5], vcc, s[0:1]
	v_mov_b32_e32 v9, 0
	v_mov_b32_e32 v10, 0
	v_mov_b32_e32 v0, 0
	s_and_saveexec_b64 s[2:3], s[4:5]
	s_cbranch_execz .LBB630_2
; %bb.1:
	global_load_ushort v0, v[6:7], off
	global_load_ushort v1, v[4:5], off
	s_waitcnt vmcnt(1)
	v_lshlrev_b32_e32 v10, 16, v0
	s_waitcnt vmcnt(0)
	v_lshlrev_b32_e32 v0, 16, v1
.LBB630_2:
	s_or_b64 exec, exec, s[2:3]
	v_cmp_lt_i32_e64 s[2:3], 1, v8
	s_and_b64 s[2:3], vcc, s[2:3]
	s_mov_b32 s11, 0
	v_mov_b32_e32 v1, 0
	s_and_saveexec_b64 s[4:5], s[2:3]
	s_cbranch_execz .LBB630_4
; %bb.3:
	s_lshl_b64 s[6:7], s[10:11], 1
	v_mov_b32_e32 v1, s7
	v_add_co_u32_e64 v4, s[2:3], s6, v4
	v_addc_co_u32_e64 v5, s[2:3], v5, v1, s[2:3]
	v_add_co_u32_e64 v6, s[2:3], s6, v6
	v_addc_co_u32_e64 v7, s[2:3], v7, v1, s[2:3]
	global_load_ushort v1, v[6:7], off
	global_load_ushort v11, v[4:5], off
	s_waitcnt vmcnt(1)
	v_lshlrev_b32_e32 v9, 16, v1
	s_waitcnt vmcnt(0)
	v_lshlrev_b32_e32 v1, 16, v11
.LBB630_4:
	s_or_b64 exec, exec, s[4:5]
	v_mbcnt_lo_u32_b32 v4, -1, 0
	v_mbcnt_hi_u32_b32 v11, -1, v4
	v_and_b32_e32 v4, 64, v11
	v_add_u32_e32 v12, 64, v4
	v_xor_b32_e32 v4, 32, v11
	v_cmp_lt_i32_e64 s[2:3], v4, v12
	v_cndmask_b32_e64 v4, v11, v4, s[2:3]
	v_lshlrev_b32_e32 v7, 2, v4
	v_pk_add_f32 v[4:5], v[0:1], 0 op_sel_hi:[1,0]
	ds_bpermute_b32 v6, v7, v4
	ds_bpermute_b32 v7, v7, v5
	v_xor_b32_e32 v13, 16, v11
	v_cmp_lt_i32_e64 s[2:3], v13, v12
	v_cndmask_b32_e64 v13, v11, v13, s[2:3]
	v_lshlrev_b32_e32 v13, 2, v13
	s_waitcnt lgkmcnt(0)
	v_pk_add_f32 v[4:5], v[4:5], v[6:7]
	ds_bpermute_b32 v6, v13, v4
	ds_bpermute_b32 v7, v13, v5
	v_xor_b32_e32 v13, 8, v11
	v_cmp_lt_i32_e64 s[2:3], v13, v12
	v_cndmask_b32_e64 v13, v11, v13, s[2:3]
	v_lshlrev_b32_e32 v13, 2, v13
	s_waitcnt lgkmcnt(0)
	v_pk_add_f32 v[4:5], v[4:5], v[6:7]
	;; [unrolled: 8-line block ×5, first 2 shown]
	ds_bpermute_b32 v6, v11, v4
	ds_bpermute_b32 v7, v11, v5
	s_and_saveexec_b64 s[2:3], s[0:1]
	s_cbranch_execz .LBB630_10
; %bb.5:
	v_mov_b32_e32 v11, s13
	v_add_co_u32_e64 v2, s[0:1], s12, v2
	v_addc_co_u32_e64 v3, s[0:1], v11, v3, s[0:1]
	s_waitcnt lgkmcnt(0)
	v_pk_add_f32 v[4:5], v[4:5], v[6:7]
	s_and_saveexec_b64 s[2:3], vcc
	s_cbranch_execz .LBB630_7
; %bb.6:
	v_fma_f32 v0, -v4, v10, v0
	v_bfe_u32 v4, v0, 16, 1
	s_movk_i32 s0, 0x7fff
	v_add3_u32 v4, v0, v4, s0
	v_lshrrev_b32_e32 v4, 16, v4
	v_mov_b32_e32 v6, 0x7fc0
	v_cmp_o_f32_e64 s[0:1], v0, v0
	v_cndmask_b32_e64 v0, v6, v4, s[0:1]
	global_store_short v[2:3], v0, off
.LBB630_7:
	s_or_b64 exec, exec, s[2:3]
	v_cmp_ne_u32_e64 s[0:1], 1, v8
	s_and_b64 exec, exec, s[0:1]
	s_cbranch_execz .LBB630_10
; %bb.8:
	s_and_b64 exec, exec, vcc
	s_cbranch_execz .LBB630_10
; %bb.9:
	v_fma_f32 v0, -v5, v9, v1
	v_bfe_u32 v1, v0, 16, 1
	s_movk_i32 s0, 0x7fff
	v_add3_u32 v1, v0, v1, s0
	v_lshrrev_b32_e32 v1, 16, v1
	v_mov_b32_e32 v4, 0x7fc0
	v_cmp_o_f32_e32 vcc, v0, v0
	s_lshl_b64 s[0:1], s[10:11], 1
	v_cndmask_b32_e32 v4, v4, v1, vcc
	v_mov_b32_e32 v1, s1
	v_add_co_u32_e32 v0, vcc, s0, v2
	v_addc_co_u32_e32 v1, vcc, v3, v1, vcc
	global_store_short v[0:1], v4, off
.LBB630_10:
	s_endpgm
	.section	.rodata,"a",@progbits
	.p2align	6, 0x0
	.amdhsa_kernel _ZN12_GLOBAL__N_121softmax_warp_backwardIN3c108BFloat16ES2_fLi6ELb0ELb0ELi64EEEvPT0_PKT_S7_iiiPKb
		.amdhsa_group_segment_fixed_size 0
		.amdhsa_private_segment_fixed_size 0
		.amdhsa_kernarg_size 304
		.amdhsa_user_sgpr_count 6
		.amdhsa_user_sgpr_private_segment_buffer 1
		.amdhsa_user_sgpr_dispatch_ptr 0
		.amdhsa_user_sgpr_queue_ptr 0
		.amdhsa_user_sgpr_kernarg_segment_ptr 1
		.amdhsa_user_sgpr_dispatch_id 0
		.amdhsa_user_sgpr_flat_scratch_init 0
		.amdhsa_user_sgpr_kernarg_preload_length 0
		.amdhsa_user_sgpr_kernarg_preload_offset 0
		.amdhsa_user_sgpr_private_segment_size 0
		.amdhsa_uses_dynamic_stack 0
		.amdhsa_system_sgpr_private_segment_wavefront_offset 0
		.amdhsa_system_sgpr_workgroup_id_x 1
		.amdhsa_system_sgpr_workgroup_id_y 0
		.amdhsa_system_sgpr_workgroup_id_z 0
		.amdhsa_system_sgpr_workgroup_info 0
		.amdhsa_system_vgpr_workitem_id 1
		.amdhsa_next_free_vgpr 14
		.amdhsa_next_free_sgpr 16
		.amdhsa_accum_offset 16
		.amdhsa_reserve_vcc 1
		.amdhsa_reserve_flat_scratch 0
		.amdhsa_float_round_mode_32 0
		.amdhsa_float_round_mode_16_64 0
		.amdhsa_float_denorm_mode_32 3
		.amdhsa_float_denorm_mode_16_64 3
		.amdhsa_dx10_clamp 1
		.amdhsa_ieee_mode 1
		.amdhsa_fp16_overflow 0
		.amdhsa_tg_split 0
		.amdhsa_exception_fp_ieee_invalid_op 0
		.amdhsa_exception_fp_denorm_src 0
		.amdhsa_exception_fp_ieee_div_zero 0
		.amdhsa_exception_fp_ieee_overflow 0
		.amdhsa_exception_fp_ieee_underflow 0
		.amdhsa_exception_fp_ieee_inexact 0
		.amdhsa_exception_int_div_zero 0
	.end_amdhsa_kernel
	.section	.text._ZN12_GLOBAL__N_121softmax_warp_backwardIN3c108BFloat16ES2_fLi6ELb0ELb0ELi64EEEvPT0_PKT_S7_iiiPKb,"axG",@progbits,_ZN12_GLOBAL__N_121softmax_warp_backwardIN3c108BFloat16ES2_fLi6ELb0ELb0ELi64EEEvPT0_PKT_S7_iiiPKb,comdat
.Lfunc_end630:
	.size	_ZN12_GLOBAL__N_121softmax_warp_backwardIN3c108BFloat16ES2_fLi6ELb0ELb0ELi64EEEvPT0_PKT_S7_iiiPKb, .Lfunc_end630-_ZN12_GLOBAL__N_121softmax_warp_backwardIN3c108BFloat16ES2_fLi6ELb0ELb0ELi64EEEvPT0_PKT_S7_iiiPKb
                                        ; -- End function
	.section	.AMDGPU.csdata,"",@progbits
; Kernel info:
; codeLenInByte = 836
; NumSgprs: 20
; NumVgprs: 14
; NumAgprs: 0
; TotalNumVgprs: 14
; ScratchSize: 0
; MemoryBound: 0
; FloatMode: 240
; IeeeMode: 1
; LDSByteSize: 0 bytes/workgroup (compile time only)
; SGPRBlocks: 2
; VGPRBlocks: 1
; NumSGPRsForWavesPerEU: 20
; NumVGPRsForWavesPerEU: 14
; AccumOffset: 16
; Occupancy: 8
; WaveLimiterHint : 0
; COMPUTE_PGM_RSRC2:SCRATCH_EN: 0
; COMPUTE_PGM_RSRC2:USER_SGPR: 6
; COMPUTE_PGM_RSRC2:TRAP_HANDLER: 0
; COMPUTE_PGM_RSRC2:TGID_X_EN: 1
; COMPUTE_PGM_RSRC2:TGID_Y_EN: 0
; COMPUTE_PGM_RSRC2:TGID_Z_EN: 0
; COMPUTE_PGM_RSRC2:TIDIG_COMP_CNT: 1
; COMPUTE_PGM_RSRC3_GFX90A:ACCUM_OFFSET: 3
; COMPUTE_PGM_RSRC3_GFX90A:TG_SPLIT: 0
	.section	.text._ZN12_GLOBAL__N_121softmax_warp_backwardIN3c108BFloat16ES2_fLi6ELb0ELb0ELi32EEEvPT0_PKT_S7_iiiPKb,"axG",@progbits,_ZN12_GLOBAL__N_121softmax_warp_backwardIN3c108BFloat16ES2_fLi6ELb0ELb0ELi32EEEvPT0_PKT_S7_iiiPKb,comdat
	.globl	_ZN12_GLOBAL__N_121softmax_warp_backwardIN3c108BFloat16ES2_fLi6ELb0ELb0ELi32EEEvPT0_PKT_S7_iiiPKb ; -- Begin function _ZN12_GLOBAL__N_121softmax_warp_backwardIN3c108BFloat16ES2_fLi6ELb0ELb0ELi32EEEvPT0_PKT_S7_iiiPKb
	.p2align	8
	.type	_ZN12_GLOBAL__N_121softmax_warp_backwardIN3c108BFloat16ES2_fLi6ELb0ELb0ELi32EEEvPT0_PKT_S7_iiiPKb,@function
_ZN12_GLOBAL__N_121softmax_warp_backwardIN3c108BFloat16ES2_fLi6ELb0ELb0ELi32EEEvPT0_PKT_S7_iiiPKb: ; @_ZN12_GLOBAL__N_121softmax_warp_backwardIN3c108BFloat16ES2_fLi6ELb0ELb0ELi32EEEvPT0_PKT_S7_iiiPKb
; %bb.0:
	s_load_dword s2, s[4:5], 0x3c
	s_load_dwordx4 s[8:11], s[4:5], 0x18
	s_load_dwordx4 s[12:15], s[4:5], 0x0
	s_load_dwordx2 s[0:1], s[4:5], 0x10
	v_bfe_u32 v1, v0, 10, 10
	s_waitcnt lgkmcnt(0)
	s_lshr_b32 s2, s2, 16
	s_mul_i32 s6, s6, s2
	v_add_lshl_u32 v1, s6, v1, 1
	v_and_b32_e32 v0, 31, v0
	v_mad_u64_u32 v[2:3], s[2:3], v1, s9, v[0:1]
	v_ashrrev_i32_e32 v3, 31, v2
	v_lshlrev_b64 v[4:5], 1, v[2:3]
	v_sub_u32_e32 v10, s8, v1
	v_mov_b32_e32 v1, s15
	v_add_co_u32_e32 v6, vcc, s14, v4
	v_addc_co_u32_e32 v7, vcc, v1, v5, vcc
	v_mov_b32_e32 v1, s1
	v_add_co_u32_e32 v8, vcc, s0, v4
	v_cmp_lt_i32_e64 s[2:3], 0, v10
	v_cmp_gt_i32_e64 s[0:1], s10, v0
	v_addc_co_u32_e32 v9, vcc, v1, v5, vcc
	s_and_b64 s[6:7], s[2:3], s[0:1]
	v_mov_b32_e32 v11, 0
	v_mov_b32_e32 v13, 0
	;; [unrolled: 1-line block ×3, first 2 shown]
	s_and_saveexec_b64 s[4:5], s[6:7]
	s_cbranch_execz .LBB631_2
; %bb.1:
	global_load_ushort v1, v[8:9], off
	global_load_ushort v2, v[6:7], off
	s_waitcnt vmcnt(1)
	v_lshlrev_b32_e32 v13, 16, v1
	s_waitcnt vmcnt(0)
	v_lshlrev_b32_e32 v2, 16, v2
.LBB631_2:
	s_or_b64 exec, exec, s[4:5]
	v_or_b32_e32 v0, 32, v0
	v_cmp_gt_i32_e32 vcc, s10, v0
	s_and_b64 s[6:7], s[2:3], vcc
	v_mov_b32_e32 v0, 0
	s_and_saveexec_b64 s[4:5], s[6:7]
	s_cbranch_execz .LBB631_4
; %bb.3:
	global_load_ushort v0, v[8:9], off offset:64
	global_load_ushort v1, v[6:7], off offset:64
	s_waitcnt vmcnt(1)
	v_lshlrev_b32_e32 v11, 16, v0
	s_waitcnt vmcnt(0)
	v_lshlrev_b32_e32 v0, 16, v1
.LBB631_4:
	s_or_b64 exec, exec, s[4:5]
	v_cmp_lt_i32_e64 s[4:5], 1, v10
	s_and_b64 s[6:7], s[4:5], s[0:1]
	s_mov_b32 s11, 0
	v_mov_b32_e32 v12, 0
	v_mov_b32_e32 v14, 0
	;; [unrolled: 1-line block ×3, first 2 shown]
	s_and_saveexec_b64 s[8:9], s[6:7]
	s_cbranch_execz .LBB631_6
; %bb.5:
	s_lshl_b64 s[14:15], s[10:11], 1
	v_mov_b32_e32 v1, s15
	v_add_co_u32_e64 v14, s[6:7], s14, v6
	v_addc_co_u32_e64 v15, s[6:7], v7, v1, s[6:7]
	v_add_co_u32_e64 v16, s[6:7], s14, v8
	v_addc_co_u32_e64 v17, s[6:7], v9, v1, s[6:7]
	global_load_ushort v1, v[16:17], off
	global_load_ushort v3, v[14:15], off
	s_waitcnt vmcnt(1)
	v_lshlrev_b32_e32 v14, 16, v1
	s_waitcnt vmcnt(0)
	v_lshlrev_b32_e32 v3, 16, v3
.LBB631_6:
	s_or_b64 exec, exec, s[8:9]
	s_and_b64 s[4:5], s[4:5], vcc
	v_mov_b32_e32 v1, 0
	s_and_saveexec_b64 s[6:7], s[4:5]
	s_cbranch_execz .LBB631_8
; %bb.7:
	s_lshl_b64 s[8:9], s[10:11], 1
	v_mov_b32_e32 v1, s9
	v_add_co_u32_e64 v6, s[4:5], s8, v6
	v_addc_co_u32_e64 v7, s[4:5], v7, v1, s[4:5]
	v_add_co_u32_e64 v8, s[4:5], s8, v8
	v_addc_co_u32_e64 v9, s[4:5], v9, v1, s[4:5]
	global_load_ushort v1, v[8:9], off offset:64
	global_load_ushort v15, v[6:7], off offset:64
	s_waitcnt vmcnt(1)
	v_lshlrev_b32_e32 v12, 16, v1
	s_waitcnt vmcnt(0)
	v_lshlrev_b32_e32 v1, 16, v15
.LBB631_8:
	s_or_b64 exec, exec, s[6:7]
	v_mbcnt_lo_u32_b32 v8, -1, 0
	v_mbcnt_hi_u32_b32 v15, -1, v8
	v_and_b32_e32 v8, 0x60, v15
	v_add_u32_e32 v16, 32, v8
	v_xor_b32_e32 v8, 16, v15
	v_cmp_lt_i32_e64 s[4:5], v8, v16
	v_pk_add_f32 v[6:7], v[2:3], 0 op_sel_hi:[1,0]
	v_cndmask_b32_e64 v8, v15, v8, s[4:5]
	v_lshlrev_b32_e32 v9, 2, v8
	v_pk_add_f32 v[6:7], v[6:7], v[0:1]
	ds_bpermute_b32 v8, v9, v6
	ds_bpermute_b32 v9, v9, v7
	v_xor_b32_e32 v17, 8, v15
	v_cmp_lt_i32_e64 s[4:5], v17, v16
	v_cndmask_b32_e64 v17, v15, v17, s[4:5]
	v_lshlrev_b32_e32 v17, 2, v17
	s_waitcnt lgkmcnt(0)
	v_pk_add_f32 v[6:7], v[6:7], v[8:9]
	ds_bpermute_b32 v8, v17, v6
	ds_bpermute_b32 v9, v17, v7
	v_xor_b32_e32 v17, 4, v15
	v_cmp_lt_i32_e64 s[4:5], v17, v16
	v_cndmask_b32_e64 v17, v15, v17, s[4:5]
	v_lshlrev_b32_e32 v17, 2, v17
	s_waitcnt lgkmcnt(0)
	;; [unrolled: 8-line block ×4, first 2 shown]
	v_pk_add_f32 v[6:7], v[6:7], v[8:9]
	ds_bpermute_b32 v8, v15, v6
	ds_bpermute_b32 v9, v15, v7
	s_and_saveexec_b64 s[4:5], s[2:3]
	s_cbranch_execz .LBB631_12
; %bb.9:
	v_mov_b32_e32 v15, s13
	v_add_co_u32_e64 v4, s[2:3], s12, v4
	v_addc_co_u32_e64 v5, s[2:3], v15, v5, s[2:3]
	s_waitcnt lgkmcnt(0)
	v_pk_add_f32 v[6:7], v[6:7], v[8:9]
	s_and_saveexec_b64 s[4:5], s[0:1]
	s_cbranch_execnz .LBB631_13
; %bb.10:
	s_or_b64 exec, exec, s[4:5]
	s_and_saveexec_b64 s[4:5], vcc
	s_cbranch_execnz .LBB631_14
.LBB631_11:
	s_or_b64 exec, exec, s[4:5]
	v_cmp_ne_u32_e64 s[2:3], 1, v10
	s_and_b64 exec, exec, s[2:3]
	s_cbranch_execnz .LBB631_15
.LBB631_12:
	s_endpgm
.LBB631_13:
	v_fma_f32 v2, -v6, v13, v2
	v_bfe_u32 v8, v2, 16, 1
	s_movk_i32 s2, 0x7fff
	v_add3_u32 v8, v2, v8, s2
	v_lshrrev_b32_e32 v8, 16, v8
	v_mov_b32_e32 v9, 0x7fc0
	v_cmp_o_f32_e64 s[2:3], v2, v2
	v_cndmask_b32_e64 v2, v9, v8, s[2:3]
	global_store_short v[4:5], v2, off
	s_or_b64 exec, exec, s[4:5]
	s_and_saveexec_b64 s[4:5], vcc
	s_cbranch_execz .LBB631_11
.LBB631_14:
	v_fma_f32 v0, -v6, v11, v0
	v_bfe_u32 v2, v0, 16, 1
	s_movk_i32 s2, 0x7fff
	v_add3_u32 v2, v0, v2, s2
	v_lshrrev_b32_e32 v2, 16, v2
	v_mov_b32_e32 v6, 0x7fc0
	v_cmp_o_f32_e64 s[2:3], v0, v0
	v_cndmask_b32_e64 v0, v6, v2, s[2:3]
	global_store_short v[4:5], v0, off offset:64
	s_or_b64 exec, exec, s[4:5]
	v_cmp_ne_u32_e64 s[2:3], 1, v10
	s_and_b64 exec, exec, s[2:3]
	s_cbranch_execz .LBB631_12
.LBB631_15:
	s_and_saveexec_b64 s[2:3], s[0:1]
	s_cbranch_execz .LBB631_17
; %bb.16:
	v_fma_f32 v0, -v7, v14, v3
	v_bfe_u32 v2, v0, 16, 1
	s_movk_i32 s0, 0x7fff
	v_add3_u32 v2, v0, v2, s0
	v_lshrrev_b32_e32 v2, 16, v2
	v_mov_b32_e32 v3, 0x7fc0
	v_cmp_o_f32_e64 s[0:1], v0, v0
	v_cndmask_b32_e64 v0, v3, v2, s[0:1]
	s_lshl_b64 s[0:1], s[10:11], 1
	v_mov_b32_e32 v3, s1
	v_add_co_u32_e64 v2, s[0:1], s0, v4
	v_addc_co_u32_e64 v3, s[0:1], v5, v3, s[0:1]
	global_store_short v[2:3], v0, off
.LBB631_17:
	s_or_b64 exec, exec, s[2:3]
	s_and_b64 exec, exec, vcc
	s_cbranch_execz .LBB631_12
; %bb.18:
	v_fma_f32 v0, -v7, v12, v1
	v_bfe_u32 v1, v0, 16, 1
	s_movk_i32 s0, 0x7fff
	v_add3_u32 v1, v0, v1, s0
	s_ashr_i32 s11, s10, 31
	v_lshrrev_b32_e32 v1, 16, v1
	v_mov_b32_e32 v2, 0x7fc0
	v_cmp_o_f32_e32 vcc, v0, v0
	s_lshl_b64 s[0:1], s[10:11], 1
	v_cndmask_b32_e32 v2, v2, v1, vcc
	v_mov_b32_e32 v1, s1
	v_add_co_u32_e32 v0, vcc, s0, v4
	v_addc_co_u32_e32 v1, vcc, v5, v1, vcc
	global_store_short v[0:1], v2, off offset:64
	s_endpgm
	.section	.rodata,"a",@progbits
	.p2align	6, 0x0
	.amdhsa_kernel _ZN12_GLOBAL__N_121softmax_warp_backwardIN3c108BFloat16ES2_fLi6ELb0ELb0ELi32EEEvPT0_PKT_S7_iiiPKb
		.amdhsa_group_segment_fixed_size 0
		.amdhsa_private_segment_fixed_size 0
		.amdhsa_kernarg_size 304
		.amdhsa_user_sgpr_count 6
		.amdhsa_user_sgpr_private_segment_buffer 1
		.amdhsa_user_sgpr_dispatch_ptr 0
		.amdhsa_user_sgpr_queue_ptr 0
		.amdhsa_user_sgpr_kernarg_segment_ptr 1
		.amdhsa_user_sgpr_dispatch_id 0
		.amdhsa_user_sgpr_flat_scratch_init 0
		.amdhsa_user_sgpr_kernarg_preload_length 0
		.amdhsa_user_sgpr_kernarg_preload_offset 0
		.amdhsa_user_sgpr_private_segment_size 0
		.amdhsa_uses_dynamic_stack 0
		.amdhsa_system_sgpr_private_segment_wavefront_offset 0
		.amdhsa_system_sgpr_workgroup_id_x 1
		.amdhsa_system_sgpr_workgroup_id_y 0
		.amdhsa_system_sgpr_workgroup_id_z 0
		.amdhsa_system_sgpr_workgroup_info 0
		.amdhsa_system_vgpr_workitem_id 1
		.amdhsa_next_free_vgpr 18
		.amdhsa_next_free_sgpr 16
		.amdhsa_accum_offset 20
		.amdhsa_reserve_vcc 1
		.amdhsa_reserve_flat_scratch 0
		.amdhsa_float_round_mode_32 0
		.amdhsa_float_round_mode_16_64 0
		.amdhsa_float_denorm_mode_32 3
		.amdhsa_float_denorm_mode_16_64 3
		.amdhsa_dx10_clamp 1
		.amdhsa_ieee_mode 1
		.amdhsa_fp16_overflow 0
		.amdhsa_tg_split 0
		.amdhsa_exception_fp_ieee_invalid_op 0
		.amdhsa_exception_fp_denorm_src 0
		.amdhsa_exception_fp_ieee_div_zero 0
		.amdhsa_exception_fp_ieee_overflow 0
		.amdhsa_exception_fp_ieee_underflow 0
		.amdhsa_exception_fp_ieee_inexact 0
		.amdhsa_exception_int_div_zero 0
	.end_amdhsa_kernel
	.section	.text._ZN12_GLOBAL__N_121softmax_warp_backwardIN3c108BFloat16ES2_fLi6ELb0ELb0ELi32EEEvPT0_PKT_S7_iiiPKb,"axG",@progbits,_ZN12_GLOBAL__N_121softmax_warp_backwardIN3c108BFloat16ES2_fLi6ELb0ELb0ELi32EEEvPT0_PKT_S7_iiiPKb,comdat
.Lfunc_end631:
	.size	_ZN12_GLOBAL__N_121softmax_warp_backwardIN3c108BFloat16ES2_fLi6ELb0ELb0ELi32EEEvPT0_PKT_S7_iiiPKb, .Lfunc_end631-_ZN12_GLOBAL__N_121softmax_warp_backwardIN3c108BFloat16ES2_fLi6ELb0ELb0ELi32EEEvPT0_PKT_S7_iiiPKb
                                        ; -- End function
	.section	.AMDGPU.csdata,"",@progbits
; Kernel info:
; codeLenInByte = 1176
; NumSgprs: 20
; NumVgprs: 18
; NumAgprs: 0
; TotalNumVgprs: 18
; ScratchSize: 0
; MemoryBound: 0
; FloatMode: 240
; IeeeMode: 1
; LDSByteSize: 0 bytes/workgroup (compile time only)
; SGPRBlocks: 2
; VGPRBlocks: 2
; NumSGPRsForWavesPerEU: 20
; NumVGPRsForWavesPerEU: 18
; AccumOffset: 20
; Occupancy: 8
; WaveLimiterHint : 0
; COMPUTE_PGM_RSRC2:SCRATCH_EN: 0
; COMPUTE_PGM_RSRC2:USER_SGPR: 6
; COMPUTE_PGM_RSRC2:TRAP_HANDLER: 0
; COMPUTE_PGM_RSRC2:TGID_X_EN: 1
; COMPUTE_PGM_RSRC2:TGID_Y_EN: 0
; COMPUTE_PGM_RSRC2:TGID_Z_EN: 0
; COMPUTE_PGM_RSRC2:TIDIG_COMP_CNT: 1
; COMPUTE_PGM_RSRC3_GFX90A:ACCUM_OFFSET: 4
; COMPUTE_PGM_RSRC3_GFX90A:TG_SPLIT: 0
	.section	.text._ZN12_GLOBAL__N_121softmax_warp_backwardIN3c108BFloat16ES2_fLi7ELb0ELb0ELi64EEEvPT0_PKT_S7_iiiPKb,"axG",@progbits,_ZN12_GLOBAL__N_121softmax_warp_backwardIN3c108BFloat16ES2_fLi7ELb0ELb0ELi64EEEvPT0_PKT_S7_iiiPKb,comdat
	.globl	_ZN12_GLOBAL__N_121softmax_warp_backwardIN3c108BFloat16ES2_fLi7ELb0ELb0ELi64EEEvPT0_PKT_S7_iiiPKb ; -- Begin function _ZN12_GLOBAL__N_121softmax_warp_backwardIN3c108BFloat16ES2_fLi7ELb0ELb0ELi64EEEvPT0_PKT_S7_iiiPKb
	.p2align	8
	.type	_ZN12_GLOBAL__N_121softmax_warp_backwardIN3c108BFloat16ES2_fLi7ELb0ELb0ELi64EEEvPT0_PKT_S7_iiiPKb,@function
_ZN12_GLOBAL__N_121softmax_warp_backwardIN3c108BFloat16ES2_fLi7ELb0ELb0ELi64EEEvPT0_PKT_S7_iiiPKb: ; @_ZN12_GLOBAL__N_121softmax_warp_backwardIN3c108BFloat16ES2_fLi7ELb0ELb0ELi64EEEvPT0_PKT_S7_iiiPKb
; %bb.0:
	s_load_dword s2, s[4:5], 0x3c
	s_load_dwordx4 s[8:11], s[4:5], 0x18
	s_load_dwordx4 s[12:15], s[4:5], 0x0
	s_load_dwordx2 s[0:1], s[4:5], 0x10
	v_bfe_u32 v1, v0, 10, 10
	s_waitcnt lgkmcnt(0)
	s_lshr_b32 s2, s2, 16
	s_mul_i32 s6, s6, s2
	v_add_lshl_u32 v1, s6, v1, 1
	v_and_b32_e32 v0, 63, v0
	v_mad_u64_u32 v[2:3], s[2:3], v1, s9, v[0:1]
	v_ashrrev_i32_e32 v3, 31, v2
	v_lshlrev_b64 v[4:5], 1, v[2:3]
	v_sub_u32_e32 v10, s8, v1
	v_mov_b32_e32 v1, s15
	v_add_co_u32_e32 v6, vcc, s14, v4
	v_addc_co_u32_e32 v7, vcc, v1, v5, vcc
	v_mov_b32_e32 v1, s1
	v_add_co_u32_e32 v8, vcc, s0, v4
	v_cmp_lt_i32_e64 s[2:3], 0, v10
	v_cmp_gt_i32_e64 s[0:1], s10, v0
	v_addc_co_u32_e32 v9, vcc, v1, v5, vcc
	s_and_b64 s[6:7], s[2:3], s[0:1]
	v_mov_b32_e32 v11, 0
	v_mov_b32_e32 v13, 0
	;; [unrolled: 1-line block ×3, first 2 shown]
	s_and_saveexec_b64 s[4:5], s[6:7]
	s_cbranch_execz .LBB632_2
; %bb.1:
	global_load_ushort v1, v[8:9], off
	global_load_ushort v2, v[6:7], off
	s_waitcnt vmcnt(1)
	v_lshlrev_b32_e32 v13, 16, v1
	s_waitcnt vmcnt(0)
	v_lshlrev_b32_e32 v2, 16, v2
.LBB632_2:
	s_or_b64 exec, exec, s[4:5]
	v_or_b32_e32 v0, 64, v0
	v_cmp_gt_i32_e32 vcc, s10, v0
	s_and_b64 s[6:7], s[2:3], vcc
	v_mov_b32_e32 v0, 0
	s_and_saveexec_b64 s[4:5], s[6:7]
	s_cbranch_execz .LBB632_4
; %bb.3:
	global_load_ushort v0, v[8:9], off offset:128
	global_load_ushort v1, v[6:7], off offset:128
	s_waitcnt vmcnt(1)
	v_lshlrev_b32_e32 v11, 16, v0
	s_waitcnt vmcnt(0)
	v_lshlrev_b32_e32 v0, 16, v1
.LBB632_4:
	s_or_b64 exec, exec, s[4:5]
	v_cmp_lt_i32_e64 s[4:5], 1, v10
	s_and_b64 s[6:7], s[4:5], s[0:1]
	s_mov_b32 s11, 0
	v_mov_b32_e32 v12, 0
	v_mov_b32_e32 v14, 0
	;; [unrolled: 1-line block ×3, first 2 shown]
	s_and_saveexec_b64 s[8:9], s[6:7]
	s_cbranch_execz .LBB632_6
; %bb.5:
	s_lshl_b64 s[14:15], s[10:11], 1
	v_mov_b32_e32 v1, s15
	v_add_co_u32_e64 v14, s[6:7], s14, v6
	v_addc_co_u32_e64 v15, s[6:7], v7, v1, s[6:7]
	v_add_co_u32_e64 v16, s[6:7], s14, v8
	v_addc_co_u32_e64 v17, s[6:7], v9, v1, s[6:7]
	global_load_ushort v1, v[16:17], off
	global_load_ushort v3, v[14:15], off
	s_waitcnt vmcnt(1)
	v_lshlrev_b32_e32 v14, 16, v1
	s_waitcnt vmcnt(0)
	v_lshlrev_b32_e32 v3, 16, v3
.LBB632_6:
	s_or_b64 exec, exec, s[8:9]
	s_and_b64 s[4:5], s[4:5], vcc
	v_mov_b32_e32 v1, 0
	s_and_saveexec_b64 s[6:7], s[4:5]
	s_cbranch_execz .LBB632_8
; %bb.7:
	s_lshl_b64 s[8:9], s[10:11], 1
	v_mov_b32_e32 v1, s9
	v_add_co_u32_e64 v6, s[4:5], s8, v6
	v_addc_co_u32_e64 v7, s[4:5], v7, v1, s[4:5]
	v_add_co_u32_e64 v8, s[4:5], s8, v8
	v_addc_co_u32_e64 v9, s[4:5], v9, v1, s[4:5]
	global_load_ushort v1, v[8:9], off offset:128
	global_load_ushort v15, v[6:7], off offset:128
	s_waitcnt vmcnt(1)
	v_lshlrev_b32_e32 v12, 16, v1
	s_waitcnt vmcnt(0)
	v_lshlrev_b32_e32 v1, 16, v15
.LBB632_8:
	s_or_b64 exec, exec, s[6:7]
	v_mbcnt_lo_u32_b32 v8, -1, 0
	v_mbcnt_hi_u32_b32 v15, -1, v8
	v_and_b32_e32 v8, 64, v15
	v_add_u32_e32 v16, 64, v8
	v_xor_b32_e32 v8, 32, v15
	v_cmp_lt_i32_e64 s[4:5], v8, v16
	v_pk_add_f32 v[6:7], v[2:3], 0 op_sel_hi:[1,0]
	v_cndmask_b32_e64 v8, v15, v8, s[4:5]
	v_lshlrev_b32_e32 v9, 2, v8
	v_pk_add_f32 v[6:7], v[6:7], v[0:1]
	ds_bpermute_b32 v8, v9, v6
	ds_bpermute_b32 v9, v9, v7
	v_xor_b32_e32 v17, 16, v15
	v_cmp_lt_i32_e64 s[4:5], v17, v16
	v_cndmask_b32_e64 v17, v15, v17, s[4:5]
	v_lshlrev_b32_e32 v17, 2, v17
	s_waitcnt lgkmcnt(0)
	v_pk_add_f32 v[6:7], v[6:7], v[8:9]
	ds_bpermute_b32 v8, v17, v6
	ds_bpermute_b32 v9, v17, v7
	v_xor_b32_e32 v17, 8, v15
	v_cmp_lt_i32_e64 s[4:5], v17, v16
	v_cndmask_b32_e64 v17, v15, v17, s[4:5]
	v_lshlrev_b32_e32 v17, 2, v17
	s_waitcnt lgkmcnt(0)
	;; [unrolled: 8-line block ×5, first 2 shown]
	v_pk_add_f32 v[6:7], v[6:7], v[8:9]
	ds_bpermute_b32 v8, v15, v6
	ds_bpermute_b32 v9, v15, v7
	s_and_saveexec_b64 s[4:5], s[2:3]
	s_cbranch_execz .LBB632_12
; %bb.9:
	v_mov_b32_e32 v15, s13
	v_add_co_u32_e64 v4, s[2:3], s12, v4
	v_addc_co_u32_e64 v5, s[2:3], v15, v5, s[2:3]
	s_waitcnt lgkmcnt(0)
	v_pk_add_f32 v[6:7], v[6:7], v[8:9]
	s_and_saveexec_b64 s[4:5], s[0:1]
	s_cbranch_execnz .LBB632_13
; %bb.10:
	s_or_b64 exec, exec, s[4:5]
	s_and_saveexec_b64 s[4:5], vcc
	s_cbranch_execnz .LBB632_14
.LBB632_11:
	s_or_b64 exec, exec, s[4:5]
	v_cmp_ne_u32_e64 s[2:3], 1, v10
	s_and_b64 exec, exec, s[2:3]
	s_cbranch_execnz .LBB632_15
.LBB632_12:
	s_endpgm
.LBB632_13:
	v_fma_f32 v2, -v6, v13, v2
	v_bfe_u32 v8, v2, 16, 1
	s_movk_i32 s2, 0x7fff
	v_add3_u32 v8, v2, v8, s2
	v_lshrrev_b32_e32 v8, 16, v8
	v_mov_b32_e32 v9, 0x7fc0
	v_cmp_o_f32_e64 s[2:3], v2, v2
	v_cndmask_b32_e64 v2, v9, v8, s[2:3]
	global_store_short v[4:5], v2, off
	s_or_b64 exec, exec, s[4:5]
	s_and_saveexec_b64 s[4:5], vcc
	s_cbranch_execz .LBB632_11
.LBB632_14:
	v_fma_f32 v0, -v6, v11, v0
	v_bfe_u32 v2, v0, 16, 1
	s_movk_i32 s2, 0x7fff
	v_add3_u32 v2, v0, v2, s2
	v_lshrrev_b32_e32 v2, 16, v2
	v_mov_b32_e32 v6, 0x7fc0
	v_cmp_o_f32_e64 s[2:3], v0, v0
	v_cndmask_b32_e64 v0, v6, v2, s[2:3]
	global_store_short v[4:5], v0, off offset:128
	s_or_b64 exec, exec, s[4:5]
	v_cmp_ne_u32_e64 s[2:3], 1, v10
	s_and_b64 exec, exec, s[2:3]
	s_cbranch_execz .LBB632_12
.LBB632_15:
	s_and_saveexec_b64 s[2:3], s[0:1]
	s_cbranch_execz .LBB632_17
; %bb.16:
	v_fma_f32 v0, -v7, v14, v3
	v_bfe_u32 v2, v0, 16, 1
	s_movk_i32 s0, 0x7fff
	v_add3_u32 v2, v0, v2, s0
	v_lshrrev_b32_e32 v2, 16, v2
	v_mov_b32_e32 v3, 0x7fc0
	v_cmp_o_f32_e64 s[0:1], v0, v0
	v_cndmask_b32_e64 v0, v3, v2, s[0:1]
	s_lshl_b64 s[0:1], s[10:11], 1
	v_mov_b32_e32 v3, s1
	v_add_co_u32_e64 v2, s[0:1], s0, v4
	v_addc_co_u32_e64 v3, s[0:1], v5, v3, s[0:1]
	global_store_short v[2:3], v0, off
.LBB632_17:
	s_or_b64 exec, exec, s[2:3]
	s_and_b64 exec, exec, vcc
	s_cbranch_execz .LBB632_12
; %bb.18:
	v_fma_f32 v0, -v7, v12, v1
	v_bfe_u32 v1, v0, 16, 1
	s_movk_i32 s0, 0x7fff
	v_add3_u32 v1, v0, v1, s0
	s_ashr_i32 s11, s10, 31
	v_lshrrev_b32_e32 v1, 16, v1
	v_mov_b32_e32 v2, 0x7fc0
	v_cmp_o_f32_e32 vcc, v0, v0
	s_lshl_b64 s[0:1], s[10:11], 1
	v_cndmask_b32_e32 v2, v2, v1, vcc
	v_mov_b32_e32 v1, s1
	v_add_co_u32_e32 v0, vcc, s0, v4
	v_addc_co_u32_e32 v1, vcc, v5, v1, vcc
	global_store_short v[0:1], v2, off offset:128
	s_endpgm
	.section	.rodata,"a",@progbits
	.p2align	6, 0x0
	.amdhsa_kernel _ZN12_GLOBAL__N_121softmax_warp_backwardIN3c108BFloat16ES2_fLi7ELb0ELb0ELi64EEEvPT0_PKT_S7_iiiPKb
		.amdhsa_group_segment_fixed_size 0
		.amdhsa_private_segment_fixed_size 0
		.amdhsa_kernarg_size 304
		.amdhsa_user_sgpr_count 6
		.amdhsa_user_sgpr_private_segment_buffer 1
		.amdhsa_user_sgpr_dispatch_ptr 0
		.amdhsa_user_sgpr_queue_ptr 0
		.amdhsa_user_sgpr_kernarg_segment_ptr 1
		.amdhsa_user_sgpr_dispatch_id 0
		.amdhsa_user_sgpr_flat_scratch_init 0
		.amdhsa_user_sgpr_kernarg_preload_length 0
		.amdhsa_user_sgpr_kernarg_preload_offset 0
		.amdhsa_user_sgpr_private_segment_size 0
		.amdhsa_uses_dynamic_stack 0
		.amdhsa_system_sgpr_private_segment_wavefront_offset 0
		.amdhsa_system_sgpr_workgroup_id_x 1
		.amdhsa_system_sgpr_workgroup_id_y 0
		.amdhsa_system_sgpr_workgroup_id_z 0
		.amdhsa_system_sgpr_workgroup_info 0
		.amdhsa_system_vgpr_workitem_id 1
		.amdhsa_next_free_vgpr 18
		.amdhsa_next_free_sgpr 16
		.amdhsa_accum_offset 20
		.amdhsa_reserve_vcc 1
		.amdhsa_reserve_flat_scratch 0
		.amdhsa_float_round_mode_32 0
		.amdhsa_float_round_mode_16_64 0
		.amdhsa_float_denorm_mode_32 3
		.amdhsa_float_denorm_mode_16_64 3
		.amdhsa_dx10_clamp 1
		.amdhsa_ieee_mode 1
		.amdhsa_fp16_overflow 0
		.amdhsa_tg_split 0
		.amdhsa_exception_fp_ieee_invalid_op 0
		.amdhsa_exception_fp_denorm_src 0
		.amdhsa_exception_fp_ieee_div_zero 0
		.amdhsa_exception_fp_ieee_overflow 0
		.amdhsa_exception_fp_ieee_underflow 0
		.amdhsa_exception_fp_ieee_inexact 0
		.amdhsa_exception_int_div_zero 0
	.end_amdhsa_kernel
	.section	.text._ZN12_GLOBAL__N_121softmax_warp_backwardIN3c108BFloat16ES2_fLi7ELb0ELb0ELi64EEEvPT0_PKT_S7_iiiPKb,"axG",@progbits,_ZN12_GLOBAL__N_121softmax_warp_backwardIN3c108BFloat16ES2_fLi7ELb0ELb0ELi64EEEvPT0_PKT_S7_iiiPKb,comdat
.Lfunc_end632:
	.size	_ZN12_GLOBAL__N_121softmax_warp_backwardIN3c108BFloat16ES2_fLi7ELb0ELb0ELi64EEEvPT0_PKT_S7_iiiPKb, .Lfunc_end632-_ZN12_GLOBAL__N_121softmax_warp_backwardIN3c108BFloat16ES2_fLi7ELb0ELb0ELi64EEEvPT0_PKT_S7_iiiPKb
                                        ; -- End function
	.section	.AMDGPU.csdata,"",@progbits
; Kernel info:
; codeLenInByte = 1224
; NumSgprs: 20
; NumVgprs: 18
; NumAgprs: 0
; TotalNumVgprs: 18
; ScratchSize: 0
; MemoryBound: 0
; FloatMode: 240
; IeeeMode: 1
; LDSByteSize: 0 bytes/workgroup (compile time only)
; SGPRBlocks: 2
; VGPRBlocks: 2
; NumSGPRsForWavesPerEU: 20
; NumVGPRsForWavesPerEU: 18
; AccumOffset: 20
; Occupancy: 8
; WaveLimiterHint : 0
; COMPUTE_PGM_RSRC2:SCRATCH_EN: 0
; COMPUTE_PGM_RSRC2:USER_SGPR: 6
; COMPUTE_PGM_RSRC2:TRAP_HANDLER: 0
; COMPUTE_PGM_RSRC2:TGID_X_EN: 1
; COMPUTE_PGM_RSRC2:TGID_Y_EN: 0
; COMPUTE_PGM_RSRC2:TGID_Z_EN: 0
; COMPUTE_PGM_RSRC2:TIDIG_COMP_CNT: 1
; COMPUTE_PGM_RSRC3_GFX90A:ACCUM_OFFSET: 4
; COMPUTE_PGM_RSRC3_GFX90A:TG_SPLIT: 0
	.section	.text._ZN12_GLOBAL__N_121softmax_warp_backwardIN3c108BFloat16ES2_fLi7ELb0ELb0ELi32EEEvPT0_PKT_S7_iiiPKb,"axG",@progbits,_ZN12_GLOBAL__N_121softmax_warp_backwardIN3c108BFloat16ES2_fLi7ELb0ELb0ELi32EEEvPT0_PKT_S7_iiiPKb,comdat
	.globl	_ZN12_GLOBAL__N_121softmax_warp_backwardIN3c108BFloat16ES2_fLi7ELb0ELb0ELi32EEEvPT0_PKT_S7_iiiPKb ; -- Begin function _ZN12_GLOBAL__N_121softmax_warp_backwardIN3c108BFloat16ES2_fLi7ELb0ELb0ELi32EEEvPT0_PKT_S7_iiiPKb
	.p2align	8
	.type	_ZN12_GLOBAL__N_121softmax_warp_backwardIN3c108BFloat16ES2_fLi7ELb0ELb0ELi32EEEvPT0_PKT_S7_iiiPKb,@function
_ZN12_GLOBAL__N_121softmax_warp_backwardIN3c108BFloat16ES2_fLi7ELb0ELb0ELi32EEEvPT0_PKT_S7_iiiPKb: ; @_ZN12_GLOBAL__N_121softmax_warp_backwardIN3c108BFloat16ES2_fLi7ELb0ELb0ELi32EEEvPT0_PKT_S7_iiiPKb
; %bb.0:
	s_load_dword s2, s[4:5], 0x3c
	s_load_dwordx4 s[12:15], s[4:5], 0x18
	s_load_dwordx4 s[16:19], s[4:5], 0x0
	s_load_dwordx2 s[0:1], s[4:5], 0x10
	v_bfe_u32 v1, v0, 10, 10
	s_waitcnt lgkmcnt(0)
	s_lshr_b32 s2, s2, 16
	s_mul_i32 s6, s6, s2
	v_add_lshl_u32 v1, s6, v1, 1
	v_and_b32_e32 v6, 31, v0
	v_sub_u32_e32 v16, s12, v1
	v_mad_u64_u32 v[0:1], s[2:3], v1, s13, v[6:7]
	v_ashrrev_i32_e32 v1, 31, v0
	v_lshlrev_b64 v[8:9], 1, v[0:1]
	v_mov_b32_e32 v0, s19
	v_add_co_u32_e32 v10, vcc, s18, v8
	v_addc_co_u32_e32 v11, vcc, v0, v9, vcc
	v_mov_b32_e32 v0, s1
	v_add_co_u32_e32 v12, vcc, s0, v8
	v_addc_co_u32_e32 v13, vcc, v0, v9, vcc
	v_cmp_lt_i32_e64 s[6:7], 0, v16
	v_cmp_gt_i32_e32 vcc, s14, v6
	s_and_b64 s[2:3], s[6:7], vcc
	v_mov_b32_e32 v17, 0
	v_mov_b32_e32 v20, 0
	;; [unrolled: 1-line block ×3, first 2 shown]
	s_and_saveexec_b64 s[0:1], s[2:3]
	s_cbranch_execz .LBB633_2
; %bb.1:
	global_load_ushort v0, v[12:13], off
	global_load_ushort v1, v[10:11], off
	s_waitcnt vmcnt(1)
	v_lshlrev_b32_e32 v20, 16, v0
	s_waitcnt vmcnt(0)
	v_lshlrev_b32_e32 v0, 16, v1
.LBB633_2:
	s_or_b64 exec, exec, s[0:1]
	v_or_b32_e32 v1, 32, v6
	v_cmp_gt_i32_e64 s[0:1], s14, v1
	s_and_b64 s[4:5], s[6:7], s[0:1]
	v_mov_b32_e32 v2, 0
	s_and_saveexec_b64 s[2:3], s[4:5]
	s_cbranch_execz .LBB633_4
; %bb.3:
	global_load_ushort v1, v[12:13], off offset:64
	global_load_ushort v2, v[10:11], off offset:64
	s_waitcnt vmcnt(1)
	v_lshlrev_b32_e32 v17, 16, v1
	s_waitcnt vmcnt(0)
	v_lshlrev_b32_e32 v2, 16, v2
.LBB633_4:
	s_or_b64 exec, exec, s[2:3]
	v_or_b32_e32 v1, 64, v6
	v_cmp_gt_i32_e64 s[2:3], s14, v1
	s_and_b64 s[8:9], s[6:7], s[2:3]
	v_mov_b32_e32 v18, 0
	v_mov_b32_e32 v21, 0
	;; [unrolled: 1-line block ×3, first 2 shown]
	s_and_saveexec_b64 s[4:5], s[8:9]
	s_cbranch_execz .LBB633_6
; %bb.5:
	global_load_ushort v1, v[12:13], off offset:128
	global_load_ushort v3, v[10:11], off offset:128
	s_waitcnt vmcnt(1)
	v_lshlrev_b32_e32 v21, 16, v1
	s_waitcnt vmcnt(0)
	v_lshlrev_b32_e32 v4, 16, v3
.LBB633_6:
	s_or_b64 exec, exec, s[4:5]
	v_or_b32_e32 v1, 0x60, v6
	v_cmp_gt_i32_e64 s[4:5], s14, v1
	s_and_b64 s[10:11], s[6:7], s[4:5]
	v_mov_b32_e32 v6, 0
	s_and_saveexec_b64 s[8:9], s[10:11]
	s_cbranch_execz .LBB633_8
; %bb.7:
	global_load_ushort v1, v[12:13], off offset:192
	global_load_ushort v3, v[10:11], off offset:192
	s_waitcnt vmcnt(1)
	v_lshlrev_b32_e32 v18, 16, v1
	s_waitcnt vmcnt(0)
	v_lshlrev_b32_e32 v6, 16, v3
.LBB633_8:
	s_or_b64 exec, exec, s[8:9]
	v_cmp_lt_i32_e64 s[8:9], 1, v16
	s_and_b64 s[10:11], s[8:9], vcc
	s_mov_b32 s15, 0
	v_mov_b32_e32 v19, 0
	v_mov_b32_e32 v22, 0
	;; [unrolled: 1-line block ×3, first 2 shown]
	s_and_saveexec_b64 s[12:13], s[10:11]
	s_cbranch_execz .LBB633_10
; %bb.9:
	s_lshl_b64 s[18:19], s[14:15], 1
	v_mov_b32_e32 v1, s19
	v_add_co_u32_e64 v14, s[10:11], s18, v10
	v_addc_co_u32_e64 v15, s[10:11], v11, v1, s[10:11]
	v_add_co_u32_e64 v22, s[10:11], s18, v12
	v_addc_co_u32_e64 v23, s[10:11], v13, v1, s[10:11]
	global_load_ushort v1, v[22:23], off
	global_load_ushort v3, v[14:15], off
	s_waitcnt vmcnt(1)
	v_lshlrev_b32_e32 v22, 16, v1
	s_waitcnt vmcnt(0)
	v_lshlrev_b32_e32 v1, 16, v3
.LBB633_10:
	s_or_b64 exec, exec, s[12:13]
	s_and_b64 s[10:11], s[8:9], s[0:1]
	v_mov_b32_e32 v3, 0
	s_and_saveexec_b64 s[12:13], s[10:11]
	s_cbranch_execz .LBB633_12
; %bb.11:
	s_lshl_b64 s[18:19], s[14:15], 1
	v_mov_b32_e32 v3, s19
	v_add_co_u32_e64 v14, s[10:11], s18, v10
	v_addc_co_u32_e64 v15, s[10:11], v11, v3, s[10:11]
	v_add_co_u32_e64 v24, s[10:11], s18, v12
	v_addc_co_u32_e64 v25, s[10:11], v13, v3, s[10:11]
	global_load_ushort v3, v[24:25], off offset:64
	global_load_ushort v5, v[14:15], off offset:64
	s_waitcnt vmcnt(1)
	v_lshlrev_b32_e32 v19, 16, v3
	s_waitcnt vmcnt(0)
	v_lshlrev_b32_e32 v3, 16, v5
.LBB633_12:
	s_or_b64 exec, exec, s[12:13]
	s_and_b64 s[10:11], s[8:9], s[2:3]
	v_mov_b32_e32 v23, 0
	v_mov_b32_e32 v24, 0
	;; [unrolled: 1-line block ×3, first 2 shown]
	s_and_saveexec_b64 s[12:13], s[10:11]
	s_cbranch_execz .LBB633_14
; %bb.13:
	s_lshl_b64 s[18:19], s[14:15], 1
	v_mov_b32_e32 v5, s19
	v_add_co_u32_e64 v14, s[10:11], s18, v10
	v_addc_co_u32_e64 v15, s[10:11], v11, v5, s[10:11]
	v_add_co_u32_e64 v24, s[10:11], s18, v12
	v_addc_co_u32_e64 v25, s[10:11], v13, v5, s[10:11]
	global_load_ushort v5, v[24:25], off offset:128
	global_load_ushort v7, v[14:15], off offset:128
	s_waitcnt vmcnt(1)
	v_lshlrev_b32_e32 v24, 16, v5
	s_waitcnt vmcnt(0)
	v_lshlrev_b32_e32 v5, 16, v7
.LBB633_14:
	s_or_b64 exec, exec, s[12:13]
	s_and_b64 s[8:9], s[8:9], s[4:5]
	v_mov_b32_e32 v7, 0
	s_and_saveexec_b64 s[10:11], s[8:9]
	s_cbranch_execz .LBB633_16
; %bb.15:
	s_lshl_b64 s[12:13], s[14:15], 1
	v_mov_b32_e32 v7, s13
	v_add_co_u32_e64 v10, s[8:9], s12, v10
	v_addc_co_u32_e64 v11, s[8:9], v11, v7, s[8:9]
	v_add_co_u32_e64 v12, s[8:9], s12, v12
	v_addc_co_u32_e64 v13, s[8:9], v13, v7, s[8:9]
	global_load_ushort v7, v[12:13], off offset:192
	global_load_ushort v14, v[10:11], off offset:192
	s_waitcnt vmcnt(1)
	v_lshlrev_b32_e32 v23, 16, v7
	s_waitcnt vmcnt(0)
	v_lshlrev_b32_e32 v7, 16, v14
.LBB633_16:
	s_or_b64 exec, exec, s[10:11]
	v_mbcnt_lo_u32_b32 v12, -1, 0
	v_mbcnt_hi_u32_b32 v14, -1, v12
	v_and_b32_e32 v12, 0x60, v14
	v_pk_add_f32 v[10:11], v[0:1], 0 op_sel_hi:[1,0]
	v_add_u32_e32 v15, 32, v12
	v_xor_b32_e32 v12, 16, v14
	v_cmp_lt_i32_e64 s[8:9], v12, v15
	v_pk_add_f32 v[10:11], v[10:11], v[2:3]
	v_cndmask_b32_e64 v12, v14, v12, s[8:9]
	v_pk_add_f32 v[10:11], v[10:11], v[4:5]
	v_lshlrev_b32_e32 v13, 2, v12
	v_pk_add_f32 v[10:11], v[10:11], v[6:7]
	ds_bpermute_b32 v12, v13, v10
	ds_bpermute_b32 v13, v13, v11
	v_xor_b32_e32 v25, 8, v14
	v_cmp_lt_i32_e64 s[8:9], v25, v15
	v_cndmask_b32_e64 v25, v14, v25, s[8:9]
	v_lshlrev_b32_e32 v25, 2, v25
	s_waitcnt lgkmcnt(0)
	v_pk_add_f32 v[10:11], v[10:11], v[12:13]
	ds_bpermute_b32 v12, v25, v10
	ds_bpermute_b32 v13, v25, v11
	v_xor_b32_e32 v25, 4, v14
	v_cmp_lt_i32_e64 s[8:9], v25, v15
	v_cndmask_b32_e64 v25, v14, v25, s[8:9]
	v_lshlrev_b32_e32 v25, 2, v25
	s_waitcnt lgkmcnt(0)
	v_pk_add_f32 v[10:11], v[10:11], v[12:13]
	ds_bpermute_b32 v12, v25, v10
	ds_bpermute_b32 v13, v25, v11
	v_xor_b32_e32 v25, 2, v14
	v_cmp_lt_i32_e64 s[8:9], v25, v15
	v_cndmask_b32_e64 v25, v14, v25, s[8:9]
	v_lshlrev_b32_e32 v25, 2, v25
	s_waitcnt lgkmcnt(0)
	v_pk_add_f32 v[10:11], v[10:11], v[12:13]
	ds_bpermute_b32 v12, v25, v10
	ds_bpermute_b32 v13, v25, v11
	v_xor_b32_e32 v25, 1, v14
	v_cmp_lt_i32_e64 s[8:9], v25, v15
	v_cndmask_b32_e64 v14, v14, v25, s[8:9]
	v_lshlrev_b32_e32 v15, 2, v14
	s_waitcnt lgkmcnt(0)
	v_pk_add_f32 v[12:13], v[10:11], v[12:13]
	ds_bpermute_b32 v14, v15, v12
	ds_bpermute_b32 v15, v15, v13
	s_and_saveexec_b64 s[8:9], s[6:7]
	s_cbranch_execz .LBB633_22
; %bb.17:
	v_mov_b32_e32 v11, s17
	v_add_co_u32_e64 v10, s[6:7], s16, v8
	v_addc_co_u32_e64 v11, s[6:7], v11, v9, s[6:7]
	s_waitcnt lgkmcnt(0)
	v_pk_add_f32 v[8:9], v[12:13], v[14:15]
	s_and_saveexec_b64 s[8:9], vcc
	s_cbranch_execnz .LBB633_23
; %bb.18:
	s_or_b64 exec, exec, s[8:9]
	s_and_saveexec_b64 s[8:9], s[0:1]
	s_cbranch_execnz .LBB633_24
.LBB633_19:
	s_or_b64 exec, exec, s[8:9]
	s_and_saveexec_b64 s[8:9], s[2:3]
	s_cbranch_execnz .LBB633_25
.LBB633_20:
	s_or_b64 exec, exec, s[8:9]
	s_and_saveexec_b64 s[8:9], s[4:5]
	s_cbranch_execnz .LBB633_26
.LBB633_21:
	s_or_b64 exec, exec, s[8:9]
	v_cmp_ne_u32_e64 s[6:7], 1, v16
	s_and_b64 exec, exec, s[6:7]
	s_cbranch_execnz .LBB633_27
.LBB633_22:
	s_endpgm
.LBB633_23:
	v_fma_f32 v0, -v8, v20, v0
	v_bfe_u32 v12, v0, 16, 1
	s_movk_i32 s6, 0x7fff
	v_add3_u32 v12, v0, v12, s6
	v_lshrrev_b32_e32 v12, 16, v12
	v_mov_b32_e32 v13, 0x7fc0
	v_cmp_o_f32_e64 s[6:7], v0, v0
	v_cndmask_b32_e64 v0, v13, v12, s[6:7]
	global_store_short v[10:11], v0, off
	s_or_b64 exec, exec, s[8:9]
	s_and_saveexec_b64 s[8:9], s[0:1]
	s_cbranch_execz .LBB633_19
.LBB633_24:
	v_fma_f32 v0, -v8, v17, v2
	v_bfe_u32 v2, v0, 16, 1
	s_movk_i32 s6, 0x7fff
	v_add3_u32 v2, v0, v2, s6
	v_lshrrev_b32_e32 v2, 16, v2
	v_mov_b32_e32 v12, 0x7fc0
	v_cmp_o_f32_e64 s[6:7], v0, v0
	v_cndmask_b32_e64 v0, v12, v2, s[6:7]
	global_store_short v[10:11], v0, off offset:64
	s_or_b64 exec, exec, s[8:9]
	s_and_saveexec_b64 s[8:9], s[2:3]
	s_cbranch_execz .LBB633_20
.LBB633_25:
	v_fma_f32 v0, -v8, v21, v4
	v_bfe_u32 v2, v0, 16, 1
	s_movk_i32 s6, 0x7fff
	v_add3_u32 v2, v0, v2, s6
	v_lshrrev_b32_e32 v2, 16, v2
	v_mov_b32_e32 v4, 0x7fc0
	v_cmp_o_f32_e64 s[6:7], v0, v0
	v_cndmask_b32_e64 v0, v4, v2, s[6:7]
	global_store_short v[10:11], v0, off offset:128
	s_or_b64 exec, exec, s[8:9]
	s_and_saveexec_b64 s[8:9], s[4:5]
	s_cbranch_execz .LBB633_21
.LBB633_26:
	v_fma_f32 v0, -v8, v18, v6
	v_bfe_u32 v2, v0, 16, 1
	s_movk_i32 s6, 0x7fff
	v_add3_u32 v2, v0, v2, s6
	v_lshrrev_b32_e32 v2, 16, v2
	v_mov_b32_e32 v4, 0x7fc0
	v_cmp_o_f32_e64 s[6:7], v0, v0
	v_cndmask_b32_e64 v0, v4, v2, s[6:7]
	global_store_short v[10:11], v0, off offset:192
	s_or_b64 exec, exec, s[8:9]
	v_cmp_ne_u32_e64 s[6:7], 1, v16
	s_and_b64 exec, exec, s[6:7]
	s_cbranch_execz .LBB633_22
.LBB633_27:
	s_ashr_i32 s15, s14, 31
	s_lshl_b64 s[6:7], s[14:15], 1
	v_mov_b32_e32 v0, s7
	v_add_co_u32_e64 v10, s[6:7], s6, v10
	v_addc_co_u32_e64 v11, s[6:7], v11, v0, s[6:7]
	s_and_saveexec_b64 s[6:7], vcc
	s_cbranch_execnz .LBB633_31
; %bb.28:
	s_or_b64 exec, exec, s[6:7]
	s_and_saveexec_b64 s[6:7], s[0:1]
	s_cbranch_execnz .LBB633_32
.LBB633_29:
	s_or_b64 exec, exec, s[6:7]
	s_and_saveexec_b64 s[0:1], s[2:3]
	s_cbranch_execnz .LBB633_33
.LBB633_30:
	s_or_b64 exec, exec, s[0:1]
	s_and_b64 exec, exec, s[4:5]
	s_cbranch_execz .LBB633_22
	s_branch .LBB633_34
.LBB633_31:
	v_fma_f32 v0, -v9, v22, v1
	v_bfe_u32 v1, v0, 16, 1
	s_movk_i32 s8, 0x7fff
	v_add3_u32 v1, v0, v1, s8
	v_lshrrev_b32_e32 v1, 16, v1
	v_mov_b32_e32 v2, 0x7fc0
	v_cmp_o_f32_e32 vcc, v0, v0
	v_cndmask_b32_e32 v0, v2, v1, vcc
	global_store_short v[10:11], v0, off
	s_or_b64 exec, exec, s[6:7]
	s_and_saveexec_b64 s[6:7], s[0:1]
	s_cbranch_execz .LBB633_29
.LBB633_32:
	v_fma_f32 v0, -v9, v19, v3
	v_bfe_u32 v1, v0, 16, 1
	s_movk_i32 s0, 0x7fff
	v_add3_u32 v1, v0, v1, s0
	v_lshrrev_b32_e32 v1, 16, v1
	v_mov_b32_e32 v2, 0x7fc0
	v_cmp_o_f32_e32 vcc, v0, v0
	v_cndmask_b32_e32 v0, v2, v1, vcc
	global_store_short v[10:11], v0, off offset:64
	s_or_b64 exec, exec, s[6:7]
	s_and_saveexec_b64 s[0:1], s[2:3]
	s_cbranch_execz .LBB633_30
.LBB633_33:
	v_fma_f32 v0, -v9, v24, v5
	v_bfe_u32 v1, v0, 16, 1
	s_movk_i32 s2, 0x7fff
	v_add3_u32 v1, v0, v1, s2
	v_lshrrev_b32_e32 v1, 16, v1
	v_mov_b32_e32 v2, 0x7fc0
	v_cmp_o_f32_e32 vcc, v0, v0
	v_cndmask_b32_e32 v0, v2, v1, vcc
	global_store_short v[10:11], v0, off offset:128
	s_or_b64 exec, exec, s[0:1]
	s_and_b64 exec, exec, s[4:5]
	s_cbranch_execz .LBB633_22
.LBB633_34:
	v_fma_f32 v0, -v9, v23, v7
	v_bfe_u32 v1, v0, 16, 1
	s_movk_i32 s0, 0x7fff
	v_add3_u32 v1, v0, v1, s0
	v_lshrrev_b32_e32 v1, 16, v1
	v_mov_b32_e32 v2, 0x7fc0
	v_cmp_o_f32_e32 vcc, v0, v0
	v_cndmask_b32_e32 v0, v2, v1, vcc
	global_store_short v[10:11], v0, off offset:192
	s_endpgm
	.section	.rodata,"a",@progbits
	.p2align	6, 0x0
	.amdhsa_kernel _ZN12_GLOBAL__N_121softmax_warp_backwardIN3c108BFloat16ES2_fLi7ELb0ELb0ELi32EEEvPT0_PKT_S7_iiiPKb
		.amdhsa_group_segment_fixed_size 0
		.amdhsa_private_segment_fixed_size 0
		.amdhsa_kernarg_size 304
		.amdhsa_user_sgpr_count 6
		.amdhsa_user_sgpr_private_segment_buffer 1
		.amdhsa_user_sgpr_dispatch_ptr 0
		.amdhsa_user_sgpr_queue_ptr 0
		.amdhsa_user_sgpr_kernarg_segment_ptr 1
		.amdhsa_user_sgpr_dispatch_id 0
		.amdhsa_user_sgpr_flat_scratch_init 0
		.amdhsa_user_sgpr_kernarg_preload_length 0
		.amdhsa_user_sgpr_kernarg_preload_offset 0
		.amdhsa_user_sgpr_private_segment_size 0
		.amdhsa_uses_dynamic_stack 0
		.amdhsa_system_sgpr_private_segment_wavefront_offset 0
		.amdhsa_system_sgpr_workgroup_id_x 1
		.amdhsa_system_sgpr_workgroup_id_y 0
		.amdhsa_system_sgpr_workgroup_id_z 0
		.amdhsa_system_sgpr_workgroup_info 0
		.amdhsa_system_vgpr_workitem_id 1
		.amdhsa_next_free_vgpr 26
		.amdhsa_next_free_sgpr 20
		.amdhsa_accum_offset 28
		.amdhsa_reserve_vcc 1
		.amdhsa_reserve_flat_scratch 0
		.amdhsa_float_round_mode_32 0
		.amdhsa_float_round_mode_16_64 0
		.amdhsa_float_denorm_mode_32 3
		.amdhsa_float_denorm_mode_16_64 3
		.amdhsa_dx10_clamp 1
		.amdhsa_ieee_mode 1
		.amdhsa_fp16_overflow 0
		.amdhsa_tg_split 0
		.amdhsa_exception_fp_ieee_invalid_op 0
		.amdhsa_exception_fp_denorm_src 0
		.amdhsa_exception_fp_ieee_div_zero 0
		.amdhsa_exception_fp_ieee_overflow 0
		.amdhsa_exception_fp_ieee_underflow 0
		.amdhsa_exception_fp_ieee_inexact 0
		.amdhsa_exception_int_div_zero 0
	.end_amdhsa_kernel
	.section	.text._ZN12_GLOBAL__N_121softmax_warp_backwardIN3c108BFloat16ES2_fLi7ELb0ELb0ELi32EEEvPT0_PKT_S7_iiiPKb,"axG",@progbits,_ZN12_GLOBAL__N_121softmax_warp_backwardIN3c108BFloat16ES2_fLi7ELb0ELb0ELi32EEEvPT0_PKT_S7_iiiPKb,comdat
.Lfunc_end633:
	.size	_ZN12_GLOBAL__N_121softmax_warp_backwardIN3c108BFloat16ES2_fLi7ELb0ELb0ELi32EEEvPT0_PKT_S7_iiiPKb, .Lfunc_end633-_ZN12_GLOBAL__N_121softmax_warp_backwardIN3c108BFloat16ES2_fLi7ELb0ELb0ELi32EEEvPT0_PKT_S7_iiiPKb
                                        ; -- End function
	.section	.AMDGPU.csdata,"",@progbits
; Kernel info:
; codeLenInByte = 1852
; NumSgprs: 24
; NumVgprs: 26
; NumAgprs: 0
; TotalNumVgprs: 26
; ScratchSize: 0
; MemoryBound: 0
; FloatMode: 240
; IeeeMode: 1
; LDSByteSize: 0 bytes/workgroup (compile time only)
; SGPRBlocks: 2
; VGPRBlocks: 3
; NumSGPRsForWavesPerEU: 24
; NumVGPRsForWavesPerEU: 26
; AccumOffset: 28
; Occupancy: 8
; WaveLimiterHint : 0
; COMPUTE_PGM_RSRC2:SCRATCH_EN: 0
; COMPUTE_PGM_RSRC2:USER_SGPR: 6
; COMPUTE_PGM_RSRC2:TRAP_HANDLER: 0
; COMPUTE_PGM_RSRC2:TGID_X_EN: 1
; COMPUTE_PGM_RSRC2:TGID_Y_EN: 0
; COMPUTE_PGM_RSRC2:TGID_Z_EN: 0
; COMPUTE_PGM_RSRC2:TIDIG_COMP_CNT: 1
; COMPUTE_PGM_RSRC3_GFX90A:ACCUM_OFFSET: 6
; COMPUTE_PGM_RSRC3_GFX90A:TG_SPLIT: 0
	.section	.text._ZN12_GLOBAL__N_121softmax_warp_backwardIN3c108BFloat16ES2_fLi8ELb0ELb0ELi64EEEvPT0_PKT_S7_iiiPKb,"axG",@progbits,_ZN12_GLOBAL__N_121softmax_warp_backwardIN3c108BFloat16ES2_fLi8ELb0ELb0ELi64EEEvPT0_PKT_S7_iiiPKb,comdat
	.globl	_ZN12_GLOBAL__N_121softmax_warp_backwardIN3c108BFloat16ES2_fLi8ELb0ELb0ELi64EEEvPT0_PKT_S7_iiiPKb ; -- Begin function _ZN12_GLOBAL__N_121softmax_warp_backwardIN3c108BFloat16ES2_fLi8ELb0ELb0ELi64EEEvPT0_PKT_S7_iiiPKb
	.p2align	8
	.type	_ZN12_GLOBAL__N_121softmax_warp_backwardIN3c108BFloat16ES2_fLi8ELb0ELb0ELi64EEEvPT0_PKT_S7_iiiPKb,@function
_ZN12_GLOBAL__N_121softmax_warp_backwardIN3c108BFloat16ES2_fLi8ELb0ELb0ELi64EEEvPT0_PKT_S7_iiiPKb: ; @_ZN12_GLOBAL__N_121softmax_warp_backwardIN3c108BFloat16ES2_fLi8ELb0ELb0ELi64EEEvPT0_PKT_S7_iiiPKb
; %bb.0:
	s_load_dword s2, s[4:5], 0x3c
	s_load_dwordx4 s[12:15], s[4:5], 0x18
	s_load_dwordx4 s[8:11], s[4:5], 0x0
	s_load_dwordx2 s[0:1], s[4:5], 0x10
	v_bfe_u32 v1, v0, 10, 10
	s_waitcnt lgkmcnt(0)
	s_lshr_b32 s2, s2, 16
	s_mul_i32 s6, s6, s2
	v_add_u32_e32 v1, s6, v1
	v_and_b32_e32 v6, 63, v0
	v_sub_u32_e32 v9, s12, v1
	v_mad_u64_u32 v[0:1], s[2:3], v1, s13, v[6:7]
	v_ashrrev_i32_e32 v1, 31, v0
	v_lshlrev_b64 v[0:1], 1, v[0:1]
	v_mov_b32_e32 v3, s11
	v_add_co_u32_e32 v2, vcc, s10, v0
	v_addc_co_u32_e32 v3, vcc, v3, v1, vcc
	v_mov_b32_e32 v5, s1
	v_add_co_u32_e32 v4, vcc, s0, v0
	v_addc_co_u32_e32 v5, vcc, v5, v1, vcc
	v_cmp_lt_i32_e64 s[6:7], 0, v9
	v_cmp_gt_i32_e32 vcc, s14, v6
	s_and_b64 s[2:3], s[6:7], vcc
	v_mov_b32_e32 v7, 0
	v_mov_b32_e32 v10, 0
	;; [unrolled: 1-line block ×3, first 2 shown]
	s_and_saveexec_b64 s[0:1], s[2:3]
	s_cbranch_execz .LBB634_2
; %bb.1:
	global_load_ushort v8, v[4:5], off
	global_load_ushort v11, v[2:3], off
	s_waitcnt vmcnt(1)
	v_lshlrev_b32_e32 v10, 16, v8
	s_waitcnt vmcnt(0)
	v_lshlrev_b32_e32 v11, 16, v11
.LBB634_2:
	s_or_b64 exec, exec, s[0:1]
	v_or_b32_e32 v8, 64, v6
	v_cmp_gt_i32_e64 s[0:1], s14, v8
	s_and_b64 s[4:5], s[6:7], s[0:1]
	v_mov_b32_e32 v12, 0
	s_and_saveexec_b64 s[2:3], s[4:5]
	s_cbranch_execz .LBB634_4
; %bb.3:
	global_load_ushort v7, v[4:5], off offset:128
	global_load_ushort v8, v[2:3], off offset:128
	s_waitcnt vmcnt(1)
	v_lshlrev_b32_e32 v7, 16, v7
	s_waitcnt vmcnt(0)
	v_lshlrev_b32_e32 v12, 16, v8
.LBB634_4:
	s_or_b64 exec, exec, s[2:3]
	v_or_b32_e32 v8, 0x80, v6
	v_cmp_gt_i32_e64 s[2:3], s14, v8
	s_and_b64 s[10:11], s[6:7], s[2:3]
	v_mov_b32_e32 v8, 0
	v_mov_b32_e32 v13, 0
	v_mov_b32_e32 v14, 0
	s_and_saveexec_b64 s[4:5], s[10:11]
	s_cbranch_execz .LBB634_6
; %bb.5:
	global_load_ushort v13, v[4:5], off offset:256
	global_load_ushort v14, v[2:3], off offset:256
	s_waitcnt vmcnt(1)
	v_lshlrev_b32_e32 v13, 16, v13
	s_waitcnt vmcnt(0)
	v_lshlrev_b32_e32 v14, 16, v14
.LBB634_6:
	s_or_b64 exec, exec, s[4:5]
	v_or_b32_e32 v6, 0xc0, v6
	v_cmp_gt_i32_e64 s[4:5], s14, v6
	s_and_b64 s[10:11], s[6:7], s[4:5]
	v_mov_b32_e32 v6, 0
	s_and_saveexec_b64 s[6:7], s[10:11]
	s_cbranch_execz .LBB634_8
; %bb.7:
	global_load_ushort v6, v[4:5], off offset:384
	global_load_ushort v15, v[2:3], off offset:384
	s_waitcnt vmcnt(1)
	v_lshlrev_b32_e32 v8, 16, v6
	s_waitcnt vmcnt(0)
	v_lshlrev_b32_e32 v6, 16, v15
.LBB634_8:
	s_or_b64 exec, exec, s[6:7]
	v_mbcnt_lo_u32_b32 v3, -1, 0
	v_mbcnt_hi_u32_b32 v3, -1, v3
	v_and_b32_e32 v4, 64, v3
	v_add_f32_e32 v2, 0, v11
	v_add_u32_e32 v4, 64, v4
	v_xor_b32_e32 v5, 32, v3
	v_add_f32_e32 v2, v2, v12
	v_cmp_lt_i32_e64 s[6:7], v5, v4
	v_add_f32_e32 v2, v2, v14
	v_cndmask_b32_e64 v5, v3, v5, s[6:7]
	v_add_f32_e32 v2, v2, v6
	v_lshlrev_b32_e32 v5, 2, v5
	ds_bpermute_b32 v5, v5, v2
	s_waitcnt lgkmcnt(0)
	v_add_f32_e32 v2, v2, v5
	v_xor_b32_e32 v5, 16, v3
	v_cmp_lt_i32_e64 s[6:7], v5, v4
	v_cndmask_b32_e64 v5, v3, v5, s[6:7]
	v_lshlrev_b32_e32 v5, 2, v5
	ds_bpermute_b32 v5, v5, v2
	s_waitcnt lgkmcnt(0)
	v_add_f32_e32 v2, v2, v5
	v_xor_b32_e32 v5, 8, v3
	v_cmp_lt_i32_e64 s[6:7], v5, v4
	v_cndmask_b32_e64 v5, v3, v5, s[6:7]
	;; [unrolled: 7-line block ×5, first 2 shown]
	v_lshlrev_b32_e32 v3, 2, v3
	ds_bpermute_b32 v3, v3, v2
	v_cmp_lt_i32_e64 s[6:7], 0, v9
	s_and_saveexec_b64 s[10:11], s[6:7]
	s_cbranch_execz .LBB634_14
; %bb.9:
	v_mov_b32_e32 v4, s9
	v_add_co_u32_e64 v0, s[6:7], s8, v0
	v_addc_co_u32_e64 v1, s[6:7], v4, v1, s[6:7]
	s_waitcnt lgkmcnt(0)
	v_add_f32_e32 v2, v2, v3
	s_and_saveexec_b64 s[6:7], vcc
	s_cbranch_execnz .LBB634_15
; %bb.10:
	s_or_b64 exec, exec, s[6:7]
	s_and_saveexec_b64 s[6:7], s[0:1]
	s_cbranch_execnz .LBB634_16
.LBB634_11:
	s_or_b64 exec, exec, s[6:7]
	s_and_saveexec_b64 s[0:1], s[2:3]
	s_cbranch_execnz .LBB634_17
.LBB634_12:
	s_or_b64 exec, exec, s[0:1]
	s_and_b64 exec, exec, s[4:5]
	s_cbranch_execz .LBB634_14
.LBB634_13:
	v_fma_f32 v2, -v2, v8, v6
	v_bfe_u32 v3, v2, 16, 1
	s_movk_i32 s0, 0x7fff
	v_add3_u32 v3, v2, v3, s0
	v_lshrrev_b32_e32 v3, 16, v3
	v_mov_b32_e32 v4, 0x7fc0
	v_cmp_o_f32_e32 vcc, v2, v2
	v_cndmask_b32_e32 v2, v4, v3, vcc
	global_store_short v[0:1], v2, off offset:384
.LBB634_14:
	s_endpgm
.LBB634_15:
	v_fma_f32 v3, -v2, v10, v11
	v_bfe_u32 v4, v3, 16, 1
	s_movk_i32 s8, 0x7fff
	v_add3_u32 v4, v3, v4, s8
	v_lshrrev_b32_e32 v4, 16, v4
	v_mov_b32_e32 v5, 0x7fc0
	v_cmp_o_f32_e32 vcc, v3, v3
	v_cndmask_b32_e32 v3, v5, v4, vcc
	global_store_short v[0:1], v3, off
	s_or_b64 exec, exec, s[6:7]
	s_and_saveexec_b64 s[6:7], s[0:1]
	s_cbranch_execz .LBB634_11
.LBB634_16:
	v_fma_f32 v3, -v2, v7, v12
	v_bfe_u32 v4, v3, 16, 1
	s_movk_i32 s0, 0x7fff
	v_add3_u32 v4, v3, v4, s0
	v_lshrrev_b32_e32 v4, 16, v4
	v_mov_b32_e32 v5, 0x7fc0
	v_cmp_o_f32_e32 vcc, v3, v3
	v_cndmask_b32_e32 v3, v5, v4, vcc
	global_store_short v[0:1], v3, off offset:128
	s_or_b64 exec, exec, s[6:7]
	s_and_saveexec_b64 s[0:1], s[2:3]
	s_cbranch_execz .LBB634_12
.LBB634_17:
	v_fma_f32 v3, -v2, v13, v14
	v_bfe_u32 v4, v3, 16, 1
	s_movk_i32 s2, 0x7fff
	v_add3_u32 v4, v3, v4, s2
	v_lshrrev_b32_e32 v4, 16, v4
	v_mov_b32_e32 v5, 0x7fc0
	v_cmp_o_f32_e32 vcc, v3, v3
	v_cndmask_b32_e32 v3, v5, v4, vcc
	global_store_short v[0:1], v3, off offset:256
	s_or_b64 exec, exec, s[0:1]
	s_and_b64 exec, exec, s[4:5]
	s_cbranch_execnz .LBB634_13
	s_branch .LBB634_14
	.section	.rodata,"a",@progbits
	.p2align	6, 0x0
	.amdhsa_kernel _ZN12_GLOBAL__N_121softmax_warp_backwardIN3c108BFloat16ES2_fLi8ELb0ELb0ELi64EEEvPT0_PKT_S7_iiiPKb
		.amdhsa_group_segment_fixed_size 0
		.amdhsa_private_segment_fixed_size 0
		.amdhsa_kernarg_size 304
		.amdhsa_user_sgpr_count 6
		.amdhsa_user_sgpr_private_segment_buffer 1
		.amdhsa_user_sgpr_dispatch_ptr 0
		.amdhsa_user_sgpr_queue_ptr 0
		.amdhsa_user_sgpr_kernarg_segment_ptr 1
		.amdhsa_user_sgpr_dispatch_id 0
		.amdhsa_user_sgpr_flat_scratch_init 0
		.amdhsa_user_sgpr_kernarg_preload_length 0
		.amdhsa_user_sgpr_kernarg_preload_offset 0
		.amdhsa_user_sgpr_private_segment_size 0
		.amdhsa_uses_dynamic_stack 0
		.amdhsa_system_sgpr_private_segment_wavefront_offset 0
		.amdhsa_system_sgpr_workgroup_id_x 1
		.amdhsa_system_sgpr_workgroup_id_y 0
		.amdhsa_system_sgpr_workgroup_id_z 0
		.amdhsa_system_sgpr_workgroup_info 0
		.amdhsa_system_vgpr_workitem_id 1
		.amdhsa_next_free_vgpr 16
		.amdhsa_next_free_sgpr 16
		.amdhsa_accum_offset 16
		.amdhsa_reserve_vcc 1
		.amdhsa_reserve_flat_scratch 0
		.amdhsa_float_round_mode_32 0
		.amdhsa_float_round_mode_16_64 0
		.amdhsa_float_denorm_mode_32 3
		.amdhsa_float_denorm_mode_16_64 3
		.amdhsa_dx10_clamp 1
		.amdhsa_ieee_mode 1
		.amdhsa_fp16_overflow 0
		.amdhsa_tg_split 0
		.amdhsa_exception_fp_ieee_invalid_op 0
		.amdhsa_exception_fp_denorm_src 0
		.amdhsa_exception_fp_ieee_div_zero 0
		.amdhsa_exception_fp_ieee_overflow 0
		.amdhsa_exception_fp_ieee_underflow 0
		.amdhsa_exception_fp_ieee_inexact 0
		.amdhsa_exception_int_div_zero 0
	.end_amdhsa_kernel
	.section	.text._ZN12_GLOBAL__N_121softmax_warp_backwardIN3c108BFloat16ES2_fLi8ELb0ELb0ELi64EEEvPT0_PKT_S7_iiiPKb,"axG",@progbits,_ZN12_GLOBAL__N_121softmax_warp_backwardIN3c108BFloat16ES2_fLi8ELb0ELb0ELi64EEEvPT0_PKT_S7_iiiPKb,comdat
.Lfunc_end634:
	.size	_ZN12_GLOBAL__N_121softmax_warp_backwardIN3c108BFloat16ES2_fLi8ELb0ELb0ELi64EEEvPT0_PKT_S7_iiiPKb, .Lfunc_end634-_ZN12_GLOBAL__N_121softmax_warp_backwardIN3c108BFloat16ES2_fLi8ELb0ELb0ELi64EEEvPT0_PKT_S7_iiiPKb
                                        ; -- End function
	.section	.AMDGPU.csdata,"",@progbits
; Kernel info:
; codeLenInByte = 1016
; NumSgprs: 20
; NumVgprs: 16
; NumAgprs: 0
; TotalNumVgprs: 16
; ScratchSize: 0
; MemoryBound: 0
; FloatMode: 240
; IeeeMode: 1
; LDSByteSize: 0 bytes/workgroup (compile time only)
; SGPRBlocks: 2
; VGPRBlocks: 1
; NumSGPRsForWavesPerEU: 20
; NumVGPRsForWavesPerEU: 16
; AccumOffset: 16
; Occupancy: 8
; WaveLimiterHint : 0
; COMPUTE_PGM_RSRC2:SCRATCH_EN: 0
; COMPUTE_PGM_RSRC2:USER_SGPR: 6
; COMPUTE_PGM_RSRC2:TRAP_HANDLER: 0
; COMPUTE_PGM_RSRC2:TGID_X_EN: 1
; COMPUTE_PGM_RSRC2:TGID_Y_EN: 0
; COMPUTE_PGM_RSRC2:TGID_Z_EN: 0
; COMPUTE_PGM_RSRC2:TIDIG_COMP_CNT: 1
; COMPUTE_PGM_RSRC3_GFX90A:ACCUM_OFFSET: 3
; COMPUTE_PGM_RSRC3_GFX90A:TG_SPLIT: 0
	.section	.text._ZN12_GLOBAL__N_121softmax_warp_backwardIN3c108BFloat16ES2_fLi8ELb0ELb0ELi32EEEvPT0_PKT_S7_iiiPKb,"axG",@progbits,_ZN12_GLOBAL__N_121softmax_warp_backwardIN3c108BFloat16ES2_fLi8ELb0ELb0ELi32EEEvPT0_PKT_S7_iiiPKb,comdat
	.globl	_ZN12_GLOBAL__N_121softmax_warp_backwardIN3c108BFloat16ES2_fLi8ELb0ELb0ELi32EEEvPT0_PKT_S7_iiiPKb ; -- Begin function _ZN12_GLOBAL__N_121softmax_warp_backwardIN3c108BFloat16ES2_fLi8ELb0ELb0ELi32EEEvPT0_PKT_S7_iiiPKb
	.p2align	8
	.type	_ZN12_GLOBAL__N_121softmax_warp_backwardIN3c108BFloat16ES2_fLi8ELb0ELb0ELi32EEEvPT0_PKT_S7_iiiPKb,@function
_ZN12_GLOBAL__N_121softmax_warp_backwardIN3c108BFloat16ES2_fLi8ELb0ELb0ELi32EEEvPT0_PKT_S7_iiiPKb: ; @_ZN12_GLOBAL__N_121softmax_warp_backwardIN3c108BFloat16ES2_fLi8ELb0ELb0ELi32EEEvPT0_PKT_S7_iiiPKb
; %bb.0:
	s_load_dword s2, s[4:5], 0x3c
	s_load_dwordx4 s[20:23], s[4:5], 0x18
	s_load_dwordx4 s[16:19], s[4:5], 0x0
	s_load_dwordx2 s[0:1], s[4:5], 0x10
	v_bfe_u32 v1, v0, 10, 10
	s_waitcnt lgkmcnt(0)
	s_lshr_b32 s2, s2, 16
	s_mul_i32 s6, s6, s2
	v_add_u32_e32 v1, s6, v1
	v_and_b32_e32 v6, 31, v0
	v_sub_u32_e32 v9, s20, v1
	v_mad_u64_u32 v[0:1], s[2:3], v1, s21, v[6:7]
	v_ashrrev_i32_e32 v1, 31, v0
	v_lshlrev_b64 v[0:1], 1, v[0:1]
	v_mov_b32_e32 v3, s19
	v_add_co_u32_e32 v2, vcc, s18, v0
	v_addc_co_u32_e32 v3, vcc, v3, v1, vcc
	v_mov_b32_e32 v5, s1
	v_add_co_u32_e32 v4, vcc, s0, v0
	v_addc_co_u32_e32 v5, vcc, v5, v1, vcc
	v_cmp_lt_i32_e64 s[14:15], 0, v9
	v_cmp_gt_i32_e32 vcc, s22, v6
	s_and_b64 s[2:3], s[14:15], vcc
	v_mov_b32_e32 v7, 0
	v_mov_b32_e32 v11, 0
	;; [unrolled: 1-line block ×3, first 2 shown]
	s_and_saveexec_b64 s[0:1], s[2:3]
	s_cbranch_execz .LBB635_2
; %bb.1:
	global_load_ushort v8, v[4:5], off
	global_load_ushort v10, v[2:3], off
	s_waitcnt vmcnt(1)
	v_lshlrev_b32_e32 v11, 16, v8
	s_waitcnt vmcnt(0)
	v_lshlrev_b32_e32 v12, 16, v10
.LBB635_2:
	s_or_b64 exec, exec, s[0:1]
	v_or_b32_e32 v8, 32, v6
	v_cmp_gt_i32_e64 s[0:1], s22, v8
	s_and_b64 s[4:5], s[14:15], s[0:1]
	v_mov_b32_e32 v13, 0
	s_and_saveexec_b64 s[2:3], s[4:5]
	s_cbranch_execz .LBB635_4
; %bb.3:
	global_load_ushort v7, v[4:5], off offset:64
	global_load_ushort v8, v[2:3], off offset:64
	s_waitcnt vmcnt(1)
	v_lshlrev_b32_e32 v7, 16, v7
	s_waitcnt vmcnt(0)
	v_lshlrev_b32_e32 v13, 16, v8
.LBB635_4:
	s_or_b64 exec, exec, s[2:3]
	v_or_b32_e32 v8, 64, v6
	v_cmp_gt_i32_e64 s[2:3], s22, v8
	s_and_b64 s[6:7], s[14:15], s[2:3]
	v_mov_b32_e32 v8, 0
	v_mov_b32_e32 v14, 0
	v_mov_b32_e32 v16, 0
	s_and_saveexec_b64 s[4:5], s[6:7]
	s_cbranch_execz .LBB635_6
; %bb.5:
	global_load_ushort v10, v[4:5], off offset:128
	global_load_ushort v15, v[2:3], off offset:128
	s_waitcnt vmcnt(1)
	v_lshlrev_b32_e32 v14, 16, v10
	s_waitcnt vmcnt(0)
	v_lshlrev_b32_e32 v16, 16, v15
.LBB635_6:
	s_or_b64 exec, exec, s[4:5]
	v_or_b32_e32 v10, 0x60, v6
	v_cmp_gt_i32_e64 s[4:5], s22, v10
	s_and_b64 s[8:9], s[14:15], s[4:5]
	v_mov_b32_e32 v17, 0
	s_and_saveexec_b64 s[6:7], s[8:9]
	s_cbranch_execz .LBB635_8
; %bb.7:
	global_load_ushort v8, v[4:5], off offset:192
	global_load_ushort v10, v[2:3], off offset:192
	s_waitcnt vmcnt(1)
	v_lshlrev_b32_e32 v8, 16, v8
	s_waitcnt vmcnt(0)
	v_lshlrev_b32_e32 v17, 16, v10
.LBB635_8:
	s_or_b64 exec, exec, s[6:7]
	v_or_b32_e32 v10, 0x80, v6
	v_cmp_gt_i32_e64 s[6:7], s22, v10
	s_and_b64 s[10:11], s[14:15], s[6:7]
	v_mov_b32_e32 v10, 0
	v_mov_b32_e32 v18, 0
	v_mov_b32_e32 v19, 0
	s_and_saveexec_b64 s[8:9], s[10:11]
	s_cbranch_execz .LBB635_10
; %bb.9:
	global_load_ushort v15, v[4:5], off offset:256
	global_load_ushort v19, v[2:3], off offset:256
	s_waitcnt vmcnt(1)
	v_lshlrev_b32_e32 v18, 16, v15
	s_waitcnt vmcnt(0)
	v_lshlrev_b32_e32 v19, 16, v19
.LBB635_10:
	;; [unrolled: 32-line block ×3, first 2 shown]
	s_or_b64 exec, exec, s[12:13]
	v_or_b32_e32 v6, 0xe0, v6
	v_cmp_gt_i32_e64 s[12:13], s22, v6
	s_and_b64 s[18:19], s[14:15], s[12:13]
	v_mov_b32_e32 v6, 0
	s_and_saveexec_b64 s[14:15], s[18:19]
	s_cbranch_execz .LBB635_16
; %bb.15:
	global_load_ushort v6, v[4:5], off offset:448
	global_load_ushort v23, v[2:3], off offset:448
	s_waitcnt vmcnt(1)
	v_lshlrev_b32_e32 v15, 16, v6
	s_waitcnt vmcnt(0)
	v_lshlrev_b32_e32 v6, 16, v23
.LBB635_16:
	s_or_b64 exec, exec, s[14:15]
	v_add_f32_e32 v2, 0, v12
	v_add_f32_e32 v2, v2, v13
	v_mbcnt_lo_u32_b32 v3, -1, 0
	v_add_f32_e32 v2, v2, v16
	v_mbcnt_hi_u32_b32 v3, -1, v3
	v_add_f32_e32 v2, v2, v17
	v_and_b32_e32 v4, 0x60, v3
	v_add_f32_e32 v2, v2, v19
	v_add_u32_e32 v4, 32, v4
	v_xor_b32_e32 v5, 16, v3
	v_add_f32_e32 v2, v2, v20
	v_cmp_lt_i32_e64 s[14:15], v5, v4
	v_add_f32_e32 v2, v2, v22
	v_cndmask_b32_e64 v5, v3, v5, s[14:15]
	v_add_f32_e32 v2, v2, v6
	v_lshlrev_b32_e32 v5, 2, v5
	ds_bpermute_b32 v5, v5, v2
	s_waitcnt lgkmcnt(0)
	v_add_f32_e32 v2, v2, v5
	v_xor_b32_e32 v5, 8, v3
	v_cmp_lt_i32_e64 s[14:15], v5, v4
	v_cndmask_b32_e64 v5, v3, v5, s[14:15]
	v_lshlrev_b32_e32 v5, 2, v5
	ds_bpermute_b32 v5, v5, v2
	s_waitcnt lgkmcnt(0)
	v_add_f32_e32 v2, v2, v5
	v_xor_b32_e32 v5, 4, v3
	v_cmp_lt_i32_e64 s[14:15], v5, v4
	v_cndmask_b32_e64 v5, v3, v5, s[14:15]
	;; [unrolled: 7-line block ×4, first 2 shown]
	v_lshlrev_b32_e32 v3, 2, v3
	ds_bpermute_b32 v3, v3, v2
	v_cmp_lt_i32_e64 s[14:15], 0, v9
	s_and_saveexec_b64 s[18:19], s[14:15]
	s_cbranch_execz .LBB635_26
; %bb.17:
	v_mov_b32_e32 v4, s17
	v_add_co_u32_e64 v0, s[14:15], s16, v0
	v_addc_co_u32_e64 v1, s[14:15], v4, v1, s[14:15]
	s_waitcnt lgkmcnt(0)
	v_add_f32_e32 v2, v2, v3
	s_and_saveexec_b64 s[14:15], vcc
	s_cbranch_execnz .LBB635_27
; %bb.18:
	s_or_b64 exec, exec, s[14:15]
	s_and_saveexec_b64 s[14:15], s[0:1]
	s_cbranch_execnz .LBB635_28
.LBB635_19:
	s_or_b64 exec, exec, s[14:15]
	s_and_saveexec_b64 s[0:1], s[2:3]
	s_cbranch_execnz .LBB635_29
.LBB635_20:
	s_or_b64 exec, exec, s[0:1]
	s_and_saveexec_b64 s[0:1], s[4:5]
	s_cbranch_execnz .LBB635_30
.LBB635_21:
	s_or_b64 exec, exec, s[0:1]
	s_and_saveexec_b64 s[0:1], s[6:7]
	s_cbranch_execnz .LBB635_31
.LBB635_22:
	s_or_b64 exec, exec, s[0:1]
	s_and_saveexec_b64 s[0:1], s[8:9]
	s_cbranch_execnz .LBB635_32
.LBB635_23:
	s_or_b64 exec, exec, s[0:1]
	s_and_saveexec_b64 s[0:1], s[10:11]
	s_cbranch_execnz .LBB635_33
.LBB635_24:
	s_or_b64 exec, exec, s[0:1]
	s_and_b64 exec, exec, s[12:13]
	s_cbranch_execz .LBB635_26
.LBB635_25:
	v_fma_f32 v2, -v2, v15, v6
	v_bfe_u32 v3, v2, 16, 1
	s_movk_i32 s0, 0x7fff
	v_add3_u32 v3, v2, v3, s0
	v_lshrrev_b32_e32 v3, 16, v3
	v_mov_b32_e32 v4, 0x7fc0
	v_cmp_o_f32_e32 vcc, v2, v2
	v_cndmask_b32_e32 v2, v4, v3, vcc
	global_store_short v[0:1], v2, off offset:448
.LBB635_26:
	s_endpgm
.LBB635_27:
	v_fma_f32 v3, -v2, v11, v12
	v_bfe_u32 v4, v3, 16, 1
	s_movk_i32 s16, 0x7fff
	v_add3_u32 v4, v3, v4, s16
	v_lshrrev_b32_e32 v4, 16, v4
	v_mov_b32_e32 v5, 0x7fc0
	v_cmp_o_f32_e32 vcc, v3, v3
	v_cndmask_b32_e32 v3, v5, v4, vcc
	global_store_short v[0:1], v3, off
	s_or_b64 exec, exec, s[14:15]
	s_and_saveexec_b64 s[14:15], s[0:1]
	s_cbranch_execz .LBB635_19
.LBB635_28:
	v_fma_f32 v3, -v2, v7, v13
	v_bfe_u32 v4, v3, 16, 1
	s_movk_i32 s0, 0x7fff
	v_add3_u32 v4, v3, v4, s0
	v_lshrrev_b32_e32 v4, 16, v4
	v_mov_b32_e32 v5, 0x7fc0
	v_cmp_o_f32_e32 vcc, v3, v3
	v_cndmask_b32_e32 v3, v5, v4, vcc
	global_store_short v[0:1], v3, off offset:64
	s_or_b64 exec, exec, s[14:15]
	s_and_saveexec_b64 s[0:1], s[2:3]
	s_cbranch_execz .LBB635_20
.LBB635_29:
	v_fma_f32 v3, -v2, v14, v16
	v_bfe_u32 v4, v3, 16, 1
	s_movk_i32 s2, 0x7fff
	v_add3_u32 v4, v3, v4, s2
	v_lshrrev_b32_e32 v4, 16, v4
	v_mov_b32_e32 v5, 0x7fc0
	v_cmp_o_f32_e32 vcc, v3, v3
	v_cndmask_b32_e32 v3, v5, v4, vcc
	global_store_short v[0:1], v3, off offset:128
	s_or_b64 exec, exec, s[0:1]
	s_and_saveexec_b64 s[0:1], s[4:5]
	s_cbranch_execz .LBB635_21
.LBB635_30:
	v_fma_f32 v3, -v2, v8, v17
	v_bfe_u32 v4, v3, 16, 1
	s_movk_i32 s2, 0x7fff
	v_add3_u32 v4, v3, v4, s2
	v_lshrrev_b32_e32 v4, 16, v4
	v_mov_b32_e32 v5, 0x7fc0
	v_cmp_o_f32_e32 vcc, v3, v3
	v_cndmask_b32_e32 v3, v5, v4, vcc
	global_store_short v[0:1], v3, off offset:192
	s_or_b64 exec, exec, s[0:1]
	s_and_saveexec_b64 s[0:1], s[6:7]
	s_cbranch_execz .LBB635_22
.LBB635_31:
	v_fma_f32 v3, -v2, v18, v19
	v_bfe_u32 v4, v3, 16, 1
	s_movk_i32 s2, 0x7fff
	v_add3_u32 v4, v3, v4, s2
	v_lshrrev_b32_e32 v4, 16, v4
	v_mov_b32_e32 v5, 0x7fc0
	v_cmp_o_f32_e32 vcc, v3, v3
	v_cndmask_b32_e32 v3, v5, v4, vcc
	global_store_short v[0:1], v3, off offset:256
	s_or_b64 exec, exec, s[0:1]
	s_and_saveexec_b64 s[0:1], s[8:9]
	s_cbranch_execz .LBB635_23
.LBB635_32:
	v_fma_f32 v3, -v2, v10, v20
	v_bfe_u32 v4, v3, 16, 1
	s_movk_i32 s2, 0x7fff
	v_add3_u32 v4, v3, v4, s2
	v_lshrrev_b32_e32 v4, 16, v4
	v_mov_b32_e32 v5, 0x7fc0
	v_cmp_o_f32_e32 vcc, v3, v3
	v_cndmask_b32_e32 v3, v5, v4, vcc
	global_store_short v[0:1], v3, off offset:320
	s_or_b64 exec, exec, s[0:1]
	s_and_saveexec_b64 s[0:1], s[10:11]
	s_cbranch_execz .LBB635_24
.LBB635_33:
	v_fma_f32 v3, -v2, v21, v22
	v_bfe_u32 v4, v3, 16, 1
	s_movk_i32 s2, 0x7fff
	v_add3_u32 v4, v3, v4, s2
	v_lshrrev_b32_e32 v4, 16, v4
	v_mov_b32_e32 v5, 0x7fc0
	v_cmp_o_f32_e32 vcc, v3, v3
	v_cndmask_b32_e32 v3, v5, v4, vcc
	global_store_short v[0:1], v3, off offset:384
	s_or_b64 exec, exec, s[0:1]
	s_and_b64 exec, exec, s[12:13]
	s_cbranch_execnz .LBB635_25
	s_branch .LBB635_26
	.section	.rodata,"a",@progbits
	.p2align	6, 0x0
	.amdhsa_kernel _ZN12_GLOBAL__N_121softmax_warp_backwardIN3c108BFloat16ES2_fLi8ELb0ELb0ELi32EEEvPT0_PKT_S7_iiiPKb
		.amdhsa_group_segment_fixed_size 0
		.amdhsa_private_segment_fixed_size 0
		.amdhsa_kernarg_size 304
		.amdhsa_user_sgpr_count 6
		.amdhsa_user_sgpr_private_segment_buffer 1
		.amdhsa_user_sgpr_dispatch_ptr 0
		.amdhsa_user_sgpr_queue_ptr 0
		.amdhsa_user_sgpr_kernarg_segment_ptr 1
		.amdhsa_user_sgpr_dispatch_id 0
		.amdhsa_user_sgpr_flat_scratch_init 0
		.amdhsa_user_sgpr_kernarg_preload_length 0
		.amdhsa_user_sgpr_kernarg_preload_offset 0
		.amdhsa_user_sgpr_private_segment_size 0
		.amdhsa_uses_dynamic_stack 0
		.amdhsa_system_sgpr_private_segment_wavefront_offset 0
		.amdhsa_system_sgpr_workgroup_id_x 1
		.amdhsa_system_sgpr_workgroup_id_y 0
		.amdhsa_system_sgpr_workgroup_id_z 0
		.amdhsa_system_sgpr_workgroup_info 0
		.amdhsa_system_vgpr_workitem_id 1
		.amdhsa_next_free_vgpr 24
		.amdhsa_next_free_sgpr 24
		.amdhsa_accum_offset 24
		.amdhsa_reserve_vcc 1
		.amdhsa_reserve_flat_scratch 0
		.amdhsa_float_round_mode_32 0
		.amdhsa_float_round_mode_16_64 0
		.amdhsa_float_denorm_mode_32 3
		.amdhsa_float_denorm_mode_16_64 3
		.amdhsa_dx10_clamp 1
		.amdhsa_ieee_mode 1
		.amdhsa_fp16_overflow 0
		.amdhsa_tg_split 0
		.amdhsa_exception_fp_ieee_invalid_op 0
		.amdhsa_exception_fp_denorm_src 0
		.amdhsa_exception_fp_ieee_div_zero 0
		.amdhsa_exception_fp_ieee_overflow 0
		.amdhsa_exception_fp_ieee_underflow 0
		.amdhsa_exception_fp_ieee_inexact 0
		.amdhsa_exception_int_div_zero 0
	.end_amdhsa_kernel
	.section	.text._ZN12_GLOBAL__N_121softmax_warp_backwardIN3c108BFloat16ES2_fLi8ELb0ELb0ELi32EEEvPT0_PKT_S7_iiiPKb,"axG",@progbits,_ZN12_GLOBAL__N_121softmax_warp_backwardIN3c108BFloat16ES2_fLi8ELb0ELb0ELi32EEEvPT0_PKT_S7_iiiPKb,comdat
.Lfunc_end635:
	.size	_ZN12_GLOBAL__N_121softmax_warp_backwardIN3c108BFloat16ES2_fLi8ELb0ELb0ELi32EEEvPT0_PKT_S7_iiiPKb, .Lfunc_end635-_ZN12_GLOBAL__N_121softmax_warp_backwardIN3c108BFloat16ES2_fLi8ELb0ELb0ELi32EEEvPT0_PKT_S7_iiiPKb
                                        ; -- End function
	.section	.AMDGPU.csdata,"",@progbits
; Kernel info:
; codeLenInByte = 1600
; NumSgprs: 28
; NumVgprs: 24
; NumAgprs: 0
; TotalNumVgprs: 24
; ScratchSize: 0
; MemoryBound: 0
; FloatMode: 240
; IeeeMode: 1
; LDSByteSize: 0 bytes/workgroup (compile time only)
; SGPRBlocks: 3
; VGPRBlocks: 2
; NumSGPRsForWavesPerEU: 28
; NumVGPRsForWavesPerEU: 24
; AccumOffset: 24
; Occupancy: 8
; WaveLimiterHint : 0
; COMPUTE_PGM_RSRC2:SCRATCH_EN: 0
; COMPUTE_PGM_RSRC2:USER_SGPR: 6
; COMPUTE_PGM_RSRC2:TRAP_HANDLER: 0
; COMPUTE_PGM_RSRC2:TGID_X_EN: 1
; COMPUTE_PGM_RSRC2:TGID_Y_EN: 0
; COMPUTE_PGM_RSRC2:TGID_Z_EN: 0
; COMPUTE_PGM_RSRC2:TIDIG_COMP_CNT: 1
; COMPUTE_PGM_RSRC3_GFX90A:ACCUM_OFFSET: 5
; COMPUTE_PGM_RSRC3_GFX90A:TG_SPLIT: 0
	.section	.text._ZN12_GLOBAL__N_121softmax_warp_backwardIN3c108BFloat16ES2_fLi9ELb0ELb0ELi64EEEvPT0_PKT_S7_iiiPKb,"axG",@progbits,_ZN12_GLOBAL__N_121softmax_warp_backwardIN3c108BFloat16ES2_fLi9ELb0ELb0ELi64EEEvPT0_PKT_S7_iiiPKb,comdat
	.globl	_ZN12_GLOBAL__N_121softmax_warp_backwardIN3c108BFloat16ES2_fLi9ELb0ELb0ELi64EEEvPT0_PKT_S7_iiiPKb ; -- Begin function _ZN12_GLOBAL__N_121softmax_warp_backwardIN3c108BFloat16ES2_fLi9ELb0ELb0ELi64EEEvPT0_PKT_S7_iiiPKb
	.p2align	8
	.type	_ZN12_GLOBAL__N_121softmax_warp_backwardIN3c108BFloat16ES2_fLi9ELb0ELb0ELi64EEEvPT0_PKT_S7_iiiPKb,@function
_ZN12_GLOBAL__N_121softmax_warp_backwardIN3c108BFloat16ES2_fLi9ELb0ELb0ELi64EEEvPT0_PKT_S7_iiiPKb: ; @_ZN12_GLOBAL__N_121softmax_warp_backwardIN3c108BFloat16ES2_fLi9ELb0ELb0ELi64EEEvPT0_PKT_S7_iiiPKb
; %bb.0:
	s_load_dword s2, s[4:5], 0x3c
	s_load_dwordx4 s[20:23], s[4:5], 0x18
	s_load_dwordx4 s[16:19], s[4:5], 0x0
	s_load_dwordx2 s[0:1], s[4:5], 0x10
	v_bfe_u32 v1, v0, 10, 10
	s_waitcnt lgkmcnt(0)
	s_lshr_b32 s2, s2, 16
	s_mul_i32 s6, s6, s2
	v_add_u32_e32 v1, s6, v1
	v_and_b32_e32 v6, 63, v0
	v_sub_u32_e32 v9, s20, v1
	v_mad_u64_u32 v[0:1], s[2:3], v1, s21, v[6:7]
	v_ashrrev_i32_e32 v1, 31, v0
	v_lshlrev_b64 v[0:1], 1, v[0:1]
	v_mov_b32_e32 v3, s19
	v_add_co_u32_e32 v2, vcc, s18, v0
	v_addc_co_u32_e32 v3, vcc, v3, v1, vcc
	v_mov_b32_e32 v5, s1
	v_add_co_u32_e32 v4, vcc, s0, v0
	v_addc_co_u32_e32 v5, vcc, v5, v1, vcc
	v_cmp_lt_i32_e64 s[14:15], 0, v9
	v_cmp_gt_i32_e32 vcc, s22, v6
	s_and_b64 s[2:3], s[14:15], vcc
	v_mov_b32_e32 v7, 0
	v_mov_b32_e32 v11, 0
	;; [unrolled: 1-line block ×3, first 2 shown]
	s_and_saveexec_b64 s[0:1], s[2:3]
	s_cbranch_execz .LBB636_2
; %bb.1:
	global_load_ushort v8, v[4:5], off
	global_load_ushort v10, v[2:3], off
	s_waitcnt vmcnt(1)
	v_lshlrev_b32_e32 v11, 16, v8
	s_waitcnt vmcnt(0)
	v_lshlrev_b32_e32 v12, 16, v10
.LBB636_2:
	s_or_b64 exec, exec, s[0:1]
	v_or_b32_e32 v8, 64, v6
	v_cmp_gt_i32_e64 s[0:1], s22, v8
	s_and_b64 s[4:5], s[14:15], s[0:1]
	v_mov_b32_e32 v13, 0
	s_and_saveexec_b64 s[2:3], s[4:5]
	s_cbranch_execz .LBB636_4
; %bb.3:
	global_load_ushort v7, v[4:5], off offset:128
	global_load_ushort v8, v[2:3], off offset:128
	s_waitcnt vmcnt(1)
	v_lshlrev_b32_e32 v7, 16, v7
	s_waitcnt vmcnt(0)
	v_lshlrev_b32_e32 v13, 16, v8
.LBB636_4:
	s_or_b64 exec, exec, s[2:3]
	v_or_b32_e32 v8, 0x80, v6
	v_cmp_gt_i32_e64 s[2:3], s22, v8
	s_and_b64 s[6:7], s[14:15], s[2:3]
	v_mov_b32_e32 v8, 0
	v_mov_b32_e32 v14, 0
	v_mov_b32_e32 v16, 0
	s_and_saveexec_b64 s[4:5], s[6:7]
	s_cbranch_execz .LBB636_6
; %bb.5:
	global_load_ushort v10, v[4:5], off offset:256
	global_load_ushort v15, v[2:3], off offset:256
	s_waitcnt vmcnt(1)
	v_lshlrev_b32_e32 v14, 16, v10
	s_waitcnt vmcnt(0)
	v_lshlrev_b32_e32 v16, 16, v15
.LBB636_6:
	s_or_b64 exec, exec, s[4:5]
	v_or_b32_e32 v10, 0xc0, v6
	v_cmp_gt_i32_e64 s[4:5], s22, v10
	s_and_b64 s[8:9], s[14:15], s[4:5]
	v_mov_b32_e32 v17, 0
	s_and_saveexec_b64 s[6:7], s[8:9]
	s_cbranch_execz .LBB636_8
; %bb.7:
	global_load_ushort v8, v[4:5], off offset:384
	global_load_ushort v10, v[2:3], off offset:384
	s_waitcnt vmcnt(1)
	v_lshlrev_b32_e32 v8, 16, v8
	s_waitcnt vmcnt(0)
	v_lshlrev_b32_e32 v17, 16, v10
.LBB636_8:
	s_or_b64 exec, exec, s[6:7]
	v_or_b32_e32 v10, 0x100, v6
	v_cmp_gt_i32_e64 s[6:7], s22, v10
	s_and_b64 s[10:11], s[14:15], s[6:7]
	v_mov_b32_e32 v10, 0
	v_mov_b32_e32 v18, 0
	v_mov_b32_e32 v19, 0
	s_and_saveexec_b64 s[8:9], s[10:11]
	s_cbranch_execz .LBB636_10
; %bb.9:
	global_load_ushort v15, v[4:5], off offset:512
	global_load_ushort v19, v[2:3], off offset:512
	s_waitcnt vmcnt(1)
	v_lshlrev_b32_e32 v18, 16, v15
	s_waitcnt vmcnt(0)
	v_lshlrev_b32_e32 v19, 16, v19
.LBB636_10:
	;; [unrolled: 32-line block ×3, first 2 shown]
	s_or_b64 exec, exec, s[12:13]
	v_or_b32_e32 v6, 0x1c0, v6
	v_cmp_gt_i32_e64 s[12:13], s22, v6
	s_and_b64 s[18:19], s[14:15], s[12:13]
	v_mov_b32_e32 v6, 0
	s_and_saveexec_b64 s[14:15], s[18:19]
	s_cbranch_execz .LBB636_16
; %bb.15:
	global_load_ushort v6, v[4:5], off offset:896
	global_load_ushort v23, v[2:3], off offset:896
	s_waitcnt vmcnt(1)
	v_lshlrev_b32_e32 v15, 16, v6
	s_waitcnt vmcnt(0)
	v_lshlrev_b32_e32 v6, 16, v23
.LBB636_16:
	s_or_b64 exec, exec, s[14:15]
	v_add_f32_e32 v2, 0, v12
	v_add_f32_e32 v2, v2, v13
	v_mbcnt_lo_u32_b32 v3, -1, 0
	v_add_f32_e32 v2, v2, v16
	v_mbcnt_hi_u32_b32 v3, -1, v3
	v_add_f32_e32 v2, v2, v17
	v_and_b32_e32 v4, 64, v3
	v_add_f32_e32 v2, v2, v19
	v_add_u32_e32 v4, 64, v4
	v_xor_b32_e32 v5, 32, v3
	v_add_f32_e32 v2, v2, v20
	v_cmp_lt_i32_e64 s[14:15], v5, v4
	v_add_f32_e32 v2, v2, v22
	v_cndmask_b32_e64 v5, v3, v5, s[14:15]
	v_add_f32_e32 v2, v2, v6
	v_lshlrev_b32_e32 v5, 2, v5
	ds_bpermute_b32 v5, v5, v2
	s_waitcnt lgkmcnt(0)
	v_add_f32_e32 v2, v2, v5
	v_xor_b32_e32 v5, 16, v3
	v_cmp_lt_i32_e64 s[14:15], v5, v4
	v_cndmask_b32_e64 v5, v3, v5, s[14:15]
	v_lshlrev_b32_e32 v5, 2, v5
	ds_bpermute_b32 v5, v5, v2
	s_waitcnt lgkmcnt(0)
	v_add_f32_e32 v2, v2, v5
	v_xor_b32_e32 v5, 8, v3
	v_cmp_lt_i32_e64 s[14:15], v5, v4
	v_cndmask_b32_e64 v5, v3, v5, s[14:15]
	v_lshlrev_b32_e32 v5, 2, v5
	ds_bpermute_b32 v5, v5, v2
	s_waitcnt lgkmcnt(0)
	v_add_f32_e32 v2, v2, v5
	v_xor_b32_e32 v5, 4, v3
	v_cmp_lt_i32_e64 s[14:15], v5, v4
	v_cndmask_b32_e64 v5, v3, v5, s[14:15]
	v_lshlrev_b32_e32 v5, 2, v5
	ds_bpermute_b32 v5, v5, v2
	s_waitcnt lgkmcnt(0)
	v_add_f32_e32 v2, v2, v5
	v_xor_b32_e32 v5, 2, v3
	v_cmp_lt_i32_e64 s[14:15], v5, v4
	v_cndmask_b32_e64 v5, v3, v5, s[14:15]
	v_lshlrev_b32_e32 v5, 2, v5
	ds_bpermute_b32 v5, v5, v2
	s_waitcnt lgkmcnt(0)
	v_add_f32_e32 v2, v2, v5
	v_xor_b32_e32 v5, 1, v3
	v_cmp_lt_i32_e64 s[14:15], v5, v4
	v_cndmask_b32_e64 v3, v3, v5, s[14:15]
	v_lshlrev_b32_e32 v3, 2, v3
	ds_bpermute_b32 v3, v3, v2
	v_cmp_lt_i32_e64 s[14:15], 0, v9
	s_and_saveexec_b64 s[18:19], s[14:15]
	s_cbranch_execz .LBB636_26
; %bb.17:
	v_mov_b32_e32 v4, s17
	v_add_co_u32_e64 v0, s[14:15], s16, v0
	v_addc_co_u32_e64 v1, s[14:15], v4, v1, s[14:15]
	s_waitcnt lgkmcnt(0)
	v_add_f32_e32 v2, v2, v3
	s_and_saveexec_b64 s[14:15], vcc
	s_cbranch_execnz .LBB636_27
; %bb.18:
	s_or_b64 exec, exec, s[14:15]
	s_and_saveexec_b64 s[14:15], s[0:1]
	s_cbranch_execnz .LBB636_28
.LBB636_19:
	s_or_b64 exec, exec, s[14:15]
	s_and_saveexec_b64 s[0:1], s[2:3]
	s_cbranch_execnz .LBB636_29
.LBB636_20:
	s_or_b64 exec, exec, s[0:1]
	s_and_saveexec_b64 s[0:1], s[4:5]
	s_cbranch_execnz .LBB636_30
.LBB636_21:
	s_or_b64 exec, exec, s[0:1]
	s_and_saveexec_b64 s[0:1], s[6:7]
	s_cbranch_execnz .LBB636_31
.LBB636_22:
	s_or_b64 exec, exec, s[0:1]
	s_and_saveexec_b64 s[0:1], s[8:9]
	s_cbranch_execnz .LBB636_32
.LBB636_23:
	s_or_b64 exec, exec, s[0:1]
	s_and_saveexec_b64 s[0:1], s[10:11]
	s_cbranch_execnz .LBB636_33
.LBB636_24:
	s_or_b64 exec, exec, s[0:1]
	s_and_b64 exec, exec, s[12:13]
	s_cbranch_execz .LBB636_26
.LBB636_25:
	v_fma_f32 v2, -v2, v15, v6
	v_bfe_u32 v3, v2, 16, 1
	s_movk_i32 s0, 0x7fff
	v_add3_u32 v3, v2, v3, s0
	v_lshrrev_b32_e32 v3, 16, v3
	v_mov_b32_e32 v4, 0x7fc0
	v_cmp_o_f32_e32 vcc, v2, v2
	v_cndmask_b32_e32 v2, v4, v3, vcc
	global_store_short v[0:1], v2, off offset:896
.LBB636_26:
	s_endpgm
.LBB636_27:
	v_fma_f32 v3, -v2, v11, v12
	v_bfe_u32 v4, v3, 16, 1
	s_movk_i32 s16, 0x7fff
	v_add3_u32 v4, v3, v4, s16
	v_lshrrev_b32_e32 v4, 16, v4
	v_mov_b32_e32 v5, 0x7fc0
	v_cmp_o_f32_e32 vcc, v3, v3
	v_cndmask_b32_e32 v3, v5, v4, vcc
	global_store_short v[0:1], v3, off
	s_or_b64 exec, exec, s[14:15]
	s_and_saveexec_b64 s[14:15], s[0:1]
	s_cbranch_execz .LBB636_19
.LBB636_28:
	v_fma_f32 v3, -v2, v7, v13
	v_bfe_u32 v4, v3, 16, 1
	s_movk_i32 s0, 0x7fff
	v_add3_u32 v4, v3, v4, s0
	v_lshrrev_b32_e32 v4, 16, v4
	v_mov_b32_e32 v5, 0x7fc0
	v_cmp_o_f32_e32 vcc, v3, v3
	v_cndmask_b32_e32 v3, v5, v4, vcc
	global_store_short v[0:1], v3, off offset:128
	s_or_b64 exec, exec, s[14:15]
	s_and_saveexec_b64 s[0:1], s[2:3]
	s_cbranch_execz .LBB636_20
.LBB636_29:
	v_fma_f32 v3, -v2, v14, v16
	v_bfe_u32 v4, v3, 16, 1
	s_movk_i32 s2, 0x7fff
	v_add3_u32 v4, v3, v4, s2
	v_lshrrev_b32_e32 v4, 16, v4
	v_mov_b32_e32 v5, 0x7fc0
	v_cmp_o_f32_e32 vcc, v3, v3
	v_cndmask_b32_e32 v3, v5, v4, vcc
	global_store_short v[0:1], v3, off offset:256
	s_or_b64 exec, exec, s[0:1]
	s_and_saveexec_b64 s[0:1], s[4:5]
	s_cbranch_execz .LBB636_21
.LBB636_30:
	v_fma_f32 v3, -v2, v8, v17
	v_bfe_u32 v4, v3, 16, 1
	s_movk_i32 s2, 0x7fff
	v_add3_u32 v4, v3, v4, s2
	v_lshrrev_b32_e32 v4, 16, v4
	v_mov_b32_e32 v5, 0x7fc0
	v_cmp_o_f32_e32 vcc, v3, v3
	v_cndmask_b32_e32 v3, v5, v4, vcc
	global_store_short v[0:1], v3, off offset:384
	s_or_b64 exec, exec, s[0:1]
	s_and_saveexec_b64 s[0:1], s[6:7]
	s_cbranch_execz .LBB636_22
.LBB636_31:
	v_fma_f32 v3, -v2, v18, v19
	v_bfe_u32 v4, v3, 16, 1
	s_movk_i32 s2, 0x7fff
	v_add3_u32 v4, v3, v4, s2
	v_lshrrev_b32_e32 v4, 16, v4
	v_mov_b32_e32 v5, 0x7fc0
	v_cmp_o_f32_e32 vcc, v3, v3
	v_cndmask_b32_e32 v3, v5, v4, vcc
	global_store_short v[0:1], v3, off offset:512
	s_or_b64 exec, exec, s[0:1]
	s_and_saveexec_b64 s[0:1], s[8:9]
	s_cbranch_execz .LBB636_23
.LBB636_32:
	v_fma_f32 v3, -v2, v10, v20
	v_bfe_u32 v4, v3, 16, 1
	s_movk_i32 s2, 0x7fff
	v_add3_u32 v4, v3, v4, s2
	v_lshrrev_b32_e32 v4, 16, v4
	v_mov_b32_e32 v5, 0x7fc0
	v_cmp_o_f32_e32 vcc, v3, v3
	v_cndmask_b32_e32 v3, v5, v4, vcc
	global_store_short v[0:1], v3, off offset:640
	s_or_b64 exec, exec, s[0:1]
	s_and_saveexec_b64 s[0:1], s[10:11]
	s_cbranch_execz .LBB636_24
.LBB636_33:
	v_fma_f32 v3, -v2, v21, v22
	v_bfe_u32 v4, v3, 16, 1
	s_movk_i32 s2, 0x7fff
	v_add3_u32 v4, v3, v4, s2
	v_lshrrev_b32_e32 v4, 16, v4
	v_mov_b32_e32 v5, 0x7fc0
	v_cmp_o_f32_e32 vcc, v3, v3
	v_cndmask_b32_e32 v3, v5, v4, vcc
	global_store_short v[0:1], v3, off offset:768
	s_or_b64 exec, exec, s[0:1]
	s_and_b64 exec, exec, s[12:13]
	s_cbranch_execnz .LBB636_25
	s_branch .LBB636_26
	.section	.rodata,"a",@progbits
	.p2align	6, 0x0
	.amdhsa_kernel _ZN12_GLOBAL__N_121softmax_warp_backwardIN3c108BFloat16ES2_fLi9ELb0ELb0ELi64EEEvPT0_PKT_S7_iiiPKb
		.amdhsa_group_segment_fixed_size 0
		.amdhsa_private_segment_fixed_size 0
		.amdhsa_kernarg_size 304
		.amdhsa_user_sgpr_count 6
		.amdhsa_user_sgpr_private_segment_buffer 1
		.amdhsa_user_sgpr_dispatch_ptr 0
		.amdhsa_user_sgpr_queue_ptr 0
		.amdhsa_user_sgpr_kernarg_segment_ptr 1
		.amdhsa_user_sgpr_dispatch_id 0
		.amdhsa_user_sgpr_flat_scratch_init 0
		.amdhsa_user_sgpr_kernarg_preload_length 0
		.amdhsa_user_sgpr_kernarg_preload_offset 0
		.amdhsa_user_sgpr_private_segment_size 0
		.amdhsa_uses_dynamic_stack 0
		.amdhsa_system_sgpr_private_segment_wavefront_offset 0
		.amdhsa_system_sgpr_workgroup_id_x 1
		.amdhsa_system_sgpr_workgroup_id_y 0
		.amdhsa_system_sgpr_workgroup_id_z 0
		.amdhsa_system_sgpr_workgroup_info 0
		.amdhsa_system_vgpr_workitem_id 1
		.amdhsa_next_free_vgpr 24
		.amdhsa_next_free_sgpr 24
		.amdhsa_accum_offset 24
		.amdhsa_reserve_vcc 1
		.amdhsa_reserve_flat_scratch 0
		.amdhsa_float_round_mode_32 0
		.amdhsa_float_round_mode_16_64 0
		.amdhsa_float_denorm_mode_32 3
		.amdhsa_float_denorm_mode_16_64 3
		.amdhsa_dx10_clamp 1
		.amdhsa_ieee_mode 1
		.amdhsa_fp16_overflow 0
		.amdhsa_tg_split 0
		.amdhsa_exception_fp_ieee_invalid_op 0
		.amdhsa_exception_fp_denorm_src 0
		.amdhsa_exception_fp_ieee_div_zero 0
		.amdhsa_exception_fp_ieee_overflow 0
		.amdhsa_exception_fp_ieee_underflow 0
		.amdhsa_exception_fp_ieee_inexact 0
		.amdhsa_exception_int_div_zero 0
	.end_amdhsa_kernel
	.section	.text._ZN12_GLOBAL__N_121softmax_warp_backwardIN3c108BFloat16ES2_fLi9ELb0ELb0ELi64EEEvPT0_PKT_S7_iiiPKb,"axG",@progbits,_ZN12_GLOBAL__N_121softmax_warp_backwardIN3c108BFloat16ES2_fLi9ELb0ELb0ELi64EEEvPT0_PKT_S7_iiiPKb,comdat
.Lfunc_end636:
	.size	_ZN12_GLOBAL__N_121softmax_warp_backwardIN3c108BFloat16ES2_fLi9ELb0ELb0ELi64EEEvPT0_PKT_S7_iiiPKb, .Lfunc_end636-_ZN12_GLOBAL__N_121softmax_warp_backwardIN3c108BFloat16ES2_fLi9ELb0ELb0ELi64EEEvPT0_PKT_S7_iiiPKb
                                        ; -- End function
	.section	.AMDGPU.csdata,"",@progbits
; Kernel info:
; codeLenInByte = 1640
; NumSgprs: 28
; NumVgprs: 24
; NumAgprs: 0
; TotalNumVgprs: 24
; ScratchSize: 0
; MemoryBound: 0
; FloatMode: 240
; IeeeMode: 1
; LDSByteSize: 0 bytes/workgroup (compile time only)
; SGPRBlocks: 3
; VGPRBlocks: 2
; NumSGPRsForWavesPerEU: 28
; NumVGPRsForWavesPerEU: 24
; AccumOffset: 24
; Occupancy: 8
; WaveLimiterHint : 0
; COMPUTE_PGM_RSRC2:SCRATCH_EN: 0
; COMPUTE_PGM_RSRC2:USER_SGPR: 6
; COMPUTE_PGM_RSRC2:TRAP_HANDLER: 0
; COMPUTE_PGM_RSRC2:TGID_X_EN: 1
; COMPUTE_PGM_RSRC2:TGID_Y_EN: 0
; COMPUTE_PGM_RSRC2:TGID_Z_EN: 0
; COMPUTE_PGM_RSRC2:TIDIG_COMP_CNT: 1
; COMPUTE_PGM_RSRC3_GFX90A:ACCUM_OFFSET: 5
; COMPUTE_PGM_RSRC3_GFX90A:TG_SPLIT: 0
	.section	.text._ZN12_GLOBAL__N_121softmax_warp_backwardIN3c108BFloat16ES2_fLi9ELb0ELb0ELi32EEEvPT0_PKT_S7_iiiPKb,"axG",@progbits,_ZN12_GLOBAL__N_121softmax_warp_backwardIN3c108BFloat16ES2_fLi9ELb0ELb0ELi32EEEvPT0_PKT_S7_iiiPKb,comdat
	.globl	_ZN12_GLOBAL__N_121softmax_warp_backwardIN3c108BFloat16ES2_fLi9ELb0ELb0ELi32EEEvPT0_PKT_S7_iiiPKb ; -- Begin function _ZN12_GLOBAL__N_121softmax_warp_backwardIN3c108BFloat16ES2_fLi9ELb0ELb0ELi32EEEvPT0_PKT_S7_iiiPKb
	.p2align	8
	.type	_ZN12_GLOBAL__N_121softmax_warp_backwardIN3c108BFloat16ES2_fLi9ELb0ELb0ELi32EEEvPT0_PKT_S7_iiiPKb,@function
_ZN12_GLOBAL__N_121softmax_warp_backwardIN3c108BFloat16ES2_fLi9ELb0ELb0ELi32EEEvPT0_PKT_S7_iiiPKb: ; @_ZN12_GLOBAL__N_121softmax_warp_backwardIN3c108BFloat16ES2_fLi9ELb0ELb0ELi32EEEvPT0_PKT_S7_iiiPKb
; %bb.0:
	s_load_dword s2, s[4:5], 0x3c
	s_load_dwordx4 s[40:43], s[4:5], 0x18
	s_load_dwordx4 s[36:39], s[4:5], 0x0
	s_load_dwordx2 s[0:1], s[4:5], 0x10
	v_bfe_u32 v1, v0, 10, 10
	s_waitcnt lgkmcnt(0)
	s_lshr_b32 s2, s2, 16
	s_mul_i32 s6, s6, s2
	v_add_u32_e32 v1, s6, v1
	v_and_b32_e32 v6, 31, v0
	v_sub_u32_e32 v9, s40, v1
	v_mad_u64_u32 v[0:1], s[2:3], v1, s41, v[6:7]
	v_ashrrev_i32_e32 v1, 31, v0
	v_lshlrev_b64 v[0:1], 1, v[0:1]
	v_mov_b32_e32 v3, s39
	v_add_co_u32_e32 v2, vcc, s38, v0
	v_addc_co_u32_e32 v3, vcc, v3, v1, vcc
	v_mov_b32_e32 v5, s1
	v_add_co_u32_e32 v4, vcc, s0, v0
	v_addc_co_u32_e32 v5, vcc, v5, v1, vcc
	v_cmp_lt_i32_e64 s[30:31], 0, v9
	v_cmp_gt_i32_e32 vcc, s42, v6
	s_and_b64 s[2:3], s[30:31], vcc
	v_mov_b32_e32 v7, 0
	v_mov_b32_e32 v11, 0
	;; [unrolled: 1-line block ×3, first 2 shown]
	s_and_saveexec_b64 s[0:1], s[2:3]
	s_cbranch_execz .LBB637_2
; %bb.1:
	global_load_ushort v8, v[4:5], off
	global_load_ushort v10, v[2:3], off
	s_waitcnt vmcnt(1)
	v_lshlrev_b32_e32 v11, 16, v8
	s_waitcnt vmcnt(0)
	v_lshlrev_b32_e32 v12, 16, v10
.LBB637_2:
	s_or_b64 exec, exec, s[0:1]
	v_or_b32_e32 v8, 32, v6
	v_cmp_gt_i32_e64 s[0:1], s42, v8
	s_and_b64 s[4:5], s[30:31], s[0:1]
	v_mov_b32_e32 v13, 0
	s_and_saveexec_b64 s[2:3], s[4:5]
	s_cbranch_execz .LBB637_4
; %bb.3:
	global_load_ushort v7, v[4:5], off offset:64
	global_load_ushort v8, v[2:3], off offset:64
	s_waitcnt vmcnt(1)
	v_lshlrev_b32_e32 v7, 16, v7
	s_waitcnt vmcnt(0)
	v_lshlrev_b32_e32 v13, 16, v8
.LBB637_4:
	s_or_b64 exec, exec, s[2:3]
	v_or_b32_e32 v8, 64, v6
	v_cmp_gt_i32_e64 s[2:3], s42, v8
	s_and_b64 s[6:7], s[30:31], s[2:3]
	v_mov_b32_e32 v8, 0
	v_mov_b32_e32 v15, 0
	v_mov_b32_e32 v16, 0
	s_and_saveexec_b64 s[4:5], s[6:7]
	s_cbranch_execz .LBB637_6
; %bb.5:
	global_load_ushort v10, v[4:5], off offset:128
	global_load_ushort v14, v[2:3], off offset:128
	s_waitcnt vmcnt(1)
	v_lshlrev_b32_e32 v15, 16, v10
	s_waitcnt vmcnt(0)
	v_lshlrev_b32_e32 v16, 16, v14
.LBB637_6:
	s_or_b64 exec, exec, s[4:5]
	v_or_b32_e32 v10, 0x60, v6
	v_cmp_gt_i32_e64 s[4:5], s42, v10
	s_and_b64 s[8:9], s[30:31], s[4:5]
	v_mov_b32_e32 v17, 0
	s_and_saveexec_b64 s[6:7], s[8:9]
	s_cbranch_execz .LBB637_8
; %bb.7:
	global_load_ushort v8, v[4:5], off offset:192
	global_load_ushort v10, v[2:3], off offset:192
	s_waitcnt vmcnt(1)
	v_lshlrev_b32_e32 v8, 16, v8
	s_waitcnt vmcnt(0)
	v_lshlrev_b32_e32 v17, 16, v10
.LBB637_8:
	s_or_b64 exec, exec, s[6:7]
	v_or_b32_e32 v10, 0x80, v6
	v_cmp_gt_i32_e64 s[6:7], s42, v10
	s_and_b64 s[10:11], s[30:31], s[6:7]
	v_mov_b32_e32 v10, 0
	v_mov_b32_e32 v19, 0
	v_mov_b32_e32 v20, 0
	s_and_saveexec_b64 s[8:9], s[10:11]
	s_cbranch_execz .LBB637_10
; %bb.9:
	global_load_ushort v14, v[4:5], off offset:256
	global_load_ushort v18, v[2:3], off offset:256
	s_waitcnt vmcnt(1)
	v_lshlrev_b32_e32 v19, 16, v14
	s_waitcnt vmcnt(0)
	v_lshlrev_b32_e32 v20, 16, v18
.LBB637_10:
	;; [unrolled: 32-line block ×7, first 2 shown]
	s_or_b64 exec, exec, s[28:29]
	v_or_b32_e32 v6, 0x1e0, v6
	v_cmp_gt_i32_e64 s[28:29], s42, v6
	s_and_b64 s[34:35], s[30:31], s[28:29]
	v_mov_b32_e32 v6, 0
	s_and_saveexec_b64 s[30:31], s[34:35]
	s_cbranch_execz .LBB637_32
; %bb.31:
	global_load_ushort v6, v[4:5], off offset:960
	global_load_ushort v39, v[2:3], off offset:960
	s_waitcnt vmcnt(1)
	v_lshlrev_b32_e32 v31, 16, v6
	s_waitcnt vmcnt(0)
	v_lshlrev_b32_e32 v6, 16, v39
.LBB637_32:
	s_or_b64 exec, exec, s[30:31]
	v_add_f32_e32 v2, 0, v12
	v_add_f32_e32 v2, v2, v13
	;; [unrolled: 1-line block ×10, first 2 shown]
	v_mbcnt_lo_u32_b32 v3, -1, 0
	v_add_f32_e32 v2, v2, v32
	v_mbcnt_hi_u32_b32 v3, -1, v3
	v_add_f32_e32 v2, v2, v33
	v_and_b32_e32 v4, 0x60, v3
	v_add_f32_e32 v2, v2, v35
	v_add_u32_e32 v4, 32, v4
	v_xor_b32_e32 v5, 16, v3
	v_add_f32_e32 v2, v2, v36
	v_cmp_lt_i32_e64 s[30:31], v5, v4
	v_add_f32_e32 v2, v2, v38
	v_cndmask_b32_e64 v5, v3, v5, s[30:31]
	v_add_f32_e32 v2, v2, v6
	v_lshlrev_b32_e32 v5, 2, v5
	ds_bpermute_b32 v5, v5, v2
	s_waitcnt lgkmcnt(0)
	v_add_f32_e32 v2, v2, v5
	v_xor_b32_e32 v5, 8, v3
	v_cmp_lt_i32_e64 s[30:31], v5, v4
	v_cndmask_b32_e64 v5, v3, v5, s[30:31]
	v_lshlrev_b32_e32 v5, 2, v5
	ds_bpermute_b32 v5, v5, v2
	s_waitcnt lgkmcnt(0)
	v_add_f32_e32 v2, v2, v5
	v_xor_b32_e32 v5, 4, v3
	v_cmp_lt_i32_e64 s[30:31], v5, v4
	v_cndmask_b32_e64 v5, v3, v5, s[30:31]
	v_lshlrev_b32_e32 v5, 2, v5
	ds_bpermute_b32 v5, v5, v2
	s_waitcnt lgkmcnt(0)
	v_add_f32_e32 v2, v2, v5
	v_xor_b32_e32 v5, 2, v3
	v_cmp_lt_i32_e64 s[30:31], v5, v4
	v_cndmask_b32_e64 v5, v3, v5, s[30:31]
	v_lshlrev_b32_e32 v5, 2, v5
	ds_bpermute_b32 v5, v5, v2
	s_waitcnt lgkmcnt(0)
	v_add_f32_e32 v2, v2, v5
	v_xor_b32_e32 v5, 1, v3
	v_cmp_lt_i32_e64 s[30:31], v5, v4
	v_cndmask_b32_e64 v3, v3, v5, s[30:31]
	v_lshlrev_b32_e32 v3, 2, v3
	ds_bpermute_b32 v3, v3, v2
	v_cmp_lt_i32_e64 s[30:31], 0, v9
	s_and_saveexec_b64 s[34:35], s[30:31]
	s_cbranch_execz .LBB637_50
; %bb.33:
	v_mov_b32_e32 v4, s37
	v_add_co_u32_e64 v0, s[30:31], s36, v0
	v_addc_co_u32_e64 v1, s[30:31], v4, v1, s[30:31]
	s_waitcnt lgkmcnt(0)
	v_add_f32_e32 v2, v2, v3
	s_and_saveexec_b64 s[30:31], vcc
	s_cbranch_execnz .LBB637_51
; %bb.34:
	s_or_b64 exec, exec, s[30:31]
	s_and_saveexec_b64 s[30:31], s[0:1]
	s_cbranch_execnz .LBB637_52
.LBB637_35:
	s_or_b64 exec, exec, s[30:31]
	s_and_saveexec_b64 s[0:1], s[2:3]
	s_cbranch_execnz .LBB637_53
.LBB637_36:
	s_or_b64 exec, exec, s[0:1]
	s_and_saveexec_b64 s[0:1], s[4:5]
	s_cbranch_execnz .LBB637_54
.LBB637_37:
	s_or_b64 exec, exec, s[0:1]
	s_and_saveexec_b64 s[0:1], s[6:7]
	s_cbranch_execnz .LBB637_55
.LBB637_38:
	s_or_b64 exec, exec, s[0:1]
	s_and_saveexec_b64 s[0:1], s[8:9]
	s_cbranch_execnz .LBB637_56
.LBB637_39:
	s_or_b64 exec, exec, s[0:1]
	s_and_saveexec_b64 s[0:1], s[10:11]
	s_cbranch_execnz .LBB637_57
.LBB637_40:
	s_or_b64 exec, exec, s[0:1]
	s_and_saveexec_b64 s[0:1], s[12:13]
	s_cbranch_execnz .LBB637_58
.LBB637_41:
	s_or_b64 exec, exec, s[0:1]
	s_and_saveexec_b64 s[0:1], s[14:15]
	s_cbranch_execnz .LBB637_59
.LBB637_42:
	s_or_b64 exec, exec, s[0:1]
	s_and_saveexec_b64 s[0:1], s[16:17]
	s_cbranch_execnz .LBB637_60
.LBB637_43:
	s_or_b64 exec, exec, s[0:1]
	s_and_saveexec_b64 s[0:1], s[18:19]
	s_cbranch_execnz .LBB637_61
.LBB637_44:
	s_or_b64 exec, exec, s[0:1]
	s_and_saveexec_b64 s[0:1], s[20:21]
	s_cbranch_execnz .LBB637_62
.LBB637_45:
	s_or_b64 exec, exec, s[0:1]
	s_and_saveexec_b64 s[0:1], s[22:23]
	s_cbranch_execnz .LBB637_63
.LBB637_46:
	s_or_b64 exec, exec, s[0:1]
	s_and_saveexec_b64 s[0:1], s[24:25]
	s_cbranch_execnz .LBB637_64
.LBB637_47:
	s_or_b64 exec, exec, s[0:1]
	s_and_saveexec_b64 s[0:1], s[26:27]
	s_cbranch_execnz .LBB637_65
.LBB637_48:
	s_or_b64 exec, exec, s[0:1]
	s_and_b64 exec, exec, s[28:29]
	s_cbranch_execz .LBB637_50
.LBB637_49:
	v_fma_f32 v2, -v2, v31, v6
	v_bfe_u32 v3, v2, 16, 1
	s_movk_i32 s0, 0x7fff
	v_add3_u32 v3, v2, v3, s0
	v_lshrrev_b32_e32 v3, 16, v3
	v_mov_b32_e32 v4, 0x7fc0
	v_cmp_o_f32_e32 vcc, v2, v2
	v_cndmask_b32_e32 v2, v4, v3, vcc
	global_store_short v[0:1], v2, off offset:960
.LBB637_50:
	s_endpgm
.LBB637_51:
	v_fma_f32 v3, -v2, v11, v12
	v_bfe_u32 v4, v3, 16, 1
	s_movk_i32 s33, 0x7fff
	v_add3_u32 v4, v3, v4, s33
	v_lshrrev_b32_e32 v4, 16, v4
	v_mov_b32_e32 v5, 0x7fc0
	v_cmp_o_f32_e32 vcc, v3, v3
	v_cndmask_b32_e32 v3, v5, v4, vcc
	global_store_short v[0:1], v3, off
	s_or_b64 exec, exec, s[30:31]
	s_and_saveexec_b64 s[30:31], s[0:1]
	s_cbranch_execz .LBB637_35
.LBB637_52:
	v_fma_f32 v3, -v2, v7, v13
	v_bfe_u32 v4, v3, 16, 1
	s_movk_i32 s0, 0x7fff
	v_add3_u32 v4, v3, v4, s0
	v_lshrrev_b32_e32 v4, 16, v4
	v_mov_b32_e32 v5, 0x7fc0
	v_cmp_o_f32_e32 vcc, v3, v3
	v_cndmask_b32_e32 v3, v5, v4, vcc
	global_store_short v[0:1], v3, off offset:64
	s_or_b64 exec, exec, s[30:31]
	s_and_saveexec_b64 s[0:1], s[2:3]
	s_cbranch_execz .LBB637_36
.LBB637_53:
	v_fma_f32 v3, -v2, v15, v16
	v_bfe_u32 v4, v3, 16, 1
	s_movk_i32 s2, 0x7fff
	v_add3_u32 v4, v3, v4, s2
	v_lshrrev_b32_e32 v4, 16, v4
	v_mov_b32_e32 v5, 0x7fc0
	v_cmp_o_f32_e32 vcc, v3, v3
	v_cndmask_b32_e32 v3, v5, v4, vcc
	global_store_short v[0:1], v3, off offset:128
	s_or_b64 exec, exec, s[0:1]
	s_and_saveexec_b64 s[0:1], s[4:5]
	s_cbranch_execz .LBB637_37
.LBB637_54:
	v_fma_f32 v3, -v2, v8, v17
	v_bfe_u32 v4, v3, 16, 1
	s_movk_i32 s2, 0x7fff
	v_add3_u32 v4, v3, v4, s2
	v_lshrrev_b32_e32 v4, 16, v4
	v_mov_b32_e32 v5, 0x7fc0
	v_cmp_o_f32_e32 vcc, v3, v3
	v_cndmask_b32_e32 v3, v5, v4, vcc
	global_store_short v[0:1], v3, off offset:192
	s_or_b64 exec, exec, s[0:1]
	s_and_saveexec_b64 s[0:1], s[6:7]
	s_cbranch_execz .LBB637_38
.LBB637_55:
	v_fma_f32 v3, -v2, v19, v20
	v_bfe_u32 v4, v3, 16, 1
	s_movk_i32 s2, 0x7fff
	v_add3_u32 v4, v3, v4, s2
	v_lshrrev_b32_e32 v4, 16, v4
	v_mov_b32_e32 v5, 0x7fc0
	v_cmp_o_f32_e32 vcc, v3, v3
	v_cndmask_b32_e32 v3, v5, v4, vcc
	global_store_short v[0:1], v3, off offset:256
	s_or_b64 exec, exec, s[0:1]
	s_and_saveexec_b64 s[0:1], s[8:9]
	s_cbranch_execz .LBB637_39
.LBB637_56:
	v_fma_f32 v3, -v2, v10, v21
	v_bfe_u32 v4, v3, 16, 1
	s_movk_i32 s2, 0x7fff
	v_add3_u32 v4, v3, v4, s2
	v_lshrrev_b32_e32 v4, 16, v4
	v_mov_b32_e32 v5, 0x7fc0
	v_cmp_o_f32_e32 vcc, v3, v3
	v_cndmask_b32_e32 v3, v5, v4, vcc
	global_store_short v[0:1], v3, off offset:320
	s_or_b64 exec, exec, s[0:1]
	s_and_saveexec_b64 s[0:1], s[10:11]
	s_cbranch_execz .LBB637_40
.LBB637_57:
	v_fma_f32 v3, -v2, v23, v24
	v_bfe_u32 v4, v3, 16, 1
	s_movk_i32 s2, 0x7fff
	v_add3_u32 v4, v3, v4, s2
	v_lshrrev_b32_e32 v4, 16, v4
	v_mov_b32_e32 v5, 0x7fc0
	v_cmp_o_f32_e32 vcc, v3, v3
	v_cndmask_b32_e32 v3, v5, v4, vcc
	global_store_short v[0:1], v3, off offset:384
	s_or_b64 exec, exec, s[0:1]
	s_and_saveexec_b64 s[0:1], s[12:13]
	s_cbranch_execz .LBB637_41
.LBB637_58:
	v_fma_f32 v3, -v2, v14, v25
	v_bfe_u32 v4, v3, 16, 1
	s_movk_i32 s2, 0x7fff
	v_add3_u32 v4, v3, v4, s2
	v_lshrrev_b32_e32 v4, 16, v4
	v_mov_b32_e32 v5, 0x7fc0
	v_cmp_o_f32_e32 vcc, v3, v3
	v_cndmask_b32_e32 v3, v5, v4, vcc
	global_store_short v[0:1], v3, off offset:448
	s_or_b64 exec, exec, s[0:1]
	s_and_saveexec_b64 s[0:1], s[14:15]
	s_cbranch_execz .LBB637_42
.LBB637_59:
	v_fma_f32 v3, -v2, v27, v28
	v_bfe_u32 v4, v3, 16, 1
	s_movk_i32 s2, 0x7fff
	v_add3_u32 v4, v3, v4, s2
	v_lshrrev_b32_e32 v4, 16, v4
	v_mov_b32_e32 v5, 0x7fc0
	v_cmp_o_f32_e32 vcc, v3, v3
	v_cndmask_b32_e32 v3, v5, v4, vcc
	global_store_short v[0:1], v3, off offset:512
	s_or_b64 exec, exec, s[0:1]
	s_and_saveexec_b64 s[0:1], s[16:17]
	s_cbranch_execz .LBB637_43
.LBB637_60:
	v_fma_f32 v3, -v2, v18, v29
	v_bfe_u32 v4, v3, 16, 1
	s_movk_i32 s2, 0x7fff
	v_add3_u32 v4, v3, v4, s2
	v_lshrrev_b32_e32 v4, 16, v4
	v_mov_b32_e32 v5, 0x7fc0
	v_cmp_o_f32_e32 vcc, v3, v3
	v_cndmask_b32_e32 v3, v5, v4, vcc
	global_store_short v[0:1], v3, off offset:576
	s_or_b64 exec, exec, s[0:1]
	s_and_saveexec_b64 s[0:1], s[18:19]
	s_cbranch_execz .LBB637_44
.LBB637_61:
	v_fma_f32 v3, -v2, v30, v32
	v_bfe_u32 v4, v3, 16, 1
	s_movk_i32 s2, 0x7fff
	v_add3_u32 v4, v3, v4, s2
	v_lshrrev_b32_e32 v4, 16, v4
	v_mov_b32_e32 v5, 0x7fc0
	v_cmp_o_f32_e32 vcc, v3, v3
	v_cndmask_b32_e32 v3, v5, v4, vcc
	global_store_short v[0:1], v3, off offset:640
	s_or_b64 exec, exec, s[0:1]
	s_and_saveexec_b64 s[0:1], s[20:21]
	s_cbranch_execz .LBB637_45
.LBB637_62:
	v_fma_f32 v3, -v2, v22, v33
	v_bfe_u32 v4, v3, 16, 1
	s_movk_i32 s2, 0x7fff
	v_add3_u32 v4, v3, v4, s2
	v_lshrrev_b32_e32 v4, 16, v4
	v_mov_b32_e32 v5, 0x7fc0
	v_cmp_o_f32_e32 vcc, v3, v3
	v_cndmask_b32_e32 v3, v5, v4, vcc
	global_store_short v[0:1], v3, off offset:704
	s_or_b64 exec, exec, s[0:1]
	s_and_saveexec_b64 s[0:1], s[22:23]
	s_cbranch_execz .LBB637_46
.LBB637_63:
	v_fma_f32 v3, -v2, v34, v35
	v_bfe_u32 v4, v3, 16, 1
	s_movk_i32 s2, 0x7fff
	v_add3_u32 v4, v3, v4, s2
	v_lshrrev_b32_e32 v4, 16, v4
	v_mov_b32_e32 v5, 0x7fc0
	v_cmp_o_f32_e32 vcc, v3, v3
	v_cndmask_b32_e32 v3, v5, v4, vcc
	global_store_short v[0:1], v3, off offset:768
	s_or_b64 exec, exec, s[0:1]
	s_and_saveexec_b64 s[0:1], s[24:25]
	s_cbranch_execz .LBB637_47
.LBB637_64:
	v_fma_f32 v3, -v2, v26, v36
	v_bfe_u32 v4, v3, 16, 1
	s_movk_i32 s2, 0x7fff
	v_add3_u32 v4, v3, v4, s2
	v_lshrrev_b32_e32 v4, 16, v4
	v_mov_b32_e32 v5, 0x7fc0
	v_cmp_o_f32_e32 vcc, v3, v3
	v_cndmask_b32_e32 v3, v5, v4, vcc
	global_store_short v[0:1], v3, off offset:832
	s_or_b64 exec, exec, s[0:1]
	s_and_saveexec_b64 s[0:1], s[26:27]
	s_cbranch_execz .LBB637_48
.LBB637_65:
	v_fma_f32 v3, -v2, v37, v38
	v_bfe_u32 v4, v3, 16, 1
	s_movk_i32 s2, 0x7fff
	v_add3_u32 v4, v3, v4, s2
	v_lshrrev_b32_e32 v4, 16, v4
	v_mov_b32_e32 v5, 0x7fc0
	v_cmp_o_f32_e32 vcc, v3, v3
	v_cndmask_b32_e32 v3, v5, v4, vcc
	global_store_short v[0:1], v3, off offset:896
	s_or_b64 exec, exec, s[0:1]
	s_and_b64 exec, exec, s[28:29]
	s_cbranch_execnz .LBB637_49
	s_branch .LBB637_50
	.section	.rodata,"a",@progbits
	.p2align	6, 0x0
	.amdhsa_kernel _ZN12_GLOBAL__N_121softmax_warp_backwardIN3c108BFloat16ES2_fLi9ELb0ELb0ELi32EEEvPT0_PKT_S7_iiiPKb
		.amdhsa_group_segment_fixed_size 0
		.amdhsa_private_segment_fixed_size 0
		.amdhsa_kernarg_size 304
		.amdhsa_user_sgpr_count 6
		.amdhsa_user_sgpr_private_segment_buffer 1
		.amdhsa_user_sgpr_dispatch_ptr 0
		.amdhsa_user_sgpr_queue_ptr 0
		.amdhsa_user_sgpr_kernarg_segment_ptr 1
		.amdhsa_user_sgpr_dispatch_id 0
		.amdhsa_user_sgpr_flat_scratch_init 0
		.amdhsa_user_sgpr_kernarg_preload_length 0
		.amdhsa_user_sgpr_kernarg_preload_offset 0
		.amdhsa_user_sgpr_private_segment_size 0
		.amdhsa_uses_dynamic_stack 0
		.amdhsa_system_sgpr_private_segment_wavefront_offset 0
		.amdhsa_system_sgpr_workgroup_id_x 1
		.amdhsa_system_sgpr_workgroup_id_y 0
		.amdhsa_system_sgpr_workgroup_id_z 0
		.amdhsa_system_sgpr_workgroup_info 0
		.amdhsa_system_vgpr_workitem_id 1
		.amdhsa_next_free_vgpr 40
		.amdhsa_next_free_sgpr 44
		.amdhsa_accum_offset 40
		.amdhsa_reserve_vcc 1
		.amdhsa_reserve_flat_scratch 0
		.amdhsa_float_round_mode_32 0
		.amdhsa_float_round_mode_16_64 0
		.amdhsa_float_denorm_mode_32 3
		.amdhsa_float_denorm_mode_16_64 3
		.amdhsa_dx10_clamp 1
		.amdhsa_ieee_mode 1
		.amdhsa_fp16_overflow 0
		.amdhsa_tg_split 0
		.amdhsa_exception_fp_ieee_invalid_op 0
		.amdhsa_exception_fp_denorm_src 0
		.amdhsa_exception_fp_ieee_div_zero 0
		.amdhsa_exception_fp_ieee_overflow 0
		.amdhsa_exception_fp_ieee_underflow 0
		.amdhsa_exception_fp_ieee_inexact 0
		.amdhsa_exception_int_div_zero 0
	.end_amdhsa_kernel
	.section	.text._ZN12_GLOBAL__N_121softmax_warp_backwardIN3c108BFloat16ES2_fLi9ELb0ELb0ELi32EEEvPT0_PKT_S7_iiiPKb,"axG",@progbits,_ZN12_GLOBAL__N_121softmax_warp_backwardIN3c108BFloat16ES2_fLi9ELb0ELb0ELi32EEEvPT0_PKT_S7_iiiPKb,comdat
.Lfunc_end637:
	.size	_ZN12_GLOBAL__N_121softmax_warp_backwardIN3c108BFloat16ES2_fLi9ELb0ELb0ELi32EEEvPT0_PKT_S7_iiiPKb, .Lfunc_end637-_ZN12_GLOBAL__N_121softmax_warp_backwardIN3c108BFloat16ES2_fLi9ELb0ELb0ELi32EEEvPT0_PKT_S7_iiiPKb
                                        ; -- End function
	.section	.AMDGPU.csdata,"",@progbits
; Kernel info:
; codeLenInByte = 2848
; NumSgprs: 48
; NumVgprs: 40
; NumAgprs: 0
; TotalNumVgprs: 40
; ScratchSize: 0
; MemoryBound: 0
; FloatMode: 240
; IeeeMode: 1
; LDSByteSize: 0 bytes/workgroup (compile time only)
; SGPRBlocks: 5
; VGPRBlocks: 4
; NumSGPRsForWavesPerEU: 48
; NumVGPRsForWavesPerEU: 40
; AccumOffset: 40
; Occupancy: 8
; WaveLimiterHint : 0
; COMPUTE_PGM_RSRC2:SCRATCH_EN: 0
; COMPUTE_PGM_RSRC2:USER_SGPR: 6
; COMPUTE_PGM_RSRC2:TRAP_HANDLER: 0
; COMPUTE_PGM_RSRC2:TGID_X_EN: 1
; COMPUTE_PGM_RSRC2:TGID_Y_EN: 0
; COMPUTE_PGM_RSRC2:TGID_Z_EN: 0
; COMPUTE_PGM_RSRC2:TIDIG_COMP_CNT: 1
; COMPUTE_PGM_RSRC3_GFX90A:ACCUM_OFFSET: 9
; COMPUTE_PGM_RSRC3_GFX90A:TG_SPLIT: 0
	.section	.text._ZN12_GLOBAL__N_121softmax_warp_backwardIN3c108BFloat16ES2_fLi10ELb0ELb0ELi64EEEvPT0_PKT_S7_iiiPKb,"axG",@progbits,_ZN12_GLOBAL__N_121softmax_warp_backwardIN3c108BFloat16ES2_fLi10ELb0ELb0ELi64EEEvPT0_PKT_S7_iiiPKb,comdat
	.globl	_ZN12_GLOBAL__N_121softmax_warp_backwardIN3c108BFloat16ES2_fLi10ELb0ELb0ELi64EEEvPT0_PKT_S7_iiiPKb ; -- Begin function _ZN12_GLOBAL__N_121softmax_warp_backwardIN3c108BFloat16ES2_fLi10ELb0ELb0ELi64EEEvPT0_PKT_S7_iiiPKb
	.p2align	8
	.type	_ZN12_GLOBAL__N_121softmax_warp_backwardIN3c108BFloat16ES2_fLi10ELb0ELb0ELi64EEEvPT0_PKT_S7_iiiPKb,@function
_ZN12_GLOBAL__N_121softmax_warp_backwardIN3c108BFloat16ES2_fLi10ELb0ELb0ELi64EEEvPT0_PKT_S7_iiiPKb: ; @_ZN12_GLOBAL__N_121softmax_warp_backwardIN3c108BFloat16ES2_fLi10ELb0ELb0ELi64EEEvPT0_PKT_S7_iiiPKb
; %bb.0:
	s_load_dword s2, s[4:5], 0x3c
	s_load_dwordx4 s[40:43], s[4:5], 0x18
	s_load_dwordx4 s[36:39], s[4:5], 0x0
	s_load_dwordx2 s[0:1], s[4:5], 0x10
	v_bfe_u32 v1, v0, 10, 10
	s_waitcnt lgkmcnt(0)
	s_lshr_b32 s2, s2, 16
	s_mul_i32 s6, s6, s2
	v_and_b32_e32 v38, 0x3ff, v0
	v_add_u32_e32 v1, s6, v1
	v_and_b32_e32 v6, 63, v38
	v_sub_u32_e32 v9, s40, v1
	v_mad_u64_u32 v[0:1], s[2:3], v1, s41, v[6:7]
	v_ashrrev_i32_e32 v1, 31, v0
	v_lshlrev_b64 v[0:1], 1, v[0:1]
	v_mov_b32_e32 v3, s39
	v_add_co_u32_e32 v2, vcc, s38, v0
	v_addc_co_u32_e32 v3, vcc, v3, v1, vcc
	v_mov_b32_e32 v5, s1
	v_add_co_u32_e32 v4, vcc, s0, v0
	v_addc_co_u32_e32 v5, vcc, v5, v1, vcc
	v_cmp_lt_i32_e64 s[30:31], 0, v9
	v_cmp_gt_i32_e32 vcc, s42, v6
	s_and_b64 s[2:3], s[30:31], vcc
	v_mov_b32_e32 v7, 0
	v_mov_b32_e32 v11, 0
	;; [unrolled: 1-line block ×3, first 2 shown]
	s_and_saveexec_b64 s[0:1], s[2:3]
	s_cbranch_execz .LBB638_2
; %bb.1:
	global_load_ushort v8, v[4:5], off
	global_load_ushort v10, v[2:3], off
	s_waitcnt vmcnt(1)
	v_lshlrev_b32_e32 v11, 16, v8
	s_waitcnt vmcnt(0)
	v_lshlrev_b32_e32 v12, 16, v10
.LBB638_2:
	s_or_b64 exec, exec, s[0:1]
	v_or_b32_e32 v8, 64, v6
	v_cmp_gt_i32_e64 s[0:1], s42, v8
	s_and_b64 s[4:5], s[30:31], s[0:1]
	v_mov_b32_e32 v13, 0
	s_and_saveexec_b64 s[2:3], s[4:5]
	s_cbranch_execz .LBB638_4
; %bb.3:
	global_load_ushort v7, v[4:5], off offset:128
	global_load_ushort v8, v[2:3], off offset:128
	s_waitcnt vmcnt(1)
	v_lshlrev_b32_e32 v7, 16, v7
	s_waitcnt vmcnt(0)
	v_lshlrev_b32_e32 v13, 16, v8
.LBB638_4:
	s_or_b64 exec, exec, s[2:3]
	v_or_b32_e32 v8, 0x80, v6
	v_cmp_gt_i32_e64 s[2:3], s42, v8
	s_and_b64 s[6:7], s[30:31], s[2:3]
	v_mov_b32_e32 v8, 0
	v_mov_b32_e32 v15, 0
	v_mov_b32_e32 v16, 0
	s_and_saveexec_b64 s[4:5], s[6:7]
	s_cbranch_execz .LBB638_6
; %bb.5:
	global_load_ushort v10, v[4:5], off offset:256
	global_load_ushort v14, v[2:3], off offset:256
	s_waitcnt vmcnt(1)
	v_lshlrev_b32_e32 v15, 16, v10
	s_waitcnt vmcnt(0)
	v_lshlrev_b32_e32 v16, 16, v14
.LBB638_6:
	s_or_b64 exec, exec, s[4:5]
	v_or_b32_e32 v10, 0xc0, v6
	v_cmp_gt_i32_e64 s[4:5], s42, v10
	s_and_b64 s[8:9], s[30:31], s[4:5]
	v_mov_b32_e32 v17, 0
	s_and_saveexec_b64 s[6:7], s[8:9]
	s_cbranch_execz .LBB638_8
; %bb.7:
	global_load_ushort v8, v[4:5], off offset:384
	global_load_ushort v10, v[2:3], off offset:384
	s_waitcnt vmcnt(1)
	v_lshlrev_b32_e32 v8, 16, v8
	s_waitcnt vmcnt(0)
	v_lshlrev_b32_e32 v17, 16, v10
.LBB638_8:
	s_or_b64 exec, exec, s[6:7]
	v_or_b32_e32 v10, 0x100, v6
	v_cmp_gt_i32_e64 s[6:7], s42, v10
	s_and_b64 s[10:11], s[30:31], s[6:7]
	v_mov_b32_e32 v10, 0
	v_mov_b32_e32 v19, 0
	v_mov_b32_e32 v20, 0
	s_and_saveexec_b64 s[8:9], s[10:11]
	s_cbranch_execz .LBB638_10
; %bb.9:
	global_load_ushort v14, v[4:5], off offset:512
	global_load_ushort v18, v[2:3], off offset:512
	s_waitcnt vmcnt(1)
	v_lshlrev_b32_e32 v19, 16, v14
	s_waitcnt vmcnt(0)
	v_lshlrev_b32_e32 v20, 16, v18
.LBB638_10:
	;; [unrolled: 32-line block ×7, first 2 shown]
	s_or_b64 exec, exec, s[28:29]
	v_or_b32_e32 v38, 0x3c0, v38
	v_cmp_gt_i32_e64 s[28:29], s42, v38
	s_and_b64 s[34:35], s[30:31], s[28:29]
	v_mov_b32_e32 v38, 0
	s_and_saveexec_b64 s[30:31], s[34:35]
	s_cbranch_execz .LBB638_32
; %bb.31:
	global_load_ushort v6, v[4:5], off offset:1920
	global_load_ushort v38, v[2:3], off offset:1920
	s_waitcnt vmcnt(1)
	v_lshlrev_b32_e32 v6, 16, v6
	s_waitcnt vmcnt(0)
	v_lshlrev_b32_e32 v38, 16, v38
.LBB638_32:
	s_or_b64 exec, exec, s[30:31]
	v_add_f32_e32 v2, 0, v12
	v_add_f32_e32 v2, v2, v13
	;; [unrolled: 1-line block ×10, first 2 shown]
	v_mbcnt_lo_u32_b32 v3, -1, 0
	v_add_f32_e32 v2, v2, v31
	v_mbcnt_hi_u32_b32 v3, -1, v3
	v_add_f32_e32 v2, v2, v32
	v_and_b32_e32 v4, 64, v3
	v_add_f32_e32 v2, v2, v34
	v_add_u32_e32 v4, 64, v4
	v_xor_b32_e32 v5, 32, v3
	v_add_f32_e32 v2, v2, v35
	v_cmp_lt_i32_e64 s[30:31], v5, v4
	v_add_f32_e32 v2, v2, v37
	v_cndmask_b32_e64 v5, v3, v5, s[30:31]
	v_add_f32_e32 v2, v2, v38
	v_lshlrev_b32_e32 v5, 2, v5
	ds_bpermute_b32 v5, v5, v2
	s_waitcnt lgkmcnt(0)
	v_add_f32_e32 v2, v2, v5
	v_xor_b32_e32 v5, 16, v3
	v_cmp_lt_i32_e64 s[30:31], v5, v4
	v_cndmask_b32_e64 v5, v3, v5, s[30:31]
	v_lshlrev_b32_e32 v5, 2, v5
	ds_bpermute_b32 v5, v5, v2
	s_waitcnt lgkmcnt(0)
	v_add_f32_e32 v2, v2, v5
	v_xor_b32_e32 v5, 8, v3
	v_cmp_lt_i32_e64 s[30:31], v5, v4
	v_cndmask_b32_e64 v5, v3, v5, s[30:31]
	;; [unrolled: 7-line block ×5, first 2 shown]
	v_lshlrev_b32_e32 v3, 2, v3
	ds_bpermute_b32 v3, v3, v2
	v_cmp_lt_i32_e64 s[30:31], 0, v9
	s_and_saveexec_b64 s[34:35], s[30:31]
	s_cbranch_execz .LBB638_50
; %bb.33:
	v_mov_b32_e32 v4, s37
	v_add_co_u32_e64 v0, s[30:31], s36, v0
	v_addc_co_u32_e64 v1, s[30:31], v4, v1, s[30:31]
	s_waitcnt lgkmcnt(0)
	v_add_f32_e32 v2, v2, v3
	s_and_saveexec_b64 s[30:31], vcc
	s_cbranch_execnz .LBB638_51
; %bb.34:
	s_or_b64 exec, exec, s[30:31]
	s_and_saveexec_b64 s[30:31], s[0:1]
	s_cbranch_execnz .LBB638_52
.LBB638_35:
	s_or_b64 exec, exec, s[30:31]
	s_and_saveexec_b64 s[0:1], s[2:3]
	s_cbranch_execnz .LBB638_53
.LBB638_36:
	s_or_b64 exec, exec, s[0:1]
	s_and_saveexec_b64 s[0:1], s[4:5]
	s_cbranch_execnz .LBB638_54
.LBB638_37:
	s_or_b64 exec, exec, s[0:1]
	s_and_saveexec_b64 s[0:1], s[6:7]
	s_cbranch_execnz .LBB638_55
.LBB638_38:
	s_or_b64 exec, exec, s[0:1]
	s_and_saveexec_b64 s[0:1], s[8:9]
	s_cbranch_execnz .LBB638_56
.LBB638_39:
	s_or_b64 exec, exec, s[0:1]
	s_and_saveexec_b64 s[0:1], s[10:11]
	s_cbranch_execnz .LBB638_57
.LBB638_40:
	s_or_b64 exec, exec, s[0:1]
	s_and_saveexec_b64 s[0:1], s[12:13]
	s_cbranch_execnz .LBB638_58
.LBB638_41:
	s_or_b64 exec, exec, s[0:1]
	s_and_saveexec_b64 s[0:1], s[14:15]
	s_cbranch_execnz .LBB638_59
.LBB638_42:
	s_or_b64 exec, exec, s[0:1]
	s_and_saveexec_b64 s[0:1], s[16:17]
	s_cbranch_execnz .LBB638_60
.LBB638_43:
	s_or_b64 exec, exec, s[0:1]
	s_and_saveexec_b64 s[0:1], s[18:19]
	s_cbranch_execnz .LBB638_61
.LBB638_44:
	s_or_b64 exec, exec, s[0:1]
	s_and_saveexec_b64 s[0:1], s[20:21]
	s_cbranch_execnz .LBB638_62
.LBB638_45:
	s_or_b64 exec, exec, s[0:1]
	s_and_saveexec_b64 s[0:1], s[22:23]
	s_cbranch_execnz .LBB638_63
.LBB638_46:
	s_or_b64 exec, exec, s[0:1]
	s_and_saveexec_b64 s[0:1], s[24:25]
	s_cbranch_execnz .LBB638_64
.LBB638_47:
	s_or_b64 exec, exec, s[0:1]
	s_and_saveexec_b64 s[0:1], s[26:27]
	s_cbranch_execnz .LBB638_65
.LBB638_48:
	s_or_b64 exec, exec, s[0:1]
	s_and_b64 exec, exec, s[28:29]
	s_cbranch_execz .LBB638_50
.LBB638_49:
	v_fma_f32 v2, -v2, v6, v38
	v_bfe_u32 v3, v2, 16, 1
	s_movk_i32 s0, 0x7fff
	v_add3_u32 v3, v2, v3, s0
	v_lshrrev_b32_e32 v3, 16, v3
	v_mov_b32_e32 v4, 0x7fc0
	v_cmp_o_f32_e32 vcc, v2, v2
	v_cndmask_b32_e32 v2, v4, v3, vcc
	global_store_short v[0:1], v2, off offset:1920
.LBB638_50:
	s_endpgm
.LBB638_51:
	v_fma_f32 v3, -v2, v11, v12
	v_bfe_u32 v4, v3, 16, 1
	s_movk_i32 s33, 0x7fff
	v_add3_u32 v4, v3, v4, s33
	v_lshrrev_b32_e32 v4, 16, v4
	v_mov_b32_e32 v5, 0x7fc0
	v_cmp_o_f32_e32 vcc, v3, v3
	v_cndmask_b32_e32 v3, v5, v4, vcc
	global_store_short v[0:1], v3, off
	s_or_b64 exec, exec, s[30:31]
	s_and_saveexec_b64 s[30:31], s[0:1]
	s_cbranch_execz .LBB638_35
.LBB638_52:
	v_fma_f32 v3, -v2, v7, v13
	v_bfe_u32 v4, v3, 16, 1
	s_movk_i32 s0, 0x7fff
	v_add3_u32 v4, v3, v4, s0
	v_lshrrev_b32_e32 v4, 16, v4
	v_mov_b32_e32 v5, 0x7fc0
	v_cmp_o_f32_e32 vcc, v3, v3
	v_cndmask_b32_e32 v3, v5, v4, vcc
	global_store_short v[0:1], v3, off offset:128
	s_or_b64 exec, exec, s[30:31]
	s_and_saveexec_b64 s[0:1], s[2:3]
	s_cbranch_execz .LBB638_36
.LBB638_53:
	v_fma_f32 v3, -v2, v15, v16
	v_bfe_u32 v4, v3, 16, 1
	s_movk_i32 s2, 0x7fff
	v_add3_u32 v4, v3, v4, s2
	v_lshrrev_b32_e32 v4, 16, v4
	v_mov_b32_e32 v5, 0x7fc0
	v_cmp_o_f32_e32 vcc, v3, v3
	v_cndmask_b32_e32 v3, v5, v4, vcc
	global_store_short v[0:1], v3, off offset:256
	s_or_b64 exec, exec, s[0:1]
	s_and_saveexec_b64 s[0:1], s[4:5]
	s_cbranch_execz .LBB638_37
.LBB638_54:
	v_fma_f32 v3, -v2, v8, v17
	v_bfe_u32 v4, v3, 16, 1
	s_movk_i32 s2, 0x7fff
	v_add3_u32 v4, v3, v4, s2
	v_lshrrev_b32_e32 v4, 16, v4
	v_mov_b32_e32 v5, 0x7fc0
	v_cmp_o_f32_e32 vcc, v3, v3
	v_cndmask_b32_e32 v3, v5, v4, vcc
	global_store_short v[0:1], v3, off offset:384
	s_or_b64 exec, exec, s[0:1]
	s_and_saveexec_b64 s[0:1], s[6:7]
	s_cbranch_execz .LBB638_38
.LBB638_55:
	v_fma_f32 v3, -v2, v19, v20
	v_bfe_u32 v4, v3, 16, 1
	s_movk_i32 s2, 0x7fff
	v_add3_u32 v4, v3, v4, s2
	v_lshrrev_b32_e32 v4, 16, v4
	v_mov_b32_e32 v5, 0x7fc0
	v_cmp_o_f32_e32 vcc, v3, v3
	v_cndmask_b32_e32 v3, v5, v4, vcc
	global_store_short v[0:1], v3, off offset:512
	s_or_b64 exec, exec, s[0:1]
	s_and_saveexec_b64 s[0:1], s[8:9]
	s_cbranch_execz .LBB638_39
.LBB638_56:
	v_fma_f32 v3, -v2, v10, v21
	v_bfe_u32 v4, v3, 16, 1
	s_movk_i32 s2, 0x7fff
	v_add3_u32 v4, v3, v4, s2
	v_lshrrev_b32_e32 v4, 16, v4
	v_mov_b32_e32 v5, 0x7fc0
	v_cmp_o_f32_e32 vcc, v3, v3
	v_cndmask_b32_e32 v3, v5, v4, vcc
	global_store_short v[0:1], v3, off offset:640
	s_or_b64 exec, exec, s[0:1]
	s_and_saveexec_b64 s[0:1], s[10:11]
	s_cbranch_execz .LBB638_40
.LBB638_57:
	v_fma_f32 v3, -v2, v23, v24
	v_bfe_u32 v4, v3, 16, 1
	s_movk_i32 s2, 0x7fff
	v_add3_u32 v4, v3, v4, s2
	v_lshrrev_b32_e32 v4, 16, v4
	v_mov_b32_e32 v5, 0x7fc0
	v_cmp_o_f32_e32 vcc, v3, v3
	v_cndmask_b32_e32 v3, v5, v4, vcc
	global_store_short v[0:1], v3, off offset:768
	s_or_b64 exec, exec, s[0:1]
	s_and_saveexec_b64 s[0:1], s[12:13]
	s_cbranch_execz .LBB638_41
.LBB638_58:
	v_fma_f32 v3, -v2, v14, v25
	v_bfe_u32 v4, v3, 16, 1
	s_movk_i32 s2, 0x7fff
	v_add3_u32 v4, v3, v4, s2
	v_lshrrev_b32_e32 v4, 16, v4
	v_mov_b32_e32 v5, 0x7fc0
	v_cmp_o_f32_e32 vcc, v3, v3
	v_cndmask_b32_e32 v3, v5, v4, vcc
	global_store_short v[0:1], v3, off offset:896
	s_or_b64 exec, exec, s[0:1]
	s_and_saveexec_b64 s[0:1], s[14:15]
	s_cbranch_execz .LBB638_42
.LBB638_59:
	v_fma_f32 v3, -v2, v27, v28
	v_bfe_u32 v4, v3, 16, 1
	s_movk_i32 s2, 0x7fff
	v_add3_u32 v4, v3, v4, s2
	v_lshrrev_b32_e32 v4, 16, v4
	v_mov_b32_e32 v5, 0x7fc0
	v_cmp_o_f32_e32 vcc, v3, v3
	v_cndmask_b32_e32 v3, v5, v4, vcc
	global_store_short v[0:1], v3, off offset:1024
	s_or_b64 exec, exec, s[0:1]
	s_and_saveexec_b64 s[0:1], s[16:17]
	s_cbranch_execz .LBB638_43
.LBB638_60:
	v_fma_f32 v3, -v2, v18, v29
	v_bfe_u32 v4, v3, 16, 1
	s_movk_i32 s2, 0x7fff
	v_add3_u32 v4, v3, v4, s2
	v_lshrrev_b32_e32 v4, 16, v4
	v_mov_b32_e32 v5, 0x7fc0
	v_cmp_o_f32_e32 vcc, v3, v3
	v_cndmask_b32_e32 v3, v5, v4, vcc
	global_store_short v[0:1], v3, off offset:1152
	s_or_b64 exec, exec, s[0:1]
	s_and_saveexec_b64 s[0:1], s[18:19]
	s_cbranch_execz .LBB638_44
.LBB638_61:
	v_fma_f32 v3, -v2, v30, v31
	v_bfe_u32 v4, v3, 16, 1
	s_movk_i32 s2, 0x7fff
	v_add3_u32 v4, v3, v4, s2
	v_lshrrev_b32_e32 v4, 16, v4
	v_mov_b32_e32 v5, 0x7fc0
	v_cmp_o_f32_e32 vcc, v3, v3
	v_cndmask_b32_e32 v3, v5, v4, vcc
	global_store_short v[0:1], v3, off offset:1280
	s_or_b64 exec, exec, s[0:1]
	s_and_saveexec_b64 s[0:1], s[20:21]
	s_cbranch_execz .LBB638_45
.LBB638_62:
	v_fma_f32 v3, -v2, v22, v32
	v_bfe_u32 v4, v3, 16, 1
	s_movk_i32 s2, 0x7fff
	v_add3_u32 v4, v3, v4, s2
	v_lshrrev_b32_e32 v4, 16, v4
	v_mov_b32_e32 v5, 0x7fc0
	v_cmp_o_f32_e32 vcc, v3, v3
	v_cndmask_b32_e32 v3, v5, v4, vcc
	global_store_short v[0:1], v3, off offset:1408
	s_or_b64 exec, exec, s[0:1]
	s_and_saveexec_b64 s[0:1], s[22:23]
	s_cbranch_execz .LBB638_46
.LBB638_63:
	v_fma_f32 v3, -v2, v33, v34
	v_bfe_u32 v4, v3, 16, 1
	s_movk_i32 s2, 0x7fff
	v_add3_u32 v4, v3, v4, s2
	v_lshrrev_b32_e32 v4, 16, v4
	v_mov_b32_e32 v5, 0x7fc0
	v_cmp_o_f32_e32 vcc, v3, v3
	v_cndmask_b32_e32 v3, v5, v4, vcc
	global_store_short v[0:1], v3, off offset:1536
	s_or_b64 exec, exec, s[0:1]
	s_and_saveexec_b64 s[0:1], s[24:25]
	s_cbranch_execz .LBB638_47
.LBB638_64:
	v_fma_f32 v3, -v2, v26, v35
	v_bfe_u32 v4, v3, 16, 1
	s_movk_i32 s2, 0x7fff
	v_add3_u32 v4, v3, v4, s2
	v_lshrrev_b32_e32 v4, 16, v4
	v_mov_b32_e32 v5, 0x7fc0
	v_cmp_o_f32_e32 vcc, v3, v3
	v_cndmask_b32_e32 v3, v5, v4, vcc
	global_store_short v[0:1], v3, off offset:1664
	s_or_b64 exec, exec, s[0:1]
	s_and_saveexec_b64 s[0:1], s[26:27]
	s_cbranch_execz .LBB638_48
.LBB638_65:
	v_fma_f32 v3, -v2, v36, v37
	v_bfe_u32 v4, v3, 16, 1
	s_movk_i32 s2, 0x7fff
	v_add3_u32 v4, v3, v4, s2
	v_lshrrev_b32_e32 v4, 16, v4
	v_mov_b32_e32 v5, 0x7fc0
	v_cmp_o_f32_e32 vcc, v3, v3
	v_cndmask_b32_e32 v3, v5, v4, vcc
	global_store_short v[0:1], v3, off offset:1792
	s_or_b64 exec, exec, s[0:1]
	s_and_b64 exec, exec, s[28:29]
	s_cbranch_execnz .LBB638_49
	s_branch .LBB638_50
	.section	.rodata,"a",@progbits
	.p2align	6, 0x0
	.amdhsa_kernel _ZN12_GLOBAL__N_121softmax_warp_backwardIN3c108BFloat16ES2_fLi10ELb0ELb0ELi64EEEvPT0_PKT_S7_iiiPKb
		.amdhsa_group_segment_fixed_size 0
		.amdhsa_private_segment_fixed_size 0
		.amdhsa_kernarg_size 304
		.amdhsa_user_sgpr_count 6
		.amdhsa_user_sgpr_private_segment_buffer 1
		.amdhsa_user_sgpr_dispatch_ptr 0
		.amdhsa_user_sgpr_queue_ptr 0
		.amdhsa_user_sgpr_kernarg_segment_ptr 1
		.amdhsa_user_sgpr_dispatch_id 0
		.amdhsa_user_sgpr_flat_scratch_init 0
		.amdhsa_user_sgpr_kernarg_preload_length 0
		.amdhsa_user_sgpr_kernarg_preload_offset 0
		.amdhsa_user_sgpr_private_segment_size 0
		.amdhsa_uses_dynamic_stack 0
		.amdhsa_system_sgpr_private_segment_wavefront_offset 0
		.amdhsa_system_sgpr_workgroup_id_x 1
		.amdhsa_system_sgpr_workgroup_id_y 0
		.amdhsa_system_sgpr_workgroup_id_z 0
		.amdhsa_system_sgpr_workgroup_info 0
		.amdhsa_system_vgpr_workitem_id 1
		.amdhsa_next_free_vgpr 39
		.amdhsa_next_free_sgpr 44
		.amdhsa_accum_offset 40
		.amdhsa_reserve_vcc 1
		.amdhsa_reserve_flat_scratch 0
		.amdhsa_float_round_mode_32 0
		.amdhsa_float_round_mode_16_64 0
		.amdhsa_float_denorm_mode_32 3
		.amdhsa_float_denorm_mode_16_64 3
		.amdhsa_dx10_clamp 1
		.amdhsa_ieee_mode 1
		.amdhsa_fp16_overflow 0
		.amdhsa_tg_split 0
		.amdhsa_exception_fp_ieee_invalid_op 0
		.amdhsa_exception_fp_denorm_src 0
		.amdhsa_exception_fp_ieee_div_zero 0
		.amdhsa_exception_fp_ieee_overflow 0
		.amdhsa_exception_fp_ieee_underflow 0
		.amdhsa_exception_fp_ieee_inexact 0
		.amdhsa_exception_int_div_zero 0
	.end_amdhsa_kernel
	.section	.text._ZN12_GLOBAL__N_121softmax_warp_backwardIN3c108BFloat16ES2_fLi10ELb0ELb0ELi64EEEvPT0_PKT_S7_iiiPKb,"axG",@progbits,_ZN12_GLOBAL__N_121softmax_warp_backwardIN3c108BFloat16ES2_fLi10ELb0ELb0ELi64EEEvPT0_PKT_S7_iiiPKb,comdat
.Lfunc_end638:
	.size	_ZN12_GLOBAL__N_121softmax_warp_backwardIN3c108BFloat16ES2_fLi10ELb0ELb0ELi64EEEvPT0_PKT_S7_iiiPKb, .Lfunc_end638-_ZN12_GLOBAL__N_121softmax_warp_backwardIN3c108BFloat16ES2_fLi10ELb0ELb0ELi64EEEvPT0_PKT_S7_iiiPKb
                                        ; -- End function
	.section	.AMDGPU.csdata,"",@progbits
; Kernel info:
; codeLenInByte = 2896
; NumSgprs: 48
; NumVgprs: 39
; NumAgprs: 0
; TotalNumVgprs: 39
; ScratchSize: 0
; MemoryBound: 0
; FloatMode: 240
; IeeeMode: 1
; LDSByteSize: 0 bytes/workgroup (compile time only)
; SGPRBlocks: 5
; VGPRBlocks: 4
; NumSGPRsForWavesPerEU: 48
; NumVGPRsForWavesPerEU: 39
; AccumOffset: 40
; Occupancy: 8
; WaveLimiterHint : 0
; COMPUTE_PGM_RSRC2:SCRATCH_EN: 0
; COMPUTE_PGM_RSRC2:USER_SGPR: 6
; COMPUTE_PGM_RSRC2:TRAP_HANDLER: 0
; COMPUTE_PGM_RSRC2:TGID_X_EN: 1
; COMPUTE_PGM_RSRC2:TGID_Y_EN: 0
; COMPUTE_PGM_RSRC2:TGID_Z_EN: 0
; COMPUTE_PGM_RSRC2:TIDIG_COMP_CNT: 1
; COMPUTE_PGM_RSRC3_GFX90A:ACCUM_OFFSET: 9
; COMPUTE_PGM_RSRC3_GFX90A:TG_SPLIT: 0
	.section	.text._ZN12_GLOBAL__N_121softmax_warp_backwardIN3c108BFloat16ES2_fLi10ELb0ELb0ELi32EEEvPT0_PKT_S7_iiiPKb,"axG",@progbits,_ZN12_GLOBAL__N_121softmax_warp_backwardIN3c108BFloat16ES2_fLi10ELb0ELb0ELi32EEEvPT0_PKT_S7_iiiPKb,comdat
	.globl	_ZN12_GLOBAL__N_121softmax_warp_backwardIN3c108BFloat16ES2_fLi10ELb0ELb0ELi32EEEvPT0_PKT_S7_iiiPKb ; -- Begin function _ZN12_GLOBAL__N_121softmax_warp_backwardIN3c108BFloat16ES2_fLi10ELb0ELb0ELi32EEEvPT0_PKT_S7_iiiPKb
	.p2align	8
	.type	_ZN12_GLOBAL__N_121softmax_warp_backwardIN3c108BFloat16ES2_fLi10ELb0ELb0ELi32EEEvPT0_PKT_S7_iiiPKb,@function
_ZN12_GLOBAL__N_121softmax_warp_backwardIN3c108BFloat16ES2_fLi10ELb0ELb0ELi32EEEvPT0_PKT_S7_iiiPKb: ; @_ZN12_GLOBAL__N_121softmax_warp_backwardIN3c108BFloat16ES2_fLi10ELb0ELb0ELi32EEEvPT0_PKT_S7_iiiPKb
; %bb.0:
	s_load_dword s2, s[4:5], 0x3c
	s_load_dwordx4 s[64:67], s[4:5], 0x18
	s_load_dwordx4 s[68:71], s[4:5], 0x0
	s_load_dwordx2 s[0:1], s[4:5], 0x10
	v_bfe_u32 v1, v0, 10, 10
	s_waitcnt lgkmcnt(0)
	s_lshr_b32 s2, s2, 16
	s_mul_i32 s6, s6, s2
	v_and_b32_e32 v46, 0x3ff, v0
	v_add_u32_e32 v1, s6, v1
	v_and_b32_e32 v6, 31, v46
	v_sub_u32_e32 v9, s64, v1
	v_mad_u64_u32 v[0:1], s[2:3], v1, s65, v[6:7]
	v_ashrrev_i32_e32 v1, 31, v0
	v_lshlrev_b64 v[0:1], 1, v[0:1]
	v_mov_b32_e32 v3, s71
	v_add_co_u32_e32 v2, vcc, s70, v0
	v_addc_co_u32_e32 v3, vcc, v3, v1, vcc
	v_mov_b32_e32 v5, s1
	v_add_co_u32_e32 v4, vcc, s0, v0
	v_addc_co_u32_e32 v5, vcc, v5, v1, vcc
	v_cmp_lt_i32_e64 s[46:47], 0, v9
	v_cmp_gt_i32_e32 vcc, s66, v6
	s_and_b64 s[2:3], s[46:47], vcc
	v_mov_b32_e32 v7, 0
	v_mov_b32_e32 v11, 0
	;; [unrolled: 1-line block ×3, first 2 shown]
	s_and_saveexec_b64 s[0:1], s[2:3]
	s_cbranch_execz .LBB639_2
; %bb.1:
	global_load_ushort v8, v[4:5], off
	global_load_ushort v10, v[2:3], off
	s_waitcnt vmcnt(1)
	v_lshlrev_b32_e32 v11, 16, v8
	s_waitcnt vmcnt(0)
	v_lshlrev_b32_e32 v12, 16, v10
.LBB639_2:
	s_or_b64 exec, exec, s[0:1]
	v_or_b32_e32 v8, 32, v6
	v_cmp_gt_i32_e64 s[0:1], s66, v8
	s_and_b64 s[4:5], s[46:47], s[0:1]
	v_mov_b32_e32 v13, 0
	s_and_saveexec_b64 s[2:3], s[4:5]
	s_cbranch_execz .LBB639_4
; %bb.3:
	global_load_ushort v7, v[4:5], off offset:64
	global_load_ushort v8, v[2:3], off offset:64
	s_waitcnt vmcnt(1)
	v_lshlrev_b32_e32 v7, 16, v7
	s_waitcnt vmcnt(0)
	v_lshlrev_b32_e32 v13, 16, v8
.LBB639_4:
	s_or_b64 exec, exec, s[2:3]
	v_or_b32_e32 v8, 64, v6
	v_cmp_gt_i32_e64 s[2:3], s66, v8
	s_and_b64 s[6:7], s[46:47], s[2:3]
	v_mov_b32_e32 v8, 0
	v_mov_b32_e32 v15, 0
	v_mov_b32_e32 v16, 0
	s_and_saveexec_b64 s[4:5], s[6:7]
	s_cbranch_execz .LBB639_6
; %bb.5:
	global_load_ushort v10, v[4:5], off offset:128
	global_load_ushort v14, v[2:3], off offset:128
	s_waitcnt vmcnt(1)
	v_lshlrev_b32_e32 v15, 16, v10
	s_waitcnt vmcnt(0)
	v_lshlrev_b32_e32 v16, 16, v14
.LBB639_6:
	s_or_b64 exec, exec, s[4:5]
	v_or_b32_e32 v10, 0x60, v6
	v_cmp_gt_i32_e64 s[4:5], s66, v10
	s_and_b64 s[8:9], s[46:47], s[4:5]
	v_mov_b32_e32 v17, 0
	s_and_saveexec_b64 s[6:7], s[8:9]
	s_cbranch_execz .LBB639_8
; %bb.7:
	global_load_ushort v8, v[4:5], off offset:192
	global_load_ushort v10, v[2:3], off offset:192
	s_waitcnt vmcnt(1)
	v_lshlrev_b32_e32 v8, 16, v8
	s_waitcnt vmcnt(0)
	v_lshlrev_b32_e32 v17, 16, v10
.LBB639_8:
	s_or_b64 exec, exec, s[6:7]
	v_or_b32_e32 v10, 0x80, v6
	v_cmp_gt_i32_e64 s[6:7], s66, v10
	s_and_b64 s[10:11], s[46:47], s[6:7]
	v_mov_b32_e32 v10, 0
	v_mov_b32_e32 v19, 0
	v_mov_b32_e32 v20, 0
	s_and_saveexec_b64 s[8:9], s[10:11]
	s_cbranch_execz .LBB639_10
; %bb.9:
	global_load_ushort v14, v[4:5], off offset:256
	global_load_ushort v18, v[2:3], off offset:256
	s_waitcnt vmcnt(1)
	v_lshlrev_b32_e32 v19, 16, v14
	s_waitcnt vmcnt(0)
	v_lshlrev_b32_e32 v20, 16, v18
.LBB639_10:
	;; [unrolled: 32-line block ×15, first 2 shown]
	s_or_b64 exec, exec, s[64:65]
	v_or_b32_e32 v46, 0x3e0, v46
	v_cmp_gt_i32_e64 s[64:65], s66, v46
	s_and_b64 s[66:67], s[46:47], s[64:65]
	v_mov_b32_e32 v46, 0
	s_and_saveexec_b64 s[46:47], s[66:67]
	s_cbranch_execz .LBB639_64
; %bb.63:
	global_load_ushort v4, v[4:5], off offset:1984
	s_nop 0
	global_load_ushort v2, v[2:3], off offset:1984
	s_waitcnt vmcnt(1)
	v_lshlrev_b32_e32 v6, 16, v4
	s_waitcnt vmcnt(0)
	v_lshlrev_b32_e32 v46, 16, v2
.LBB639_64:
	s_or_b64 exec, exec, s[46:47]
	v_add_f32_e32 v2, 0, v12
	v_add_f32_e32 v2, v2, v13
	v_add_f32_e32 v2, v2, v16
	v_add_f32_e32 v2, v2, v17
	v_add_f32_e32 v2, v2, v20
	v_add_f32_e32 v2, v2, v21
	v_add_f32_e32 v2, v2, v24
	v_add_f32_e32 v2, v2, v25
	v_add_f32_e32 v2, v2, v28
	v_add_f32_e32 v2, v2, v29
	v_add_f32_e32 v2, v2, v32
	v_add_f32_e32 v2, v2, v33
	v_add_f32_e32 v2, v2, v36
	v_add_f32_e32 v2, v2, v37
	v_add_f32_e32 v2, v2, v40
	v_add_f32_e32 v2, v2, v41
	v_add_f32_e32 v2, v2, v44
	v_add_f32_e32 v2, v2, v45
	v_add_f32_e32 v2, v2, v49
	v_add_f32_e32 v2, v2, v50
	v_add_f32_e32 v2, v2, v53
	v_add_f32_e32 v2, v2, v54
	v_add_f32_e32 v2, v2, v57
	v_add_f32_e32 v2, v2, v58
	v_add_f32_e32 v2, v2, v61
	v_add_f32_e32 v2, v2, v62
	v_mbcnt_lo_u32_b32 v3, -1, 0
	v_add_f32_e32 v2, v2, v64
	v_mbcnt_hi_u32_b32 v3, -1, v3
	v_add_f32_e32 v2, v2, v65
	v_and_b32_e32 v4, 0x60, v3
	v_add_f32_e32 v2, v2, v67
	v_add_u32_e32 v4, 32, v4
	v_xor_b32_e32 v5, 16, v3
	v_add_f32_e32 v2, v2, v68
	v_cmp_lt_i32_e64 s[46:47], v5, v4
	v_add_f32_e32 v2, v2, v70
	v_cndmask_b32_e64 v5, v3, v5, s[46:47]
	v_add_f32_e32 v2, v2, v46
	v_lshlrev_b32_e32 v5, 2, v5
	ds_bpermute_b32 v5, v5, v2
	s_waitcnt lgkmcnt(0)
	v_add_f32_e32 v2, v2, v5
	v_xor_b32_e32 v5, 8, v3
	v_cmp_lt_i32_e64 s[46:47], v5, v4
	v_cndmask_b32_e64 v5, v3, v5, s[46:47]
	v_lshlrev_b32_e32 v5, 2, v5
	ds_bpermute_b32 v5, v5, v2
	s_waitcnt lgkmcnt(0)
	v_add_f32_e32 v2, v2, v5
	v_xor_b32_e32 v5, 4, v3
	v_cmp_lt_i32_e64 s[46:47], v5, v4
	v_cndmask_b32_e64 v5, v3, v5, s[46:47]
	;; [unrolled: 7-line block ×4, first 2 shown]
	v_lshlrev_b32_e32 v3, 2, v3
	ds_bpermute_b32 v3, v3, v2
	v_cmp_lt_i32_e64 s[46:47], 0, v9
	s_and_saveexec_b64 s[66:67], s[46:47]
	s_cbranch_execz .LBB639_98
; %bb.65:
	v_mov_b32_e32 v4, s69
	v_add_co_u32_e64 v0, s[46:47], s68, v0
	v_addc_co_u32_e64 v1, s[46:47], v4, v1, s[46:47]
	s_waitcnt lgkmcnt(0)
	v_add_f32_e32 v2, v2, v3
	s_and_saveexec_b64 s[46:47], vcc
	s_cbranch_execnz .LBB639_99
; %bb.66:
	s_or_b64 exec, exec, s[46:47]
	s_and_saveexec_b64 s[46:47], s[0:1]
	s_cbranch_execnz .LBB639_100
.LBB639_67:
	s_or_b64 exec, exec, s[46:47]
	s_and_saveexec_b64 s[0:1], s[2:3]
	s_cbranch_execnz .LBB639_101
.LBB639_68:
	s_or_b64 exec, exec, s[0:1]
	s_and_saveexec_b64 s[0:1], s[4:5]
	s_cbranch_execnz .LBB639_102
.LBB639_69:
	s_or_b64 exec, exec, s[0:1]
	s_and_saveexec_b64 s[0:1], s[6:7]
	s_cbranch_execnz .LBB639_103
.LBB639_70:
	s_or_b64 exec, exec, s[0:1]
	s_and_saveexec_b64 s[0:1], s[8:9]
	s_cbranch_execnz .LBB639_104
.LBB639_71:
	s_or_b64 exec, exec, s[0:1]
	s_and_saveexec_b64 s[0:1], s[10:11]
	s_cbranch_execnz .LBB639_105
.LBB639_72:
	s_or_b64 exec, exec, s[0:1]
	s_and_saveexec_b64 s[0:1], s[12:13]
	s_cbranch_execnz .LBB639_106
.LBB639_73:
	s_or_b64 exec, exec, s[0:1]
	s_and_saveexec_b64 s[0:1], s[14:15]
	s_cbranch_execnz .LBB639_107
.LBB639_74:
	s_or_b64 exec, exec, s[0:1]
	s_and_saveexec_b64 s[0:1], s[16:17]
	s_cbranch_execnz .LBB639_108
.LBB639_75:
	s_or_b64 exec, exec, s[0:1]
	s_and_saveexec_b64 s[0:1], s[18:19]
	s_cbranch_execnz .LBB639_109
.LBB639_76:
	s_or_b64 exec, exec, s[0:1]
	s_and_saveexec_b64 s[0:1], s[20:21]
	s_cbranch_execnz .LBB639_110
.LBB639_77:
	s_or_b64 exec, exec, s[0:1]
	s_and_saveexec_b64 s[0:1], s[22:23]
	s_cbranch_execnz .LBB639_111
.LBB639_78:
	s_or_b64 exec, exec, s[0:1]
	s_and_saveexec_b64 s[0:1], s[24:25]
	s_cbranch_execnz .LBB639_112
.LBB639_79:
	s_or_b64 exec, exec, s[0:1]
	s_and_saveexec_b64 s[0:1], s[26:27]
	s_cbranch_execnz .LBB639_113
.LBB639_80:
	s_or_b64 exec, exec, s[0:1]
	s_and_saveexec_b64 s[0:1], s[28:29]
	s_cbranch_execnz .LBB639_114
.LBB639_81:
	s_or_b64 exec, exec, s[0:1]
	s_and_saveexec_b64 s[0:1], s[30:31]
	s_cbranch_execnz .LBB639_115
.LBB639_82:
	s_or_b64 exec, exec, s[0:1]
	s_and_saveexec_b64 s[0:1], s[34:35]
	s_cbranch_execnz .LBB639_116
.LBB639_83:
	s_or_b64 exec, exec, s[0:1]
	s_and_saveexec_b64 s[0:1], s[36:37]
	s_cbranch_execnz .LBB639_117
.LBB639_84:
	s_or_b64 exec, exec, s[0:1]
	s_and_saveexec_b64 s[0:1], s[38:39]
	s_cbranch_execnz .LBB639_118
.LBB639_85:
	s_or_b64 exec, exec, s[0:1]
	s_and_saveexec_b64 s[0:1], s[40:41]
	s_cbranch_execnz .LBB639_119
.LBB639_86:
	s_or_b64 exec, exec, s[0:1]
	s_and_saveexec_b64 s[0:1], s[42:43]
	s_cbranch_execnz .LBB639_120
.LBB639_87:
	s_or_b64 exec, exec, s[0:1]
	s_and_saveexec_b64 s[0:1], s[44:45]
	s_cbranch_execnz .LBB639_121
.LBB639_88:
	s_or_b64 exec, exec, s[0:1]
	s_and_saveexec_b64 s[0:1], s[48:49]
	s_cbranch_execnz .LBB639_122
.LBB639_89:
	s_or_b64 exec, exec, s[0:1]
	s_and_saveexec_b64 s[0:1], s[50:51]
	s_cbranch_execnz .LBB639_123
.LBB639_90:
	s_or_b64 exec, exec, s[0:1]
	s_and_saveexec_b64 s[0:1], s[52:53]
	s_cbranch_execnz .LBB639_124
.LBB639_91:
	s_or_b64 exec, exec, s[0:1]
	s_and_saveexec_b64 s[0:1], s[54:55]
	s_cbranch_execnz .LBB639_125
.LBB639_92:
	s_or_b64 exec, exec, s[0:1]
	s_and_saveexec_b64 s[0:1], s[56:57]
	s_cbranch_execnz .LBB639_126
.LBB639_93:
	s_or_b64 exec, exec, s[0:1]
	s_and_saveexec_b64 s[0:1], s[58:59]
	s_cbranch_execnz .LBB639_127
.LBB639_94:
	s_or_b64 exec, exec, s[0:1]
	s_and_saveexec_b64 s[0:1], s[60:61]
	s_cbranch_execnz .LBB639_128
.LBB639_95:
	s_or_b64 exec, exec, s[0:1]
	s_and_saveexec_b64 s[0:1], s[62:63]
	s_cbranch_execnz .LBB639_129
.LBB639_96:
	s_or_b64 exec, exec, s[0:1]
	s_and_b64 exec, exec, s[64:65]
	s_cbranch_execz .LBB639_98
.LBB639_97:
	v_fma_f32 v2, -v2, v6, v46
	v_bfe_u32 v3, v2, 16, 1
	s_movk_i32 s0, 0x7fff
	v_add3_u32 v3, v2, v3, s0
	v_lshrrev_b32_e32 v3, 16, v3
	v_mov_b32_e32 v4, 0x7fc0
	v_cmp_o_f32_e32 vcc, v2, v2
	v_cndmask_b32_e32 v2, v4, v3, vcc
	global_store_short v[0:1], v2, off offset:1984
.LBB639_98:
	s_endpgm
.LBB639_99:
	v_fma_f32 v3, -v2, v11, v12
	v_bfe_u32 v4, v3, 16, 1
	s_movk_i32 s33, 0x7fff
	v_add3_u32 v4, v3, v4, s33
	v_lshrrev_b32_e32 v4, 16, v4
	v_mov_b32_e32 v5, 0x7fc0
	v_cmp_o_f32_e32 vcc, v3, v3
	v_cndmask_b32_e32 v3, v5, v4, vcc
	global_store_short v[0:1], v3, off
	s_or_b64 exec, exec, s[46:47]
	s_and_saveexec_b64 s[46:47], s[0:1]
	s_cbranch_execz .LBB639_67
.LBB639_100:
	v_fma_f32 v3, -v2, v7, v13
	v_bfe_u32 v4, v3, 16, 1
	s_movk_i32 s0, 0x7fff
	v_add3_u32 v4, v3, v4, s0
	v_lshrrev_b32_e32 v4, 16, v4
	v_mov_b32_e32 v5, 0x7fc0
	v_cmp_o_f32_e32 vcc, v3, v3
	v_cndmask_b32_e32 v3, v5, v4, vcc
	global_store_short v[0:1], v3, off offset:64
	s_or_b64 exec, exec, s[46:47]
	s_and_saveexec_b64 s[0:1], s[2:3]
	s_cbranch_execz .LBB639_68
.LBB639_101:
	v_fma_f32 v3, -v2, v15, v16
	v_bfe_u32 v4, v3, 16, 1
	s_movk_i32 s2, 0x7fff
	v_add3_u32 v4, v3, v4, s2
	v_lshrrev_b32_e32 v4, 16, v4
	v_mov_b32_e32 v5, 0x7fc0
	v_cmp_o_f32_e32 vcc, v3, v3
	v_cndmask_b32_e32 v3, v5, v4, vcc
	global_store_short v[0:1], v3, off offset:128
	s_or_b64 exec, exec, s[0:1]
	s_and_saveexec_b64 s[0:1], s[4:5]
	s_cbranch_execz .LBB639_69
.LBB639_102:
	v_fma_f32 v3, -v2, v8, v17
	v_bfe_u32 v4, v3, 16, 1
	s_movk_i32 s2, 0x7fff
	v_add3_u32 v4, v3, v4, s2
	v_lshrrev_b32_e32 v4, 16, v4
	v_mov_b32_e32 v5, 0x7fc0
	v_cmp_o_f32_e32 vcc, v3, v3
	v_cndmask_b32_e32 v3, v5, v4, vcc
	global_store_short v[0:1], v3, off offset:192
	s_or_b64 exec, exec, s[0:1]
	s_and_saveexec_b64 s[0:1], s[6:7]
	s_cbranch_execz .LBB639_70
.LBB639_103:
	v_fma_f32 v3, -v2, v19, v20
	v_bfe_u32 v4, v3, 16, 1
	s_movk_i32 s2, 0x7fff
	v_add3_u32 v4, v3, v4, s2
	v_lshrrev_b32_e32 v4, 16, v4
	v_mov_b32_e32 v5, 0x7fc0
	v_cmp_o_f32_e32 vcc, v3, v3
	v_cndmask_b32_e32 v3, v5, v4, vcc
	global_store_short v[0:1], v3, off offset:256
	s_or_b64 exec, exec, s[0:1]
	s_and_saveexec_b64 s[0:1], s[8:9]
	s_cbranch_execz .LBB639_71
.LBB639_104:
	v_fma_f32 v3, -v2, v10, v21
	v_bfe_u32 v4, v3, 16, 1
	s_movk_i32 s2, 0x7fff
	v_add3_u32 v4, v3, v4, s2
	v_lshrrev_b32_e32 v4, 16, v4
	v_mov_b32_e32 v5, 0x7fc0
	v_cmp_o_f32_e32 vcc, v3, v3
	v_cndmask_b32_e32 v3, v5, v4, vcc
	global_store_short v[0:1], v3, off offset:320
	s_or_b64 exec, exec, s[0:1]
	s_and_saveexec_b64 s[0:1], s[10:11]
	s_cbranch_execz .LBB639_72
.LBB639_105:
	v_fma_f32 v3, -v2, v23, v24
	v_bfe_u32 v4, v3, 16, 1
	s_movk_i32 s2, 0x7fff
	v_add3_u32 v4, v3, v4, s2
	v_lshrrev_b32_e32 v4, 16, v4
	v_mov_b32_e32 v5, 0x7fc0
	v_cmp_o_f32_e32 vcc, v3, v3
	v_cndmask_b32_e32 v3, v5, v4, vcc
	global_store_short v[0:1], v3, off offset:384
	s_or_b64 exec, exec, s[0:1]
	s_and_saveexec_b64 s[0:1], s[12:13]
	s_cbranch_execz .LBB639_73
.LBB639_106:
	v_fma_f32 v3, -v2, v14, v25
	v_bfe_u32 v4, v3, 16, 1
	s_movk_i32 s2, 0x7fff
	v_add3_u32 v4, v3, v4, s2
	v_lshrrev_b32_e32 v4, 16, v4
	v_mov_b32_e32 v5, 0x7fc0
	v_cmp_o_f32_e32 vcc, v3, v3
	v_cndmask_b32_e32 v3, v5, v4, vcc
	global_store_short v[0:1], v3, off offset:448
	s_or_b64 exec, exec, s[0:1]
	s_and_saveexec_b64 s[0:1], s[14:15]
	s_cbranch_execz .LBB639_74
.LBB639_107:
	v_fma_f32 v3, -v2, v27, v28
	v_bfe_u32 v4, v3, 16, 1
	s_movk_i32 s2, 0x7fff
	v_add3_u32 v4, v3, v4, s2
	v_lshrrev_b32_e32 v4, 16, v4
	v_mov_b32_e32 v5, 0x7fc0
	v_cmp_o_f32_e32 vcc, v3, v3
	v_cndmask_b32_e32 v3, v5, v4, vcc
	global_store_short v[0:1], v3, off offset:512
	s_or_b64 exec, exec, s[0:1]
	s_and_saveexec_b64 s[0:1], s[16:17]
	s_cbranch_execz .LBB639_75
.LBB639_108:
	v_fma_f32 v3, -v2, v18, v29
	v_bfe_u32 v4, v3, 16, 1
	s_movk_i32 s2, 0x7fff
	v_add3_u32 v4, v3, v4, s2
	v_lshrrev_b32_e32 v4, 16, v4
	v_mov_b32_e32 v5, 0x7fc0
	v_cmp_o_f32_e32 vcc, v3, v3
	v_cndmask_b32_e32 v3, v5, v4, vcc
	global_store_short v[0:1], v3, off offset:576
	s_or_b64 exec, exec, s[0:1]
	s_and_saveexec_b64 s[0:1], s[18:19]
	s_cbranch_execz .LBB639_76
.LBB639_109:
	v_fma_f32 v3, -v2, v31, v32
	v_bfe_u32 v4, v3, 16, 1
	s_movk_i32 s2, 0x7fff
	v_add3_u32 v4, v3, v4, s2
	v_lshrrev_b32_e32 v4, 16, v4
	v_mov_b32_e32 v5, 0x7fc0
	v_cmp_o_f32_e32 vcc, v3, v3
	v_cndmask_b32_e32 v3, v5, v4, vcc
	global_store_short v[0:1], v3, off offset:640
	s_or_b64 exec, exec, s[0:1]
	s_and_saveexec_b64 s[0:1], s[20:21]
	s_cbranch_execz .LBB639_77
.LBB639_110:
	v_fma_f32 v3, -v2, v22, v33
	v_bfe_u32 v4, v3, 16, 1
	s_movk_i32 s2, 0x7fff
	v_add3_u32 v4, v3, v4, s2
	v_lshrrev_b32_e32 v4, 16, v4
	v_mov_b32_e32 v5, 0x7fc0
	v_cmp_o_f32_e32 vcc, v3, v3
	v_cndmask_b32_e32 v3, v5, v4, vcc
	global_store_short v[0:1], v3, off offset:704
	s_or_b64 exec, exec, s[0:1]
	s_and_saveexec_b64 s[0:1], s[22:23]
	s_cbranch_execz .LBB639_78
.LBB639_111:
	v_fma_f32 v3, -v2, v35, v36
	v_bfe_u32 v4, v3, 16, 1
	s_movk_i32 s2, 0x7fff
	v_add3_u32 v4, v3, v4, s2
	v_lshrrev_b32_e32 v4, 16, v4
	v_mov_b32_e32 v5, 0x7fc0
	v_cmp_o_f32_e32 vcc, v3, v3
	v_cndmask_b32_e32 v3, v5, v4, vcc
	global_store_short v[0:1], v3, off offset:768
	s_or_b64 exec, exec, s[0:1]
	s_and_saveexec_b64 s[0:1], s[24:25]
	s_cbranch_execz .LBB639_79
.LBB639_112:
	v_fma_f32 v3, -v2, v26, v37
	v_bfe_u32 v4, v3, 16, 1
	s_movk_i32 s2, 0x7fff
	v_add3_u32 v4, v3, v4, s2
	v_lshrrev_b32_e32 v4, 16, v4
	v_mov_b32_e32 v5, 0x7fc0
	v_cmp_o_f32_e32 vcc, v3, v3
	v_cndmask_b32_e32 v3, v5, v4, vcc
	global_store_short v[0:1], v3, off offset:832
	s_or_b64 exec, exec, s[0:1]
	s_and_saveexec_b64 s[0:1], s[26:27]
	s_cbranch_execz .LBB639_80
.LBB639_113:
	v_fma_f32 v3, -v2, v39, v40
	v_bfe_u32 v4, v3, 16, 1
	s_movk_i32 s2, 0x7fff
	v_add3_u32 v4, v3, v4, s2
	v_lshrrev_b32_e32 v4, 16, v4
	v_mov_b32_e32 v5, 0x7fc0
	v_cmp_o_f32_e32 vcc, v3, v3
	v_cndmask_b32_e32 v3, v5, v4, vcc
	global_store_short v[0:1], v3, off offset:896
	s_or_b64 exec, exec, s[0:1]
	s_and_saveexec_b64 s[0:1], s[28:29]
	s_cbranch_execz .LBB639_81
.LBB639_114:
	v_fma_f32 v3, -v2, v30, v41
	v_bfe_u32 v4, v3, 16, 1
	s_movk_i32 s2, 0x7fff
	v_add3_u32 v4, v3, v4, s2
	v_lshrrev_b32_e32 v4, 16, v4
	v_mov_b32_e32 v5, 0x7fc0
	v_cmp_o_f32_e32 vcc, v3, v3
	v_cndmask_b32_e32 v3, v5, v4, vcc
	global_store_short v[0:1], v3, off offset:960
	s_or_b64 exec, exec, s[0:1]
	s_and_saveexec_b64 s[0:1], s[30:31]
	s_cbranch_execz .LBB639_82
.LBB639_115:
	v_fma_f32 v3, -v2, v43, v44
	v_bfe_u32 v4, v3, 16, 1
	s_movk_i32 s2, 0x7fff
	v_add3_u32 v4, v3, v4, s2
	v_lshrrev_b32_e32 v4, 16, v4
	v_mov_b32_e32 v5, 0x7fc0
	v_cmp_o_f32_e32 vcc, v3, v3
	v_cndmask_b32_e32 v3, v5, v4, vcc
	global_store_short v[0:1], v3, off offset:1024
	s_or_b64 exec, exec, s[0:1]
	s_and_saveexec_b64 s[0:1], s[34:35]
	s_cbranch_execz .LBB639_83
.LBB639_116:
	v_fma_f32 v3, -v2, v34, v45
	v_bfe_u32 v4, v3, 16, 1
	s_movk_i32 s2, 0x7fff
	v_add3_u32 v4, v3, v4, s2
	v_lshrrev_b32_e32 v4, 16, v4
	v_mov_b32_e32 v5, 0x7fc0
	v_cmp_o_f32_e32 vcc, v3, v3
	v_cndmask_b32_e32 v3, v5, v4, vcc
	global_store_short v[0:1], v3, off offset:1088
	s_or_b64 exec, exec, s[0:1]
	s_and_saveexec_b64 s[0:1], s[36:37]
	s_cbranch_execz .LBB639_84
.LBB639_117:
	v_fma_f32 v3, -v2, v48, v49
	v_bfe_u32 v4, v3, 16, 1
	s_movk_i32 s2, 0x7fff
	v_add3_u32 v4, v3, v4, s2
	v_lshrrev_b32_e32 v4, 16, v4
	v_mov_b32_e32 v5, 0x7fc0
	v_cmp_o_f32_e32 vcc, v3, v3
	v_cndmask_b32_e32 v3, v5, v4, vcc
	global_store_short v[0:1], v3, off offset:1152
	s_or_b64 exec, exec, s[0:1]
	s_and_saveexec_b64 s[0:1], s[38:39]
	s_cbranch_execz .LBB639_85
.LBB639_118:
	v_fma_f32 v3, -v2, v38, v50
	v_bfe_u32 v4, v3, 16, 1
	s_movk_i32 s2, 0x7fff
	v_add3_u32 v4, v3, v4, s2
	v_lshrrev_b32_e32 v4, 16, v4
	v_mov_b32_e32 v5, 0x7fc0
	v_cmp_o_f32_e32 vcc, v3, v3
	v_cndmask_b32_e32 v3, v5, v4, vcc
	global_store_short v[0:1], v3, off offset:1216
	s_or_b64 exec, exec, s[0:1]
	s_and_saveexec_b64 s[0:1], s[40:41]
	s_cbranch_execz .LBB639_86
.LBB639_119:
	v_fma_f32 v3, -v2, v52, v53
	v_bfe_u32 v4, v3, 16, 1
	s_movk_i32 s2, 0x7fff
	v_add3_u32 v4, v3, v4, s2
	v_lshrrev_b32_e32 v4, 16, v4
	v_mov_b32_e32 v5, 0x7fc0
	v_cmp_o_f32_e32 vcc, v3, v3
	v_cndmask_b32_e32 v3, v5, v4, vcc
	global_store_short v[0:1], v3, off offset:1280
	s_or_b64 exec, exec, s[0:1]
	s_and_saveexec_b64 s[0:1], s[42:43]
	s_cbranch_execz .LBB639_87
.LBB639_120:
	v_fma_f32 v3, -v2, v42, v54
	v_bfe_u32 v4, v3, 16, 1
	s_movk_i32 s2, 0x7fff
	v_add3_u32 v4, v3, v4, s2
	v_lshrrev_b32_e32 v4, 16, v4
	v_mov_b32_e32 v5, 0x7fc0
	v_cmp_o_f32_e32 vcc, v3, v3
	v_cndmask_b32_e32 v3, v5, v4, vcc
	global_store_short v[0:1], v3, off offset:1344
	s_or_b64 exec, exec, s[0:1]
	s_and_saveexec_b64 s[0:1], s[44:45]
	s_cbranch_execz .LBB639_88
.LBB639_121:
	v_fma_f32 v3, -v2, v56, v57
	v_bfe_u32 v4, v3, 16, 1
	s_movk_i32 s2, 0x7fff
	v_add3_u32 v4, v3, v4, s2
	v_lshrrev_b32_e32 v4, 16, v4
	v_mov_b32_e32 v5, 0x7fc0
	v_cmp_o_f32_e32 vcc, v3, v3
	v_cndmask_b32_e32 v3, v5, v4, vcc
	global_store_short v[0:1], v3, off offset:1408
	s_or_b64 exec, exec, s[0:1]
	s_and_saveexec_b64 s[0:1], s[48:49]
	s_cbranch_execz .LBB639_89
.LBB639_122:
	v_fma_f32 v3, -v2, v47, v58
	v_bfe_u32 v4, v3, 16, 1
	s_movk_i32 s2, 0x7fff
	v_add3_u32 v4, v3, v4, s2
	v_lshrrev_b32_e32 v4, 16, v4
	v_mov_b32_e32 v5, 0x7fc0
	v_cmp_o_f32_e32 vcc, v3, v3
	v_cndmask_b32_e32 v3, v5, v4, vcc
	global_store_short v[0:1], v3, off offset:1472
	s_or_b64 exec, exec, s[0:1]
	s_and_saveexec_b64 s[0:1], s[50:51]
	s_cbranch_execz .LBB639_90
.LBB639_123:
	v_fma_f32 v3, -v2, v60, v61
	v_bfe_u32 v4, v3, 16, 1
	s_movk_i32 s2, 0x7fff
	v_add3_u32 v4, v3, v4, s2
	v_lshrrev_b32_e32 v4, 16, v4
	v_mov_b32_e32 v5, 0x7fc0
	v_cmp_o_f32_e32 vcc, v3, v3
	v_cndmask_b32_e32 v3, v5, v4, vcc
	global_store_short v[0:1], v3, off offset:1536
	s_or_b64 exec, exec, s[0:1]
	s_and_saveexec_b64 s[0:1], s[52:53]
	s_cbranch_execz .LBB639_91
.LBB639_124:
	v_fma_f32 v3, -v2, v51, v62
	v_bfe_u32 v4, v3, 16, 1
	s_movk_i32 s2, 0x7fff
	v_add3_u32 v4, v3, v4, s2
	v_lshrrev_b32_e32 v4, 16, v4
	v_mov_b32_e32 v5, 0x7fc0
	v_cmp_o_f32_e32 vcc, v3, v3
	v_cndmask_b32_e32 v3, v5, v4, vcc
	global_store_short v[0:1], v3, off offset:1600
	s_or_b64 exec, exec, s[0:1]
	s_and_saveexec_b64 s[0:1], s[54:55]
	s_cbranch_execz .LBB639_92
.LBB639_125:
	v_fma_f32 v3, -v2, v63, v64
	v_bfe_u32 v4, v3, 16, 1
	s_movk_i32 s2, 0x7fff
	v_add3_u32 v4, v3, v4, s2
	v_lshrrev_b32_e32 v4, 16, v4
	v_mov_b32_e32 v5, 0x7fc0
	v_cmp_o_f32_e32 vcc, v3, v3
	v_cndmask_b32_e32 v3, v5, v4, vcc
	global_store_short v[0:1], v3, off offset:1664
	s_or_b64 exec, exec, s[0:1]
	s_and_saveexec_b64 s[0:1], s[56:57]
	s_cbranch_execz .LBB639_93
.LBB639_126:
	v_fma_f32 v3, -v2, v55, v65
	v_bfe_u32 v4, v3, 16, 1
	s_movk_i32 s2, 0x7fff
	v_add3_u32 v4, v3, v4, s2
	v_lshrrev_b32_e32 v4, 16, v4
	v_mov_b32_e32 v5, 0x7fc0
	v_cmp_o_f32_e32 vcc, v3, v3
	v_cndmask_b32_e32 v3, v5, v4, vcc
	global_store_short v[0:1], v3, off offset:1728
	s_or_b64 exec, exec, s[0:1]
	s_and_saveexec_b64 s[0:1], s[58:59]
	s_cbranch_execz .LBB639_94
.LBB639_127:
	v_fma_f32 v3, -v2, v66, v67
	v_bfe_u32 v4, v3, 16, 1
	s_movk_i32 s2, 0x7fff
	v_add3_u32 v4, v3, v4, s2
	v_lshrrev_b32_e32 v4, 16, v4
	v_mov_b32_e32 v5, 0x7fc0
	v_cmp_o_f32_e32 vcc, v3, v3
	v_cndmask_b32_e32 v3, v5, v4, vcc
	global_store_short v[0:1], v3, off offset:1792
	s_or_b64 exec, exec, s[0:1]
	s_and_saveexec_b64 s[0:1], s[60:61]
	s_cbranch_execz .LBB639_95
.LBB639_128:
	v_fma_f32 v3, -v2, v59, v68
	v_bfe_u32 v4, v3, 16, 1
	s_movk_i32 s2, 0x7fff
	v_add3_u32 v4, v3, v4, s2
	v_lshrrev_b32_e32 v4, 16, v4
	v_mov_b32_e32 v5, 0x7fc0
	v_cmp_o_f32_e32 vcc, v3, v3
	v_cndmask_b32_e32 v3, v5, v4, vcc
	global_store_short v[0:1], v3, off offset:1856
	s_or_b64 exec, exec, s[0:1]
	s_and_saveexec_b64 s[0:1], s[62:63]
	s_cbranch_execz .LBB639_96
.LBB639_129:
	v_fma_f32 v3, -v2, v69, v70
	v_bfe_u32 v4, v3, 16, 1
	s_movk_i32 s2, 0x7fff
	v_add3_u32 v4, v3, v4, s2
	v_lshrrev_b32_e32 v4, 16, v4
	v_mov_b32_e32 v5, 0x7fc0
	v_cmp_o_f32_e32 vcc, v3, v3
	v_cndmask_b32_e32 v3, v5, v4, vcc
	global_store_short v[0:1], v3, off offset:1920
	s_or_b64 exec, exec, s[0:1]
	s_and_b64 exec, exec, s[64:65]
	s_cbranch_execnz .LBB639_97
	s_branch .LBB639_98
	.section	.rodata,"a",@progbits
	.p2align	6, 0x0
	.amdhsa_kernel _ZN12_GLOBAL__N_121softmax_warp_backwardIN3c108BFloat16ES2_fLi10ELb0ELb0ELi32EEEvPT0_PKT_S7_iiiPKb
		.amdhsa_group_segment_fixed_size 0
		.amdhsa_private_segment_fixed_size 0
		.amdhsa_kernarg_size 304
		.amdhsa_user_sgpr_count 6
		.amdhsa_user_sgpr_private_segment_buffer 1
		.amdhsa_user_sgpr_dispatch_ptr 0
		.amdhsa_user_sgpr_queue_ptr 0
		.amdhsa_user_sgpr_kernarg_segment_ptr 1
		.amdhsa_user_sgpr_dispatch_id 0
		.amdhsa_user_sgpr_flat_scratch_init 0
		.amdhsa_user_sgpr_kernarg_preload_length 0
		.amdhsa_user_sgpr_kernarg_preload_offset 0
		.amdhsa_user_sgpr_private_segment_size 0
		.amdhsa_uses_dynamic_stack 0
		.amdhsa_system_sgpr_private_segment_wavefront_offset 0
		.amdhsa_system_sgpr_workgroup_id_x 1
		.amdhsa_system_sgpr_workgroup_id_y 0
		.amdhsa_system_sgpr_workgroup_id_z 0
		.amdhsa_system_sgpr_workgroup_info 0
		.amdhsa_system_vgpr_workitem_id 1
		.amdhsa_next_free_vgpr 71
		.amdhsa_next_free_sgpr 72
		.amdhsa_accum_offset 72
		.amdhsa_reserve_vcc 1
		.amdhsa_reserve_flat_scratch 0
		.amdhsa_float_round_mode_32 0
		.amdhsa_float_round_mode_16_64 0
		.amdhsa_float_denorm_mode_32 3
		.amdhsa_float_denorm_mode_16_64 3
		.amdhsa_dx10_clamp 1
		.amdhsa_ieee_mode 1
		.amdhsa_fp16_overflow 0
		.amdhsa_tg_split 0
		.amdhsa_exception_fp_ieee_invalid_op 0
		.amdhsa_exception_fp_denorm_src 0
		.amdhsa_exception_fp_ieee_div_zero 0
		.amdhsa_exception_fp_ieee_overflow 0
		.amdhsa_exception_fp_ieee_underflow 0
		.amdhsa_exception_fp_ieee_inexact 0
		.amdhsa_exception_int_div_zero 0
	.end_amdhsa_kernel
	.section	.text._ZN12_GLOBAL__N_121softmax_warp_backwardIN3c108BFloat16ES2_fLi10ELb0ELb0ELi32EEEvPT0_PKT_S7_iiiPKb,"axG",@progbits,_ZN12_GLOBAL__N_121softmax_warp_backwardIN3c108BFloat16ES2_fLi10ELb0ELb0ELi32EEEvPT0_PKT_S7_iiiPKb,comdat
.Lfunc_end639:
	.size	_ZN12_GLOBAL__N_121softmax_warp_backwardIN3c108BFloat16ES2_fLi10ELb0ELb0ELi32EEEvPT0_PKT_S7_iiiPKb, .Lfunc_end639-_ZN12_GLOBAL__N_121softmax_warp_backwardIN3c108BFloat16ES2_fLi10ELb0ELb0ELi32EEEvPT0_PKT_S7_iiiPKb
                                        ; -- End function
	.section	.AMDGPU.csdata,"",@progbits
; Kernel info:
; codeLenInByte = 5356
; NumSgprs: 76
; NumVgprs: 71
; NumAgprs: 0
; TotalNumVgprs: 71
; ScratchSize: 0
; MemoryBound: 0
; FloatMode: 240
; IeeeMode: 1
; LDSByteSize: 0 bytes/workgroup (compile time only)
; SGPRBlocks: 9
; VGPRBlocks: 8
; NumSGPRsForWavesPerEU: 76
; NumVGPRsForWavesPerEU: 71
; AccumOffset: 72
; Occupancy: 7
; WaveLimiterHint : 0
; COMPUTE_PGM_RSRC2:SCRATCH_EN: 0
; COMPUTE_PGM_RSRC2:USER_SGPR: 6
; COMPUTE_PGM_RSRC2:TRAP_HANDLER: 0
; COMPUTE_PGM_RSRC2:TGID_X_EN: 1
; COMPUTE_PGM_RSRC2:TGID_Y_EN: 0
; COMPUTE_PGM_RSRC2:TGID_Z_EN: 0
; COMPUTE_PGM_RSRC2:TIDIG_COMP_CNT: 1
; COMPUTE_PGM_RSRC3_GFX90A:ACCUM_OFFSET: 17
; COMPUTE_PGM_RSRC3_GFX90A:TG_SPLIT: 0
	.section	.text._ZN2at6native12_GLOBAL__N_124cunn_SoftMaxBackwardSmemILi8EN3c108BFloat16EfS4_NS1_23SoftMaxBackwardEpilogueEEEvPT0_PKT2_SA_l,"axG",@progbits,_ZN2at6native12_GLOBAL__N_124cunn_SoftMaxBackwardSmemILi8EN3c108BFloat16EfS4_NS1_23SoftMaxBackwardEpilogueEEEvPT0_PKT2_SA_l,comdat
	.globl	_ZN2at6native12_GLOBAL__N_124cunn_SoftMaxBackwardSmemILi8EN3c108BFloat16EfS4_NS1_23SoftMaxBackwardEpilogueEEEvPT0_PKT2_SA_l ; -- Begin function _ZN2at6native12_GLOBAL__N_124cunn_SoftMaxBackwardSmemILi8EN3c108BFloat16EfS4_NS1_23SoftMaxBackwardEpilogueEEEvPT0_PKT2_SA_l
	.p2align	8
	.type	_ZN2at6native12_GLOBAL__N_124cunn_SoftMaxBackwardSmemILi8EN3c108BFloat16EfS4_NS1_23SoftMaxBackwardEpilogueEEEvPT0_PKT2_SA_l,@function
_ZN2at6native12_GLOBAL__N_124cunn_SoftMaxBackwardSmemILi8EN3c108BFloat16EfS4_NS1_23SoftMaxBackwardEpilogueEEEvPT0_PKT2_SA_l: ; @_ZN2at6native12_GLOBAL__N_124cunn_SoftMaxBackwardSmemILi8EN3c108BFloat16EfS4_NS1_23SoftMaxBackwardEpilogueEEEvPT0_PKT2_SA_l
; %bb.0:
	s_load_dwordx8 s[8:15], s[4:5], 0x0
	v_lshlrev_b32_e32 v2, 3, v0
	v_mov_b32_e32 v3, 0
	v_lshl_add_u32 v8, v0, 4, 0
	s_waitcnt lgkmcnt(0)
	s_mul_i32 s0, s6, s15
	s_mul_hi_u32 s1, s6, s14
	s_mul_i32 s2, s6, s14
	s_add_i32 s3, s1, s0
	v_cmp_gt_i64_e32 vcc, s[14:15], v[2:3]
	s_and_saveexec_b64 s[6:7], vcc
	s_cbranch_execz .LBB640_4
; %bb.1:
	s_load_dword s17, s[4:5], 0x2c
	s_lshl_b64 s[0:1], s[2:3], 1
	s_add_u32 s16, s12, s0
	s_addc_u32 s0, s13, s1
	v_lshl_add_u32 v1, v0, 4, 0
	s_waitcnt lgkmcnt(0)
	s_and_b32 s17, s17, 0xffff
	v_add_lshl_u32 v4, v0, s17, 3
	s_lshl_b32 s18, s17, 3
	s_lshl_b32 s19, s17, 4
	s_mov_b64 s[12:13], 0
	v_mov_b32_e32 v3, 0
	v_mov_b32_e32 v2, s0
	;; [unrolled: 1-line block ×3, first 2 shown]
.LBB640_2:                              ; =>This Inner Loop Header: Depth=1
	v_ashrrev_i32_e32 v7, 31, v6
	v_lshlrev_b64 v[10:11], 4, v[6:7]
	v_add_co_u32_e64 v10, s[0:1], s16, v10
	v_addc_co_u32_e64 v11, s[0:1], v2, v11, s[0:1]
	global_load_dwordx4 v[10:13], v[10:11], off
	v_ashrrev_i32_e32 v5, 31, v4
	v_cmp_le_i64_e64 s[0:1], s[14:15], v[4:5]
	v_add_u32_e32 v6, s17, v6
	v_add_u32_e32 v4, s18, v4
	s_or_b64 s[12:13], s[0:1], s[12:13]
	s_waitcnt vmcnt(0)
	v_lshlrev_b32_e32 v5, 16, v10
	v_and_b32_e32 v7, 0xffff0000, v10
	v_add_f32_e32 v3, v3, v5
	v_lshlrev_b32_e32 v9, 16, v11
	v_add_f32_e32 v3, v3, v7
	ds_write_b128 v1, v[10:13]
	v_and_b32_e32 v10, 0xffff0000, v11
	v_add_f32_e32 v3, v3, v9
	v_lshlrev_b32_e32 v11, 16, v12
	v_add_f32_e32 v3, v3, v10
	v_and_b32_e32 v12, 0xffff0000, v12
	v_add_f32_e32 v3, v3, v11
	v_lshlrev_b32_e32 v14, 16, v13
	v_add_f32_e32 v3, v3, v12
	v_and_b32_e32 v13, 0xffff0000, v13
	v_add_f32_e32 v3, v3, v14
	v_add_u32_e32 v1, s19, v1
	v_add_f32_e32 v3, v3, v13
	s_andn2_b64 exec, exec, s[12:13]
	s_cbranch_execnz .LBB640_2
; %bb.3:
	s_or_b64 exec, exec, s[12:13]
.LBB640_4:
	s_or_b64 exec, exec, s[6:7]
	v_mbcnt_lo_u32_b32 v1, -1, 0
	v_mbcnt_hi_u32_b32 v6, -1, v1
	v_and_b32_e32 v10, 63, v6
	v_cmp_gt_u32_e64 s[0:1], 32, v10
	v_cndmask_b32_e64 v1, 0, 1, s[0:1]
	v_lshlrev_b32_e32 v1, 5, v1
	v_add_lshl_u32 v1, v1, v6, 2
	ds_bpermute_b32 v2, v1, v3
	v_cmp_gt_u32_e64 s[0:1], 48, v10
	v_cndmask_b32_e64 v4, 0, 1, s[0:1]
	v_lshlrev_b32_e32 v4, 4, v4
	v_cmp_gt_u32_e64 s[0:1], 56, v10
	s_waitcnt lgkmcnt(0)
	v_add_f32_e32 v3, v3, v2
	v_add_lshl_u32 v2, v4, v6, 2
	ds_bpermute_b32 v4, v2, v3
	v_cndmask_b32_e64 v5, 0, 1, s[0:1]
	v_lshlrev_b32_e32 v5, 3, v5
	v_cmp_gt_u32_e64 s[0:1], 60, v10
	v_cndmask_b32_e64 v7, 0, 1, s[0:1]
	s_waitcnt lgkmcnt(0)
	v_add_f32_e32 v4, v3, v4
	v_add_lshl_u32 v3, v5, v6, 2
	ds_bpermute_b32 v5, v3, v4
	v_lshlrev_b32_e32 v7, 2, v7
	v_cmp_gt_u32_e64 s[0:1], 62, v10
	v_cndmask_b32_e64 v9, 0, 1, s[0:1]
	v_lshlrev_b32_e32 v9, 1, v9
	s_waitcnt lgkmcnt(0)
	v_add_f32_e32 v5, v4, v5
	v_add_lshl_u32 v4, v7, v6, 2
	ds_bpermute_b32 v7, v4, v5
	s_lshl_b32 s0, s14, 1
	s_add_i32 s12, s0, 0
	v_cmp_ne_u32_e64 s[0:1], 63, v10
	s_waitcnt lgkmcnt(0)
	v_add_f32_e32 v11, v5, v7
	v_add_lshl_u32 v5, v9, v6, 2
	ds_bpermute_b32 v9, v5, v11
	v_addc_co_u32_e64 v6, s[0:1], 0, v6, s[0:1]
	v_lshlrev_b32_e32 v6, 2, v6
	v_and_b32_e32 v7, 63, v0
	s_waitcnt lgkmcnt(0)
	v_add_f32_e32 v9, v11, v9
	ds_bpermute_b32 v10, v6, v9
	v_cmp_eq_u32_e64 s[0:1], 0, v7
	s_barrier
	s_waitcnt lgkmcnt(0)
	s_and_saveexec_b64 s[6:7], s[0:1]
	s_cbranch_execz .LBB640_6
; %bb.5:
	v_lshrrev_b32_e32 v11, 4, v0
	v_add_u32_e32 v11, s12, v11
	v_add_f32_e32 v9, v9, v10
	ds_write_b32 v11, v9
.LBB640_6:
	s_or_b64 exec, exec, s[6:7]
	s_waitcnt lgkmcnt(0)
	s_barrier
	s_load_dword s6, s[4:5], 0x2c
	v_mov_b32_e32 v9, 0
	s_waitcnt lgkmcnt(0)
	s_bfe_u32 s0, s6, 0xa0006
	v_cmp_gt_u32_e64 s[0:1], s0, v0
	s_and_saveexec_b64 s[4:5], s[0:1]
	s_cbranch_execnz .LBB640_14
; %bb.7:
	s_or_b64 exec, exec, s[4:5]
	v_cmp_gt_u32_e64 s[0:1], 64, v0
	s_and_saveexec_b64 s[4:5], s[0:1]
	s_cbranch_execnz .LBB640_15
.LBB640_8:
	s_or_b64 exec, exec, s[4:5]
	v_cmp_eq_u32_e64 s[0:1], 0, v0
	s_and_saveexec_b64 s[4:5], s[0:1]
	s_cbranch_execz .LBB640_10
.LBB640_9:
	v_mov_b32_e32 v1, s12
	s_waitcnt lgkmcnt(0)
	ds_write_b32 v1, v9
.LBB640_10:
	s_or_b64 exec, exec, s[4:5]
	s_waitcnt lgkmcnt(0)
	s_barrier
	s_and_saveexec_b64 s[0:1], vcc
	s_cbranch_execz .LBB640_13
; %bb.11:
	v_mov_b32_e32 v1, s12
	ds_read_b32 v2, v1
	s_and_b32 s18, s6, 0xffff
	s_lshl_b64 s[0:1], s[2:3], 1
	s_add_u32 s19, s8, s0
	s_addc_u32 s2, s9, s1
	s_add_u32 s20, s10, s0
	s_addc_u32 s0, s11, s1
	s_waitcnt lgkmcnt(0)
	v_xor_b32_e32 v6, 0x80000000, v2
	v_mov_b32_e32 v3, v2
	v_add_lshl_u32 v4, v0, s18, 3
	s_lshl_b32 s21, s18, 3
	s_lshl_b32 s22, s18, 4
	s_mov_b64 s[16:17], 0
	v_mov_b32_e32 v9, s0
	v_mov_b32_e32 v10, s2
	;; [unrolled: 1-line block ×3, first 2 shown]
	s_movk_i32 s23, 0x7fff
	v_mov_b32_e32 v11, 0x7fc0
	s_mov_b32 s24, 0x5040100
.LBB640_12:                             ; =>This Inner Loop Header: Depth=1
	v_ashrrev_i32_e32 v1, 31, v0
	v_lshlrev_b64 v[20:21], 4, v[0:1]
	v_add_co_u32_e32 v12, vcc, s20, v20
	v_addc_co_u32_e32 v13, vcc, v9, v21, vcc
	global_load_dwordx4 v[12:15], v[12:13], off
	ds_read_b128 v[16:19], v8
	v_ashrrev_i32_e32 v5, 31, v4
	v_cmp_le_i64_e32 vcc, s[14:15], v[4:5]
	v_add_co_u32_e64 v20, s[0:1], s19, v20
	s_waitcnt lgkmcnt(0)
	v_and_b32_e32 v23, 0xffff0000, v16
	v_and_b32_e32 v25, 0xffff0000, v17
	v_lshlrev_b32_e32 v22, 16, v16
	v_lshlrev_b32_e32 v24, 16, v17
	v_and_b32_e32 v17, 0xffff0000, v18
	v_and_b32_e32 v27, 0xffff0000, v19
	v_lshlrev_b32_e32 v16, 16, v18
	v_lshlrev_b32_e32 v26, 16, v19
	v_addc_co_u32_e64 v21, s[0:1], v10, v21, s[0:1]
	s_or_b64 s[16:17], vcc, s[16:17]
	v_add_u32_e32 v8, s22, v8
	v_add_u32_e32 v0, s18, v0
	;; [unrolled: 1-line block ×3, first 2 shown]
	s_waitcnt vmcnt(0)
	v_and_b32_e32 v19, 0xffff0000, v12
	v_lshlrev_b32_e32 v18, 16, v12
	v_and_b32_e32 v29, 0xffff0000, v13
	v_lshlrev_b32_e32 v28, 16, v13
	;; [unrolled: 2-line block ×4, first 2 shown]
	v_pk_fma_f32 v[14:15], v[6:7], v[28:29], v[24:25]
	v_pk_fma_f32 v[18:19], v[2:3], v[18:19], v[22:23] neg_lo:[1,0,0] neg_hi:[1,0,0]
	v_pk_fma_f32 v[22:23], v[6:7], v[30:31], v[26:27]
	v_pk_fma_f32 v[12:13], v[2:3], v[12:13], v[16:17] neg_lo:[1,0,0] neg_hi:[1,0,0]
	v_bfe_u32 v1, v14, 16, 1
	v_bfe_u32 v5, v15, 16, 1
	;; [unrolled: 1-line block ×8, first 2 shown]
	v_add3_u32 v5, v15, v5, s23
	v_add3_u32 v1, v14, v1, s23
	;; [unrolled: 1-line block ×8, first 2 shown]
	v_lshrrev_b32_e32 v1, 16, v1
	v_lshrrev_b32_e32 v5, 16, v5
	;; [unrolled: 1-line block ×4, first 2 shown]
	v_cmp_o_f32_e32 vcc, v15, v15
	v_cmp_o_f32_e64 s[0:1], v18, v18
	v_cmp_o_f32_e64 s[2:3], v19, v19
	v_lshrrev_b32_e32 v15, 16, v24
	v_lshrrev_b32_e32 v18, 16, v25
	;; [unrolled: 1-line block ×4, first 2 shown]
	v_cmp_o_f32_e64 s[4:5], v22, v22
	v_cmp_o_f32_e64 s[6:7], v23, v23
	;; [unrolled: 1-line block ×5, first 2 shown]
	v_cndmask_b32_e64 v1, v11, v1, s[12:13]
	v_cndmask_b32_e32 v5, v11, v5, vcc
	v_cndmask_b32_e64 v12, v11, v16, s[0:1]
	v_cndmask_b32_e64 v16, v11, v17, s[2:3]
	;; [unrolled: 1-line block ×6, first 2 shown]
	v_perm_b32 v15, v14, v13, s24
	v_perm_b32 v13, v5, v1, s24
	;; [unrolled: 1-line block ×4, first 2 shown]
	global_store_dwordx4 v[20:21], v[12:15], off
	s_andn2_b64 exec, exec, s[16:17]
	s_cbranch_execnz .LBB640_12
.LBB640_13:
	s_endpgm
.LBB640_14:
	v_lshl_add_u32 v7, v7, 2, s12
	ds_read_b32 v9, v7
	s_or_b64 exec, exec, s[4:5]
	v_cmp_gt_u32_e64 s[0:1], 64, v0
	s_and_saveexec_b64 s[4:5], s[0:1]
	s_cbranch_execz .LBB640_8
.LBB640_15:
	s_waitcnt lgkmcnt(0)
	ds_bpermute_b32 v1, v1, v9
	s_waitcnt lgkmcnt(0)
	v_add_f32_e32 v1, v9, v1
	ds_bpermute_b32 v2, v2, v1
	s_waitcnt lgkmcnt(0)
	v_add_f32_e32 v1, v1, v2
	;; [unrolled: 3-line block ×6, first 2 shown]
	s_or_b64 exec, exec, s[4:5]
	v_cmp_eq_u32_e64 s[0:1], 0, v0
	s_and_saveexec_b64 s[4:5], s[0:1]
	s_cbranch_execnz .LBB640_9
	s_branch .LBB640_10
	.section	.rodata,"a",@progbits
	.p2align	6, 0x0
	.amdhsa_kernel _ZN2at6native12_GLOBAL__N_124cunn_SoftMaxBackwardSmemILi8EN3c108BFloat16EfS4_NS1_23SoftMaxBackwardEpilogueEEEvPT0_PKT2_SA_l
		.amdhsa_group_segment_fixed_size 0
		.amdhsa_private_segment_fixed_size 0
		.amdhsa_kernarg_size 288
		.amdhsa_user_sgpr_count 6
		.amdhsa_user_sgpr_private_segment_buffer 1
		.amdhsa_user_sgpr_dispatch_ptr 0
		.amdhsa_user_sgpr_queue_ptr 0
		.amdhsa_user_sgpr_kernarg_segment_ptr 1
		.amdhsa_user_sgpr_dispatch_id 0
		.amdhsa_user_sgpr_flat_scratch_init 0
		.amdhsa_user_sgpr_kernarg_preload_length 0
		.amdhsa_user_sgpr_kernarg_preload_offset 0
		.amdhsa_user_sgpr_private_segment_size 0
		.amdhsa_uses_dynamic_stack 0
		.amdhsa_system_sgpr_private_segment_wavefront_offset 0
		.amdhsa_system_sgpr_workgroup_id_x 1
		.amdhsa_system_sgpr_workgroup_id_y 0
		.amdhsa_system_sgpr_workgroup_id_z 0
		.amdhsa_system_sgpr_workgroup_info 0
		.amdhsa_system_vgpr_workitem_id 0
		.amdhsa_next_free_vgpr 32
		.amdhsa_next_free_sgpr 25
		.amdhsa_accum_offset 32
		.amdhsa_reserve_vcc 1
		.amdhsa_reserve_flat_scratch 0
		.amdhsa_float_round_mode_32 0
		.amdhsa_float_round_mode_16_64 0
		.amdhsa_float_denorm_mode_32 3
		.amdhsa_float_denorm_mode_16_64 3
		.amdhsa_dx10_clamp 1
		.amdhsa_ieee_mode 1
		.amdhsa_fp16_overflow 0
		.amdhsa_tg_split 0
		.amdhsa_exception_fp_ieee_invalid_op 0
		.amdhsa_exception_fp_denorm_src 0
		.amdhsa_exception_fp_ieee_div_zero 0
		.amdhsa_exception_fp_ieee_overflow 0
		.amdhsa_exception_fp_ieee_underflow 0
		.amdhsa_exception_fp_ieee_inexact 0
		.amdhsa_exception_int_div_zero 0
	.end_amdhsa_kernel
	.section	.text._ZN2at6native12_GLOBAL__N_124cunn_SoftMaxBackwardSmemILi8EN3c108BFloat16EfS4_NS1_23SoftMaxBackwardEpilogueEEEvPT0_PKT2_SA_l,"axG",@progbits,_ZN2at6native12_GLOBAL__N_124cunn_SoftMaxBackwardSmemILi8EN3c108BFloat16EfS4_NS1_23SoftMaxBackwardEpilogueEEEvPT0_PKT2_SA_l,comdat
.Lfunc_end640:
	.size	_ZN2at6native12_GLOBAL__N_124cunn_SoftMaxBackwardSmemILi8EN3c108BFloat16EfS4_NS1_23SoftMaxBackwardEpilogueEEEvPT0_PKT2_SA_l, .Lfunc_end640-_ZN2at6native12_GLOBAL__N_124cunn_SoftMaxBackwardSmemILi8EN3c108BFloat16EfS4_NS1_23SoftMaxBackwardEpilogueEEEvPT0_PKT2_SA_l
                                        ; -- End function
	.section	.AMDGPU.csdata,"",@progbits
; Kernel info:
; codeLenInByte = 1564
; NumSgprs: 29
; NumVgprs: 32
; NumAgprs: 0
; TotalNumVgprs: 32
; ScratchSize: 0
; MemoryBound: 0
; FloatMode: 240
; IeeeMode: 1
; LDSByteSize: 0 bytes/workgroup (compile time only)
; SGPRBlocks: 3
; VGPRBlocks: 3
; NumSGPRsForWavesPerEU: 29
; NumVGPRsForWavesPerEU: 32
; AccumOffset: 32
; Occupancy: 8
; WaveLimiterHint : 0
; COMPUTE_PGM_RSRC2:SCRATCH_EN: 0
; COMPUTE_PGM_RSRC2:USER_SGPR: 6
; COMPUTE_PGM_RSRC2:TRAP_HANDLER: 0
; COMPUTE_PGM_RSRC2:TGID_X_EN: 1
; COMPUTE_PGM_RSRC2:TGID_Y_EN: 0
; COMPUTE_PGM_RSRC2:TGID_Z_EN: 0
; COMPUTE_PGM_RSRC2:TIDIG_COMP_CNT: 0
; COMPUTE_PGM_RSRC3_GFX90A:ACCUM_OFFSET: 7
; COMPUTE_PGM_RSRC3_GFX90A:TG_SPLIT: 0
	.section	.text._ZN2at6native12_GLOBAL__N_120cunn_SoftMaxBackwardILi8EN3c108BFloat16EfS4_NS1_23SoftMaxBackwardEpilogueEEEvPT0_PKT2_SA_l,"axG",@progbits,_ZN2at6native12_GLOBAL__N_120cunn_SoftMaxBackwardILi8EN3c108BFloat16EfS4_NS1_23SoftMaxBackwardEpilogueEEEvPT0_PKT2_SA_l,comdat
	.globl	_ZN2at6native12_GLOBAL__N_120cunn_SoftMaxBackwardILi8EN3c108BFloat16EfS4_NS1_23SoftMaxBackwardEpilogueEEEvPT0_PKT2_SA_l ; -- Begin function _ZN2at6native12_GLOBAL__N_120cunn_SoftMaxBackwardILi8EN3c108BFloat16EfS4_NS1_23SoftMaxBackwardEpilogueEEEvPT0_PKT2_SA_l
	.p2align	8
	.type	_ZN2at6native12_GLOBAL__N_120cunn_SoftMaxBackwardILi8EN3c108BFloat16EfS4_NS1_23SoftMaxBackwardEpilogueEEEvPT0_PKT2_SA_l,@function
_ZN2at6native12_GLOBAL__N_120cunn_SoftMaxBackwardILi8EN3c108BFloat16EfS4_NS1_23SoftMaxBackwardEpilogueEEEvPT0_PKT2_SA_l: ; @_ZN2at6native12_GLOBAL__N_120cunn_SoftMaxBackwardILi8EN3c108BFloat16EfS4_NS1_23SoftMaxBackwardEpilogueEEEvPT0_PKT2_SA_l
; %bb.0:
	s_load_dwordx8 s[12:19], s[4:5], 0x0
	v_mov_b32_e32 v2, 0x7ffffffe
	v_mov_b32_e32 v3, 0
	s_mov_b32 s11, 0
	s_waitcnt lgkmcnt(0)
	s_mul_i32 s1, s6, s19
	s_mul_hi_u32 s2, s6, s18
	s_mul_i32 s0, s6, s18
	s_add_i32 s1, s2, s1
	s_lshl_b64 s[8:9], s[0:1], 1
	s_add_u32 s20, s16, s8
	s_addc_u32 s21, s17, s9
	s_bfe_u32 s10, s20, 0x30001
	v_cmp_gt_i64_e64 s[0:1], s[18:19], v[2:3]
	s_cmp_lg_u32 s10, 0
	s_cselect_b64 s[2:3], -1, 0
	s_and_b64 vcc, exec, s[0:1]
	s_cbranch_vccz .LBB641_16
; %bb.1:
	v_mov_b32_e32 v1, 0
	s_and_b64 vcc, exec, s[2:3]
	s_cbranch_vccz .LBB641_39
; %bb.2:
	s_lshl_b32 s7, s10, 1
	s_sub_u32 s24, s20, s7
	s_subb_u32 s25, s21, 0
	v_cmp_le_u64_e32 vcc, s[10:11], v[0:1]
	v_mov_b32_e32 v8, v1
	s_and_saveexec_b64 s[22:23], vcc
	s_cbranch_execz .LBB641_4
; %bb.3:
	v_lshlrev_b32_e32 v2, 1, v0
	global_load_ushort v2, v2, s[24:25]
	s_waitcnt vmcnt(0)
	v_lshlrev_b32_e32 v2, 16, v2
	v_add_f32_e32 v8, 0, v2
.LBB641_4:
	s_or_b64 exec, exec, s[22:23]
	s_load_dword s7, s[4:5], 0x2c
	s_add_u32 s22, s10, s18
	s_addc_u32 s23, 0, s19
	s_add_u32 s26, s4, 32
	s_addc_u32 s27, s5, 0
	s_waitcnt lgkmcnt(0)
	s_and_b32 s7, s7, 0xffff
	s_sub_u32 s22, s22, s7
	s_subb_u32 s23, s23, 0
	s_lshl_b32 s7, s7, 1
	s_add_u32 s24, s24, s7
	s_addc_u32 s25, s25, 0
	s_branch .LBB641_6
.LBB641_5:
	s_add_u32 s26, s4, 32
	s_addc_u32 s27, s5, 0
	v_mov_b32_e32 v8, 0
	s_mov_b64 s[22:23], s[18:19]
	s_mov_b64 s[24:25], s[20:21]
.LBB641_6:
	s_load_dword s7, s[26:27], 0x0
	v_mov_b32_e32 v2, 0
	s_waitcnt lgkmcnt(0)
	s_cmp_lt_u32 s6, s7
	s_cselect_b32 s7, 12, 18
	s_add_u32 s26, s26, s7
	s_addc_u32 s27, s27, 0
	global_load_ushort v2, v2, s[26:27]
	s_mov_b32 s26, 0
	s_mov_b32 s27, s23
	s_waitcnt vmcnt(0)
	v_readfirstlane_b32 s7, v2
	s_and_b32 s7, 0xffff, s7
	s_lshl_b32 s7, s7, 3
	s_cmp_lg_u64 s[26:27], 0
	v_and_b32_e32 v9, 0xffff, v2
	s_cbranch_scc0 .LBB641_40
; %bb.7:
	v_cvt_f32_u32_e32 v2, s7
	v_mov_b32_e32 v3, 0x4f800000
	s_sub_u32 s28, 0, s7
	s_subb_u32 s29, 0, 0
	v_mac_f32_e32 v2, 0, v3
	v_rcp_f32_e32 v2, v2
	v_mul_f32_e32 v2, 0x5f7ffffc, v2
	v_mul_f32_e32 v3, 0x2f800000, v2
	v_trunc_f32_e32 v3, v3
	v_madmk_f32 v2, v3, 0xcf800000, v2
	v_cvt_u32_f32_e32 v3, v3
	v_cvt_u32_f32_e32 v2, v2
	v_readfirstlane_b32 s30, v3
	v_readfirstlane_b32 s31, v2
	s_mul_i32 s33, s28, s30
	s_mul_hi_u32 s35, s28, s31
	s_mul_i32 s34, s29, s31
	s_add_i32 s33, s35, s33
	s_add_i32 s33, s33, s34
	s_mul_i32 s36, s28, s31
	s_mul_hi_u32 s34, s31, s33
	s_mul_i32 s35, s31, s33
	s_mul_hi_u32 s31, s31, s36
	s_add_u32 s31, s31, s35
	s_addc_u32 s34, 0, s34
	s_mul_hi_u32 s37, s30, s36
	s_mul_i32 s36, s30, s36
	s_add_u32 s31, s31, s36
	s_mul_hi_u32 s35, s30, s33
	s_addc_u32 s31, s34, s37
	s_addc_u32 s34, s35, 0
	s_mul_i32 s33, s30, s33
	s_add_u32 s31, s31, s33
	s_addc_u32 s33, 0, s34
	v_add_co_u32_e32 v2, vcc, s31, v2
	s_cmp_lg_u64 vcc, 0
	s_addc_u32 s30, s30, s33
	v_readfirstlane_b32 s33, v2
	s_mul_i32 s31, s28, s30
	s_mul_hi_u32 s34, s28, s33
	s_add_i32 s31, s34, s31
	s_mul_i32 s29, s29, s33
	s_add_i32 s31, s31, s29
	s_mul_i32 s28, s28, s33
	s_mul_hi_u32 s34, s30, s28
	s_mul_i32 s35, s30, s28
	s_mul_i32 s37, s33, s31
	s_mul_hi_u32 s28, s33, s28
	s_mul_hi_u32 s36, s33, s31
	s_add_u32 s28, s28, s37
	s_addc_u32 s33, 0, s36
	s_add_u32 s28, s28, s35
	s_mul_hi_u32 s29, s30, s31
	s_addc_u32 s28, s33, s34
	s_addc_u32 s29, s29, 0
	s_mul_i32 s31, s30, s31
	s_add_u32 s28, s28, s31
	s_addc_u32 s29, 0, s29
	v_add_co_u32_e32 v2, vcc, s28, v2
	s_cmp_lg_u64 vcc, 0
	s_addc_u32 s28, s30, s29
	v_readfirstlane_b32 s31, v2
	s_mul_i32 s30, s22, s28
	s_mul_hi_u32 s33, s22, s31
	s_mul_hi_u32 s29, s22, s28
	s_add_u32 s30, s33, s30
	s_addc_u32 s29, 0, s29
	s_mul_hi_u32 s34, s23, s31
	s_mul_i32 s31, s23, s31
	s_add_u32 s30, s30, s31
	s_mul_hi_u32 s33, s23, s28
	s_addc_u32 s29, s29, s34
	s_addc_u32 s30, s33, 0
	s_mul_i32 s28, s23, s28
	s_add_u32 s28, s29, s28
	s_addc_u32 s29, 0, s30
	s_mul_hi_u32 s30, s7, s28
	s_mul_i32 s28, s7, s28
	s_mul_i32 s29, s7, s29
	v_mov_b32_e32 v2, s28
	s_add_i32 s30, s30, s29
	v_sub_co_u32_e32 v2, vcc, s22, v2
	s_cmp_lg_u64 vcc, 0
	s_subb_u32 s28, s23, s30
	v_subrev_co_u32_e32 v3, vcc, s7, v2
	s_cmp_lg_u64 vcc, 0
	s_subb_u32 s29, s28, 0
	v_subrev_co_u32_e32 v4, vcc, s7, v3
	s_cmp_lg_u64 vcc, 0
	s_subb_u32 s30, s29, 0
	v_cmp_le_u32_e32 vcc, s7, v3
	s_cmp_eq_u32 s29, 0
	v_cndmask_b32_e64 v5, 0, -1, vcc
	s_cselect_b64 vcc, -1, 0
	v_cndmask_b32_e32 v5, -1, v5, vcc
	v_mov_b32_e32 v6, s29
	v_mov_b32_e32 v7, s30
	v_cmp_ne_u32_e32 vcc, 0, v5
	v_cndmask_b32_e32 v5, v6, v7, vcc
	v_cndmask_b32_e32 v4, v3, v4, vcc
	v_cmp_le_u32_e32 vcc, s7, v2
	s_cmp_eq_u32 s28, 0
	v_cndmask_b32_e64 v3, 0, -1, vcc
	s_cselect_b64 vcc, -1, 0
	v_cndmask_b32_e32 v3, -1, v3, vcc
	v_mov_b32_e32 v6, s28
	v_cmp_ne_u32_e32 vcc, 0, v3
	v_cndmask_b32_e32 v3, v6, v5, vcc
	v_cndmask_b32_e32 v2, v2, v4, vcc
	s_cbranch_execnz .LBB641_9
.LBB641_8:
	v_cvt_f32_u32_e32 v2, s7
	s_sub_i32 s26, 0, s7
	v_rcp_iflag_f32_e32 v2, v2
	v_mul_f32_e32 v2, 0x4f7ffffe, v2
	v_cvt_u32_f32_e32 v2, v2
	v_mul_lo_u32 v3, s26, v2
	v_mul_hi_u32 v3, v2, v3
	v_add_u32_e32 v2, v2, v3
	v_mul_hi_u32 v2, s22, v2
	v_mul_lo_u32 v2, v2, s7
	v_sub_u32_e32 v2, s22, v2
	v_subrev_u32_e32 v3, s7, v2
	v_cmp_le_u32_e32 vcc, s7, v2
	v_cndmask_b32_e32 v2, v2, v3, vcc
	v_subrev_u32_e32 v3, s7, v2
	v_cmp_le_u32_e32 vcc, s7, v2
	v_cndmask_b32_e32 v2, v2, v3, vcc
	v_mov_b32_e32 v3, 0
.LBB641_9:
	v_mov_b32_e32 v4, s23
	v_sub_co_u32_e32 v2, vcc, s22, v2
	v_subb_co_u32_e32 v3, vcc, v4, v3, vcc
	v_lshlrev_b32_e32 v4, 4, v0
	v_mov_b32_e32 v5, s25
	v_add_co_u32_e32 v4, vcc, s24, v4
	v_addc_co_u32_e32 v5, vcc, 0, v5, vcc
	v_lshlrev_b32_e32 v10, 4, v9
	s_mov_b64 s[26:27], 0
	v_pk_mov_b32 v[6:7], v[0:1], v[0:1] op_sel:[0,1]
.LBB641_10:                             ; =>This Inner Loop Header: Depth=1
	global_load_dwordx4 v[12:15], v[4:5], off
	v_add_co_u32_e32 v6, vcc, v6, v9
	v_addc_co_u32_e32 v7, vcc, 0, v7, vcc
	v_add_co_u32_e32 v4, vcc, v4, v10
	v_addc_co_u32_e32 v5, vcc, 0, v5, vcc
	v_lshlrev_b64 v[16:17], 3, v[6:7]
	v_cmp_ge_i64_e32 vcc, v[16:17], v[2:3]
	s_or_b64 s[26:27], vcc, s[26:27]
	s_waitcnt vmcnt(0)
	v_lshlrev_b32_e32 v1, 16, v12
	v_and_b32_e32 v11, 0xffff0000, v12
	v_add_f32_e32 v1, v8, v1
	v_lshlrev_b32_e32 v12, 16, v13
	v_add_f32_e32 v1, v1, v11
	v_and_b32_e32 v13, 0xffff0000, v13
	v_add_f32_e32 v1, v1, v12
	v_lshlrev_b32_e32 v16, 16, v14
	v_add_f32_e32 v1, v1, v13
	;; [unrolled: 4-line block ×3, first 2 shown]
	v_and_b32_e32 v15, 0xffff0000, v15
	v_add_f32_e32 v1, v1, v17
	v_add_f32_e32 v8, v1, v15
	s_andn2_b64 exec, exec, s[26:27]
	s_cbranch_execnz .LBB641_10
; %bb.11:
	s_or_b64 exec, exec, s[26:27]
	v_add_co_u32_e32 v2, vcc, v2, v0
	v_addc_co_u32_e32 v3, vcc, 0, v3, vcc
	v_cmp_gt_i64_e32 vcc, s[22:23], v[2:3]
	s_and_saveexec_b64 s[26:27], vcc
	s_cbranch_execz .LBB641_15
; %bb.12:
	s_mov_b64 s[28:29], 0
	v_mov_b32_e32 v1, s25
.LBB641_13:                             ; =>This Inner Loop Header: Depth=1
	v_lshlrev_b64 v[4:5], 1, v[2:3]
	v_add_co_u32_e32 v4, vcc, s24, v4
	v_addc_co_u32_e32 v5, vcc, v1, v5, vcc
	global_load_ushort v4, v[4:5], off
	v_add_co_u32_e32 v2, vcc, v2, v9
	v_addc_co_u32_e32 v3, vcc, 0, v3, vcc
	v_cmp_le_i64_e32 vcc, s[22:23], v[2:3]
	s_or_b64 s[28:29], vcc, s[28:29]
	s_waitcnt vmcnt(0)
	v_lshlrev_b32_e32 v4, 16, v4
	v_add_f32_e32 v8, v8, v4
	s_andn2_b64 exec, exec, s[28:29]
	s_cbranch_execnz .LBB641_13
; %bb.14:
	s_or_b64 exec, exec, s[28:29]
.LBB641_15:
	s_or_b64 exec, exec, s[26:27]
	s_branch .LBB641_31
.LBB641_16:
                                        ; implicit-def: $vgpr8
	s_cbranch_execz .LBB641_31
; %bb.17:
	s_and_b64 vcc, exec, s[2:3]
	s_cbranch_vccz .LBB641_41
; %bb.18:
	s_lshl_b64 s[2:3], s[10:11], 1
	s_sub_u32 s24, s20, s2
	s_subb_u32 s25, s21, s3
	s_add_i32 s7, s10, s18
	v_cmp_le_u32_e32 vcc, s10, v0
	v_cmp_gt_i32_e64 s[2:3], s7, v0
	s_and_b64 s[22:23], vcc, s[2:3]
	v_mov_b32_e32 v8, 0
	s_and_saveexec_b64 s[2:3], s[22:23]
	s_cbranch_execz .LBB641_20
; %bb.19:
	v_lshlrev_b32_e32 v1, 1, v0
	global_load_ushort v1, v1, s[24:25]
	s_waitcnt vmcnt(0)
	v_lshlrev_b32_e32 v1, 16, v1
	v_add_f32_e32 v8, 0, v1
.LBB641_20:
	s_or_b64 exec, exec, s[2:3]
	s_load_dword s2, s[4:5], 0x2c
	s_add_u32 s22, s4, 32
	s_addc_u32 s23, s5, 0
	s_waitcnt lgkmcnt(0)
	s_and_b32 s2, s2, 0xffff
	v_mov_b32_e32 v1, s2
	s_lshl_b32 s2, s2, 1
	v_sub_u32_e64 v1, s7, v1 clamp
	s_add_u32 s2, s24, s2
	v_readfirstlane_b32 s7, v1
	s_addc_u32 s3, s25, 0
	s_branch .LBB641_22
.LBB641_21:
	s_add_u32 s22, s4, 32
	s_addc_u32 s23, s5, 0
	v_mov_b32_e32 v8, 0
	s_mov_b32 s7, s18
	s_mov_b64 s[2:3], s[20:21]
.LBB641_22:
	s_load_dword s24, s[22:23], 0x0
	v_mov_b32_e32 v1, 0
	s_waitcnt lgkmcnt(0)
	s_cmp_lt_u32 s6, s24
	s_cselect_b32 s24, 12, 18
	s_add_u32 s22, s22, s24
	s_addc_u32 s23, s23, 0
	global_load_ushort v1, v1, s[22:23]
	s_waitcnt vmcnt(0)
	v_readfirstlane_b32 s22, v1
	s_lshl_b32 s22, s22, 3
	v_cvt_f32_u32_e32 v2, s22
	s_sub_i32 s23, 0, s22
	v_rcp_iflag_f32_e32 v2, v2
	v_mul_f32_e32 v2, 0x4f7ffffe, v2
	v_cvt_u32_f32_e32 v2, v2
	v_readfirstlane_b32 s24, v2
	s_mul_i32 s23, s23, s24
	s_mul_hi_u32 s23, s24, s23
	s_add_i32 s24, s24, s23
	s_mul_hi_u32 s23, s7, s24
	s_mul_i32 s23, s23, s22
	s_sub_i32 s23, s7, s23
	s_sub_i32 s24, s23, s22
	s_cmp_ge_u32 s23, s22
	s_cselect_b32 s23, s24, s23
	s_sub_i32 s24, s23, s22
	s_cmp_ge_u32 s23, s22
	s_cselect_b32 s22, s24, s23
	s_sub_i32 s26, s7, s22
	v_lshlrev_b32_e32 v2, 3, v0
	v_cmp_gt_i32_e32 vcc, s26, v2
	s_and_saveexec_b64 s[22:23], vcc
	s_cbranch_execz .LBB641_26
; %bb.23:
	s_mov_b64 s[24:25], 0
	v_mov_b32_e32 v4, s3
	v_mov_b32_e32 v2, v0
.LBB641_24:                             ; =>This Inner Loop Header: Depth=1
	v_ashrrev_i32_e32 v3, 31, v2
	v_lshlrev_b64 v[6:7], 4, v[2:3]
	v_add_co_u32_e32 v6, vcc, s2, v6
	v_addc_co_u32_e32 v7, vcc, v4, v7, vcc
	global_load_dwordx4 v[10:13], v[6:7], off
	v_add_u32_e32 v2, v2, v1
	v_lshlrev_b32_e32 v3, 3, v2
	v_cmp_le_i32_e32 vcc, s26, v3
	s_or_b64 s[24:25], vcc, s[24:25]
	s_waitcnt vmcnt(0)
	v_lshlrev_b32_e32 v3, 16, v10
	v_and_b32_e32 v5, 0xffff0000, v10
	v_add_f32_e32 v3, v8, v3
	v_lshlrev_b32_e32 v6, 16, v11
	v_add_f32_e32 v3, v3, v5
	v_and_b32_e32 v7, 0xffff0000, v11
	v_add_f32_e32 v3, v3, v6
	v_lshlrev_b32_e32 v9, 16, v12
	v_add_f32_e32 v3, v3, v7
	;; [unrolled: 4-line block ×3, first 2 shown]
	v_and_b32_e32 v12, 0xffff0000, v13
	v_add_f32_e32 v3, v3, v11
	v_add_f32_e32 v8, v3, v12
	s_andn2_b64 exec, exec, s[24:25]
	s_cbranch_execnz .LBB641_24
; %bb.25:
	s_or_b64 exec, exec, s[24:25]
.LBB641_26:
	s_or_b64 exec, exec, s[22:23]
	v_add_u32_e32 v2, s26, v0
	v_cmp_gt_i32_e32 vcc, s7, v2
	s_and_saveexec_b64 s[22:23], vcc
	s_cbranch_execz .LBB641_30
; %bb.27:
	s_mov_b64 s[24:25], 0
	v_mov_b32_e32 v4, s3
.LBB641_28:                             ; =>This Inner Loop Header: Depth=1
	v_ashrrev_i32_e32 v3, 31, v2
	v_lshlrev_b64 v[6:7], 1, v[2:3]
	v_add_co_u32_e32 v6, vcc, s2, v6
	v_addc_co_u32_e32 v7, vcc, v4, v7, vcc
	global_load_ushort v3, v[6:7], off
	v_add_u32_e32 v2, v2, v1
	v_cmp_le_i32_e32 vcc, s7, v2
	s_or_b64 s[24:25], vcc, s[24:25]
	s_waitcnt vmcnt(0)
	v_lshlrev_b32_e32 v3, 16, v3
	v_add_f32_e32 v8, v8, v3
	s_andn2_b64 exec, exec, s[24:25]
	s_cbranch_execnz .LBB641_28
; %bb.29:
	s_or_b64 exec, exec, s[24:25]
.LBB641_30:
	s_or_b64 exec, exec, s[22:23]
.LBB641_31:
	v_lshl_add_u32 v1, v0, 2, 0
	s_barrier
	ds_write_b32 v1, v8
	s_waitcnt lgkmcnt(0)
	s_barrier
	s_load_dword s7, s[4:5], 0x2c
	s_add_u32 s22, s4, 32
	s_addc_u32 s23, s5, 0
	s_waitcnt lgkmcnt(0)
	s_bfe_u32 s4, s7, 0xa0006
	s_min_u32 s2, s4, 64
	v_cmp_gt_u32_e32 vcc, s2, v0
	s_and_saveexec_b64 s[2:3], vcc
	s_cbranch_execz .LBB641_33
; %bb.32:
	s_movk_i32 s5, 0xfc
	v_mad_u32_u24 v10, v0, s5, v1
	ds_read2_b32 v[2:3], v10 offset1:1
	ds_read2_b32 v[4:5], v10 offset0:2 offset1:3
	ds_read2_b32 v[6:7], v10 offset0:4 offset1:5
	ds_read2_b32 v[8:9], v10 offset0:6 offset1:7
	s_waitcnt lgkmcnt(3)
	v_add_f32_e32 v2, 0, v2
	v_add_f32_e32 v2, v2, v3
	s_waitcnt lgkmcnt(2)
	v_add_f32_e32 v2, v2, v4
	v_add_f32_e32 v2, v2, v5
	s_waitcnt lgkmcnt(1)
	v_add_f32_e32 v2, v2, v6
	v_add_f32_e32 v2, v2, v7
	s_waitcnt lgkmcnt(0)
	v_add_f32_e32 v4, v2, v8
	ds_read2_b32 v[2:3], v10 offset0:8 offset1:9
	v_add_f32_e32 v11, v4, v9
	ds_read2_b32 v[4:5], v10 offset0:10 offset1:11
	ds_read2_b32 v[6:7], v10 offset0:12 offset1:13
	ds_read2_b32 v[8:9], v10 offset0:14 offset1:15
	s_waitcnt lgkmcnt(3)
	v_add_f32_e32 v2, v11, v2
	v_add_f32_e32 v2, v2, v3
	s_waitcnt lgkmcnt(2)
	v_add_f32_e32 v2, v2, v4
	v_add_f32_e32 v2, v2, v5
	s_waitcnt lgkmcnt(1)
	v_add_f32_e32 v2, v2, v6
	v_add_f32_e32 v2, v2, v7
	s_waitcnt lgkmcnt(0)
	v_add_f32_e32 v4, v2, v8
	ds_read2_b32 v[2:3], v10 offset0:16 offset1:17
	v_add_f32_e32 v11, v4, v9
	;; [unrolled: 16-line block ×7, first 2 shown]
	ds_read2_b32 v[4:5], v10 offset0:58 offset1:59
	ds_read2_b32 v[6:7], v10 offset0:60 offset1:61
	;; [unrolled: 1-line block ×3, first 2 shown]
	s_waitcnt lgkmcnt(3)
	v_add_f32_e32 v2, v11, v2
	v_add_f32_e32 v2, v2, v3
	s_waitcnt lgkmcnt(2)
	v_add_f32_e32 v2, v2, v4
	v_add_f32_e32 v2, v2, v5
	;; [unrolled: 3-line block ×4, first 2 shown]
	ds_write_b32 v1, v2
.LBB641_33:
	s_or_b64 exec, exec, s[2:3]
	s_and_b32 s30, s7, 0xffff
	v_cmp_eq_u32_e32 vcc, 0, v0
	s_waitcnt lgkmcnt(0)
	s_barrier
	s_and_saveexec_b64 s[2:3], vcc
	s_cbranch_execz .LBB641_46
; %bb.34:
	s_cmp_lt_u32 s30, 64
	v_mov_b32_e32 v1, 0
	s_cbranch_scc1 .LBB641_45
; %bb.35:
	s_add_i32 s5, s4, -1
	s_cmp_lt_u32 s5, 7
	s_cbranch_scc1 .LBB641_42
; %bb.36:
	s_and_b32 s5, s4, 0x3f8
	s_mov_b32 s7, 0
	s_mov_b32 s24, 0
	v_mov_b32_e32 v1, 0
.LBB641_37:                             ; =>This Inner Loop Header: Depth=1
	v_mov_b32_e32 v8, s24
	ds_read2_b32 v[2:3], v8 offset1:1
	ds_read2_b32 v[4:5], v8 offset0:2 offset1:3
	ds_read2_b32 v[6:7], v8 offset0:4 offset1:5
	;; [unrolled: 1-line block ×3, first 2 shown]
	s_add_i32 s7, s7, 8
	s_waitcnt lgkmcnt(3)
	v_add_f32_e32 v1, v1, v2
	v_add_f32_e32 v1, v1, v3
	s_waitcnt lgkmcnt(2)
	v_add_f32_e32 v1, v1, v4
	v_add_f32_e32 v1, v1, v5
	s_waitcnt lgkmcnt(1)
	v_add_f32_e32 v1, v1, v6
	v_add_f32_e32 v1, v1, v7
	s_add_i32 s24, s24, 32
	s_waitcnt lgkmcnt(0)
	v_add_f32_e32 v1, v1, v8
	s_cmp_eq_u32 s5, s7
	v_add_f32_e32 v1, v1, v9
	s_cbranch_scc0 .LBB641_37
; %bb.38:
	s_and_b32 s4, s4, 7
	s_cmp_eq_u32 s4, 0
	s_cbranch_scc0 .LBB641_43
	s_branch .LBB641_45
.LBB641_39:
                                        ; implicit-def: $sgpr24_sgpr25
                                        ; implicit-def: $sgpr22_sgpr23
                                        ; implicit-def: $vgpr8
                                        ; implicit-def: $sgpr26_sgpr27
	s_cbranch_execnz .LBB641_5
	s_branch .LBB641_6
.LBB641_40:
                                        ; implicit-def: $vgpr2_vgpr3
	s_branch .LBB641_8
.LBB641_41:
                                        ; implicit-def: $sgpr2_sgpr3
                                        ; implicit-def: $sgpr7
                                        ; implicit-def: $vgpr8
                                        ; implicit-def: $sgpr22_sgpr23
	s_cbranch_execnz .LBB641_21
	s_branch .LBB641_22
.LBB641_42:
	s_mov_b32 s5, 0
	v_mov_b32_e32 v1, 0
	s_and_b32 s4, s4, 7
	s_cmp_eq_u32 s4, 0
	s_cbranch_scc1 .LBB641_45
.LBB641_43:
	s_lshl_b32 s5, s5, 2
	s_add_i32 s5, s5, 0
.LBB641_44:                             ; =>This Inner Loop Header: Depth=1
	v_mov_b32_e32 v2, s5
	ds_read_b32 v2, v2
	s_add_i32 s5, s5, 4
	s_add_i32 s4, s4, -1
	s_cmp_lg_u32 s4, 0
	s_waitcnt lgkmcnt(0)
	v_add_f32_e32 v1, v1, v2
	s_cbranch_scc1 .LBB641_44
.LBB641_45:
	v_mov_b32_e32 v2, 0
	ds_write_b32 v2, v1
.LBB641_46:
	s_or_b64 exec, exec, s[2:3]
	s_add_u32 s26, s12, s8
	s_addc_u32 s27, s13, s9
	s_add_u32 s28, s14, s8
	v_mov_b32_e32 v1, 0
	s_mov_b32 s35, 0
	s_addc_u32 s29, s15, s9
	s_waitcnt lgkmcnt(0)
	s_barrier
	ds_read_b32 v1, v1
	s_bfe_u32 s34, s26, 0x30001
	s_bfe_u32 s2, s28, 0x30001
	s_mov_b32 s3, s35
	s_cmp_eq_u64 s[34:35], s[2:3]
	s_cselect_b64 s[2:3], -1, 0
	s_cmp_eq_u64 s[34:35], s[10:11]
	s_cselect_b64 s[4:5], -1, 0
	s_and_b64 s[2:3], s[2:3], s[4:5]
	s_waitcnt lgkmcnt(0)
	v_readfirstlane_b32 s24, v1
	s_andn2_b64 vcc, exec, s[2:3]
	s_mov_b64 s[2:3], -1
	s_cbranch_vccz .LBB641_65
; %bb.47:
	s_and_b64 vcc, exec, s[0:1]
	s_cbranch_vccz .LBB641_56
; %bb.48:
	s_lshl_b32 s7, s30, 3
	v_cvt_f32_u32_e32 v1, s7
	s_sub_i32 s3, 0, s7
	s_mov_b32 s2, 0
	v_rcp_iflag_f32_e32 v1, v1
	v_mul_f32_e32 v1, 0x4f7ffffe, v1
	v_cvt_u32_f32_e32 v2, v1
	v_mov_b32_e32 v1, 0
	v_readfirstlane_b32 s4, v2
	s_mul_i32 s3, s3, s4
	s_mul_hi_u32 s3, s4, s3
	s_add_i32 s4, s4, s3
	s_mul_hi_u32 s3, s18, s4
	s_mul_i32 s3, s3, s7
	s_sub_i32 s3, s18, s3
	s_sub_i32 s4, s3, s7
	s_cmp_ge_u32 s3, s7
	s_cselect_b32 s3, s4, s3
	s_sub_i32 s4, s3, s7
	s_cmp_ge_u32 s3, s7
	s_cselect_b32 s3, s4, s3
	s_bfe_i64 s[4:5], s[18:19], 0x200000
	s_sub_u32 s10, s4, s3
	s_subb_u32 s11, s5, 0
	v_cmp_gt_i64_e32 vcc, s[10:11], v[0:1]
	v_pk_mov_b32 v[2:3], v[0:1], v[0:1] op_sel:[0,1]
	s_and_saveexec_b64 s[36:37], vcc
	s_cbranch_execz .LBB641_52
; %bb.49:
	v_lshlrev_b64 v[2:3], 1, v[0:1]
	v_mov_b32_e32 v5, s9
	v_add_co_u32_e32 v4, vcc, s8, v2
	s_lshl_b32 s25, s30, 1
	v_addc_co_u32_e32 v5, vcc, v5, v3, vcc
	s_lshl_b32 s31, s30, 4
	s_mov_b64 s[38:39], 0
	v_mov_b32_e32 v12, s15
	v_mov_b32_e32 v13, s17
	v_mov_b32_e32 v14, s2
	v_mov_b32_e32 v15, s13
	s_movk_i32 s33, 0x7fff
	v_mov_b32_e32 v16, 0x7fc0
	v_mov_b32_e32 v17, s2
	;; [unrolled: 1-line block ×3, first 2 shown]
	v_pk_mov_b32 v[2:3], v[0:1], v[0:1] op_sel:[0,1]
.LBB641_50:                             ; =>This Inner Loop Header: Depth=1
	v_add_co_u32_e32 v8, vcc, s14, v4
	v_addc_co_u32_e32 v9, vcc, v12, v5, vcc
	v_add_co_u32_e32 v10, vcc, s16, v4
	v_addc_co_u32_e32 v11, vcc, v13, v5, vcc
	;; [unrolled: 2-line block ×7, first 2 shown]
	global_load_ushort v1, v[8:9], off
	global_load_ushort v19, v[10:11], off
	v_add_co_u32_e32 v8, vcc, s25, v6
	v_addc_co_u32_e32 v9, vcc, v7, v14, vcc
	v_add_co_u32_e64 v10, s[2:3], s25, v20
	v_cmp_le_i64_e32 vcc, s[10:11], v[2:3]
	v_addc_co_u32_e64 v11, s[2:3], v21, v14, s[2:3]
	v_add_co_u32_e64 v24, s[2:3], s25, v22
	global_load_ushort v30, v[20:21], off
	global_load_ushort v31, v[22:23], off
	s_or_b64 s[38:39], vcc, s[38:39]
	v_add_co_u32_e32 v22, vcc, s25, v10
	v_addc_co_u32_e64 v25, s[2:3], v23, v14, s[2:3]
	v_addc_co_u32_e32 v23, vcc, v11, v14, vcc
	v_add_co_u32_e32 v26, vcc, s25, v24
	v_add_co_u32_e64 v20, s[2:3], s25, v8
	v_addc_co_u32_e32 v27, vcc, v25, v14, vcc
	v_addc_co_u32_e64 v21, s[2:3], v9, v14, s[2:3]
	global_load_ushort v32, v[10:11], off
	global_load_ushort v33, v[24:25], off
	v_add_co_u32_e32 v10, vcc, s25, v20
	v_addc_co_u32_e32 v11, vcc, v21, v14, vcc
	v_add_co_u32_e32 v24, vcc, s25, v22
	v_addc_co_u32_e32 v25, vcc, v23, v14, vcc
	v_add_co_u32_e32 v28, vcc, s25, v26
	global_load_ushort v34, v[22:23], off
	global_load_ushort v35, v[26:27], off
	v_add_co_u32_e64 v26, s[2:3], s25, v24
	v_addc_co_u32_e32 v29, vcc, v27, v14, vcc
	v_addc_co_u32_e64 v27, s[2:3], v25, v14, s[2:3]
	global_load_ushort v36, v[24:25], off
	global_load_ushort v37, v[28:29], off
	v_add_co_u32_e64 v24, s[2:3], s25, v28
	v_addc_co_u32_e64 v25, s[2:3], v29, v14, s[2:3]
	global_load_ushort v38, v[26:27], off
	global_load_ushort v39, v[24:25], off
	v_add_co_u32_e64 v26, s[2:3], s25, v26
	v_addc_co_u32_e64 v27, s[2:3], v27, v14, s[2:3]
	v_add_co_u32_e64 v24, s[2:3], s25, v24
	v_addc_co_u32_e64 v25, s[2:3], v25, v14, s[2:3]
	global_load_ushort v40, v[26:27], off
	global_load_ushort v41, v[24:25], off
	v_add_co_u32_e64 v26, s[2:3], s25, v26
	v_addc_co_u32_e64 v27, s[2:3], v27, v14, s[2:3]
	v_add_co_u32_e64 v24, s[2:3], s25, v24
	v_addc_co_u32_e64 v25, s[2:3], v25, v14, s[2:3]
	global_load_ushort v42, v[26:27], off
	global_load_ushort v43, v[24:25], off
	v_add_co_u32_e32 v22, vcc, s25, v10
	v_addc_co_u32_e32 v23, vcc, v11, v14, vcc
	v_add_co_u32_e32 v24, vcc, s25, v22
	v_addc_co_u32_e32 v25, vcc, v23, v14, vcc
	v_add_co_u32_e32 v26, vcc, s25, v24
	s_waitcnt vmcnt(15)
	v_lshlrev_b32_e32 v1, 16, v1
	s_waitcnt vmcnt(14)
	v_lshlrev_b32_e32 v19, 16, v19
	v_addc_co_u32_e32 v27, vcc, v25, v14, vcc
	v_fma_f32 v1, -s24, v1, v19
	v_add_co_u32_e32 v28, vcc, s25, v26
	v_addc_co_u32_e32 v29, vcc, v27, v14, vcc
	v_cmp_o_f32_e32 vcc, v1, v1
	s_waitcnt vmcnt(13)
	v_lshlrev_b32_e32 v19, 16, v30
	s_waitcnt vmcnt(12)
	v_lshlrev_b32_e32 v30, 16, v31
	v_bfe_u32 v31, v1, 16, 1
	v_fma_f32 v19, -s24, v19, v30
	v_add3_u32 v31, v1, v31, s33
	v_lshrrev_b32_e32 v31, 16, v31
	v_cndmask_b32_e32 v1, v16, v31, vcc
	v_cmp_o_f32_e32 vcc, v19, v19
	global_store_short v[6:7], v1, off
	s_waitcnt vmcnt(12)
	v_lshlrev_b32_e32 v30, 16, v32
	s_waitcnt vmcnt(11)
	v_lshlrev_b32_e32 v32, 16, v33
	v_bfe_u32 v33, v19, 16, 1
	v_fma_f32 v30, -s24, v30, v32
	v_add3_u32 v33, v19, v33, s33
	v_lshrrev_b32_e32 v31, 16, v33
	v_cndmask_b32_e32 v1, v16, v31, vcc
	v_cmp_o_f32_e32 vcc, v30, v30
	global_store_short v[8:9], v1, off
	s_waitcnt vmcnt(11)
	v_lshlrev_b32_e32 v32, 16, v34
	s_waitcnt vmcnt(10)
	v_lshlrev_b32_e32 v34, 16, v35
	v_bfe_u32 v35, v30, 16, 1
	v_fma_f32 v32, -s24, v32, v34
	v_add3_u32 v33, v30, v35, s33
	v_bfe_u32 v35, v32, 16, 1
	v_lshrrev_b32_e32 v6, 16, v33
	s_waitcnt vmcnt(9)
	v_lshlrev_b32_e32 v34, 16, v36
	s_waitcnt vmcnt(8)
	v_lshlrev_b32_e32 v36, 16, v37
	v_fma_f32 v34, -s24, v34, v36
	v_add3_u32 v7, v32, v35, s33
	v_bfe_u32 v19, v34, 16, 1
	s_waitcnt vmcnt(7)
	v_lshlrev_b32_e32 v36, 16, v38
	s_waitcnt vmcnt(6)
	v_lshlrev_b32_e32 v37, 16, v39
	v_fma_f32 v31, -s24, v36, v37
	v_cndmask_b32_e32 v1, v16, v6, vcc
	v_lshrrev_b32_e32 v6, 16, v7
	v_add3_u32 v7, v34, v19, s33
	v_bfe_u32 v8, v31, 16, 1
	v_cmp_o_f32_e32 vcc, v32, v32
	global_store_short v[20:21], v1, off
	s_waitcnt vmcnt(6)
	v_lshlrev_b32_e32 v33, 16, v40
	s_waitcnt vmcnt(5)
	v_lshlrev_b32_e32 v35, 16, v41
	v_fma_f32 v9, -s24, v33, v35
	v_cndmask_b32_e32 v1, v16, v6, vcc
	v_lshrrev_b32_e32 v6, 16, v7
	v_add3_u32 v7, v31, v8, s33
	v_bfe_u32 v8, v9, 16, 1
	v_cmp_o_f32_e32 vcc, v34, v34
	global_store_short v[10:11], v1, off
	;; [unrolled: 11-line block ×3, first 2 shown]
	v_cndmask_b32_e32 v1, v16, v6, vcc
	v_lshrrev_b32_e32 v6, 16, v7
	v_add3_u32 v7, v19, v8, s33
	v_cmp_o_f32_e32 vcc, v9, v9
	global_store_short v[24:25], v1, off
	v_cndmask_b32_e32 v1, v16, v6, vcc
	v_lshrrev_b32_e32 v6, 16, v7
	v_cmp_o_f32_e32 vcc, v19, v19
	global_store_short v[26:27], v1, off
	v_cndmask_b32_e32 v1, v16, v6, vcc
	global_store_short v[28:29], v1, off
	s_andn2_b64 exec, exec, s[38:39]
	s_cbranch_execnz .LBB641_50
; %bb.51:
	s_or_b64 exec, exec, s[38:39]
.LBB641_52:
	s_or_b64 exec, exec, s[36:37]
	v_cmp_gt_i64_e32 vcc, s[4:5], v[2:3]
	s_and_saveexec_b64 s[2:3], vcc
	s_cbranch_execz .LBB641_55
; %bb.53:
	v_lshlrev_b64 v[4:5], 1, v[2:3]
	s_mov_b32 s11, 0
	v_mov_b32_e32 v1, s9
	v_add_co_u32_e32 v4, vcc, s8, v4
	v_addc_co_u32_e32 v1, vcc, v1, v5, vcc
	s_lshl_b32 s7, s30, 1
	s_mov_b64 s[8:9], 0
	v_mov_b32_e32 v5, s17
	v_mov_b32_e32 v6, s15
	s_movk_i32 s10, 0x7fff
	v_mov_b32_e32 v7, 0x7fc0
	v_mov_b32_e32 v8, s13
	;; [unrolled: 1-line block ×4, first 2 shown]
	s_mov_b32 s25, s11
.LBB641_54:                             ; =>This Inner Loop Header: Depth=1
	v_add_co_u32_e32 v12, vcc, s16, v4
	v_addc_co_u32_e32 v13, vcc, v5, v1, vcc
	v_add_co_u32_e32 v14, vcc, s14, v4
	v_addc_co_u32_e32 v15, vcc, v6, v1, vcc
	global_load_ushort v11, v[14:15], off
	global_load_ushort v16, v[12:13], off
	v_add_co_u32_e32 v12, vcc, s12, v4
	v_addc_co_u32_e32 v13, vcc, v8, v1, vcc
	v_add_co_u32_e32 v2, vcc, s30, v2
	v_addc_co_u32_e32 v3, vcc, v3, v9, vcc
	;; [unrolled: 2-line block ×3, first 2 shown]
	v_cmp_le_i64_e32 vcc, s[4:5], v[2:3]
	s_or_b64 s[8:9], vcc, s[8:9]
	s_waitcnt vmcnt(1)
	v_lshlrev_b32_e32 v11, 16, v11
	s_waitcnt vmcnt(0)
	v_lshlrev_b32_e32 v14, 16, v16
	v_fma_f32 v11, -s24, v11, v14
	v_bfe_u32 v14, v11, 16, 1
	v_add3_u32 v14, v11, v14, s10
	v_lshrrev_b32_e32 v14, 16, v14
	v_cmp_o_f32_e32 vcc, v11, v11
	v_cndmask_b32_e32 v11, v7, v14, vcc
	global_store_short v[12:13], v11, off
	s_andn2_b64 exec, exec, s[8:9]
	s_cbranch_execnz .LBB641_54
.LBB641_55:
	s_or_b64 exec, exec, s[2:3]
	s_mov_b64 s[2:3], 0
.LBB641_56:
	s_and_b64 vcc, exec, s[2:3]
	s_cbranch_vccz .LBB641_92
; %bb.57:
	s_lshl_b32 s2, s30, 3
	v_cvt_f32_u32_e32 v1, s2
	s_sub_i32 s3, 0, s2
	v_mov_b32_e32 v2, v0
	v_rcp_iflag_f32_e32 v1, v1
	v_mul_f32_e32 v1, 0x4f7ffffe, v1
	v_cvt_u32_f32_e32 v1, v1
	v_readfirstlane_b32 s4, v1
	s_mul_i32 s3, s3, s4
	s_mul_hi_u32 s3, s4, s3
	s_add_i32 s4, s4, s3
	s_mul_hi_u32 s3, s18, s4
	s_mul_i32 s3, s3, s2
	s_sub_i32 s3, s18, s3
	s_sub_i32 s4, s3, s2
	s_cmp_ge_u32 s3, s2
	s_cselect_b32 s3, s4, s3
	s_sub_i32 s4, s3, s2
	s_cmp_ge_u32 s3, s2
	s_cselect_b32 s2, s4, s3
	s_sub_i32 s7, s18, s2
	v_cmp_gt_i32_e32 vcc, s7, v0
	s_and_saveexec_b64 s[16:17], vcc
	s_cbranch_execz .LBB641_61
; %bb.58:
	s_add_i32 s42, s30, s30
	s_add_i32 s2, s42, s30
	s_add_i32 s2, s42, s2
	s_lshl_b32 s25, s30, 1
	s_mul_i32 s31, s30, 3
	s_lshl_b32 s33, s30, 2
	s_mul_i32 s38, s30, 5
	s_mul_i32 s39, s30, 6
	s_mul_i32 s40, s30, 7
	s_mov_b64 s[36:37], 0
	v_mov_b32_e32 v1, s29
	v_mov_b32_e32 v26, s21
	s_movk_i32 s41, 0x7fff
	v_mov_b32_e32 v27, 0x7fc0
	v_mov_b32_e32 v28, s27
	s_add_i32 s42, s42, s2
	v_mov_b32_e32 v3, 0
	v_mov_b32_e32 v2, v0
.LBB641_59:                             ; =>This Inner Loop Header: Depth=1
	v_lshlrev_b64 v[4:5], 1, v[2:3]
	v_add_co_u32_e32 v16, vcc, s28, v4
	v_addc_co_u32_e32 v17, vcc, v1, v5, vcc
	v_add_co_u32_e32 v24, vcc, s20, v4
	v_addc_co_u32_e32 v25, vcc, v26, v5, vcc
	v_add_u32_e32 v6, s30, v2
	v_mov_b32_e32 v7, v3
	v_add_co_u32_e32 v4, vcc, s26, v4
	v_add_u32_e32 v8, s25, v2
	v_add_u32_e32 v10, s31, v2
	;; [unrolled: 1-line block ×3, first 2 shown]
	v_mov_b32_e32 v13, v3
	v_add_u32_e32 v30, s38, v2
	v_add_u32_e32 v32, s39, v2
	v_add_u32_e32 v2, s40, v2
	v_lshlrev_b64 v[22:23], 1, v[6:7]
	v_addc_co_u32_e32 v5, vcc, v28, v5, vcc
	v_lshlrev_b64 v[14:15], 1, v[12:13]
	v_lshlrev_b64 v[12:13], 1, v[2:3]
	v_add_u32_e32 v2, s42, v6
	v_add_co_u32_e32 v6, vcc, s28, v22
	v_mov_b32_e32 v11, v3
	v_mov_b32_e32 v31, v3
	v_addc_co_u32_e32 v7, vcc, v1, v23, vcc
	v_mov_b32_e32 v9, v3
	v_lshlrev_b64 v[18:19], 1, v[10:11]
	v_lshlrev_b64 v[10:11], 1, v[30:31]
	v_add_co_u32_e32 v30, vcc, s20, v22
	v_mov_b32_e32 v33, v3
	v_lshlrev_b64 v[20:21], 1, v[8:9]
	v_addc_co_u32_e32 v31, vcc, v26, v23, vcc
	v_lshlrev_b64 v[8:9], 1, v[32:33]
	v_add_co_u32_e32 v32, vcc, s28, v20
	v_addc_co_u32_e32 v33, vcc, v1, v21, vcc
	v_add_co_u32_e32 v34, vcc, s20, v20
	v_addc_co_u32_e32 v35, vcc, v26, v21, vcc
	;; [unrolled: 2-line block ×12, first 2 shown]
	global_load_ushort v29, v[16:17], off
	global_load_ushort v56, v[24:25], off
	v_add_co_u32_e32 v16, vcc, s26, v22
	v_addc_co_u32_e32 v17, vcc, v28, v23, vcc
	global_load_ushort v22, v[6:7], off
	global_load_ushort v23, v[30:31], off
	global_load_ushort v24, v[32:33], off
	global_load_ushort v25, v[34:35], off
	global_load_ushort v57, v[36:37], off
	global_load_ushort v58, v[38:39], off
	global_load_ushort v59, v[40:41], off
	global_load_ushort v60, v[42:43], off
	global_load_ushort v61, v[44:45], off
	global_load_ushort v62, v[46:47], off
	global_load_ushort v63, v[48:49], off
                                        ; kill: killed $vgpr32 killed $vgpr33
                                        ; kill: killed $vgpr46 killed $vgpr47
                                        ; kill: killed $vgpr40 killed $vgpr41
                                        ; kill: killed $vgpr48 killed $vgpr49
                                        ; kill: killed $vgpr34 killed $vgpr35
                                        ; kill: killed $vgpr6 killed $vgpr7
                                        ; kill: killed $vgpr42 killed $vgpr43
                                        ; kill: killed $vgpr36 killed $vgpr37
                                        ; kill: killed $vgpr44 killed $vgpr45
                                        ; kill: killed $vgpr30 killed $vgpr31
                                        ; kill: killed $vgpr38 killed $vgpr39
	global_load_ushort v30, v[50:51], off
	global_load_ushort v31, v[52:53], off
	;; [unrolled: 1-line block ×3, first 2 shown]
	v_add_co_u32_e32 v20, vcc, s26, v20
	v_addc_co_u32_e32 v21, vcc, v28, v21, vcc
	v_add_co_u32_e32 v18, vcc, s26, v18
	v_addc_co_u32_e32 v19, vcc, v28, v19, vcc
	;; [unrolled: 2-line block ×6, first 2 shown]
	v_cmp_le_i32_e32 vcc, s7, v2
	s_or_b64 s[36:37], vcc, s[36:37]
	s_waitcnt vmcnt(7)
	v_lshlrev_b32_e32 v33, 16, v59
	s_waitcnt vmcnt(6)
	v_lshlrev_b32_e32 v34, 16, v60
	;; [unrolled: 2-line block ×5, first 2 shown]
	v_lshlrev_b32_e32 v12, 16, v29
	v_lshlrev_b32_e32 v13, 16, v56
	v_fma_f32 v12, -s24, v12, v13
	v_lshlrev_b32_e32 v13, 16, v22
	v_lshlrev_b32_e32 v22, 16, v23
	;; [unrolled: 1-line block ×6, first 2 shown]
	s_waitcnt vmcnt(2)
	v_lshlrev_b32_e32 v30, 16, v30
	s_waitcnt vmcnt(1)
	v_lshlrev_b32_e32 v31, 16, v31
	;; [unrolled: 2-line block ×3, first 2 shown]
	v_bfe_u32 v38, v12, 16, 1
	v_fma_f32 v13, -s24, v13, v22
	v_fma_f32 v22, -s24, v23, v24
	;; [unrolled: 1-line block ×7, first 2 shown]
	v_add3_u32 v31, v12, v38, s41
	v_bfe_u32 v32, v13, 16, 1
	v_bfe_u32 v33, v22, 16, 1
	;; [unrolled: 1-line block ×7, first 2 shown]
	v_lshrrev_b32_e32 v31, 16, v31
	v_add3_u32 v32, v13, v32, s41
	v_cmp_o_f32_e32 vcc, v12, v12
	v_add3_u32 v33, v22, v33, s41
	v_add3_u32 v34, v23, v34, s41
	;; [unrolled: 1-line block ×6, first 2 shown]
	v_cndmask_b32_e32 v12, v27, v31, vcc
	v_lshrrev_b32_e32 v31, 16, v32
	v_cmp_o_f32_e64 s[14:15], v13, v13
	v_lshrrev_b32_e32 v32, 16, v33
	v_cmp_o_f32_e32 vcc, v22, v22
	v_lshrrev_b32_e32 v22, 16, v34
	v_cmp_o_f32_e64 s[2:3], v23, v23
	v_lshrrev_b32_e32 v23, 16, v35
	v_cmp_o_f32_e64 s[4:5], v24, v24
	;; [unrolled: 2-line block ×5, first 2 shown]
	global_store_short v[4:5], v12, off
	v_cndmask_b32_e64 v4, v27, v31, s[14:15]
	v_cndmask_b32_e32 v5, v27, v32, vcc
	v_cndmask_b32_e64 v12, v27, v22, s[2:3]
	v_cndmask_b32_e64 v13, v27, v23, s[4:5]
	;; [unrolled: 1-line block ×5, first 2 shown]
	global_store_short v[16:17], v4, off
	global_store_short v[20:21], v5, off
	;; [unrolled: 1-line block ×7, first 2 shown]
	s_andn2_b64 exec, exec, s[36:37]
	s_cbranch_execnz .LBB641_59
; %bb.60:
	s_or_b64 exec, exec, s[36:37]
.LBB641_61:
	s_or_b64 exec, exec, s[16:17]
	v_cmp_gt_i32_e32 vcc, s18, v2
	s_and_saveexec_b64 s[4:5], vcc
	s_cbranch_execz .LBB641_64
; %bb.62:
	s_mov_b64 s[8:9], 0
	v_mov_b32_e32 v1, s21
	v_mov_b32_e32 v4, s29
	s_movk_i32 s7, 0x7fff
	v_mov_b32_e32 v5, 0x7fc0
	v_mov_b32_e32 v6, s27
.LBB641_63:                             ; =>This Inner Loop Header: Depth=1
	v_ashrrev_i32_e32 v3, 31, v2
	v_lshlrev_b64 v[8:9], 1, v[2:3]
	v_add_co_u32_e32 v10, vcc, s20, v8
	v_addc_co_u32_e32 v11, vcc, v1, v9, vcc
	v_add_co_u32_e32 v12, vcc, s28, v8
	v_addc_co_u32_e32 v13, vcc, v4, v9, vcc
	global_load_ushort v3, v[12:13], off
	global_load_ushort v7, v[10:11], off
	v_add_co_u32_e32 v8, vcc, s26, v8
	v_add_u32_e32 v2, s30, v2
	v_addc_co_u32_e32 v9, vcc, v6, v9, vcc
	v_cmp_le_i32_e32 vcc, s18, v2
	s_or_b64 s[8:9], vcc, s[8:9]
	s_waitcnt vmcnt(1)
	v_lshlrev_b32_e32 v3, 16, v3
	s_waitcnt vmcnt(0)
	v_lshlrev_b32_e32 v7, 16, v7
	v_fma_f32 v3, -s24, v3, v7
	v_bfe_u32 v7, v3, 16, 1
	v_add3_u32 v7, v3, v7, s7
	v_lshrrev_b32_e32 v7, 16, v7
	v_cmp_o_f32_e64 s[2:3], v3, v3
	v_cndmask_b32_e64 v3, v5, v7, s[2:3]
	global_store_short v[8:9], v3, off
	s_andn2_b64 exec, exec, s[8:9]
	s_cbranch_execnz .LBB641_63
.LBB641_64:
	s_or_b64 exec, exec, s[4:5]
	s_mov_b64 s[2:3], 0
.LBB641_65:
	s_andn2_b64 vcc, exec, s[2:3]
	s_cbranch_vccnz .LBB641_93
.LBB641_66:
	s_cmp_lg_u64 s[34:35], 0
	s_cselect_b64 s[4:5], -1, 0
	v_cndmask_b32_e64 v1, 0, 1, s[4:5]
	s_mov_b64 s[2:3], -1
	s_and_b64 vcc, exec, s[0:1]
	v_cmp_ne_u32_e64 s[0:1], 1, v1
	s_cbranch_vccz .LBB641_81
; %bb.67:
	v_mov_b32_e32 v1, 0
	s_and_b64 vcc, exec, s[0:1]
	s_mov_b64 s[36:37], s[18:19]
	s_mov_b64 s[38:39], s[26:27]
	;; [unrolled: 1-line block ×4, first 2 shown]
	s_cbranch_vccnz .LBB641_71
; %bb.68:
	s_lshl_b32 s2, s34, 1
	s_sub_u32 s9, s26, s2
	s_subb_u32 s10, s27, 0
	s_sub_u32 s7, s28, s2
	s_subb_u32 s8, s29, 0
	s_sub_u32 s4, s20, s2
	s_mov_b32 s31, 0
	s_subb_u32 s5, s21, 0
	v_cmp_le_u64_e32 vcc, s[34:35], v[0:1]
	s_and_saveexec_b64 s[2:3], vcc
	s_cbranch_execz .LBB641_70
; %bb.69:
	v_lshlrev_b64 v[2:3], 1, v[0:1]
	v_mov_b32_e32 v5, s5
	v_add_co_u32_e32 v4, vcc, s4, v2
	v_addc_co_u32_e32 v5, vcc, v5, v3, vcc
	v_mov_b32_e32 v7, s8
	v_add_co_u32_e32 v6, vcc, s7, v2
	v_addc_co_u32_e32 v7, vcc, v7, v3, vcc
	global_load_ushort v8, v[6:7], off
	global_load_ushort v9, v[4:5], off
	s_movk_i32 s11, 0x7fff
	v_mov_b32_e32 v4, 0x7fc0
	v_mov_b32_e32 v5, s10
	s_waitcnt vmcnt(1)
	v_lshlrev_b32_e32 v6, 16, v8
	s_waitcnt vmcnt(0)
	v_lshlrev_b32_e32 v7, 16, v9
	v_fma_f32 v6, -s24, v6, v7
	v_bfe_u32 v7, v6, 16, 1
	v_add3_u32 v7, v6, v7, s11
	v_lshrrev_b32_e32 v7, 16, v7
	v_cmp_o_f32_e32 vcc, v6, v6
	v_cndmask_b32_e32 v4, v4, v7, vcc
	v_add_co_u32_e32 v2, vcc, s9, v2
	v_addc_co_u32_e32 v3, vcc, v5, v3, vcc
	global_store_short v[2:3], v4, off
.LBB641_70:
	s_or_b64 exec, exec, s[2:3]
	s_add_u32 s2, s34, s18
	s_addc_u32 s3, 0, s19
	v_pk_mov_b32 v[2:3], s[30:31], s[30:31] op_sel:[0,1]
	v_cmp_lt_i64_e32 vcc, s[2:3], v[2:3]
	s_and_b64 s[12:13], vcc, exec
	s_cselect_b32 s12, s2, s30
	s_cselect_b32 s11, s3, 0
	s_sub_u32 s36, s2, s12
	s_subb_u32 s37, s3, s11
	s_lshl_b32 s2, s30, 1
	s_add_u32 s38, s9, s2
	s_addc_u32 s39, s10, 0
	s_add_u32 s40, s7, s2
	s_addc_u32 s41, s8, 0
	;; [unrolled: 2-line block ×3, first 2 shown]
.LBB641_71:
	s_load_dword s2, s[22:23], 0x0
	v_mov_b32_e32 v2, 0
	s_waitcnt lgkmcnt(0)
	s_cmp_lt_u32 s6, s2
	s_cselect_b32 s2, 12, 18
	s_add_u32 s2, s22, s2
	s_addc_u32 s3, s23, 0
	global_load_ushort v4, v2, s[2:3]
	s_mov_b32 s2, 0
	s_waitcnt vmcnt(0)
	v_readfirstlane_b32 s3, v4
	s_and_b32 s3, 0xffff, s3
	s_lshl_b32 s4, s3, 3
	s_mov_b32 s3, s37
	s_cmp_lg_u64 s[2:3], 0
	s_cbranch_scc0 .LBB641_94
; %bb.72:
	v_cvt_f32_u32_e32 v2, s4
	v_cvt_f32_ubyte0_e32 v3, 0
	s_sub_u32 s5, 0, s4
	s_subb_u32 s7, 0, 0
	v_madmk_f32 v2, v3, 0x4f800000, v2
	v_rcp_f32_e32 v2, v2
	v_mul_f32_e32 v2, 0x5f7ffffc, v2
	v_mul_f32_e32 v3, 0x2f800000, v2
	v_trunc_f32_e32 v3, v3
	v_madmk_f32 v2, v3, 0xcf800000, v2
	v_cvt_u32_f32_e32 v3, v3
	v_cvt_u32_f32_e32 v2, v2
	v_readfirstlane_b32 s8, v3
	v_readfirstlane_b32 s9, v2
	s_mul_i32 s10, s5, s8
	s_mul_hi_u32 s12, s5, s9
	s_mul_i32 s11, s7, s9
	s_add_i32 s10, s12, s10
	s_add_i32 s10, s10, s11
	s_mul_i32 s13, s5, s9
	s_mul_hi_u32 s11, s9, s10
	s_mul_i32 s12, s9, s10
	s_mul_hi_u32 s9, s9, s13
	s_add_u32 s9, s9, s12
	s_addc_u32 s11, 0, s11
	s_mul_hi_u32 s14, s8, s13
	s_mul_i32 s13, s8, s13
	s_add_u32 s9, s9, s13
	s_mul_hi_u32 s12, s8, s10
	s_addc_u32 s9, s11, s14
	s_addc_u32 s11, s12, 0
	s_mul_i32 s10, s8, s10
	s_add_u32 s9, s9, s10
	s_addc_u32 s10, 0, s11
	v_add_co_u32_e32 v2, vcc, s9, v2
	s_cmp_lg_u64 vcc, 0
	s_addc_u32 s8, s8, s10
	v_readfirstlane_b32 s10, v2
	s_mul_i32 s9, s5, s8
	s_mul_hi_u32 s11, s5, s10
	s_add_i32 s9, s11, s9
	s_mul_i32 s7, s7, s10
	s_add_i32 s9, s9, s7
	s_mul_i32 s5, s5, s10
	s_mul_hi_u32 s11, s8, s5
	s_mul_i32 s12, s8, s5
	s_mul_i32 s14, s10, s9
	s_mul_hi_u32 s5, s10, s5
	s_mul_hi_u32 s13, s10, s9
	s_add_u32 s5, s5, s14
	s_addc_u32 s10, 0, s13
	s_add_u32 s5, s5, s12
	s_mul_hi_u32 s7, s8, s9
	s_addc_u32 s5, s10, s11
	s_addc_u32 s7, s7, 0
	s_mul_i32 s9, s8, s9
	s_add_u32 s5, s5, s9
	s_addc_u32 s7, 0, s7
	v_add_co_u32_e32 v2, vcc, s5, v2
	s_cmp_lg_u64 vcc, 0
	s_addc_u32 s5, s8, s7
	s_ashr_i32 s8, s37, 31
	s_add_u32 s10, s36, s8
	s_mov_b32 s9, s8
	s_addc_u32 s11, s37, s8
	s_xor_b64 s[10:11], s[10:11], s[8:9]
	v_readfirstlane_b32 s12, v2
	s_mul_i32 s9, s10, s5
	s_mul_hi_u32 s13, s10, s12
	s_mul_hi_u32 s7, s10, s5
	s_add_u32 s9, s13, s9
	s_addc_u32 s7, 0, s7
	s_mul_hi_u32 s14, s11, s12
	s_mul_i32 s12, s11, s12
	s_add_u32 s9, s9, s12
	s_mul_hi_u32 s13, s11, s5
	s_addc_u32 s7, s7, s14
	s_addc_u32 s9, s13, 0
	s_mul_i32 s5, s11, s5
	s_add_u32 s5, s7, s5
	s_addc_u32 s7, 0, s9
	s_mul_hi_u32 s9, s4, s5
	s_mul_i32 s5, s4, s5
	s_mul_i32 s7, s4, s7
	v_mov_b32_e32 v2, s5
	s_add_i32 s9, s9, s7
	v_sub_co_u32_e32 v2, vcc, s10, v2
	s_cmp_lg_u64 vcc, 0
	s_subb_u32 s5, s11, s9
	v_subrev_co_u32_e32 v3, vcc, s4, v2
	s_cmp_lg_u64 vcc, 0
	s_subb_u32 s7, s5, 0
	v_subrev_co_u32_e32 v5, vcc, s4, v3
	s_cmp_lg_u64 vcc, 0
	s_subb_u32 s9, s7, 0
	v_cmp_le_u32_e32 vcc, s4, v3
	s_cmp_eq_u32 s7, 0
	v_cndmask_b32_e64 v6, 0, -1, vcc
	s_cselect_b64 vcc, -1, 0
	v_cndmask_b32_e32 v6, -1, v6, vcc
	v_mov_b32_e32 v7, s7
	v_mov_b32_e32 v8, s9
	v_cmp_ne_u32_e32 vcc, 0, v6
	v_cndmask_b32_e32 v6, v7, v8, vcc
	v_cndmask_b32_e32 v3, v3, v5, vcc
	v_cmp_le_u32_e32 vcc, s4, v2
	s_cmp_eq_u32 s5, 0
	v_cndmask_b32_e64 v5, 0, -1, vcc
	s_cselect_b64 vcc, -1, 0
	v_cndmask_b32_e32 v5, -1, v5, vcc
	v_cmp_ne_u32_e32 vcc, 0, v5
	v_mov_b32_e32 v7, s5
	v_cndmask_b32_e32 v2, v2, v3, vcc
	v_cndmask_b32_e32 v5, v7, v6, vcc
	v_xor_b32_e32 v2, s8, v2
	v_xor_b32_e32 v3, s8, v5
	v_mov_b32_e32 v5, s8
	v_subrev_co_u32_e32 v2, vcc, s8, v2
	v_subb_co_u32_e32 v3, vcc, v3, v5, vcc
	v_and_b32_e32 v10, 0xffff, v4
	s_cbranch_execnz .LBB641_74
.LBB641_73:
	v_cvt_f32_u32_e32 v2, s4
	s_sub_i32 s2, 0, s4
	v_rcp_iflag_f32_e32 v2, v2
	v_mul_f32_e32 v2, 0x4f7ffffe, v2
	v_cvt_u32_f32_e32 v2, v2
	v_mul_lo_u32 v3, s2, v2
	v_mul_hi_u32 v3, v2, v3
	v_add_u32_e32 v2, v2, v3
	v_mul_hi_u32 v2, s36, v2
	v_mul_lo_u32 v2, v2, s4
	v_sub_u32_e32 v2, s36, v2
	v_subrev_u32_e32 v3, s4, v2
	v_cmp_le_u32_e32 vcc, s4, v2
	v_cndmask_b32_e32 v2, v2, v3, vcc
	v_subrev_u32_e32 v3, s4, v2
	v_cmp_le_u32_e32 vcc, s4, v2
	v_cndmask_b32_e32 v2, v2, v3, vcc
	v_mov_b32_e32 v3, 0
.LBB641_74:
	v_mov_b32_e32 v4, s37
	v_sub_co_u32_e32 v2, vcc, s36, v2
	v_subb_co_u32_e32 v3, vcc, v4, v3, vcc
	v_lshlrev_b64 v[4:5], 3, v[0:1]
	v_cmp_lt_i64_e32 vcc, v[4:5], v[2:3]
	s_and_saveexec_b64 s[44:45], vcc
	s_cbranch_execz .LBB641_77
; %bb.75:
	v_lshlrev_b64 v[4:5], 4, v[0:1]
	s_mov_b32 s25, s24
	v_or_b32_e32 v4, 8, v4
	v_lshlrev_b32_e32 v11, 4, v10
	s_mov_b64 s[46:47], 0
	v_mov_b32_e32 v12, s41
	v_mov_b32_e32 v13, s43
	;; [unrolled: 1-line block ×3, first 2 shown]
	s_xor_b32 s49, s24, 0x80000000
	s_xor_b32 s48, s24, 0x80000000
	s_movk_i32 s7, 0x7fff
	v_mov_b32_e32 v15, 0x7fc0
	s_mov_b32 s19, 0x5040100
	v_pk_mov_b32 v[6:7], v[0:1], v[0:1] op_sel:[0,1]
.LBB641_76:                             ; =>This Inner Loop Header: Depth=1
	v_add_co_u32_e32 v8, vcc, s40, v4
	v_addc_co_u32_e32 v9, vcc, v12, v5, vcc
	v_add_co_u32_e32 v24, vcc, s42, v4
	v_addc_co_u32_e32 v25, vcc, v13, v5, vcc
	global_load_dwordx4 v[16:19], v[8:9], off offset:-8
	global_load_dwordx4 v[20:23], v[24:25], off offset:-8
	v_add_co_u32_e32 v8, vcc, s38, v4
	v_addc_co_u32_e32 v9, vcc, v14, v5, vcc
	v_add_co_u32_e32 v6, vcc, v6, v10
	v_addc_co_u32_e32 v7, vcc, 0, v7, vcc
	;; [unrolled: 2-line block ×3, first 2 shown]
	v_lshlrev_b64 v[24:25], 3, v[6:7]
	v_cmp_ge_i64_e32 vcc, v[24:25], v[2:3]
	s_or_b64 s[46:47], vcc, s[46:47]
	s_waitcnt vmcnt(1)
	v_and_b32_e32 v25, 0xffff0000, v16
	v_lshlrev_b32_e32 v24, 16, v16
	v_and_b32_e32 v27, 0xffff0000, v17
	v_lshlrev_b32_e32 v26, 16, v17
	s_waitcnt vmcnt(0)
	v_and_b32_e32 v17, 0xffff0000, v20
	v_lshlrev_b32_e32 v16, 16, v20
	v_and_b32_e32 v29, 0xffff0000, v21
	v_lshlrev_b32_e32 v28, 16, v21
	;; [unrolled: 2-line block ×6, first 2 shown]
	v_pk_fma_f32 v[22:23], s[48:49], v[26:27], v[28:29]
	v_pk_fma_f32 v[16:17], s[24:25], v[24:25], v[16:17] neg_lo:[1,0,0] neg_hi:[1,0,0]
	v_pk_fma_f32 v[24:25], s[48:49], v[30:31], v[32:33]
	v_pk_fma_f32 v[18:19], s[24:25], v[20:21], v[18:19] neg_lo:[1,0,0] neg_hi:[1,0,0]
	v_bfe_u32 v1, v22, 16, 1
	v_bfe_u32 v20, v23, 16, 1
	;; [unrolled: 1-line block ×8, first 2 shown]
	v_add3_u32 v20, v23, v20, s7
	v_add3_u32 v1, v22, v1, s7
	;; [unrolled: 1-line block ×8, first 2 shown]
	v_lshrrev_b32_e32 v1, 16, v1
	v_lshrrev_b32_e32 v20, 16, v20
	;; [unrolled: 1-line block ×4, first 2 shown]
	v_cmp_o_f32_e32 vcc, v23, v23
	v_cmp_o_f32_e64 s[2:3], v16, v16
	v_cmp_o_f32_e64 s[4:5], v17, v17
	v_lshrrev_b32_e32 v16, 16, v27
	v_lshrrev_b32_e32 v17, 16, v28
	;; [unrolled: 1-line block ×4, first 2 shown]
	v_cmp_o_f32_e64 s[8:9], v24, v24
	v_cmp_o_f32_e64 s[10:11], v25, v25
	;; [unrolled: 1-line block ×5, first 2 shown]
	v_cndmask_b32_e64 v1, v15, v1, s[16:17]
	v_cndmask_b32_e32 v18, v15, v20, vcc
	v_cndmask_b32_e64 v20, v15, v21, s[2:3]
	v_cndmask_b32_e64 v21, v15, v26, s[4:5]
	;; [unrolled: 1-line block ×6, first 2 shown]
	v_perm_b32 v19, v17, v16, s19
	v_perm_b32 v17, v18, v1, s19
	;; [unrolled: 1-line block ×4, first 2 shown]
	global_store_dwordx4 v[8:9], v[16:19], off offset:-8
	s_andn2_b64 exec, exec, s[46:47]
	s_cbranch_execnz .LBB641_76
.LBB641_77:
	s_or_b64 exec, exec, s[44:45]
	v_add_co_u32_e32 v2, vcc, v2, v0
	v_addc_co_u32_e32 v3, vcc, 0, v3, vcc
	v_cmp_gt_i64_e32 vcc, s[36:37], v[2:3]
	s_and_saveexec_b64 s[2:3], vcc
	s_cbranch_execz .LBB641_80
; %bb.78:
	v_lshlrev_b64 v[4:5], 1, v[2:3]
	v_lshlrev_b32_e32 v1, 1, v10
	s_mov_b64 s[4:5], 0
	v_mov_b32_e32 v6, s43
	v_mov_b32_e32 v7, s41
	s_movk_i32 s7, 0x7fff
	v_mov_b32_e32 v8, 0x7fc0
	v_mov_b32_e32 v9, s39
.LBB641_79:                             ; =>This Inner Loop Header: Depth=1
	v_add_co_u32_e32 v12, vcc, s42, v4
	v_addc_co_u32_e32 v13, vcc, v6, v5, vcc
	v_add_co_u32_e32 v14, vcc, s40, v4
	v_addc_co_u32_e32 v15, vcc, v7, v5, vcc
	global_load_ushort v11, v[14:15], off
	global_load_ushort v16, v[12:13], off
	v_add_co_u32_e32 v12, vcc, s38, v4
	v_addc_co_u32_e32 v13, vcc, v9, v5, vcc
	v_add_co_u32_e32 v2, vcc, v2, v10
	v_addc_co_u32_e32 v3, vcc, 0, v3, vcc
	v_add_co_u32_e32 v4, vcc, v4, v1
	v_addc_co_u32_e32 v5, vcc, 0, v5, vcc
	v_cmp_le_i64_e32 vcc, s[36:37], v[2:3]
	s_or_b64 s[4:5], vcc, s[4:5]
	s_waitcnt vmcnt(1)
	v_lshlrev_b32_e32 v11, 16, v11
	s_waitcnt vmcnt(0)
	v_lshlrev_b32_e32 v14, 16, v16
	v_fma_f32 v11, -s24, v11, v14
	v_bfe_u32 v14, v11, 16, 1
	v_add3_u32 v14, v11, v14, s7
	v_lshrrev_b32_e32 v14, 16, v14
	v_cmp_o_f32_e32 vcc, v11, v11
	v_cndmask_b32_e32 v11, v8, v14, vcc
	global_store_short v[12:13], v11, off
	s_andn2_b64 exec, exec, s[4:5]
	s_cbranch_execnz .LBB641_79
.LBB641_80:
	s_or_b64 exec, exec, s[2:3]
	s_mov_b64 s[2:3], 0
.LBB641_81:
	s_and_b64 vcc, exec, s[2:3]
	s_cbranch_vccz .LBB641_93
; %bb.82:
	s_and_b64 vcc, exec, s[0:1]
	s_cbranch_vccnz .LBB641_86
; %bb.83:
	s_lshl_b32 s0, s34, 1
	s_sub_u32 s7, s26, s0
	s_subb_u32 s8, s27, 0
	s_sub_u32 s4, s28, s0
	s_subb_u32 s5, s29, 0
	;; [unrolled: 2-line block ×3, first 2 shown]
	v_cmp_le_u32_e32 vcc, s34, v0
	s_and_saveexec_b64 s[0:1], vcc
	s_cbranch_execz .LBB641_85
; %bb.84:
	v_mov_b32_e32 v1, 0
	v_lshlrev_b64 v[2:3], 1, v[0:1]
	v_mov_b32_e32 v1, s3
	v_add_co_u32_e32 v4, vcc, s2, v2
	v_addc_co_u32_e32 v5, vcc, v1, v3, vcc
	v_mov_b32_e32 v1, s5
	v_add_co_u32_e32 v6, vcc, s4, v2
	v_addc_co_u32_e32 v7, vcc, v1, v3, vcc
	global_load_ushort v1, v[6:7], off
	global_load_ushort v8, v[4:5], off
	s_movk_i32 s9, 0x7fff
	v_mov_b32_e32 v4, 0x7fc0
	v_mov_b32_e32 v5, s8
	s_waitcnt vmcnt(1)
	v_lshlrev_b32_e32 v1, 16, v1
	s_waitcnt vmcnt(0)
	v_lshlrev_b32_e32 v6, 16, v8
	v_fma_f32 v1, -s24, v1, v6
	v_bfe_u32 v6, v1, 16, 1
	v_add3_u32 v6, v1, v6, s9
	v_lshrrev_b32_e32 v6, 16, v6
	v_cmp_o_f32_e32 vcc, v1, v1
	v_cndmask_b32_e32 v1, v4, v6, vcc
	v_add_co_u32_e32 v2, vcc, s7, v2
	v_addc_co_u32_e32 v3, vcc, v5, v3, vcc
	global_store_short v[2:3], v1, off
.LBB641_85:
	s_or_b64 exec, exec, s[0:1]
	s_add_i32 s0, s34, s18
	v_mov_b32_e32 v1, s30
	v_sub_u32_e64 v1, s0, v1 clamp
	s_lshl_b32 s0, s30, 1
	s_add_u32 s26, s7, s0
	s_addc_u32 s27, s8, 0
	s_add_u32 s28, s4, s0
	s_addc_u32 s29, s5, 0
	s_add_u32 s20, s2, s0
	v_readfirstlane_b32 s18, v1
	s_addc_u32 s21, s3, 0
.LBB641_86:
	s_load_dword s0, s[22:23], 0x0
	v_mov_b32_e32 v1, 0
	s_waitcnt lgkmcnt(0)
	s_cmp_lt_u32 s6, s0
	s_cselect_b32 s0, 12, 18
	s_add_u32 s0, s22, s0
	s_addc_u32 s1, s23, 0
	global_load_ushort v4, v1, s[0:1]
	s_waitcnt vmcnt(0)
	v_readfirstlane_b32 s0, v4
	s_lshl_b32 s0, s0, 3
	v_cvt_f32_u32_e32 v1, s0
	s_sub_i32 s1, 0, s0
	v_rcp_iflag_f32_e32 v1, v1
	v_mul_f32_e32 v1, 0x4f7ffffe, v1
	v_cvt_u32_f32_e32 v1, v1
	v_readfirstlane_b32 s2, v1
	s_mul_i32 s1, s1, s2
	s_mul_hi_u32 s1, s2, s1
	s_add_i32 s2, s2, s1
	s_mul_hi_u32 s1, s18, s2
	s_mul_i32 s1, s1, s0
	s_sub_i32 s1, s18, s1
	s_sub_i32 s2, s1, s0
	s_cmp_ge_u32 s1, s0
	s_cselect_b32 s1, s2, s1
	s_sub_i32 s2, s1, s0
	s_cmp_ge_u32 s1, s0
	s_cselect_b32 s0, s2, s1
	s_sub_i32 s8, s18, s0
	v_lshlrev_b32_e32 v1, 3, v0
	v_cmp_gt_i32_e32 vcc, s8, v1
	s_and_saveexec_b64 s[2:3], vcc
	s_cbranch_execz .LBB641_89
; %bb.87:
	s_mov_b32 s25, s24
	s_mov_b64 s[4:5], 0
	v_mov_b32_e32 v1, s29
	v_mov_b32_e32 v5, s21
	;; [unrolled: 1-line block ×3, first 2 shown]
	s_xor_b32 s7, s24, 0x80000000
	s_xor_b32 s6, s24, 0x80000000
	s_movk_i32 s9, 0x7fff
	v_mov_b32_e32 v7, 0x7fc0
	s_mov_b32 s10, 0x5040100
	v_mov_b32_e32 v2, v0
.LBB641_88:                             ; =>This Inner Loop Header: Depth=1
	v_ashrrev_i32_e32 v3, 31, v2
	v_lshlrev_b64 v[16:17], 4, v[2:3]
	v_add_co_u32_e32 v8, vcc, s28, v16
	v_addc_co_u32_e32 v9, vcc, v1, v17, vcc
	v_add_co_u32_e32 v12, vcc, s20, v16
	v_addc_co_u32_e32 v13, vcc, v5, v17, vcc
	global_load_dwordx4 v[8:11], v[8:9], off
	v_add_u32_e32 v2, v2, v4
	global_load_dwordx4 v[12:15], v[12:13], off
	v_add_co_u32_e32 v16, vcc, s26, v16
	v_addc_co_u32_e32 v17, vcc, v6, v17, vcc
	v_lshlrev_b32_e32 v3, 3, v2
	v_cmp_le_i32_e32 vcc, s8, v3
	s_or_b64 s[4:5], vcc, s[4:5]
	s_waitcnt vmcnt(1)
	v_and_b32_e32 v21, 0xffff0000, v9
	v_lshlrev_b32_e32 v20, 16, v9
	s_waitcnt vmcnt(0)
	v_and_b32_e32 v23, 0xffff0000, v13
	v_lshlrev_b32_e32 v22, 16, v13
	v_and_b32_e32 v19, 0xffff0000, v8
	v_lshlrev_b32_e32 v18, 16, v8
	v_and_b32_e32 v9, 0xffff0000, v12
	v_lshlrev_b32_e32 v8, 16, v12
	v_and_b32_e32 v13, 0xffff0000, v10
	v_lshlrev_b32_e32 v12, 16, v10
	v_and_b32_e32 v25, 0xffff0000, v11
	v_lshlrev_b32_e32 v24, 16, v11
	v_and_b32_e32 v11, 0xffff0000, v14
	v_lshlrev_b32_e32 v10, 16, v14
	v_and_b32_e32 v27, 0xffff0000, v15
	v_lshlrev_b32_e32 v26, 16, v15
	v_pk_fma_f32 v[14:15], s[6:7], v[20:21], v[22:23]
	v_bfe_u32 v3, v14, 16, 1
	v_pk_fma_f32 v[8:9], s[24:25], v[18:19], v[8:9] neg_lo:[1,0,0] neg_hi:[1,0,0]
	v_pk_fma_f32 v[10:11], s[24:25], v[12:13], v[10:11] neg_lo:[1,0,0] neg_hi:[1,0,0]
	v_bfe_u32 v12, v15, 16, 1
	v_add3_u32 v3, v14, v3, s9
	v_bfe_u32 v13, v8, 16, 1
	v_add3_u32 v12, v15, v12, s9
	v_lshrrev_b32_e32 v3, 16, v3
	v_cmp_o_f32_e64 s[0:1], v14, v14
	v_pk_fma_f32 v[18:19], s[6:7], v[24:25], v[26:27]
	v_bfe_u32 v20, v9, 16, 1
	v_add3_u32 v13, v8, v13, s9
	v_lshrrev_b32_e32 v12, 16, v12
	v_cndmask_b32_e64 v3, v7, v3, s[0:1]
	v_cmp_o_f32_e64 s[0:1], v15, v15
	v_bfe_u32 v21, v18, 16, 1
	v_add3_u32 v20, v9, v20, s9
	v_lshrrev_b32_e32 v13, 16, v13
	v_cndmask_b32_e64 v12, v7, v12, s[0:1]
	v_cmp_o_f32_e64 s[0:1], v8, v8
	;; [unrolled: 5-line block ×5, first 2 shown]
	v_add3_u32 v24, v11, v24, s9
	v_lshrrev_b32_e32 v23, 16, v23
	v_cndmask_b32_e64 v14, v7, v22, s[0:1]
	v_cmp_o_f32_e64 s[0:1], v10, v10
	v_lshrrev_b32_e32 v24, 16, v24
	v_cndmask_b32_e64 v10, v7, v23, s[0:1]
	v_cmp_o_f32_e64 s[0:1], v11, v11
	v_cndmask_b32_e64 v15, v7, v24, s[0:1]
	v_perm_b32 v11, v14, v9, s10
	v_perm_b32 v9, v12, v3, s10
	;; [unrolled: 1-line block ×4, first 2 shown]
	global_store_dwordx4 v[16:17], v[8:11], off
	s_andn2_b64 exec, exec, s[4:5]
	s_cbranch_execnz .LBB641_88
.LBB641_89:
	s_or_b64 exec, exec, s[2:3]
	v_add_u32_e32 v0, s8, v0
	v_cmp_gt_i32_e32 vcc, s18, v0
	s_and_saveexec_b64 s[0:1], vcc
	s_cbranch_execz .LBB641_93
; %bb.90:
	s_mov_b64 s[2:3], 0
	v_mov_b32_e32 v2, s21
	v_mov_b32_e32 v3, s29
	s_movk_i32 s4, 0x7fff
	v_mov_b32_e32 v5, 0x7fc0
	v_mov_b32_e32 v6, s27
.LBB641_91:                             ; =>This Inner Loop Header: Depth=1
	v_ashrrev_i32_e32 v1, 31, v0
	v_lshlrev_b64 v[8:9], 1, v[0:1]
	v_add_co_u32_e32 v10, vcc, s20, v8
	v_addc_co_u32_e32 v11, vcc, v2, v9, vcc
	v_add_co_u32_e32 v12, vcc, s28, v8
	v_addc_co_u32_e32 v13, vcc, v3, v9, vcc
	global_load_ushort v1, v[12:13], off
	global_load_ushort v7, v[10:11], off
	v_add_co_u32_e32 v8, vcc, s26, v8
	v_add_u32_e32 v0, v0, v4
	v_addc_co_u32_e32 v9, vcc, v6, v9, vcc
	v_cmp_le_i32_e32 vcc, s18, v0
	s_or_b64 s[2:3], vcc, s[2:3]
	s_waitcnt vmcnt(1)
	v_lshlrev_b32_e32 v1, 16, v1
	s_waitcnt vmcnt(0)
	v_lshlrev_b32_e32 v7, 16, v7
	v_fma_f32 v1, -s24, v1, v7
	v_bfe_u32 v7, v1, 16, 1
	v_add3_u32 v7, v1, v7, s4
	v_lshrrev_b32_e32 v7, 16, v7
	v_cmp_o_f32_e64 s[0:1], v1, v1
	v_cndmask_b32_e64 v1, v5, v7, s[0:1]
	global_store_short v[8:9], v1, off
	s_andn2_b64 exec, exec, s[2:3]
	s_cbranch_execnz .LBB641_91
	s_branch .LBB641_93
.LBB641_92:
	s_cbranch_execz .LBB641_66
.LBB641_93:
	s_endpgm
.LBB641_94:
                                        ; implicit-def: $vgpr2_vgpr3
	v_and_b32_e32 v10, 0xffff, v4
	s_branch .LBB641_73
	.section	.rodata,"a",@progbits
	.p2align	6, 0x0
	.amdhsa_kernel _ZN2at6native12_GLOBAL__N_120cunn_SoftMaxBackwardILi8EN3c108BFloat16EfS4_NS1_23SoftMaxBackwardEpilogueEEEvPT0_PKT2_SA_l
		.amdhsa_group_segment_fixed_size 0
		.amdhsa_private_segment_fixed_size 0
		.amdhsa_kernarg_size 288
		.amdhsa_user_sgpr_count 6
		.amdhsa_user_sgpr_private_segment_buffer 1
		.amdhsa_user_sgpr_dispatch_ptr 0
		.amdhsa_user_sgpr_queue_ptr 0
		.amdhsa_user_sgpr_kernarg_segment_ptr 1
		.amdhsa_user_sgpr_dispatch_id 0
		.amdhsa_user_sgpr_flat_scratch_init 0
		.amdhsa_user_sgpr_kernarg_preload_length 0
		.amdhsa_user_sgpr_kernarg_preload_offset 0
		.amdhsa_user_sgpr_private_segment_size 0
		.amdhsa_uses_dynamic_stack 0
		.amdhsa_system_sgpr_private_segment_wavefront_offset 0
		.amdhsa_system_sgpr_workgroup_id_x 1
		.amdhsa_system_sgpr_workgroup_id_y 0
		.amdhsa_system_sgpr_workgroup_id_z 0
		.amdhsa_system_sgpr_workgroup_info 0
		.amdhsa_system_vgpr_workitem_id 0
		.amdhsa_next_free_vgpr 64
		.amdhsa_next_free_sgpr 50
		.amdhsa_accum_offset 64
		.amdhsa_reserve_vcc 1
		.amdhsa_reserve_flat_scratch 0
		.amdhsa_float_round_mode_32 0
		.amdhsa_float_round_mode_16_64 0
		.amdhsa_float_denorm_mode_32 3
		.amdhsa_float_denorm_mode_16_64 3
		.amdhsa_dx10_clamp 1
		.amdhsa_ieee_mode 1
		.amdhsa_fp16_overflow 0
		.amdhsa_tg_split 0
		.amdhsa_exception_fp_ieee_invalid_op 0
		.amdhsa_exception_fp_denorm_src 0
		.amdhsa_exception_fp_ieee_div_zero 0
		.amdhsa_exception_fp_ieee_overflow 0
		.amdhsa_exception_fp_ieee_underflow 0
		.amdhsa_exception_fp_ieee_inexact 0
		.amdhsa_exception_int_div_zero 0
	.end_amdhsa_kernel
	.section	.text._ZN2at6native12_GLOBAL__N_120cunn_SoftMaxBackwardILi8EN3c108BFloat16EfS4_NS1_23SoftMaxBackwardEpilogueEEEvPT0_PKT2_SA_l,"axG",@progbits,_ZN2at6native12_GLOBAL__N_120cunn_SoftMaxBackwardILi8EN3c108BFloat16EfS4_NS1_23SoftMaxBackwardEpilogueEEEvPT0_PKT2_SA_l,comdat
.Lfunc_end641:
	.size	_ZN2at6native12_GLOBAL__N_120cunn_SoftMaxBackwardILi8EN3c108BFloat16EfS4_NS1_23SoftMaxBackwardEpilogueEEEvPT0_PKT2_SA_l, .Lfunc_end641-_ZN2at6native12_GLOBAL__N_120cunn_SoftMaxBackwardILi8EN3c108BFloat16EfS4_NS1_23SoftMaxBackwardEpilogueEEEvPT0_PKT2_SA_l
                                        ; -- End function
	.section	.AMDGPU.csdata,"",@progbits
; Kernel info:
; codeLenInByte = 8580
; NumSgprs: 54
; NumVgprs: 64
; NumAgprs: 0
; TotalNumVgprs: 64
; ScratchSize: 0
; MemoryBound: 0
; FloatMode: 240
; IeeeMode: 1
; LDSByteSize: 0 bytes/workgroup (compile time only)
; SGPRBlocks: 6
; VGPRBlocks: 7
; NumSGPRsForWavesPerEU: 54
; NumVGPRsForWavesPerEU: 64
; AccumOffset: 64
; Occupancy: 8
; WaveLimiterHint : 0
; COMPUTE_PGM_RSRC2:SCRATCH_EN: 0
; COMPUTE_PGM_RSRC2:USER_SGPR: 6
; COMPUTE_PGM_RSRC2:TRAP_HANDLER: 0
; COMPUTE_PGM_RSRC2:TGID_X_EN: 1
; COMPUTE_PGM_RSRC2:TGID_Y_EN: 0
; COMPUTE_PGM_RSRC2:TGID_Z_EN: 0
; COMPUTE_PGM_RSRC2:TIDIG_COMP_CNT: 0
; COMPUTE_PGM_RSRC3_GFX90A:ACCUM_OFFSET: 15
; COMPUTE_PGM_RSRC3_GFX90A:TG_SPLIT: 0
	.section	.text._ZN12_GLOBAL__N_121softmax_warp_backwardIfN3c108BFloat16EfLi0ELb0ELb0ELi64EEEvPT0_PKT_S7_iiiPKb,"axG",@progbits,_ZN12_GLOBAL__N_121softmax_warp_backwardIfN3c108BFloat16EfLi0ELb0ELb0ELi64EEEvPT0_PKT_S7_iiiPKb,comdat
	.globl	_ZN12_GLOBAL__N_121softmax_warp_backwardIfN3c108BFloat16EfLi0ELb0ELb0ELi64EEEvPT0_PKT_S7_iiiPKb ; -- Begin function _ZN12_GLOBAL__N_121softmax_warp_backwardIfN3c108BFloat16EfLi0ELb0ELb0ELi64EEEvPT0_PKT_S7_iiiPKb
	.p2align	8
	.type	_ZN12_GLOBAL__N_121softmax_warp_backwardIfN3c108BFloat16EfLi0ELb0ELb0ELi64EEEvPT0_PKT_S7_iiiPKb,@function
_ZN12_GLOBAL__N_121softmax_warp_backwardIfN3c108BFloat16EfLi0ELb0ELb0ELi64EEEvPT0_PKT_S7_iiiPKb: ; @_ZN12_GLOBAL__N_121softmax_warp_backwardIfN3c108BFloat16EfLi0ELb0ELb0ELi64EEEvPT0_PKT_S7_iiiPKb
; %bb.0:
	s_load_dword s2, s[4:5], 0x3c
	s_load_dwordx4 s[8:11], s[4:5], 0x18
	s_load_dwordx4 s[12:15], s[4:5], 0x0
	s_load_dwordx2 s[0:1], s[4:5], 0x10
	v_bfe_u32 v0, v0, 10, 10
	s_waitcnt lgkmcnt(0)
	s_lshr_b32 s2, s2, 16
	s_mul_i32 s6, s6, s2
	v_add_lshl_u32 v0, s6, v0, 1
	v_sub_u32_e32 v6, s8, v0
	v_mul_lo_u32 v0, v0, s9
	v_ashrrev_i32_e32 v1, 31, v0
	v_lshlrev_b64 v[4:5], 2, v[0:1]
	v_mov_b32_e32 v3, s15
	v_add_co_u32_e32 v2, vcc, s14, v4
	v_addc_co_u32_e32 v3, vcc, v3, v5, vcc
	v_mov_b32_e32 v7, s1
	v_add_co_u32_e32 v4, vcc, s0, v4
	v_addc_co_u32_e32 v5, vcc, v7, v5, vcc
	s_cmp_gt_i32 s10, 0
	s_cselect_b64 s[2:3], -1, 0
	v_cmp_lt_i32_e32 vcc, 0, v6
	s_and_b64 s[4:5], s[2:3], vcc
	v_mov_b32_e32 v7, 0
	v_mov_b32_e32 v8, 0
	;; [unrolled: 1-line block ×3, first 2 shown]
	s_and_saveexec_b64 s[0:1], s[4:5]
	s_cbranch_execz .LBB642_2
; %bb.1:
	global_load_dword v8, v[2:3], off
	global_load_dword v9, v[4:5], off
.LBB642_2:
	s_or_b64 exec, exec, s[0:1]
	v_cmp_lt_i32_e64 s[0:1], 1, v6
	s_and_b64 s[0:1], s[2:3], s[0:1]
	s_mov_b32 s11, 0
	v_mov_b32_e32 v10, 0
	s_and_saveexec_b64 s[4:5], s[0:1]
	s_cbranch_execz .LBB642_4
; %bb.3:
	s_lshl_b64 s[6:7], s[10:11], 2
	v_mov_b32_e32 v10, s7
	v_add_co_u32_e64 v2, s[0:1], s6, v2
	v_addc_co_u32_e64 v3, s[0:1], v3, v10, s[0:1]
	global_load_dword v7, v[2:3], off
	v_add_co_u32_e64 v2, s[0:1], s6, v4
	v_addc_co_u32_e64 v3, s[0:1], v5, v10, s[0:1]
	global_load_dword v10, v[2:3], off
.LBB642_4:
	s_or_b64 exec, exec, s[4:5]
	s_and_saveexec_b64 s[0:1], vcc
	s_cbranch_execz .LBB642_10
; %bb.5:
	v_lshlrev_b64 v[0:1], 1, v[0:1]
	v_mov_b32_e32 v2, s13
	v_cndmask_b32_e64 v3, 0, 1, s[2:3]
	s_andn2_b64 vcc, exec, s[2:3]
	v_add_co_u32_e64 v0, s[2:3], s12, v0
	v_cmp_ne_u32_e64 s[0:1], 1, v3
	v_addc_co_u32_e64 v1, s[2:3], v2, v1, s[2:3]
	s_cbranch_vccnz .LBB642_7
; %bb.6:
	s_waitcnt vmcnt(1)
	v_add_f32_e32 v2, 0, v8
	s_waitcnt vmcnt(0)
	v_fma_f32 v2, -v2, v9, v8
	v_bfe_u32 v3, v2, 16, 1
	s_movk_i32 s2, 0x7fff
	v_add3_u32 v3, v2, v3, s2
	v_lshrrev_b32_e32 v3, 16, v3
	v_mov_b32_e32 v4, 0x7fc0
	v_cmp_o_f32_e32 vcc, v2, v2
	v_cndmask_b32_e32 v2, v4, v3, vcc
	global_store_short v[0:1], v2, off
.LBB642_7:
	v_cmp_ne_u32_e32 vcc, 1, v6
	s_and_b64 exec, exec, vcc
	s_cbranch_execz .LBB642_10
; %bb.8:
	s_and_b64 vcc, exec, s[0:1]
	s_cbranch_vccnz .LBB642_10
; %bb.9:
	s_waitcnt vmcnt(1)
	v_add_f32_e32 v2, 0, v7
	s_waitcnt vmcnt(0)
	v_fma_f32 v2, -v2, v10, v7
	v_bfe_u32 v3, v2, 16, 1
	s_movk_i32 s0, 0x7fff
	v_add3_u32 v3, v2, v3, s0
	v_lshrrev_b32_e32 v3, 16, v3
	v_mov_b32_e32 v4, 0x7fc0
	v_cmp_o_f32_e32 vcc, v2, v2
	s_lshl_b64 s[0:1], s[10:11], 1
	v_cndmask_b32_e32 v2, v4, v3, vcc
	v_mov_b32_e32 v3, s1
	v_add_co_u32_e32 v0, vcc, s0, v0
	v_addc_co_u32_e32 v1, vcc, v1, v3, vcc
	global_store_short v[0:1], v2, off
.LBB642_10:
	s_endpgm
	.section	.rodata,"a",@progbits
	.p2align	6, 0x0
	.amdhsa_kernel _ZN12_GLOBAL__N_121softmax_warp_backwardIfN3c108BFloat16EfLi0ELb0ELb0ELi64EEEvPT0_PKT_S7_iiiPKb
		.amdhsa_group_segment_fixed_size 0
		.amdhsa_private_segment_fixed_size 0
		.amdhsa_kernarg_size 304
		.amdhsa_user_sgpr_count 6
		.amdhsa_user_sgpr_private_segment_buffer 1
		.amdhsa_user_sgpr_dispatch_ptr 0
		.amdhsa_user_sgpr_queue_ptr 0
		.amdhsa_user_sgpr_kernarg_segment_ptr 1
		.amdhsa_user_sgpr_dispatch_id 0
		.amdhsa_user_sgpr_flat_scratch_init 0
		.amdhsa_user_sgpr_kernarg_preload_length 0
		.amdhsa_user_sgpr_kernarg_preload_offset 0
		.amdhsa_user_sgpr_private_segment_size 0
		.amdhsa_uses_dynamic_stack 0
		.amdhsa_system_sgpr_private_segment_wavefront_offset 0
		.amdhsa_system_sgpr_workgroup_id_x 1
		.amdhsa_system_sgpr_workgroup_id_y 0
		.amdhsa_system_sgpr_workgroup_id_z 0
		.amdhsa_system_sgpr_workgroup_info 0
		.amdhsa_system_vgpr_workitem_id 1
		.amdhsa_next_free_vgpr 11
		.amdhsa_next_free_sgpr 16
		.amdhsa_accum_offset 12
		.amdhsa_reserve_vcc 1
		.amdhsa_reserve_flat_scratch 0
		.amdhsa_float_round_mode_32 0
		.amdhsa_float_round_mode_16_64 0
		.amdhsa_float_denorm_mode_32 3
		.amdhsa_float_denorm_mode_16_64 3
		.amdhsa_dx10_clamp 1
		.amdhsa_ieee_mode 1
		.amdhsa_fp16_overflow 0
		.amdhsa_tg_split 0
		.amdhsa_exception_fp_ieee_invalid_op 0
		.amdhsa_exception_fp_denorm_src 0
		.amdhsa_exception_fp_ieee_div_zero 0
		.amdhsa_exception_fp_ieee_overflow 0
		.amdhsa_exception_fp_ieee_underflow 0
		.amdhsa_exception_fp_ieee_inexact 0
		.amdhsa_exception_int_div_zero 0
	.end_amdhsa_kernel
	.section	.text._ZN12_GLOBAL__N_121softmax_warp_backwardIfN3c108BFloat16EfLi0ELb0ELb0ELi64EEEvPT0_PKT_S7_iiiPKb,"axG",@progbits,_ZN12_GLOBAL__N_121softmax_warp_backwardIfN3c108BFloat16EfLi0ELb0ELb0ELi64EEEvPT0_PKT_S7_iiiPKb,comdat
.Lfunc_end642:
	.size	_ZN12_GLOBAL__N_121softmax_warp_backwardIfN3c108BFloat16EfLi0ELb0ELb0ELi64EEEvPT0_PKT_S7_iiiPKb, .Lfunc_end642-_ZN12_GLOBAL__N_121softmax_warp_backwardIfN3c108BFloat16EfLi0ELb0ELb0ELi64EEEvPT0_PKT_S7_iiiPKb
                                        ; -- End function
	.section	.AMDGPU.csdata,"",@progbits
; Kernel info:
; codeLenInByte = 488
; NumSgprs: 20
; NumVgprs: 11
; NumAgprs: 0
; TotalNumVgprs: 11
; ScratchSize: 0
; MemoryBound: 0
; FloatMode: 240
; IeeeMode: 1
; LDSByteSize: 0 bytes/workgroup (compile time only)
; SGPRBlocks: 2
; VGPRBlocks: 1
; NumSGPRsForWavesPerEU: 20
; NumVGPRsForWavesPerEU: 11
; AccumOffset: 12
; Occupancy: 8
; WaveLimiterHint : 0
; COMPUTE_PGM_RSRC2:SCRATCH_EN: 0
; COMPUTE_PGM_RSRC2:USER_SGPR: 6
; COMPUTE_PGM_RSRC2:TRAP_HANDLER: 0
; COMPUTE_PGM_RSRC2:TGID_X_EN: 1
; COMPUTE_PGM_RSRC2:TGID_Y_EN: 0
; COMPUTE_PGM_RSRC2:TGID_Z_EN: 0
; COMPUTE_PGM_RSRC2:TIDIG_COMP_CNT: 1
; COMPUTE_PGM_RSRC3_GFX90A:ACCUM_OFFSET: 2
; COMPUTE_PGM_RSRC3_GFX90A:TG_SPLIT: 0
	.section	.text._ZN12_GLOBAL__N_121softmax_warp_backwardIfN3c108BFloat16EfLi0ELb0ELb0ELi32EEEvPT0_PKT_S7_iiiPKb,"axG",@progbits,_ZN12_GLOBAL__N_121softmax_warp_backwardIfN3c108BFloat16EfLi0ELb0ELb0ELi32EEEvPT0_PKT_S7_iiiPKb,comdat
	.globl	_ZN12_GLOBAL__N_121softmax_warp_backwardIfN3c108BFloat16EfLi0ELb0ELb0ELi32EEEvPT0_PKT_S7_iiiPKb ; -- Begin function _ZN12_GLOBAL__N_121softmax_warp_backwardIfN3c108BFloat16EfLi0ELb0ELb0ELi32EEEvPT0_PKT_S7_iiiPKb
	.p2align	8
	.type	_ZN12_GLOBAL__N_121softmax_warp_backwardIfN3c108BFloat16EfLi0ELb0ELb0ELi32EEEvPT0_PKT_S7_iiiPKb,@function
_ZN12_GLOBAL__N_121softmax_warp_backwardIfN3c108BFloat16EfLi0ELb0ELb0ELi32EEEvPT0_PKT_S7_iiiPKb: ; @_ZN12_GLOBAL__N_121softmax_warp_backwardIfN3c108BFloat16EfLi0ELb0ELb0ELi32EEEvPT0_PKT_S7_iiiPKb
; %bb.0:
	s_load_dword s2, s[4:5], 0x3c
	s_load_dwordx4 s[8:11], s[4:5], 0x18
	s_load_dwordx4 s[12:15], s[4:5], 0x0
	s_load_dwordx2 s[0:1], s[4:5], 0x10
	v_bfe_u32 v0, v0, 10, 10
	s_waitcnt lgkmcnt(0)
	s_lshr_b32 s2, s2, 16
	s_mul_i32 s6, s6, s2
	v_add_lshl_u32 v0, s6, v0, 1
	v_sub_u32_e32 v6, s8, v0
	v_mul_lo_u32 v0, v0, s9
	v_ashrrev_i32_e32 v1, 31, v0
	v_lshlrev_b64 v[4:5], 2, v[0:1]
	v_mov_b32_e32 v3, s15
	v_add_co_u32_e32 v2, vcc, s14, v4
	v_addc_co_u32_e32 v3, vcc, v3, v5, vcc
	v_mov_b32_e32 v7, s1
	v_add_co_u32_e32 v4, vcc, s0, v4
	v_addc_co_u32_e32 v5, vcc, v7, v5, vcc
	s_cmp_gt_i32 s10, 0
	s_cselect_b64 s[2:3], -1, 0
	v_cmp_lt_i32_e32 vcc, 0, v6
	s_and_b64 s[4:5], s[2:3], vcc
	v_mov_b32_e32 v7, 0
	v_mov_b32_e32 v8, 0
	v_mov_b32_e32 v9, 0
	s_and_saveexec_b64 s[0:1], s[4:5]
	s_cbranch_execz .LBB643_2
; %bb.1:
	global_load_dword v8, v[2:3], off
	global_load_dword v9, v[4:5], off
.LBB643_2:
	s_or_b64 exec, exec, s[0:1]
	v_cmp_lt_i32_e64 s[0:1], 1, v6
	s_and_b64 s[0:1], s[2:3], s[0:1]
	s_mov_b32 s11, 0
	v_mov_b32_e32 v10, 0
	s_and_saveexec_b64 s[4:5], s[0:1]
	s_cbranch_execz .LBB643_4
; %bb.3:
	s_lshl_b64 s[6:7], s[10:11], 2
	v_mov_b32_e32 v10, s7
	v_add_co_u32_e64 v2, s[0:1], s6, v2
	v_addc_co_u32_e64 v3, s[0:1], v3, v10, s[0:1]
	global_load_dword v7, v[2:3], off
	v_add_co_u32_e64 v2, s[0:1], s6, v4
	v_addc_co_u32_e64 v3, s[0:1], v5, v10, s[0:1]
	global_load_dword v10, v[2:3], off
.LBB643_4:
	s_or_b64 exec, exec, s[4:5]
	s_and_saveexec_b64 s[0:1], vcc
	s_cbranch_execz .LBB643_10
; %bb.5:
	v_lshlrev_b64 v[0:1], 1, v[0:1]
	v_mov_b32_e32 v2, s13
	v_cndmask_b32_e64 v3, 0, 1, s[2:3]
	s_andn2_b64 vcc, exec, s[2:3]
	v_add_co_u32_e64 v0, s[2:3], s12, v0
	v_cmp_ne_u32_e64 s[0:1], 1, v3
	v_addc_co_u32_e64 v1, s[2:3], v2, v1, s[2:3]
	s_cbranch_vccnz .LBB643_7
; %bb.6:
	s_waitcnt vmcnt(1)
	v_add_f32_e32 v2, 0, v8
	s_waitcnt vmcnt(0)
	v_fma_f32 v2, -v2, v9, v8
	v_bfe_u32 v3, v2, 16, 1
	s_movk_i32 s2, 0x7fff
	v_add3_u32 v3, v2, v3, s2
	v_lshrrev_b32_e32 v3, 16, v3
	v_mov_b32_e32 v4, 0x7fc0
	v_cmp_o_f32_e32 vcc, v2, v2
	v_cndmask_b32_e32 v2, v4, v3, vcc
	global_store_short v[0:1], v2, off
.LBB643_7:
	v_cmp_ne_u32_e32 vcc, 1, v6
	s_and_b64 exec, exec, vcc
	s_cbranch_execz .LBB643_10
; %bb.8:
	s_and_b64 vcc, exec, s[0:1]
	s_cbranch_vccnz .LBB643_10
; %bb.9:
	s_waitcnt vmcnt(1)
	v_add_f32_e32 v2, 0, v7
	s_waitcnt vmcnt(0)
	v_fma_f32 v2, -v2, v10, v7
	v_bfe_u32 v3, v2, 16, 1
	s_movk_i32 s0, 0x7fff
	v_add3_u32 v3, v2, v3, s0
	v_lshrrev_b32_e32 v3, 16, v3
	v_mov_b32_e32 v4, 0x7fc0
	v_cmp_o_f32_e32 vcc, v2, v2
	s_lshl_b64 s[0:1], s[10:11], 1
	v_cndmask_b32_e32 v2, v4, v3, vcc
	v_mov_b32_e32 v3, s1
	v_add_co_u32_e32 v0, vcc, s0, v0
	v_addc_co_u32_e32 v1, vcc, v1, v3, vcc
	global_store_short v[0:1], v2, off
.LBB643_10:
	s_endpgm
	.section	.rodata,"a",@progbits
	.p2align	6, 0x0
	.amdhsa_kernel _ZN12_GLOBAL__N_121softmax_warp_backwardIfN3c108BFloat16EfLi0ELb0ELb0ELi32EEEvPT0_PKT_S7_iiiPKb
		.amdhsa_group_segment_fixed_size 0
		.amdhsa_private_segment_fixed_size 0
		.amdhsa_kernarg_size 304
		.amdhsa_user_sgpr_count 6
		.amdhsa_user_sgpr_private_segment_buffer 1
		.amdhsa_user_sgpr_dispatch_ptr 0
		.amdhsa_user_sgpr_queue_ptr 0
		.amdhsa_user_sgpr_kernarg_segment_ptr 1
		.amdhsa_user_sgpr_dispatch_id 0
		.amdhsa_user_sgpr_flat_scratch_init 0
		.amdhsa_user_sgpr_kernarg_preload_length 0
		.amdhsa_user_sgpr_kernarg_preload_offset 0
		.amdhsa_user_sgpr_private_segment_size 0
		.amdhsa_uses_dynamic_stack 0
		.amdhsa_system_sgpr_private_segment_wavefront_offset 0
		.amdhsa_system_sgpr_workgroup_id_x 1
		.amdhsa_system_sgpr_workgroup_id_y 0
		.amdhsa_system_sgpr_workgroup_id_z 0
		.amdhsa_system_sgpr_workgroup_info 0
		.amdhsa_system_vgpr_workitem_id 1
		.amdhsa_next_free_vgpr 11
		.amdhsa_next_free_sgpr 16
		.amdhsa_accum_offset 12
		.amdhsa_reserve_vcc 1
		.amdhsa_reserve_flat_scratch 0
		.amdhsa_float_round_mode_32 0
		.amdhsa_float_round_mode_16_64 0
		.amdhsa_float_denorm_mode_32 3
		.amdhsa_float_denorm_mode_16_64 3
		.amdhsa_dx10_clamp 1
		.amdhsa_ieee_mode 1
		.amdhsa_fp16_overflow 0
		.amdhsa_tg_split 0
		.amdhsa_exception_fp_ieee_invalid_op 0
		.amdhsa_exception_fp_denorm_src 0
		.amdhsa_exception_fp_ieee_div_zero 0
		.amdhsa_exception_fp_ieee_overflow 0
		.amdhsa_exception_fp_ieee_underflow 0
		.amdhsa_exception_fp_ieee_inexact 0
		.amdhsa_exception_int_div_zero 0
	.end_amdhsa_kernel
	.section	.text._ZN12_GLOBAL__N_121softmax_warp_backwardIfN3c108BFloat16EfLi0ELb0ELb0ELi32EEEvPT0_PKT_S7_iiiPKb,"axG",@progbits,_ZN12_GLOBAL__N_121softmax_warp_backwardIfN3c108BFloat16EfLi0ELb0ELb0ELi32EEEvPT0_PKT_S7_iiiPKb,comdat
.Lfunc_end643:
	.size	_ZN12_GLOBAL__N_121softmax_warp_backwardIfN3c108BFloat16EfLi0ELb0ELb0ELi32EEEvPT0_PKT_S7_iiiPKb, .Lfunc_end643-_ZN12_GLOBAL__N_121softmax_warp_backwardIfN3c108BFloat16EfLi0ELb0ELb0ELi32EEEvPT0_PKT_S7_iiiPKb
                                        ; -- End function
	.section	.AMDGPU.csdata,"",@progbits
; Kernel info:
; codeLenInByte = 488
; NumSgprs: 20
; NumVgprs: 11
; NumAgprs: 0
; TotalNumVgprs: 11
; ScratchSize: 0
; MemoryBound: 0
; FloatMode: 240
; IeeeMode: 1
; LDSByteSize: 0 bytes/workgroup (compile time only)
; SGPRBlocks: 2
; VGPRBlocks: 1
; NumSGPRsForWavesPerEU: 20
; NumVGPRsForWavesPerEU: 11
; AccumOffset: 12
; Occupancy: 8
; WaveLimiterHint : 0
; COMPUTE_PGM_RSRC2:SCRATCH_EN: 0
; COMPUTE_PGM_RSRC2:USER_SGPR: 6
; COMPUTE_PGM_RSRC2:TRAP_HANDLER: 0
; COMPUTE_PGM_RSRC2:TGID_X_EN: 1
; COMPUTE_PGM_RSRC2:TGID_Y_EN: 0
; COMPUTE_PGM_RSRC2:TGID_Z_EN: 0
; COMPUTE_PGM_RSRC2:TIDIG_COMP_CNT: 1
; COMPUTE_PGM_RSRC3_GFX90A:ACCUM_OFFSET: 2
; COMPUTE_PGM_RSRC3_GFX90A:TG_SPLIT: 0
	.section	.text._ZN12_GLOBAL__N_121softmax_warp_backwardIfN3c108BFloat16EfLi1ELb0ELb0ELi64EEEvPT0_PKT_S7_iiiPKb,"axG",@progbits,_ZN12_GLOBAL__N_121softmax_warp_backwardIfN3c108BFloat16EfLi1ELb0ELb0ELi64EEEvPT0_PKT_S7_iiiPKb,comdat
	.globl	_ZN12_GLOBAL__N_121softmax_warp_backwardIfN3c108BFloat16EfLi1ELb0ELb0ELi64EEEvPT0_PKT_S7_iiiPKb ; -- Begin function _ZN12_GLOBAL__N_121softmax_warp_backwardIfN3c108BFloat16EfLi1ELb0ELb0ELi64EEEvPT0_PKT_S7_iiiPKb
	.p2align	8
	.type	_ZN12_GLOBAL__N_121softmax_warp_backwardIfN3c108BFloat16EfLi1ELb0ELb0ELi64EEEvPT0_PKT_S7_iiiPKb,@function
_ZN12_GLOBAL__N_121softmax_warp_backwardIfN3c108BFloat16EfLi1ELb0ELb0ELi64EEEvPT0_PKT_S7_iiiPKb: ; @_ZN12_GLOBAL__N_121softmax_warp_backwardIfN3c108BFloat16EfLi1ELb0ELb0ELi64EEEvPT0_PKT_S7_iiiPKb
; %bb.0:
	s_load_dword s2, s[4:5], 0x3c
	s_load_dwordx4 s[8:11], s[4:5], 0x18
	s_load_dwordx4 s[12:15], s[4:5], 0x0
	s_load_dwordx2 s[0:1], s[4:5], 0x10
	v_bfe_u32 v1, v0, 10, 10
	s_waitcnt lgkmcnt(0)
	s_lshr_b32 s2, s2, 16
	s_mul_i32 s6, s6, s2
	v_add_lshl_u32 v1, s6, v1, 1
	v_sub_u32_e32 v8, s8, v1
	v_mul_lo_u32 v1, v1, s9
	v_and_b32_e32 v9, 1, v0
	v_or_b32_e32 v2, v1, v9
	v_ashrrev_i32_e32 v3, 31, v2
	v_lshlrev_b64 v[0:1], 2, v[2:3]
	v_mov_b32_e32 v5, s15
	v_add_co_u32_e32 v4, vcc, s14, v0
	v_addc_co_u32_e32 v5, vcc, v5, v1, vcc
	v_mov_b32_e32 v7, s1
	v_add_co_u32_e32 v6, vcc, s0, v0
	v_addc_co_u32_e32 v7, vcc, v7, v1, vcc
	v_cmp_gt_i32_e32 vcc, s10, v9
	v_cmp_lt_i32_e64 s[0:1], 0, v8
	s_and_b64 s[4:5], vcc, s[0:1]
	v_mov_b32_e32 v1, 0
	v_mov_b32_e32 v0, 0
	;; [unrolled: 1-line block ×3, first 2 shown]
	s_and_saveexec_b64 s[2:3], s[4:5]
	s_cbranch_execz .LBB644_2
; %bb.1:
	global_load_dword v0, v[4:5], off
	global_load_dword v9, v[6:7], off
.LBB644_2:
	s_or_b64 exec, exec, s[2:3]
	v_cmp_lt_i32_e64 s[2:3], 1, v8
	s_and_b64 s[2:3], vcc, s[2:3]
	s_mov_b32 s11, 0
	v_mov_b32_e32 v10, 0
	s_and_saveexec_b64 s[4:5], s[2:3]
	s_cbranch_execz .LBB644_4
; %bb.3:
	s_lshl_b64 s[6:7], s[10:11], 2
	v_mov_b32_e32 v10, s7
	v_add_co_u32_e64 v4, s[2:3], s6, v4
	v_addc_co_u32_e64 v5, s[2:3], v5, v10, s[2:3]
	global_load_dword v1, v[4:5], off
	v_add_co_u32_e64 v4, s[2:3], s6, v6
	v_addc_co_u32_e64 v5, s[2:3], v7, v10, s[2:3]
	global_load_dword v10, v[4:5], off
.LBB644_4:
	s_or_b64 exec, exec, s[4:5]
	v_mbcnt_lo_u32_b32 v6, -1, 0
	v_mbcnt_hi_u32_b32 v6, -1, v6
	v_and_b32_e32 v11, 0x7e, v6
	v_xor_b32_e32 v7, 1, v6
	v_add_u32_e32 v11, 2, v11
	v_cmp_lt_i32_e64 s[2:3], v7, v11
	v_cndmask_b32_e64 v6, v6, v7, s[2:3]
	s_waitcnt vmcnt(1)
	v_pk_add_f32 v[4:5], v[0:1], 0 op_sel_hi:[1,0]
	v_lshlrev_b32_e32 v7, 2, v6
	ds_bpermute_b32 v6, v7, v4
	ds_bpermute_b32 v7, v7, v5
	s_and_saveexec_b64 s[2:3], s[0:1]
	s_cbranch_execz .LBB644_10
; %bb.5:
	v_lshlrev_b64 v[2:3], 1, v[2:3]
	v_mov_b32_e32 v11, s13
	v_add_co_u32_e64 v2, s[0:1], s12, v2
	v_addc_co_u32_e64 v3, s[0:1], v11, v3, s[0:1]
	s_waitcnt lgkmcnt(0)
	v_pk_add_f32 v[4:5], v[4:5], v[6:7]
	s_and_saveexec_b64 s[2:3], vcc
	s_cbranch_execz .LBB644_7
; %bb.6:
	s_waitcnt vmcnt(0)
	v_fma_f32 v0, -v4, v9, v0
	v_bfe_u32 v4, v0, 16, 1
	s_movk_i32 s0, 0x7fff
	v_add3_u32 v4, v0, v4, s0
	v_lshrrev_b32_e32 v4, 16, v4
	v_mov_b32_e32 v6, 0x7fc0
	v_cmp_o_f32_e64 s[0:1], v0, v0
	v_cndmask_b32_e64 v0, v6, v4, s[0:1]
	global_store_short v[2:3], v0, off
.LBB644_7:
	s_or_b64 exec, exec, s[2:3]
	v_cmp_ne_u32_e64 s[0:1], 1, v8
	s_and_b64 exec, exec, s[0:1]
	s_cbranch_execz .LBB644_10
; %bb.8:
	s_and_b64 exec, exec, vcc
	s_cbranch_execz .LBB644_10
; %bb.9:
	s_waitcnt vmcnt(0)
	v_fma_f32 v0, -v5, v10, v1
	v_bfe_u32 v1, v0, 16, 1
	s_movk_i32 s0, 0x7fff
	v_add3_u32 v1, v0, v1, s0
	v_lshrrev_b32_e32 v1, 16, v1
	v_mov_b32_e32 v4, 0x7fc0
	v_cmp_o_f32_e32 vcc, v0, v0
	s_lshl_b64 s[0:1], s[10:11], 1
	v_cndmask_b32_e32 v4, v4, v1, vcc
	v_mov_b32_e32 v1, s1
	v_add_co_u32_e32 v0, vcc, s0, v2
	v_addc_co_u32_e32 v1, vcc, v3, v1, vcc
	global_store_short v[0:1], v4, off
.LBB644_10:
	s_endpgm
	.section	.rodata,"a",@progbits
	.p2align	6, 0x0
	.amdhsa_kernel _ZN12_GLOBAL__N_121softmax_warp_backwardIfN3c108BFloat16EfLi1ELb0ELb0ELi64EEEvPT0_PKT_S7_iiiPKb
		.amdhsa_group_segment_fixed_size 0
		.amdhsa_private_segment_fixed_size 0
		.amdhsa_kernarg_size 304
		.amdhsa_user_sgpr_count 6
		.amdhsa_user_sgpr_private_segment_buffer 1
		.amdhsa_user_sgpr_dispatch_ptr 0
		.amdhsa_user_sgpr_queue_ptr 0
		.amdhsa_user_sgpr_kernarg_segment_ptr 1
		.amdhsa_user_sgpr_dispatch_id 0
		.amdhsa_user_sgpr_flat_scratch_init 0
		.amdhsa_user_sgpr_kernarg_preload_length 0
		.amdhsa_user_sgpr_kernarg_preload_offset 0
		.amdhsa_user_sgpr_private_segment_size 0
		.amdhsa_uses_dynamic_stack 0
		.amdhsa_system_sgpr_private_segment_wavefront_offset 0
		.amdhsa_system_sgpr_workgroup_id_x 1
		.amdhsa_system_sgpr_workgroup_id_y 0
		.amdhsa_system_sgpr_workgroup_id_z 0
		.amdhsa_system_sgpr_workgroup_info 0
		.amdhsa_system_vgpr_workitem_id 1
		.amdhsa_next_free_vgpr 12
		.amdhsa_next_free_sgpr 16
		.amdhsa_accum_offset 12
		.amdhsa_reserve_vcc 1
		.amdhsa_reserve_flat_scratch 0
		.amdhsa_float_round_mode_32 0
		.amdhsa_float_round_mode_16_64 0
		.amdhsa_float_denorm_mode_32 3
		.amdhsa_float_denorm_mode_16_64 3
		.amdhsa_dx10_clamp 1
		.amdhsa_ieee_mode 1
		.amdhsa_fp16_overflow 0
		.amdhsa_tg_split 0
		.amdhsa_exception_fp_ieee_invalid_op 0
		.amdhsa_exception_fp_denorm_src 0
		.amdhsa_exception_fp_ieee_div_zero 0
		.amdhsa_exception_fp_ieee_overflow 0
		.amdhsa_exception_fp_ieee_underflow 0
		.amdhsa_exception_fp_ieee_inexact 0
		.amdhsa_exception_int_div_zero 0
	.end_amdhsa_kernel
	.section	.text._ZN12_GLOBAL__N_121softmax_warp_backwardIfN3c108BFloat16EfLi1ELb0ELb0ELi64EEEvPT0_PKT_S7_iiiPKb,"axG",@progbits,_ZN12_GLOBAL__N_121softmax_warp_backwardIfN3c108BFloat16EfLi1ELb0ELb0ELi64EEEvPT0_PKT_S7_iiiPKb,comdat
.Lfunc_end644:
	.size	_ZN12_GLOBAL__N_121softmax_warp_backwardIfN3c108BFloat16EfLi1ELb0ELb0ELi64EEEvPT0_PKT_S7_iiiPKb, .Lfunc_end644-_ZN12_GLOBAL__N_121softmax_warp_backwardIfN3c108BFloat16EfLi1ELb0ELb0ELi64EEEvPT0_PKT_S7_iiiPKb
                                        ; -- End function
	.section	.AMDGPU.csdata,"",@progbits
; Kernel info:
; codeLenInByte = 572
; NumSgprs: 20
; NumVgprs: 12
; NumAgprs: 0
; TotalNumVgprs: 12
; ScratchSize: 0
; MemoryBound: 0
; FloatMode: 240
; IeeeMode: 1
; LDSByteSize: 0 bytes/workgroup (compile time only)
; SGPRBlocks: 2
; VGPRBlocks: 1
; NumSGPRsForWavesPerEU: 20
; NumVGPRsForWavesPerEU: 12
; AccumOffset: 12
; Occupancy: 8
; WaveLimiterHint : 0
; COMPUTE_PGM_RSRC2:SCRATCH_EN: 0
; COMPUTE_PGM_RSRC2:USER_SGPR: 6
; COMPUTE_PGM_RSRC2:TRAP_HANDLER: 0
; COMPUTE_PGM_RSRC2:TGID_X_EN: 1
; COMPUTE_PGM_RSRC2:TGID_Y_EN: 0
; COMPUTE_PGM_RSRC2:TGID_Z_EN: 0
; COMPUTE_PGM_RSRC2:TIDIG_COMP_CNT: 1
; COMPUTE_PGM_RSRC3_GFX90A:ACCUM_OFFSET: 2
; COMPUTE_PGM_RSRC3_GFX90A:TG_SPLIT: 0
	.section	.text._ZN12_GLOBAL__N_121softmax_warp_backwardIfN3c108BFloat16EfLi1ELb0ELb0ELi32EEEvPT0_PKT_S7_iiiPKb,"axG",@progbits,_ZN12_GLOBAL__N_121softmax_warp_backwardIfN3c108BFloat16EfLi1ELb0ELb0ELi32EEEvPT0_PKT_S7_iiiPKb,comdat
	.globl	_ZN12_GLOBAL__N_121softmax_warp_backwardIfN3c108BFloat16EfLi1ELb0ELb0ELi32EEEvPT0_PKT_S7_iiiPKb ; -- Begin function _ZN12_GLOBAL__N_121softmax_warp_backwardIfN3c108BFloat16EfLi1ELb0ELb0ELi32EEEvPT0_PKT_S7_iiiPKb
	.p2align	8
	.type	_ZN12_GLOBAL__N_121softmax_warp_backwardIfN3c108BFloat16EfLi1ELb0ELb0ELi32EEEvPT0_PKT_S7_iiiPKb,@function
_ZN12_GLOBAL__N_121softmax_warp_backwardIfN3c108BFloat16EfLi1ELb0ELb0ELi32EEEvPT0_PKT_S7_iiiPKb: ; @_ZN12_GLOBAL__N_121softmax_warp_backwardIfN3c108BFloat16EfLi1ELb0ELb0ELi32EEEvPT0_PKT_S7_iiiPKb
; %bb.0:
	s_load_dword s2, s[4:5], 0x3c
	s_load_dwordx4 s[8:11], s[4:5], 0x18
	s_load_dwordx4 s[12:15], s[4:5], 0x0
	s_load_dwordx2 s[0:1], s[4:5], 0x10
	v_bfe_u32 v1, v0, 10, 10
	s_waitcnt lgkmcnt(0)
	s_lshr_b32 s2, s2, 16
	s_mul_i32 s6, s6, s2
	v_add_lshl_u32 v1, s6, v1, 1
	v_sub_u32_e32 v8, s8, v1
	v_mul_lo_u32 v1, v1, s9
	v_and_b32_e32 v9, 1, v0
	v_or_b32_e32 v2, v1, v9
	v_ashrrev_i32_e32 v3, 31, v2
	v_lshlrev_b64 v[0:1], 2, v[2:3]
	v_mov_b32_e32 v5, s15
	v_add_co_u32_e32 v4, vcc, s14, v0
	v_addc_co_u32_e32 v5, vcc, v5, v1, vcc
	v_mov_b32_e32 v7, s1
	v_add_co_u32_e32 v6, vcc, s0, v0
	v_addc_co_u32_e32 v7, vcc, v7, v1, vcc
	v_cmp_gt_i32_e32 vcc, s10, v9
	v_cmp_lt_i32_e64 s[0:1], 0, v8
	s_and_b64 s[4:5], vcc, s[0:1]
	v_mov_b32_e32 v1, 0
	v_mov_b32_e32 v0, 0
	v_mov_b32_e32 v9, 0
	s_and_saveexec_b64 s[2:3], s[4:5]
	s_cbranch_execz .LBB645_2
; %bb.1:
	global_load_dword v0, v[4:5], off
	global_load_dword v9, v[6:7], off
.LBB645_2:
	s_or_b64 exec, exec, s[2:3]
	v_cmp_lt_i32_e64 s[2:3], 1, v8
	s_and_b64 s[2:3], vcc, s[2:3]
	s_mov_b32 s11, 0
	v_mov_b32_e32 v10, 0
	s_and_saveexec_b64 s[4:5], s[2:3]
	s_cbranch_execz .LBB645_4
; %bb.3:
	s_lshl_b64 s[6:7], s[10:11], 2
	v_mov_b32_e32 v10, s7
	v_add_co_u32_e64 v4, s[2:3], s6, v4
	v_addc_co_u32_e64 v5, s[2:3], v5, v10, s[2:3]
	global_load_dword v1, v[4:5], off
	v_add_co_u32_e64 v4, s[2:3], s6, v6
	v_addc_co_u32_e64 v5, s[2:3], v7, v10, s[2:3]
	global_load_dword v10, v[4:5], off
.LBB645_4:
	s_or_b64 exec, exec, s[4:5]
	v_mbcnt_lo_u32_b32 v6, -1, 0
	v_mbcnt_hi_u32_b32 v6, -1, v6
	v_and_b32_e32 v11, 0x7e, v6
	v_xor_b32_e32 v7, 1, v6
	v_add_u32_e32 v11, 2, v11
	v_cmp_lt_i32_e64 s[2:3], v7, v11
	v_cndmask_b32_e64 v6, v6, v7, s[2:3]
	s_waitcnt vmcnt(1)
	v_pk_add_f32 v[4:5], v[0:1], 0 op_sel_hi:[1,0]
	v_lshlrev_b32_e32 v7, 2, v6
	ds_bpermute_b32 v6, v7, v4
	ds_bpermute_b32 v7, v7, v5
	s_and_saveexec_b64 s[2:3], s[0:1]
	s_cbranch_execz .LBB645_10
; %bb.5:
	v_lshlrev_b64 v[2:3], 1, v[2:3]
	v_mov_b32_e32 v11, s13
	v_add_co_u32_e64 v2, s[0:1], s12, v2
	v_addc_co_u32_e64 v3, s[0:1], v11, v3, s[0:1]
	s_waitcnt lgkmcnt(0)
	v_pk_add_f32 v[4:5], v[4:5], v[6:7]
	s_and_saveexec_b64 s[2:3], vcc
	s_cbranch_execz .LBB645_7
; %bb.6:
	s_waitcnt vmcnt(0)
	v_fma_f32 v0, -v4, v9, v0
	v_bfe_u32 v4, v0, 16, 1
	s_movk_i32 s0, 0x7fff
	v_add3_u32 v4, v0, v4, s0
	v_lshrrev_b32_e32 v4, 16, v4
	v_mov_b32_e32 v6, 0x7fc0
	v_cmp_o_f32_e64 s[0:1], v0, v0
	v_cndmask_b32_e64 v0, v6, v4, s[0:1]
	global_store_short v[2:3], v0, off
.LBB645_7:
	s_or_b64 exec, exec, s[2:3]
	v_cmp_ne_u32_e64 s[0:1], 1, v8
	s_and_b64 exec, exec, s[0:1]
	s_cbranch_execz .LBB645_10
; %bb.8:
	s_and_b64 exec, exec, vcc
	s_cbranch_execz .LBB645_10
; %bb.9:
	s_waitcnt vmcnt(0)
	v_fma_f32 v0, -v5, v10, v1
	v_bfe_u32 v1, v0, 16, 1
	s_movk_i32 s0, 0x7fff
	v_add3_u32 v1, v0, v1, s0
	v_lshrrev_b32_e32 v1, 16, v1
	v_mov_b32_e32 v4, 0x7fc0
	v_cmp_o_f32_e32 vcc, v0, v0
	s_lshl_b64 s[0:1], s[10:11], 1
	v_cndmask_b32_e32 v4, v4, v1, vcc
	v_mov_b32_e32 v1, s1
	v_add_co_u32_e32 v0, vcc, s0, v2
	v_addc_co_u32_e32 v1, vcc, v3, v1, vcc
	global_store_short v[0:1], v4, off
.LBB645_10:
	s_endpgm
	.section	.rodata,"a",@progbits
	.p2align	6, 0x0
	.amdhsa_kernel _ZN12_GLOBAL__N_121softmax_warp_backwardIfN3c108BFloat16EfLi1ELb0ELb0ELi32EEEvPT0_PKT_S7_iiiPKb
		.amdhsa_group_segment_fixed_size 0
		.amdhsa_private_segment_fixed_size 0
		.amdhsa_kernarg_size 304
		.amdhsa_user_sgpr_count 6
		.amdhsa_user_sgpr_private_segment_buffer 1
		.amdhsa_user_sgpr_dispatch_ptr 0
		.amdhsa_user_sgpr_queue_ptr 0
		.amdhsa_user_sgpr_kernarg_segment_ptr 1
		.amdhsa_user_sgpr_dispatch_id 0
		.amdhsa_user_sgpr_flat_scratch_init 0
		.amdhsa_user_sgpr_kernarg_preload_length 0
		.amdhsa_user_sgpr_kernarg_preload_offset 0
		.amdhsa_user_sgpr_private_segment_size 0
		.amdhsa_uses_dynamic_stack 0
		.amdhsa_system_sgpr_private_segment_wavefront_offset 0
		.amdhsa_system_sgpr_workgroup_id_x 1
		.amdhsa_system_sgpr_workgroup_id_y 0
		.amdhsa_system_sgpr_workgroup_id_z 0
		.amdhsa_system_sgpr_workgroup_info 0
		.amdhsa_system_vgpr_workitem_id 1
		.amdhsa_next_free_vgpr 12
		.amdhsa_next_free_sgpr 16
		.amdhsa_accum_offset 12
		.amdhsa_reserve_vcc 1
		.amdhsa_reserve_flat_scratch 0
		.amdhsa_float_round_mode_32 0
		.amdhsa_float_round_mode_16_64 0
		.amdhsa_float_denorm_mode_32 3
		.amdhsa_float_denorm_mode_16_64 3
		.amdhsa_dx10_clamp 1
		.amdhsa_ieee_mode 1
		.amdhsa_fp16_overflow 0
		.amdhsa_tg_split 0
		.amdhsa_exception_fp_ieee_invalid_op 0
		.amdhsa_exception_fp_denorm_src 0
		.amdhsa_exception_fp_ieee_div_zero 0
		.amdhsa_exception_fp_ieee_overflow 0
		.amdhsa_exception_fp_ieee_underflow 0
		.amdhsa_exception_fp_ieee_inexact 0
		.amdhsa_exception_int_div_zero 0
	.end_amdhsa_kernel
	.section	.text._ZN12_GLOBAL__N_121softmax_warp_backwardIfN3c108BFloat16EfLi1ELb0ELb0ELi32EEEvPT0_PKT_S7_iiiPKb,"axG",@progbits,_ZN12_GLOBAL__N_121softmax_warp_backwardIfN3c108BFloat16EfLi1ELb0ELb0ELi32EEEvPT0_PKT_S7_iiiPKb,comdat
.Lfunc_end645:
	.size	_ZN12_GLOBAL__N_121softmax_warp_backwardIfN3c108BFloat16EfLi1ELb0ELb0ELi32EEEvPT0_PKT_S7_iiiPKb, .Lfunc_end645-_ZN12_GLOBAL__N_121softmax_warp_backwardIfN3c108BFloat16EfLi1ELb0ELb0ELi32EEEvPT0_PKT_S7_iiiPKb
                                        ; -- End function
	.section	.AMDGPU.csdata,"",@progbits
; Kernel info:
; codeLenInByte = 572
; NumSgprs: 20
; NumVgprs: 12
; NumAgprs: 0
; TotalNumVgprs: 12
; ScratchSize: 0
; MemoryBound: 0
; FloatMode: 240
; IeeeMode: 1
; LDSByteSize: 0 bytes/workgroup (compile time only)
; SGPRBlocks: 2
; VGPRBlocks: 1
; NumSGPRsForWavesPerEU: 20
; NumVGPRsForWavesPerEU: 12
; AccumOffset: 12
; Occupancy: 8
; WaveLimiterHint : 0
; COMPUTE_PGM_RSRC2:SCRATCH_EN: 0
; COMPUTE_PGM_RSRC2:USER_SGPR: 6
; COMPUTE_PGM_RSRC2:TRAP_HANDLER: 0
; COMPUTE_PGM_RSRC2:TGID_X_EN: 1
; COMPUTE_PGM_RSRC2:TGID_Y_EN: 0
; COMPUTE_PGM_RSRC2:TGID_Z_EN: 0
; COMPUTE_PGM_RSRC2:TIDIG_COMP_CNT: 1
; COMPUTE_PGM_RSRC3_GFX90A:ACCUM_OFFSET: 2
; COMPUTE_PGM_RSRC3_GFX90A:TG_SPLIT: 0
	.section	.text._ZN12_GLOBAL__N_121softmax_warp_backwardIfN3c108BFloat16EfLi2ELb0ELb0ELi64EEEvPT0_PKT_S7_iiiPKb,"axG",@progbits,_ZN12_GLOBAL__N_121softmax_warp_backwardIfN3c108BFloat16EfLi2ELb0ELb0ELi64EEEvPT0_PKT_S7_iiiPKb,comdat
	.globl	_ZN12_GLOBAL__N_121softmax_warp_backwardIfN3c108BFloat16EfLi2ELb0ELb0ELi64EEEvPT0_PKT_S7_iiiPKb ; -- Begin function _ZN12_GLOBAL__N_121softmax_warp_backwardIfN3c108BFloat16EfLi2ELb0ELb0ELi64EEEvPT0_PKT_S7_iiiPKb
	.p2align	8
	.type	_ZN12_GLOBAL__N_121softmax_warp_backwardIfN3c108BFloat16EfLi2ELb0ELb0ELi64EEEvPT0_PKT_S7_iiiPKb,@function
_ZN12_GLOBAL__N_121softmax_warp_backwardIfN3c108BFloat16EfLi2ELb0ELb0ELi64EEEvPT0_PKT_S7_iiiPKb: ; @_ZN12_GLOBAL__N_121softmax_warp_backwardIfN3c108BFloat16EfLi2ELb0ELb0ELi64EEEvPT0_PKT_S7_iiiPKb
; %bb.0:
	s_load_dword s2, s[4:5], 0x3c
	s_load_dwordx4 s[8:11], s[4:5], 0x18
	s_load_dwordx4 s[12:15], s[4:5], 0x0
	s_load_dwordx2 s[0:1], s[4:5], 0x10
	v_bfe_u32 v1, v0, 10, 10
	s_waitcnt lgkmcnt(0)
	s_lshr_b32 s2, s2, 16
	s_mul_i32 s6, s6, s2
	v_add_lshl_u32 v1, s6, v1, 1
	v_and_b32_e32 v0, 3, v0
	v_mad_u64_u32 v[2:3], s[2:3], v1, s9, v[0:1]
	v_ashrrev_i32_e32 v3, 31, v2
	v_lshlrev_b64 v[6:7], 2, v[2:3]
	v_sub_u32_e32 v8, s8, v1
	v_mov_b32_e32 v1, s15
	v_add_co_u32_e32 v4, vcc, s14, v6
	v_addc_co_u32_e32 v5, vcc, v1, v7, vcc
	v_mov_b32_e32 v1, s1
	v_add_co_u32_e32 v6, vcc, s0, v6
	v_addc_co_u32_e32 v7, vcc, v1, v7, vcc
	v_cmp_gt_i32_e32 vcc, s10, v0
	v_cmp_lt_i32_e64 s[0:1], 0, v8
	s_and_b64 s[4:5], vcc, s[0:1]
	v_mov_b32_e32 v1, 0
	v_mov_b32_e32 v0, 0
	;; [unrolled: 1-line block ×3, first 2 shown]
	s_and_saveexec_b64 s[2:3], s[4:5]
	s_cbranch_execz .LBB646_2
; %bb.1:
	global_load_dword v0, v[4:5], off
	global_load_dword v9, v[6:7], off
.LBB646_2:
	s_or_b64 exec, exec, s[2:3]
	v_cmp_lt_i32_e64 s[2:3], 1, v8
	s_and_b64 s[2:3], vcc, s[2:3]
	s_mov_b32 s11, 0
	v_mov_b32_e32 v10, 0
	s_and_saveexec_b64 s[4:5], s[2:3]
	s_cbranch_execz .LBB646_4
; %bb.3:
	s_lshl_b64 s[6:7], s[10:11], 2
	v_mov_b32_e32 v10, s7
	v_add_co_u32_e64 v4, s[2:3], s6, v4
	v_addc_co_u32_e64 v5, s[2:3], v5, v10, s[2:3]
	global_load_dword v1, v[4:5], off
	v_add_co_u32_e64 v4, s[2:3], s6, v6
	v_addc_co_u32_e64 v5, s[2:3], v7, v10, s[2:3]
	global_load_dword v10, v[4:5], off
.LBB646_4:
	s_or_b64 exec, exec, s[4:5]
	v_mbcnt_lo_u32_b32 v6, -1, 0
	v_mbcnt_hi_u32_b32 v11, -1, v6
	v_and_b32_e32 v6, 0x7c, v11
	v_add_u32_e32 v12, 4, v6
	v_xor_b32_e32 v6, 2, v11
	v_cmp_lt_i32_e64 s[2:3], v6, v12
	v_cndmask_b32_e64 v6, v11, v6, s[2:3]
	s_waitcnt vmcnt(1)
	v_pk_add_f32 v[4:5], v[0:1], 0 op_sel_hi:[1,0]
	v_lshlrev_b32_e32 v7, 2, v6
	ds_bpermute_b32 v6, v7, v4
	ds_bpermute_b32 v7, v7, v5
	v_xor_b32_e32 v13, 1, v11
	v_cmp_lt_i32_e64 s[2:3], v13, v12
	v_cndmask_b32_e64 v11, v11, v13, s[2:3]
	v_lshlrev_b32_e32 v11, 2, v11
	s_waitcnt lgkmcnt(0)
	v_pk_add_f32 v[4:5], v[4:5], v[6:7]
	ds_bpermute_b32 v6, v11, v4
	ds_bpermute_b32 v7, v11, v5
	s_and_saveexec_b64 s[2:3], s[0:1]
	s_cbranch_execz .LBB646_10
; %bb.5:
	v_lshlrev_b64 v[2:3], 1, v[2:3]
	v_mov_b32_e32 v11, s13
	v_add_co_u32_e64 v2, s[0:1], s12, v2
	v_addc_co_u32_e64 v3, s[0:1], v11, v3, s[0:1]
	s_waitcnt lgkmcnt(0)
	v_pk_add_f32 v[4:5], v[4:5], v[6:7]
	s_and_saveexec_b64 s[2:3], vcc
	s_cbranch_execz .LBB646_7
; %bb.6:
	s_waitcnt vmcnt(0)
	v_fma_f32 v0, -v4, v9, v0
	v_bfe_u32 v4, v0, 16, 1
	s_movk_i32 s0, 0x7fff
	v_add3_u32 v4, v0, v4, s0
	v_lshrrev_b32_e32 v4, 16, v4
	v_mov_b32_e32 v6, 0x7fc0
	v_cmp_o_f32_e64 s[0:1], v0, v0
	v_cndmask_b32_e64 v0, v6, v4, s[0:1]
	global_store_short v[2:3], v0, off
.LBB646_7:
	s_or_b64 exec, exec, s[2:3]
	v_cmp_ne_u32_e64 s[0:1], 1, v8
	s_and_b64 exec, exec, s[0:1]
	s_cbranch_execz .LBB646_10
; %bb.8:
	s_and_b64 exec, exec, vcc
	s_cbranch_execz .LBB646_10
; %bb.9:
	s_waitcnt vmcnt(0)
	v_fma_f32 v0, -v5, v10, v1
	v_bfe_u32 v1, v0, 16, 1
	s_movk_i32 s0, 0x7fff
	v_add3_u32 v1, v0, v1, s0
	v_lshrrev_b32_e32 v1, 16, v1
	v_mov_b32_e32 v4, 0x7fc0
	v_cmp_o_f32_e32 vcc, v0, v0
	s_lshl_b64 s[0:1], s[10:11], 1
	v_cndmask_b32_e32 v4, v4, v1, vcc
	v_mov_b32_e32 v1, s1
	v_add_co_u32_e32 v0, vcc, s0, v2
	v_addc_co_u32_e32 v1, vcc, v3, v1, vcc
	global_store_short v[0:1], v4, off
.LBB646_10:
	s_endpgm
	.section	.rodata,"a",@progbits
	.p2align	6, 0x0
	.amdhsa_kernel _ZN12_GLOBAL__N_121softmax_warp_backwardIfN3c108BFloat16EfLi2ELb0ELb0ELi64EEEvPT0_PKT_S7_iiiPKb
		.amdhsa_group_segment_fixed_size 0
		.amdhsa_private_segment_fixed_size 0
		.amdhsa_kernarg_size 304
		.amdhsa_user_sgpr_count 6
		.amdhsa_user_sgpr_private_segment_buffer 1
		.amdhsa_user_sgpr_dispatch_ptr 0
		.amdhsa_user_sgpr_queue_ptr 0
		.amdhsa_user_sgpr_kernarg_segment_ptr 1
		.amdhsa_user_sgpr_dispatch_id 0
		.amdhsa_user_sgpr_flat_scratch_init 0
		.amdhsa_user_sgpr_kernarg_preload_length 0
		.amdhsa_user_sgpr_kernarg_preload_offset 0
		.amdhsa_user_sgpr_private_segment_size 0
		.amdhsa_uses_dynamic_stack 0
		.amdhsa_system_sgpr_private_segment_wavefront_offset 0
		.amdhsa_system_sgpr_workgroup_id_x 1
		.amdhsa_system_sgpr_workgroup_id_y 0
		.amdhsa_system_sgpr_workgroup_id_z 0
		.amdhsa_system_sgpr_workgroup_info 0
		.amdhsa_system_vgpr_workitem_id 1
		.amdhsa_next_free_vgpr 14
		.amdhsa_next_free_sgpr 16
		.amdhsa_accum_offset 16
		.amdhsa_reserve_vcc 1
		.amdhsa_reserve_flat_scratch 0
		.amdhsa_float_round_mode_32 0
		.amdhsa_float_round_mode_16_64 0
		.amdhsa_float_denorm_mode_32 3
		.amdhsa_float_denorm_mode_16_64 3
		.amdhsa_dx10_clamp 1
		.amdhsa_ieee_mode 1
		.amdhsa_fp16_overflow 0
		.amdhsa_tg_split 0
		.amdhsa_exception_fp_ieee_invalid_op 0
		.amdhsa_exception_fp_denorm_src 0
		.amdhsa_exception_fp_ieee_div_zero 0
		.amdhsa_exception_fp_ieee_overflow 0
		.amdhsa_exception_fp_ieee_underflow 0
		.amdhsa_exception_fp_ieee_inexact 0
		.amdhsa_exception_int_div_zero 0
	.end_amdhsa_kernel
	.section	.text._ZN12_GLOBAL__N_121softmax_warp_backwardIfN3c108BFloat16EfLi2ELb0ELb0ELi64EEEvPT0_PKT_S7_iiiPKb,"axG",@progbits,_ZN12_GLOBAL__N_121softmax_warp_backwardIfN3c108BFloat16EfLi2ELb0ELb0ELi64EEEvPT0_PKT_S7_iiiPKb,comdat
.Lfunc_end646:
	.size	_ZN12_GLOBAL__N_121softmax_warp_backwardIfN3c108BFloat16EfLi2ELb0ELb0ELi64EEEvPT0_PKT_S7_iiiPKb, .Lfunc_end646-_ZN12_GLOBAL__N_121softmax_warp_backwardIfN3c108BFloat16EfLi2ELb0ELb0ELi64EEEvPT0_PKT_S7_iiiPKb
                                        ; -- End function
	.section	.AMDGPU.csdata,"",@progbits
; Kernel info:
; codeLenInByte = 620
; NumSgprs: 20
; NumVgprs: 14
; NumAgprs: 0
; TotalNumVgprs: 14
; ScratchSize: 0
; MemoryBound: 0
; FloatMode: 240
; IeeeMode: 1
; LDSByteSize: 0 bytes/workgroup (compile time only)
; SGPRBlocks: 2
; VGPRBlocks: 1
; NumSGPRsForWavesPerEU: 20
; NumVGPRsForWavesPerEU: 14
; AccumOffset: 16
; Occupancy: 8
; WaveLimiterHint : 0
; COMPUTE_PGM_RSRC2:SCRATCH_EN: 0
; COMPUTE_PGM_RSRC2:USER_SGPR: 6
; COMPUTE_PGM_RSRC2:TRAP_HANDLER: 0
; COMPUTE_PGM_RSRC2:TGID_X_EN: 1
; COMPUTE_PGM_RSRC2:TGID_Y_EN: 0
; COMPUTE_PGM_RSRC2:TGID_Z_EN: 0
; COMPUTE_PGM_RSRC2:TIDIG_COMP_CNT: 1
; COMPUTE_PGM_RSRC3_GFX90A:ACCUM_OFFSET: 3
; COMPUTE_PGM_RSRC3_GFX90A:TG_SPLIT: 0
	.section	.text._ZN12_GLOBAL__N_121softmax_warp_backwardIfN3c108BFloat16EfLi2ELb0ELb0ELi32EEEvPT0_PKT_S7_iiiPKb,"axG",@progbits,_ZN12_GLOBAL__N_121softmax_warp_backwardIfN3c108BFloat16EfLi2ELb0ELb0ELi32EEEvPT0_PKT_S7_iiiPKb,comdat
	.globl	_ZN12_GLOBAL__N_121softmax_warp_backwardIfN3c108BFloat16EfLi2ELb0ELb0ELi32EEEvPT0_PKT_S7_iiiPKb ; -- Begin function _ZN12_GLOBAL__N_121softmax_warp_backwardIfN3c108BFloat16EfLi2ELb0ELb0ELi32EEEvPT0_PKT_S7_iiiPKb
	.p2align	8
	.type	_ZN12_GLOBAL__N_121softmax_warp_backwardIfN3c108BFloat16EfLi2ELb0ELb0ELi32EEEvPT0_PKT_S7_iiiPKb,@function
_ZN12_GLOBAL__N_121softmax_warp_backwardIfN3c108BFloat16EfLi2ELb0ELb0ELi32EEEvPT0_PKT_S7_iiiPKb: ; @_ZN12_GLOBAL__N_121softmax_warp_backwardIfN3c108BFloat16EfLi2ELb0ELb0ELi32EEEvPT0_PKT_S7_iiiPKb
; %bb.0:
	s_load_dword s2, s[4:5], 0x3c
	s_load_dwordx4 s[8:11], s[4:5], 0x18
	s_load_dwordx4 s[12:15], s[4:5], 0x0
	s_load_dwordx2 s[0:1], s[4:5], 0x10
	v_bfe_u32 v1, v0, 10, 10
	s_waitcnt lgkmcnt(0)
	s_lshr_b32 s2, s2, 16
	s_mul_i32 s6, s6, s2
	v_add_lshl_u32 v1, s6, v1, 1
	v_and_b32_e32 v0, 3, v0
	v_mad_u64_u32 v[2:3], s[2:3], v1, s9, v[0:1]
	v_ashrrev_i32_e32 v3, 31, v2
	v_lshlrev_b64 v[6:7], 2, v[2:3]
	v_sub_u32_e32 v8, s8, v1
	v_mov_b32_e32 v1, s15
	v_add_co_u32_e32 v4, vcc, s14, v6
	v_addc_co_u32_e32 v5, vcc, v1, v7, vcc
	v_mov_b32_e32 v1, s1
	v_add_co_u32_e32 v6, vcc, s0, v6
	v_addc_co_u32_e32 v7, vcc, v1, v7, vcc
	v_cmp_gt_i32_e32 vcc, s10, v0
	v_cmp_lt_i32_e64 s[0:1], 0, v8
	s_and_b64 s[4:5], vcc, s[0:1]
	v_mov_b32_e32 v1, 0
	v_mov_b32_e32 v0, 0
	;; [unrolled: 1-line block ×3, first 2 shown]
	s_and_saveexec_b64 s[2:3], s[4:5]
	s_cbranch_execz .LBB647_2
; %bb.1:
	global_load_dword v0, v[4:5], off
	global_load_dword v9, v[6:7], off
.LBB647_2:
	s_or_b64 exec, exec, s[2:3]
	v_cmp_lt_i32_e64 s[2:3], 1, v8
	s_and_b64 s[2:3], vcc, s[2:3]
	s_mov_b32 s11, 0
	v_mov_b32_e32 v10, 0
	s_and_saveexec_b64 s[4:5], s[2:3]
	s_cbranch_execz .LBB647_4
; %bb.3:
	s_lshl_b64 s[6:7], s[10:11], 2
	v_mov_b32_e32 v10, s7
	v_add_co_u32_e64 v4, s[2:3], s6, v4
	v_addc_co_u32_e64 v5, s[2:3], v5, v10, s[2:3]
	global_load_dword v1, v[4:5], off
	v_add_co_u32_e64 v4, s[2:3], s6, v6
	v_addc_co_u32_e64 v5, s[2:3], v7, v10, s[2:3]
	global_load_dword v10, v[4:5], off
.LBB647_4:
	s_or_b64 exec, exec, s[4:5]
	v_mbcnt_lo_u32_b32 v6, -1, 0
	v_mbcnt_hi_u32_b32 v11, -1, v6
	v_and_b32_e32 v6, 0x7c, v11
	v_add_u32_e32 v12, 4, v6
	v_xor_b32_e32 v6, 2, v11
	v_cmp_lt_i32_e64 s[2:3], v6, v12
	v_cndmask_b32_e64 v6, v11, v6, s[2:3]
	s_waitcnt vmcnt(1)
	v_pk_add_f32 v[4:5], v[0:1], 0 op_sel_hi:[1,0]
	v_lshlrev_b32_e32 v7, 2, v6
	ds_bpermute_b32 v6, v7, v4
	ds_bpermute_b32 v7, v7, v5
	v_xor_b32_e32 v13, 1, v11
	v_cmp_lt_i32_e64 s[2:3], v13, v12
	v_cndmask_b32_e64 v11, v11, v13, s[2:3]
	v_lshlrev_b32_e32 v11, 2, v11
	s_waitcnt lgkmcnt(0)
	v_pk_add_f32 v[4:5], v[4:5], v[6:7]
	ds_bpermute_b32 v6, v11, v4
	ds_bpermute_b32 v7, v11, v5
	s_and_saveexec_b64 s[2:3], s[0:1]
	s_cbranch_execz .LBB647_10
; %bb.5:
	v_lshlrev_b64 v[2:3], 1, v[2:3]
	v_mov_b32_e32 v11, s13
	v_add_co_u32_e64 v2, s[0:1], s12, v2
	v_addc_co_u32_e64 v3, s[0:1], v11, v3, s[0:1]
	s_waitcnt lgkmcnt(0)
	v_pk_add_f32 v[4:5], v[4:5], v[6:7]
	s_and_saveexec_b64 s[2:3], vcc
	s_cbranch_execz .LBB647_7
; %bb.6:
	s_waitcnt vmcnt(0)
	v_fma_f32 v0, -v4, v9, v0
	v_bfe_u32 v4, v0, 16, 1
	s_movk_i32 s0, 0x7fff
	v_add3_u32 v4, v0, v4, s0
	v_lshrrev_b32_e32 v4, 16, v4
	v_mov_b32_e32 v6, 0x7fc0
	v_cmp_o_f32_e64 s[0:1], v0, v0
	v_cndmask_b32_e64 v0, v6, v4, s[0:1]
	global_store_short v[2:3], v0, off
.LBB647_7:
	s_or_b64 exec, exec, s[2:3]
	v_cmp_ne_u32_e64 s[0:1], 1, v8
	s_and_b64 exec, exec, s[0:1]
	s_cbranch_execz .LBB647_10
; %bb.8:
	s_and_b64 exec, exec, vcc
	s_cbranch_execz .LBB647_10
; %bb.9:
	s_waitcnt vmcnt(0)
	v_fma_f32 v0, -v5, v10, v1
	v_bfe_u32 v1, v0, 16, 1
	s_movk_i32 s0, 0x7fff
	v_add3_u32 v1, v0, v1, s0
	v_lshrrev_b32_e32 v1, 16, v1
	v_mov_b32_e32 v4, 0x7fc0
	v_cmp_o_f32_e32 vcc, v0, v0
	s_lshl_b64 s[0:1], s[10:11], 1
	v_cndmask_b32_e32 v4, v4, v1, vcc
	v_mov_b32_e32 v1, s1
	v_add_co_u32_e32 v0, vcc, s0, v2
	v_addc_co_u32_e32 v1, vcc, v3, v1, vcc
	global_store_short v[0:1], v4, off
.LBB647_10:
	s_endpgm
	.section	.rodata,"a",@progbits
	.p2align	6, 0x0
	.amdhsa_kernel _ZN12_GLOBAL__N_121softmax_warp_backwardIfN3c108BFloat16EfLi2ELb0ELb0ELi32EEEvPT0_PKT_S7_iiiPKb
		.amdhsa_group_segment_fixed_size 0
		.amdhsa_private_segment_fixed_size 0
		.amdhsa_kernarg_size 304
		.amdhsa_user_sgpr_count 6
		.amdhsa_user_sgpr_private_segment_buffer 1
		.amdhsa_user_sgpr_dispatch_ptr 0
		.amdhsa_user_sgpr_queue_ptr 0
		.amdhsa_user_sgpr_kernarg_segment_ptr 1
		.amdhsa_user_sgpr_dispatch_id 0
		.amdhsa_user_sgpr_flat_scratch_init 0
		.amdhsa_user_sgpr_kernarg_preload_length 0
		.amdhsa_user_sgpr_kernarg_preload_offset 0
		.amdhsa_user_sgpr_private_segment_size 0
		.amdhsa_uses_dynamic_stack 0
		.amdhsa_system_sgpr_private_segment_wavefront_offset 0
		.amdhsa_system_sgpr_workgroup_id_x 1
		.amdhsa_system_sgpr_workgroup_id_y 0
		.amdhsa_system_sgpr_workgroup_id_z 0
		.amdhsa_system_sgpr_workgroup_info 0
		.amdhsa_system_vgpr_workitem_id 1
		.amdhsa_next_free_vgpr 14
		.amdhsa_next_free_sgpr 16
		.amdhsa_accum_offset 16
		.amdhsa_reserve_vcc 1
		.amdhsa_reserve_flat_scratch 0
		.amdhsa_float_round_mode_32 0
		.amdhsa_float_round_mode_16_64 0
		.amdhsa_float_denorm_mode_32 3
		.amdhsa_float_denorm_mode_16_64 3
		.amdhsa_dx10_clamp 1
		.amdhsa_ieee_mode 1
		.amdhsa_fp16_overflow 0
		.amdhsa_tg_split 0
		.amdhsa_exception_fp_ieee_invalid_op 0
		.amdhsa_exception_fp_denorm_src 0
		.amdhsa_exception_fp_ieee_div_zero 0
		.amdhsa_exception_fp_ieee_overflow 0
		.amdhsa_exception_fp_ieee_underflow 0
		.amdhsa_exception_fp_ieee_inexact 0
		.amdhsa_exception_int_div_zero 0
	.end_amdhsa_kernel
	.section	.text._ZN12_GLOBAL__N_121softmax_warp_backwardIfN3c108BFloat16EfLi2ELb0ELb0ELi32EEEvPT0_PKT_S7_iiiPKb,"axG",@progbits,_ZN12_GLOBAL__N_121softmax_warp_backwardIfN3c108BFloat16EfLi2ELb0ELb0ELi32EEEvPT0_PKT_S7_iiiPKb,comdat
.Lfunc_end647:
	.size	_ZN12_GLOBAL__N_121softmax_warp_backwardIfN3c108BFloat16EfLi2ELb0ELb0ELi32EEEvPT0_PKT_S7_iiiPKb, .Lfunc_end647-_ZN12_GLOBAL__N_121softmax_warp_backwardIfN3c108BFloat16EfLi2ELb0ELb0ELi32EEEvPT0_PKT_S7_iiiPKb
                                        ; -- End function
	.section	.AMDGPU.csdata,"",@progbits
; Kernel info:
; codeLenInByte = 620
; NumSgprs: 20
; NumVgprs: 14
; NumAgprs: 0
; TotalNumVgprs: 14
; ScratchSize: 0
; MemoryBound: 0
; FloatMode: 240
; IeeeMode: 1
; LDSByteSize: 0 bytes/workgroup (compile time only)
; SGPRBlocks: 2
; VGPRBlocks: 1
; NumSGPRsForWavesPerEU: 20
; NumVGPRsForWavesPerEU: 14
; AccumOffset: 16
; Occupancy: 8
; WaveLimiterHint : 0
; COMPUTE_PGM_RSRC2:SCRATCH_EN: 0
; COMPUTE_PGM_RSRC2:USER_SGPR: 6
; COMPUTE_PGM_RSRC2:TRAP_HANDLER: 0
; COMPUTE_PGM_RSRC2:TGID_X_EN: 1
; COMPUTE_PGM_RSRC2:TGID_Y_EN: 0
; COMPUTE_PGM_RSRC2:TGID_Z_EN: 0
; COMPUTE_PGM_RSRC2:TIDIG_COMP_CNT: 1
; COMPUTE_PGM_RSRC3_GFX90A:ACCUM_OFFSET: 3
; COMPUTE_PGM_RSRC3_GFX90A:TG_SPLIT: 0
	.section	.text._ZN12_GLOBAL__N_121softmax_warp_backwardIfN3c108BFloat16EfLi3ELb0ELb0ELi64EEEvPT0_PKT_S7_iiiPKb,"axG",@progbits,_ZN12_GLOBAL__N_121softmax_warp_backwardIfN3c108BFloat16EfLi3ELb0ELb0ELi64EEEvPT0_PKT_S7_iiiPKb,comdat
	.globl	_ZN12_GLOBAL__N_121softmax_warp_backwardIfN3c108BFloat16EfLi3ELb0ELb0ELi64EEEvPT0_PKT_S7_iiiPKb ; -- Begin function _ZN12_GLOBAL__N_121softmax_warp_backwardIfN3c108BFloat16EfLi3ELb0ELb0ELi64EEEvPT0_PKT_S7_iiiPKb
	.p2align	8
	.type	_ZN12_GLOBAL__N_121softmax_warp_backwardIfN3c108BFloat16EfLi3ELb0ELb0ELi64EEEvPT0_PKT_S7_iiiPKb,@function
_ZN12_GLOBAL__N_121softmax_warp_backwardIfN3c108BFloat16EfLi3ELb0ELb0ELi64EEEvPT0_PKT_S7_iiiPKb: ; @_ZN12_GLOBAL__N_121softmax_warp_backwardIfN3c108BFloat16EfLi3ELb0ELb0ELi64EEEvPT0_PKT_S7_iiiPKb
; %bb.0:
	s_load_dword s2, s[4:5], 0x3c
	s_load_dwordx4 s[8:11], s[4:5], 0x18
	s_load_dwordx4 s[12:15], s[4:5], 0x0
	s_load_dwordx2 s[0:1], s[4:5], 0x10
	v_bfe_u32 v1, v0, 10, 10
	s_waitcnt lgkmcnt(0)
	s_lshr_b32 s2, s2, 16
	s_mul_i32 s6, s6, s2
	v_add_lshl_u32 v1, s6, v1, 1
	v_and_b32_e32 v0, 7, v0
	v_mad_u64_u32 v[2:3], s[2:3], v1, s9, v[0:1]
	v_ashrrev_i32_e32 v3, 31, v2
	v_lshlrev_b64 v[6:7], 2, v[2:3]
	v_sub_u32_e32 v8, s8, v1
	v_mov_b32_e32 v1, s15
	v_add_co_u32_e32 v4, vcc, s14, v6
	v_addc_co_u32_e32 v5, vcc, v1, v7, vcc
	v_mov_b32_e32 v1, s1
	v_add_co_u32_e32 v6, vcc, s0, v6
	v_addc_co_u32_e32 v7, vcc, v1, v7, vcc
	v_cmp_gt_i32_e32 vcc, s10, v0
	v_cmp_lt_i32_e64 s[0:1], 0, v8
	s_and_b64 s[4:5], vcc, s[0:1]
	v_mov_b32_e32 v1, 0
	v_mov_b32_e32 v0, 0
	;; [unrolled: 1-line block ×3, first 2 shown]
	s_and_saveexec_b64 s[2:3], s[4:5]
	s_cbranch_execz .LBB648_2
; %bb.1:
	global_load_dword v0, v[4:5], off
	global_load_dword v9, v[6:7], off
.LBB648_2:
	s_or_b64 exec, exec, s[2:3]
	v_cmp_lt_i32_e64 s[2:3], 1, v8
	s_and_b64 s[2:3], vcc, s[2:3]
	s_mov_b32 s11, 0
	v_mov_b32_e32 v10, 0
	s_and_saveexec_b64 s[4:5], s[2:3]
	s_cbranch_execz .LBB648_4
; %bb.3:
	s_lshl_b64 s[6:7], s[10:11], 2
	v_mov_b32_e32 v10, s7
	v_add_co_u32_e64 v4, s[2:3], s6, v4
	v_addc_co_u32_e64 v5, s[2:3], v5, v10, s[2:3]
	global_load_dword v1, v[4:5], off
	v_add_co_u32_e64 v4, s[2:3], s6, v6
	v_addc_co_u32_e64 v5, s[2:3], v7, v10, s[2:3]
	global_load_dword v10, v[4:5], off
.LBB648_4:
	s_or_b64 exec, exec, s[4:5]
	v_mbcnt_lo_u32_b32 v6, -1, 0
	v_mbcnt_hi_u32_b32 v11, -1, v6
	v_and_b32_e32 v6, 0x78, v11
	v_add_u32_e32 v12, 8, v6
	v_xor_b32_e32 v6, 4, v11
	v_cmp_lt_i32_e64 s[2:3], v6, v12
	v_cndmask_b32_e64 v6, v11, v6, s[2:3]
	s_waitcnt vmcnt(1)
	v_pk_add_f32 v[4:5], v[0:1], 0 op_sel_hi:[1,0]
	v_lshlrev_b32_e32 v7, 2, v6
	ds_bpermute_b32 v6, v7, v4
	ds_bpermute_b32 v7, v7, v5
	v_xor_b32_e32 v13, 2, v11
	v_cmp_lt_i32_e64 s[2:3], v13, v12
	v_cndmask_b32_e64 v13, v11, v13, s[2:3]
	v_lshlrev_b32_e32 v13, 2, v13
	s_waitcnt lgkmcnt(0)
	v_pk_add_f32 v[4:5], v[4:5], v[6:7]
	ds_bpermute_b32 v6, v13, v4
	ds_bpermute_b32 v7, v13, v5
	v_xor_b32_e32 v13, 1, v11
	v_cmp_lt_i32_e64 s[2:3], v13, v12
	v_cndmask_b32_e64 v11, v11, v13, s[2:3]
	v_lshlrev_b32_e32 v11, 2, v11
	s_waitcnt lgkmcnt(0)
	v_pk_add_f32 v[4:5], v[4:5], v[6:7]
	ds_bpermute_b32 v6, v11, v4
	ds_bpermute_b32 v7, v11, v5
	s_and_saveexec_b64 s[2:3], s[0:1]
	s_cbranch_execz .LBB648_10
; %bb.5:
	v_lshlrev_b64 v[2:3], 1, v[2:3]
	v_mov_b32_e32 v11, s13
	v_add_co_u32_e64 v2, s[0:1], s12, v2
	v_addc_co_u32_e64 v3, s[0:1], v11, v3, s[0:1]
	s_waitcnt lgkmcnt(0)
	v_pk_add_f32 v[4:5], v[4:5], v[6:7]
	s_and_saveexec_b64 s[2:3], vcc
	s_cbranch_execz .LBB648_7
; %bb.6:
	s_waitcnt vmcnt(0)
	v_fma_f32 v0, -v4, v9, v0
	v_bfe_u32 v4, v0, 16, 1
	s_movk_i32 s0, 0x7fff
	v_add3_u32 v4, v0, v4, s0
	v_lshrrev_b32_e32 v4, 16, v4
	v_mov_b32_e32 v6, 0x7fc0
	v_cmp_o_f32_e64 s[0:1], v0, v0
	v_cndmask_b32_e64 v0, v6, v4, s[0:1]
	global_store_short v[2:3], v0, off
.LBB648_7:
	s_or_b64 exec, exec, s[2:3]
	v_cmp_ne_u32_e64 s[0:1], 1, v8
	s_and_b64 exec, exec, s[0:1]
	s_cbranch_execz .LBB648_10
; %bb.8:
	s_and_b64 exec, exec, vcc
	s_cbranch_execz .LBB648_10
; %bb.9:
	s_waitcnt vmcnt(0)
	v_fma_f32 v0, -v5, v10, v1
	v_bfe_u32 v1, v0, 16, 1
	s_movk_i32 s0, 0x7fff
	v_add3_u32 v1, v0, v1, s0
	v_lshrrev_b32_e32 v1, 16, v1
	v_mov_b32_e32 v4, 0x7fc0
	v_cmp_o_f32_e32 vcc, v0, v0
	s_lshl_b64 s[0:1], s[10:11], 1
	v_cndmask_b32_e32 v4, v4, v1, vcc
	v_mov_b32_e32 v1, s1
	v_add_co_u32_e32 v0, vcc, s0, v2
	v_addc_co_u32_e32 v1, vcc, v3, v1, vcc
	global_store_short v[0:1], v4, off
.LBB648_10:
	s_endpgm
	.section	.rodata,"a",@progbits
	.p2align	6, 0x0
	.amdhsa_kernel _ZN12_GLOBAL__N_121softmax_warp_backwardIfN3c108BFloat16EfLi3ELb0ELb0ELi64EEEvPT0_PKT_S7_iiiPKb
		.amdhsa_group_segment_fixed_size 0
		.amdhsa_private_segment_fixed_size 0
		.amdhsa_kernarg_size 304
		.amdhsa_user_sgpr_count 6
		.amdhsa_user_sgpr_private_segment_buffer 1
		.amdhsa_user_sgpr_dispatch_ptr 0
		.amdhsa_user_sgpr_queue_ptr 0
		.amdhsa_user_sgpr_kernarg_segment_ptr 1
		.amdhsa_user_sgpr_dispatch_id 0
		.amdhsa_user_sgpr_flat_scratch_init 0
		.amdhsa_user_sgpr_kernarg_preload_length 0
		.amdhsa_user_sgpr_kernarg_preload_offset 0
		.amdhsa_user_sgpr_private_segment_size 0
		.amdhsa_uses_dynamic_stack 0
		.amdhsa_system_sgpr_private_segment_wavefront_offset 0
		.amdhsa_system_sgpr_workgroup_id_x 1
		.amdhsa_system_sgpr_workgroup_id_y 0
		.amdhsa_system_sgpr_workgroup_id_z 0
		.amdhsa_system_sgpr_workgroup_info 0
		.amdhsa_system_vgpr_workitem_id 1
		.amdhsa_next_free_vgpr 14
		.amdhsa_next_free_sgpr 16
		.amdhsa_accum_offset 16
		.amdhsa_reserve_vcc 1
		.amdhsa_reserve_flat_scratch 0
		.amdhsa_float_round_mode_32 0
		.amdhsa_float_round_mode_16_64 0
		.amdhsa_float_denorm_mode_32 3
		.amdhsa_float_denorm_mode_16_64 3
		.amdhsa_dx10_clamp 1
		.amdhsa_ieee_mode 1
		.amdhsa_fp16_overflow 0
		.amdhsa_tg_split 0
		.amdhsa_exception_fp_ieee_invalid_op 0
		.amdhsa_exception_fp_denorm_src 0
		.amdhsa_exception_fp_ieee_div_zero 0
		.amdhsa_exception_fp_ieee_overflow 0
		.amdhsa_exception_fp_ieee_underflow 0
		.amdhsa_exception_fp_ieee_inexact 0
		.amdhsa_exception_int_div_zero 0
	.end_amdhsa_kernel
	.section	.text._ZN12_GLOBAL__N_121softmax_warp_backwardIfN3c108BFloat16EfLi3ELb0ELb0ELi64EEEvPT0_PKT_S7_iiiPKb,"axG",@progbits,_ZN12_GLOBAL__N_121softmax_warp_backwardIfN3c108BFloat16EfLi3ELb0ELb0ELi64EEEvPT0_PKT_S7_iiiPKb,comdat
.Lfunc_end648:
	.size	_ZN12_GLOBAL__N_121softmax_warp_backwardIfN3c108BFloat16EfLi3ELb0ELb0ELi64EEEvPT0_PKT_S7_iiiPKb, .Lfunc_end648-_ZN12_GLOBAL__N_121softmax_warp_backwardIfN3c108BFloat16EfLi3ELb0ELb0ELi64EEEvPT0_PKT_S7_iiiPKb
                                        ; -- End function
	.section	.AMDGPU.csdata,"",@progbits
; Kernel info:
; codeLenInByte = 672
; NumSgprs: 20
; NumVgprs: 14
; NumAgprs: 0
; TotalNumVgprs: 14
; ScratchSize: 0
; MemoryBound: 0
; FloatMode: 240
; IeeeMode: 1
; LDSByteSize: 0 bytes/workgroup (compile time only)
; SGPRBlocks: 2
; VGPRBlocks: 1
; NumSGPRsForWavesPerEU: 20
; NumVGPRsForWavesPerEU: 14
; AccumOffset: 16
; Occupancy: 8
; WaveLimiterHint : 0
; COMPUTE_PGM_RSRC2:SCRATCH_EN: 0
; COMPUTE_PGM_RSRC2:USER_SGPR: 6
; COMPUTE_PGM_RSRC2:TRAP_HANDLER: 0
; COMPUTE_PGM_RSRC2:TGID_X_EN: 1
; COMPUTE_PGM_RSRC2:TGID_Y_EN: 0
; COMPUTE_PGM_RSRC2:TGID_Z_EN: 0
; COMPUTE_PGM_RSRC2:TIDIG_COMP_CNT: 1
; COMPUTE_PGM_RSRC3_GFX90A:ACCUM_OFFSET: 3
; COMPUTE_PGM_RSRC3_GFX90A:TG_SPLIT: 0
	.section	.text._ZN12_GLOBAL__N_121softmax_warp_backwardIfN3c108BFloat16EfLi3ELb0ELb0ELi32EEEvPT0_PKT_S7_iiiPKb,"axG",@progbits,_ZN12_GLOBAL__N_121softmax_warp_backwardIfN3c108BFloat16EfLi3ELb0ELb0ELi32EEEvPT0_PKT_S7_iiiPKb,comdat
	.globl	_ZN12_GLOBAL__N_121softmax_warp_backwardIfN3c108BFloat16EfLi3ELb0ELb0ELi32EEEvPT0_PKT_S7_iiiPKb ; -- Begin function _ZN12_GLOBAL__N_121softmax_warp_backwardIfN3c108BFloat16EfLi3ELb0ELb0ELi32EEEvPT0_PKT_S7_iiiPKb
	.p2align	8
	.type	_ZN12_GLOBAL__N_121softmax_warp_backwardIfN3c108BFloat16EfLi3ELb0ELb0ELi32EEEvPT0_PKT_S7_iiiPKb,@function
_ZN12_GLOBAL__N_121softmax_warp_backwardIfN3c108BFloat16EfLi3ELb0ELb0ELi32EEEvPT0_PKT_S7_iiiPKb: ; @_ZN12_GLOBAL__N_121softmax_warp_backwardIfN3c108BFloat16EfLi3ELb0ELb0ELi32EEEvPT0_PKT_S7_iiiPKb
; %bb.0:
	s_load_dword s2, s[4:5], 0x3c
	s_load_dwordx4 s[8:11], s[4:5], 0x18
	s_load_dwordx4 s[12:15], s[4:5], 0x0
	s_load_dwordx2 s[0:1], s[4:5], 0x10
	v_bfe_u32 v1, v0, 10, 10
	s_waitcnt lgkmcnt(0)
	s_lshr_b32 s2, s2, 16
	s_mul_i32 s6, s6, s2
	v_add_lshl_u32 v1, s6, v1, 1
	v_and_b32_e32 v0, 7, v0
	v_mad_u64_u32 v[2:3], s[2:3], v1, s9, v[0:1]
	v_ashrrev_i32_e32 v3, 31, v2
	v_lshlrev_b64 v[6:7], 2, v[2:3]
	v_sub_u32_e32 v8, s8, v1
	v_mov_b32_e32 v1, s15
	v_add_co_u32_e32 v4, vcc, s14, v6
	v_addc_co_u32_e32 v5, vcc, v1, v7, vcc
	v_mov_b32_e32 v1, s1
	v_add_co_u32_e32 v6, vcc, s0, v6
	v_addc_co_u32_e32 v7, vcc, v1, v7, vcc
	v_cmp_gt_i32_e32 vcc, s10, v0
	v_cmp_lt_i32_e64 s[0:1], 0, v8
	s_and_b64 s[4:5], vcc, s[0:1]
	v_mov_b32_e32 v1, 0
	v_mov_b32_e32 v0, 0
	;; [unrolled: 1-line block ×3, first 2 shown]
	s_and_saveexec_b64 s[2:3], s[4:5]
	s_cbranch_execz .LBB649_2
; %bb.1:
	global_load_dword v0, v[4:5], off
	global_load_dword v9, v[6:7], off
.LBB649_2:
	s_or_b64 exec, exec, s[2:3]
	v_cmp_lt_i32_e64 s[2:3], 1, v8
	s_and_b64 s[2:3], vcc, s[2:3]
	s_mov_b32 s11, 0
	v_mov_b32_e32 v10, 0
	s_and_saveexec_b64 s[4:5], s[2:3]
	s_cbranch_execz .LBB649_4
; %bb.3:
	s_lshl_b64 s[6:7], s[10:11], 2
	v_mov_b32_e32 v10, s7
	v_add_co_u32_e64 v4, s[2:3], s6, v4
	v_addc_co_u32_e64 v5, s[2:3], v5, v10, s[2:3]
	global_load_dword v1, v[4:5], off
	v_add_co_u32_e64 v4, s[2:3], s6, v6
	v_addc_co_u32_e64 v5, s[2:3], v7, v10, s[2:3]
	global_load_dword v10, v[4:5], off
.LBB649_4:
	s_or_b64 exec, exec, s[4:5]
	v_mbcnt_lo_u32_b32 v6, -1, 0
	v_mbcnt_hi_u32_b32 v11, -1, v6
	v_and_b32_e32 v6, 0x78, v11
	v_add_u32_e32 v12, 8, v6
	v_xor_b32_e32 v6, 4, v11
	v_cmp_lt_i32_e64 s[2:3], v6, v12
	v_cndmask_b32_e64 v6, v11, v6, s[2:3]
	s_waitcnt vmcnt(1)
	v_pk_add_f32 v[4:5], v[0:1], 0 op_sel_hi:[1,0]
	v_lshlrev_b32_e32 v7, 2, v6
	ds_bpermute_b32 v6, v7, v4
	ds_bpermute_b32 v7, v7, v5
	v_xor_b32_e32 v13, 2, v11
	v_cmp_lt_i32_e64 s[2:3], v13, v12
	v_cndmask_b32_e64 v13, v11, v13, s[2:3]
	v_lshlrev_b32_e32 v13, 2, v13
	s_waitcnt lgkmcnt(0)
	v_pk_add_f32 v[4:5], v[4:5], v[6:7]
	ds_bpermute_b32 v6, v13, v4
	ds_bpermute_b32 v7, v13, v5
	v_xor_b32_e32 v13, 1, v11
	v_cmp_lt_i32_e64 s[2:3], v13, v12
	v_cndmask_b32_e64 v11, v11, v13, s[2:3]
	v_lshlrev_b32_e32 v11, 2, v11
	s_waitcnt lgkmcnt(0)
	v_pk_add_f32 v[4:5], v[4:5], v[6:7]
	ds_bpermute_b32 v6, v11, v4
	ds_bpermute_b32 v7, v11, v5
	s_and_saveexec_b64 s[2:3], s[0:1]
	s_cbranch_execz .LBB649_10
; %bb.5:
	v_lshlrev_b64 v[2:3], 1, v[2:3]
	v_mov_b32_e32 v11, s13
	v_add_co_u32_e64 v2, s[0:1], s12, v2
	v_addc_co_u32_e64 v3, s[0:1], v11, v3, s[0:1]
	s_waitcnt lgkmcnt(0)
	v_pk_add_f32 v[4:5], v[4:5], v[6:7]
	s_and_saveexec_b64 s[2:3], vcc
	s_cbranch_execz .LBB649_7
; %bb.6:
	s_waitcnt vmcnt(0)
	v_fma_f32 v0, -v4, v9, v0
	v_bfe_u32 v4, v0, 16, 1
	s_movk_i32 s0, 0x7fff
	v_add3_u32 v4, v0, v4, s0
	v_lshrrev_b32_e32 v4, 16, v4
	v_mov_b32_e32 v6, 0x7fc0
	v_cmp_o_f32_e64 s[0:1], v0, v0
	v_cndmask_b32_e64 v0, v6, v4, s[0:1]
	global_store_short v[2:3], v0, off
.LBB649_7:
	s_or_b64 exec, exec, s[2:3]
	v_cmp_ne_u32_e64 s[0:1], 1, v8
	s_and_b64 exec, exec, s[0:1]
	s_cbranch_execz .LBB649_10
; %bb.8:
	s_and_b64 exec, exec, vcc
	s_cbranch_execz .LBB649_10
; %bb.9:
	s_waitcnt vmcnt(0)
	v_fma_f32 v0, -v5, v10, v1
	v_bfe_u32 v1, v0, 16, 1
	s_movk_i32 s0, 0x7fff
	v_add3_u32 v1, v0, v1, s0
	v_lshrrev_b32_e32 v1, 16, v1
	v_mov_b32_e32 v4, 0x7fc0
	v_cmp_o_f32_e32 vcc, v0, v0
	s_lshl_b64 s[0:1], s[10:11], 1
	v_cndmask_b32_e32 v4, v4, v1, vcc
	v_mov_b32_e32 v1, s1
	v_add_co_u32_e32 v0, vcc, s0, v2
	v_addc_co_u32_e32 v1, vcc, v3, v1, vcc
	global_store_short v[0:1], v4, off
.LBB649_10:
	s_endpgm
	.section	.rodata,"a",@progbits
	.p2align	6, 0x0
	.amdhsa_kernel _ZN12_GLOBAL__N_121softmax_warp_backwardIfN3c108BFloat16EfLi3ELb0ELb0ELi32EEEvPT0_PKT_S7_iiiPKb
		.amdhsa_group_segment_fixed_size 0
		.amdhsa_private_segment_fixed_size 0
		.amdhsa_kernarg_size 304
		.amdhsa_user_sgpr_count 6
		.amdhsa_user_sgpr_private_segment_buffer 1
		.amdhsa_user_sgpr_dispatch_ptr 0
		.amdhsa_user_sgpr_queue_ptr 0
		.amdhsa_user_sgpr_kernarg_segment_ptr 1
		.amdhsa_user_sgpr_dispatch_id 0
		.amdhsa_user_sgpr_flat_scratch_init 0
		.amdhsa_user_sgpr_kernarg_preload_length 0
		.amdhsa_user_sgpr_kernarg_preload_offset 0
		.amdhsa_user_sgpr_private_segment_size 0
		.amdhsa_uses_dynamic_stack 0
		.amdhsa_system_sgpr_private_segment_wavefront_offset 0
		.amdhsa_system_sgpr_workgroup_id_x 1
		.amdhsa_system_sgpr_workgroup_id_y 0
		.amdhsa_system_sgpr_workgroup_id_z 0
		.amdhsa_system_sgpr_workgroup_info 0
		.amdhsa_system_vgpr_workitem_id 1
		.amdhsa_next_free_vgpr 14
		.amdhsa_next_free_sgpr 16
		.amdhsa_accum_offset 16
		.amdhsa_reserve_vcc 1
		.amdhsa_reserve_flat_scratch 0
		.amdhsa_float_round_mode_32 0
		.amdhsa_float_round_mode_16_64 0
		.amdhsa_float_denorm_mode_32 3
		.amdhsa_float_denorm_mode_16_64 3
		.amdhsa_dx10_clamp 1
		.amdhsa_ieee_mode 1
		.amdhsa_fp16_overflow 0
		.amdhsa_tg_split 0
		.amdhsa_exception_fp_ieee_invalid_op 0
		.amdhsa_exception_fp_denorm_src 0
		.amdhsa_exception_fp_ieee_div_zero 0
		.amdhsa_exception_fp_ieee_overflow 0
		.amdhsa_exception_fp_ieee_underflow 0
		.amdhsa_exception_fp_ieee_inexact 0
		.amdhsa_exception_int_div_zero 0
	.end_amdhsa_kernel
	.section	.text._ZN12_GLOBAL__N_121softmax_warp_backwardIfN3c108BFloat16EfLi3ELb0ELb0ELi32EEEvPT0_PKT_S7_iiiPKb,"axG",@progbits,_ZN12_GLOBAL__N_121softmax_warp_backwardIfN3c108BFloat16EfLi3ELb0ELb0ELi32EEEvPT0_PKT_S7_iiiPKb,comdat
.Lfunc_end649:
	.size	_ZN12_GLOBAL__N_121softmax_warp_backwardIfN3c108BFloat16EfLi3ELb0ELb0ELi32EEEvPT0_PKT_S7_iiiPKb, .Lfunc_end649-_ZN12_GLOBAL__N_121softmax_warp_backwardIfN3c108BFloat16EfLi3ELb0ELb0ELi32EEEvPT0_PKT_S7_iiiPKb
                                        ; -- End function
	.section	.AMDGPU.csdata,"",@progbits
; Kernel info:
; codeLenInByte = 672
; NumSgprs: 20
; NumVgprs: 14
; NumAgprs: 0
; TotalNumVgprs: 14
; ScratchSize: 0
; MemoryBound: 0
; FloatMode: 240
; IeeeMode: 1
; LDSByteSize: 0 bytes/workgroup (compile time only)
; SGPRBlocks: 2
; VGPRBlocks: 1
; NumSGPRsForWavesPerEU: 20
; NumVGPRsForWavesPerEU: 14
; AccumOffset: 16
; Occupancy: 8
; WaveLimiterHint : 0
; COMPUTE_PGM_RSRC2:SCRATCH_EN: 0
; COMPUTE_PGM_RSRC2:USER_SGPR: 6
; COMPUTE_PGM_RSRC2:TRAP_HANDLER: 0
; COMPUTE_PGM_RSRC2:TGID_X_EN: 1
; COMPUTE_PGM_RSRC2:TGID_Y_EN: 0
; COMPUTE_PGM_RSRC2:TGID_Z_EN: 0
; COMPUTE_PGM_RSRC2:TIDIG_COMP_CNT: 1
; COMPUTE_PGM_RSRC3_GFX90A:ACCUM_OFFSET: 3
; COMPUTE_PGM_RSRC3_GFX90A:TG_SPLIT: 0
	.section	.text._ZN12_GLOBAL__N_121softmax_warp_backwardIfN3c108BFloat16EfLi4ELb0ELb0ELi64EEEvPT0_PKT_S7_iiiPKb,"axG",@progbits,_ZN12_GLOBAL__N_121softmax_warp_backwardIfN3c108BFloat16EfLi4ELb0ELb0ELi64EEEvPT0_PKT_S7_iiiPKb,comdat
	.globl	_ZN12_GLOBAL__N_121softmax_warp_backwardIfN3c108BFloat16EfLi4ELb0ELb0ELi64EEEvPT0_PKT_S7_iiiPKb ; -- Begin function _ZN12_GLOBAL__N_121softmax_warp_backwardIfN3c108BFloat16EfLi4ELb0ELb0ELi64EEEvPT0_PKT_S7_iiiPKb
	.p2align	8
	.type	_ZN12_GLOBAL__N_121softmax_warp_backwardIfN3c108BFloat16EfLi4ELb0ELb0ELi64EEEvPT0_PKT_S7_iiiPKb,@function
_ZN12_GLOBAL__N_121softmax_warp_backwardIfN3c108BFloat16EfLi4ELb0ELb0ELi64EEEvPT0_PKT_S7_iiiPKb: ; @_ZN12_GLOBAL__N_121softmax_warp_backwardIfN3c108BFloat16EfLi4ELb0ELb0ELi64EEEvPT0_PKT_S7_iiiPKb
; %bb.0:
	s_load_dword s2, s[4:5], 0x3c
	s_load_dwordx4 s[8:11], s[4:5], 0x18
	s_load_dwordx4 s[12:15], s[4:5], 0x0
	s_load_dwordx2 s[0:1], s[4:5], 0x10
	v_bfe_u32 v1, v0, 10, 10
	s_waitcnt lgkmcnt(0)
	s_lshr_b32 s2, s2, 16
	s_mul_i32 s6, s6, s2
	v_add_lshl_u32 v1, s6, v1, 1
	v_and_b32_e32 v0, 15, v0
	v_mad_u64_u32 v[2:3], s[2:3], v1, s9, v[0:1]
	v_ashrrev_i32_e32 v3, 31, v2
	v_lshlrev_b64 v[6:7], 2, v[2:3]
	v_sub_u32_e32 v8, s8, v1
	v_mov_b32_e32 v1, s15
	v_add_co_u32_e32 v4, vcc, s14, v6
	v_addc_co_u32_e32 v5, vcc, v1, v7, vcc
	v_mov_b32_e32 v1, s1
	v_add_co_u32_e32 v6, vcc, s0, v6
	v_addc_co_u32_e32 v7, vcc, v1, v7, vcc
	v_cmp_gt_i32_e32 vcc, s10, v0
	v_cmp_lt_i32_e64 s[0:1], 0, v8
	s_and_b64 s[4:5], vcc, s[0:1]
	v_mov_b32_e32 v1, 0
	v_mov_b32_e32 v0, 0
	;; [unrolled: 1-line block ×3, first 2 shown]
	s_and_saveexec_b64 s[2:3], s[4:5]
	s_cbranch_execz .LBB650_2
; %bb.1:
	global_load_dword v0, v[4:5], off
	global_load_dword v9, v[6:7], off
.LBB650_2:
	s_or_b64 exec, exec, s[2:3]
	v_cmp_lt_i32_e64 s[2:3], 1, v8
	s_and_b64 s[2:3], vcc, s[2:3]
	s_mov_b32 s11, 0
	v_mov_b32_e32 v10, 0
	s_and_saveexec_b64 s[4:5], s[2:3]
	s_cbranch_execz .LBB650_4
; %bb.3:
	s_lshl_b64 s[6:7], s[10:11], 2
	v_mov_b32_e32 v10, s7
	v_add_co_u32_e64 v4, s[2:3], s6, v4
	v_addc_co_u32_e64 v5, s[2:3], v5, v10, s[2:3]
	global_load_dword v1, v[4:5], off
	v_add_co_u32_e64 v4, s[2:3], s6, v6
	v_addc_co_u32_e64 v5, s[2:3], v7, v10, s[2:3]
	global_load_dword v10, v[4:5], off
.LBB650_4:
	s_or_b64 exec, exec, s[4:5]
	v_mbcnt_lo_u32_b32 v6, -1, 0
	v_mbcnt_hi_u32_b32 v11, -1, v6
	v_and_b32_e32 v6, 0x70, v11
	v_add_u32_e32 v12, 16, v6
	v_xor_b32_e32 v6, 8, v11
	v_cmp_lt_i32_e64 s[2:3], v6, v12
	v_cndmask_b32_e64 v6, v11, v6, s[2:3]
	s_waitcnt vmcnt(1)
	v_pk_add_f32 v[4:5], v[0:1], 0 op_sel_hi:[1,0]
	v_lshlrev_b32_e32 v7, 2, v6
	ds_bpermute_b32 v6, v7, v4
	ds_bpermute_b32 v7, v7, v5
	v_xor_b32_e32 v13, 4, v11
	v_cmp_lt_i32_e64 s[2:3], v13, v12
	v_cndmask_b32_e64 v13, v11, v13, s[2:3]
	v_lshlrev_b32_e32 v13, 2, v13
	s_waitcnt lgkmcnt(0)
	v_pk_add_f32 v[4:5], v[4:5], v[6:7]
	ds_bpermute_b32 v6, v13, v4
	ds_bpermute_b32 v7, v13, v5
	v_xor_b32_e32 v13, 2, v11
	v_cmp_lt_i32_e64 s[2:3], v13, v12
	v_cndmask_b32_e64 v13, v11, v13, s[2:3]
	v_lshlrev_b32_e32 v13, 2, v13
	s_waitcnt lgkmcnt(0)
	v_pk_add_f32 v[4:5], v[4:5], v[6:7]
	;; [unrolled: 8-line block ×3, first 2 shown]
	ds_bpermute_b32 v6, v11, v4
	ds_bpermute_b32 v7, v11, v5
	s_and_saveexec_b64 s[2:3], s[0:1]
	s_cbranch_execz .LBB650_10
; %bb.5:
	v_lshlrev_b64 v[2:3], 1, v[2:3]
	v_mov_b32_e32 v11, s13
	v_add_co_u32_e64 v2, s[0:1], s12, v2
	v_addc_co_u32_e64 v3, s[0:1], v11, v3, s[0:1]
	s_waitcnt lgkmcnt(0)
	v_pk_add_f32 v[4:5], v[4:5], v[6:7]
	s_and_saveexec_b64 s[2:3], vcc
	s_cbranch_execz .LBB650_7
; %bb.6:
	s_waitcnt vmcnt(0)
	v_fma_f32 v0, -v4, v9, v0
	v_bfe_u32 v4, v0, 16, 1
	s_movk_i32 s0, 0x7fff
	v_add3_u32 v4, v0, v4, s0
	v_lshrrev_b32_e32 v4, 16, v4
	v_mov_b32_e32 v6, 0x7fc0
	v_cmp_o_f32_e64 s[0:1], v0, v0
	v_cndmask_b32_e64 v0, v6, v4, s[0:1]
	global_store_short v[2:3], v0, off
.LBB650_7:
	s_or_b64 exec, exec, s[2:3]
	v_cmp_ne_u32_e64 s[0:1], 1, v8
	s_and_b64 exec, exec, s[0:1]
	s_cbranch_execz .LBB650_10
; %bb.8:
	s_and_b64 exec, exec, vcc
	s_cbranch_execz .LBB650_10
; %bb.9:
	s_waitcnt vmcnt(0)
	v_fma_f32 v0, -v5, v10, v1
	v_bfe_u32 v1, v0, 16, 1
	s_movk_i32 s0, 0x7fff
	v_add3_u32 v1, v0, v1, s0
	v_lshrrev_b32_e32 v1, 16, v1
	v_mov_b32_e32 v4, 0x7fc0
	v_cmp_o_f32_e32 vcc, v0, v0
	s_lshl_b64 s[0:1], s[10:11], 1
	v_cndmask_b32_e32 v4, v4, v1, vcc
	v_mov_b32_e32 v1, s1
	v_add_co_u32_e32 v0, vcc, s0, v2
	v_addc_co_u32_e32 v1, vcc, v3, v1, vcc
	global_store_short v[0:1], v4, off
.LBB650_10:
	s_endpgm
	.section	.rodata,"a",@progbits
	.p2align	6, 0x0
	.amdhsa_kernel _ZN12_GLOBAL__N_121softmax_warp_backwardIfN3c108BFloat16EfLi4ELb0ELb0ELi64EEEvPT0_PKT_S7_iiiPKb
		.amdhsa_group_segment_fixed_size 0
		.amdhsa_private_segment_fixed_size 0
		.amdhsa_kernarg_size 304
		.amdhsa_user_sgpr_count 6
		.amdhsa_user_sgpr_private_segment_buffer 1
		.amdhsa_user_sgpr_dispatch_ptr 0
		.amdhsa_user_sgpr_queue_ptr 0
		.amdhsa_user_sgpr_kernarg_segment_ptr 1
		.amdhsa_user_sgpr_dispatch_id 0
		.amdhsa_user_sgpr_flat_scratch_init 0
		.amdhsa_user_sgpr_kernarg_preload_length 0
		.amdhsa_user_sgpr_kernarg_preload_offset 0
		.amdhsa_user_sgpr_private_segment_size 0
		.amdhsa_uses_dynamic_stack 0
		.amdhsa_system_sgpr_private_segment_wavefront_offset 0
		.amdhsa_system_sgpr_workgroup_id_x 1
		.amdhsa_system_sgpr_workgroup_id_y 0
		.amdhsa_system_sgpr_workgroup_id_z 0
		.amdhsa_system_sgpr_workgroup_info 0
		.amdhsa_system_vgpr_workitem_id 1
		.amdhsa_next_free_vgpr 14
		.amdhsa_next_free_sgpr 16
		.amdhsa_accum_offset 16
		.amdhsa_reserve_vcc 1
		.amdhsa_reserve_flat_scratch 0
		.amdhsa_float_round_mode_32 0
		.amdhsa_float_round_mode_16_64 0
		.amdhsa_float_denorm_mode_32 3
		.amdhsa_float_denorm_mode_16_64 3
		.amdhsa_dx10_clamp 1
		.amdhsa_ieee_mode 1
		.amdhsa_fp16_overflow 0
		.amdhsa_tg_split 0
		.amdhsa_exception_fp_ieee_invalid_op 0
		.amdhsa_exception_fp_denorm_src 0
		.amdhsa_exception_fp_ieee_div_zero 0
		.amdhsa_exception_fp_ieee_overflow 0
		.amdhsa_exception_fp_ieee_underflow 0
		.amdhsa_exception_fp_ieee_inexact 0
		.amdhsa_exception_int_div_zero 0
	.end_amdhsa_kernel
	.section	.text._ZN12_GLOBAL__N_121softmax_warp_backwardIfN3c108BFloat16EfLi4ELb0ELb0ELi64EEEvPT0_PKT_S7_iiiPKb,"axG",@progbits,_ZN12_GLOBAL__N_121softmax_warp_backwardIfN3c108BFloat16EfLi4ELb0ELb0ELi64EEEvPT0_PKT_S7_iiiPKb,comdat
.Lfunc_end650:
	.size	_ZN12_GLOBAL__N_121softmax_warp_backwardIfN3c108BFloat16EfLi4ELb0ELb0ELi64EEEvPT0_PKT_S7_iiiPKb, .Lfunc_end650-_ZN12_GLOBAL__N_121softmax_warp_backwardIfN3c108BFloat16EfLi4ELb0ELb0ELi64EEEvPT0_PKT_S7_iiiPKb
                                        ; -- End function
	.section	.AMDGPU.csdata,"",@progbits
; Kernel info:
; codeLenInByte = 724
; NumSgprs: 20
; NumVgprs: 14
; NumAgprs: 0
; TotalNumVgprs: 14
; ScratchSize: 0
; MemoryBound: 0
; FloatMode: 240
; IeeeMode: 1
; LDSByteSize: 0 bytes/workgroup (compile time only)
; SGPRBlocks: 2
; VGPRBlocks: 1
; NumSGPRsForWavesPerEU: 20
; NumVGPRsForWavesPerEU: 14
; AccumOffset: 16
; Occupancy: 8
; WaveLimiterHint : 0
; COMPUTE_PGM_RSRC2:SCRATCH_EN: 0
; COMPUTE_PGM_RSRC2:USER_SGPR: 6
; COMPUTE_PGM_RSRC2:TRAP_HANDLER: 0
; COMPUTE_PGM_RSRC2:TGID_X_EN: 1
; COMPUTE_PGM_RSRC2:TGID_Y_EN: 0
; COMPUTE_PGM_RSRC2:TGID_Z_EN: 0
; COMPUTE_PGM_RSRC2:TIDIG_COMP_CNT: 1
; COMPUTE_PGM_RSRC3_GFX90A:ACCUM_OFFSET: 3
; COMPUTE_PGM_RSRC3_GFX90A:TG_SPLIT: 0
	.section	.text._ZN12_GLOBAL__N_121softmax_warp_backwardIfN3c108BFloat16EfLi4ELb0ELb0ELi32EEEvPT0_PKT_S7_iiiPKb,"axG",@progbits,_ZN12_GLOBAL__N_121softmax_warp_backwardIfN3c108BFloat16EfLi4ELb0ELb0ELi32EEEvPT0_PKT_S7_iiiPKb,comdat
	.globl	_ZN12_GLOBAL__N_121softmax_warp_backwardIfN3c108BFloat16EfLi4ELb0ELb0ELi32EEEvPT0_PKT_S7_iiiPKb ; -- Begin function _ZN12_GLOBAL__N_121softmax_warp_backwardIfN3c108BFloat16EfLi4ELb0ELb0ELi32EEEvPT0_PKT_S7_iiiPKb
	.p2align	8
	.type	_ZN12_GLOBAL__N_121softmax_warp_backwardIfN3c108BFloat16EfLi4ELb0ELb0ELi32EEEvPT0_PKT_S7_iiiPKb,@function
_ZN12_GLOBAL__N_121softmax_warp_backwardIfN3c108BFloat16EfLi4ELb0ELb0ELi32EEEvPT0_PKT_S7_iiiPKb: ; @_ZN12_GLOBAL__N_121softmax_warp_backwardIfN3c108BFloat16EfLi4ELb0ELb0ELi32EEEvPT0_PKT_S7_iiiPKb
; %bb.0:
	s_load_dword s2, s[4:5], 0x3c
	s_load_dwordx4 s[8:11], s[4:5], 0x18
	s_load_dwordx4 s[12:15], s[4:5], 0x0
	s_load_dwordx2 s[0:1], s[4:5], 0x10
	v_bfe_u32 v1, v0, 10, 10
	s_waitcnt lgkmcnt(0)
	s_lshr_b32 s2, s2, 16
	s_mul_i32 s6, s6, s2
	v_add_lshl_u32 v1, s6, v1, 1
	v_and_b32_e32 v0, 15, v0
	v_mad_u64_u32 v[2:3], s[2:3], v1, s9, v[0:1]
	v_ashrrev_i32_e32 v3, 31, v2
	v_lshlrev_b64 v[6:7], 2, v[2:3]
	v_sub_u32_e32 v8, s8, v1
	v_mov_b32_e32 v1, s15
	v_add_co_u32_e32 v4, vcc, s14, v6
	v_addc_co_u32_e32 v5, vcc, v1, v7, vcc
	v_mov_b32_e32 v1, s1
	v_add_co_u32_e32 v6, vcc, s0, v6
	v_addc_co_u32_e32 v7, vcc, v1, v7, vcc
	v_cmp_gt_i32_e32 vcc, s10, v0
	v_cmp_lt_i32_e64 s[0:1], 0, v8
	s_and_b64 s[4:5], vcc, s[0:1]
	v_mov_b32_e32 v1, 0
	v_mov_b32_e32 v0, 0
	;; [unrolled: 1-line block ×3, first 2 shown]
	s_and_saveexec_b64 s[2:3], s[4:5]
	s_cbranch_execz .LBB651_2
; %bb.1:
	global_load_dword v0, v[4:5], off
	global_load_dword v9, v[6:7], off
.LBB651_2:
	s_or_b64 exec, exec, s[2:3]
	v_cmp_lt_i32_e64 s[2:3], 1, v8
	s_and_b64 s[2:3], vcc, s[2:3]
	s_mov_b32 s11, 0
	v_mov_b32_e32 v10, 0
	s_and_saveexec_b64 s[4:5], s[2:3]
	s_cbranch_execz .LBB651_4
; %bb.3:
	s_lshl_b64 s[6:7], s[10:11], 2
	v_mov_b32_e32 v10, s7
	v_add_co_u32_e64 v4, s[2:3], s6, v4
	v_addc_co_u32_e64 v5, s[2:3], v5, v10, s[2:3]
	global_load_dword v1, v[4:5], off
	v_add_co_u32_e64 v4, s[2:3], s6, v6
	v_addc_co_u32_e64 v5, s[2:3], v7, v10, s[2:3]
	global_load_dword v10, v[4:5], off
.LBB651_4:
	s_or_b64 exec, exec, s[4:5]
	v_mbcnt_lo_u32_b32 v6, -1, 0
	v_mbcnt_hi_u32_b32 v11, -1, v6
	v_and_b32_e32 v6, 0x70, v11
	v_add_u32_e32 v12, 16, v6
	v_xor_b32_e32 v6, 8, v11
	v_cmp_lt_i32_e64 s[2:3], v6, v12
	v_cndmask_b32_e64 v6, v11, v6, s[2:3]
	s_waitcnt vmcnt(1)
	v_pk_add_f32 v[4:5], v[0:1], 0 op_sel_hi:[1,0]
	v_lshlrev_b32_e32 v7, 2, v6
	ds_bpermute_b32 v6, v7, v4
	ds_bpermute_b32 v7, v7, v5
	v_xor_b32_e32 v13, 4, v11
	v_cmp_lt_i32_e64 s[2:3], v13, v12
	v_cndmask_b32_e64 v13, v11, v13, s[2:3]
	v_lshlrev_b32_e32 v13, 2, v13
	s_waitcnt lgkmcnt(0)
	v_pk_add_f32 v[4:5], v[4:5], v[6:7]
	ds_bpermute_b32 v6, v13, v4
	ds_bpermute_b32 v7, v13, v5
	v_xor_b32_e32 v13, 2, v11
	v_cmp_lt_i32_e64 s[2:3], v13, v12
	v_cndmask_b32_e64 v13, v11, v13, s[2:3]
	v_lshlrev_b32_e32 v13, 2, v13
	s_waitcnt lgkmcnt(0)
	v_pk_add_f32 v[4:5], v[4:5], v[6:7]
	;; [unrolled: 8-line block ×3, first 2 shown]
	ds_bpermute_b32 v6, v11, v4
	ds_bpermute_b32 v7, v11, v5
	s_and_saveexec_b64 s[2:3], s[0:1]
	s_cbranch_execz .LBB651_10
; %bb.5:
	v_lshlrev_b64 v[2:3], 1, v[2:3]
	v_mov_b32_e32 v11, s13
	v_add_co_u32_e64 v2, s[0:1], s12, v2
	v_addc_co_u32_e64 v3, s[0:1], v11, v3, s[0:1]
	s_waitcnt lgkmcnt(0)
	v_pk_add_f32 v[4:5], v[4:5], v[6:7]
	s_and_saveexec_b64 s[2:3], vcc
	s_cbranch_execz .LBB651_7
; %bb.6:
	s_waitcnt vmcnt(0)
	v_fma_f32 v0, -v4, v9, v0
	v_bfe_u32 v4, v0, 16, 1
	s_movk_i32 s0, 0x7fff
	v_add3_u32 v4, v0, v4, s0
	v_lshrrev_b32_e32 v4, 16, v4
	v_mov_b32_e32 v6, 0x7fc0
	v_cmp_o_f32_e64 s[0:1], v0, v0
	v_cndmask_b32_e64 v0, v6, v4, s[0:1]
	global_store_short v[2:3], v0, off
.LBB651_7:
	s_or_b64 exec, exec, s[2:3]
	v_cmp_ne_u32_e64 s[0:1], 1, v8
	s_and_b64 exec, exec, s[0:1]
	s_cbranch_execz .LBB651_10
; %bb.8:
	s_and_b64 exec, exec, vcc
	s_cbranch_execz .LBB651_10
; %bb.9:
	s_waitcnt vmcnt(0)
	v_fma_f32 v0, -v5, v10, v1
	v_bfe_u32 v1, v0, 16, 1
	s_movk_i32 s0, 0x7fff
	v_add3_u32 v1, v0, v1, s0
	v_lshrrev_b32_e32 v1, 16, v1
	v_mov_b32_e32 v4, 0x7fc0
	v_cmp_o_f32_e32 vcc, v0, v0
	s_lshl_b64 s[0:1], s[10:11], 1
	v_cndmask_b32_e32 v4, v4, v1, vcc
	v_mov_b32_e32 v1, s1
	v_add_co_u32_e32 v0, vcc, s0, v2
	v_addc_co_u32_e32 v1, vcc, v3, v1, vcc
	global_store_short v[0:1], v4, off
.LBB651_10:
	s_endpgm
	.section	.rodata,"a",@progbits
	.p2align	6, 0x0
	.amdhsa_kernel _ZN12_GLOBAL__N_121softmax_warp_backwardIfN3c108BFloat16EfLi4ELb0ELb0ELi32EEEvPT0_PKT_S7_iiiPKb
		.amdhsa_group_segment_fixed_size 0
		.amdhsa_private_segment_fixed_size 0
		.amdhsa_kernarg_size 304
		.amdhsa_user_sgpr_count 6
		.amdhsa_user_sgpr_private_segment_buffer 1
		.amdhsa_user_sgpr_dispatch_ptr 0
		.amdhsa_user_sgpr_queue_ptr 0
		.amdhsa_user_sgpr_kernarg_segment_ptr 1
		.amdhsa_user_sgpr_dispatch_id 0
		.amdhsa_user_sgpr_flat_scratch_init 0
		.amdhsa_user_sgpr_kernarg_preload_length 0
		.amdhsa_user_sgpr_kernarg_preload_offset 0
		.amdhsa_user_sgpr_private_segment_size 0
		.amdhsa_uses_dynamic_stack 0
		.amdhsa_system_sgpr_private_segment_wavefront_offset 0
		.amdhsa_system_sgpr_workgroup_id_x 1
		.amdhsa_system_sgpr_workgroup_id_y 0
		.amdhsa_system_sgpr_workgroup_id_z 0
		.amdhsa_system_sgpr_workgroup_info 0
		.amdhsa_system_vgpr_workitem_id 1
		.amdhsa_next_free_vgpr 14
		.amdhsa_next_free_sgpr 16
		.amdhsa_accum_offset 16
		.amdhsa_reserve_vcc 1
		.amdhsa_reserve_flat_scratch 0
		.amdhsa_float_round_mode_32 0
		.amdhsa_float_round_mode_16_64 0
		.amdhsa_float_denorm_mode_32 3
		.amdhsa_float_denorm_mode_16_64 3
		.amdhsa_dx10_clamp 1
		.amdhsa_ieee_mode 1
		.amdhsa_fp16_overflow 0
		.amdhsa_tg_split 0
		.amdhsa_exception_fp_ieee_invalid_op 0
		.amdhsa_exception_fp_denorm_src 0
		.amdhsa_exception_fp_ieee_div_zero 0
		.amdhsa_exception_fp_ieee_overflow 0
		.amdhsa_exception_fp_ieee_underflow 0
		.amdhsa_exception_fp_ieee_inexact 0
		.amdhsa_exception_int_div_zero 0
	.end_amdhsa_kernel
	.section	.text._ZN12_GLOBAL__N_121softmax_warp_backwardIfN3c108BFloat16EfLi4ELb0ELb0ELi32EEEvPT0_PKT_S7_iiiPKb,"axG",@progbits,_ZN12_GLOBAL__N_121softmax_warp_backwardIfN3c108BFloat16EfLi4ELb0ELb0ELi32EEEvPT0_PKT_S7_iiiPKb,comdat
.Lfunc_end651:
	.size	_ZN12_GLOBAL__N_121softmax_warp_backwardIfN3c108BFloat16EfLi4ELb0ELb0ELi32EEEvPT0_PKT_S7_iiiPKb, .Lfunc_end651-_ZN12_GLOBAL__N_121softmax_warp_backwardIfN3c108BFloat16EfLi4ELb0ELb0ELi32EEEvPT0_PKT_S7_iiiPKb
                                        ; -- End function
	.section	.AMDGPU.csdata,"",@progbits
; Kernel info:
; codeLenInByte = 724
; NumSgprs: 20
; NumVgprs: 14
; NumAgprs: 0
; TotalNumVgprs: 14
; ScratchSize: 0
; MemoryBound: 0
; FloatMode: 240
; IeeeMode: 1
; LDSByteSize: 0 bytes/workgroup (compile time only)
; SGPRBlocks: 2
; VGPRBlocks: 1
; NumSGPRsForWavesPerEU: 20
; NumVGPRsForWavesPerEU: 14
; AccumOffset: 16
; Occupancy: 8
; WaveLimiterHint : 0
; COMPUTE_PGM_RSRC2:SCRATCH_EN: 0
; COMPUTE_PGM_RSRC2:USER_SGPR: 6
; COMPUTE_PGM_RSRC2:TRAP_HANDLER: 0
; COMPUTE_PGM_RSRC2:TGID_X_EN: 1
; COMPUTE_PGM_RSRC2:TGID_Y_EN: 0
; COMPUTE_PGM_RSRC2:TGID_Z_EN: 0
; COMPUTE_PGM_RSRC2:TIDIG_COMP_CNT: 1
; COMPUTE_PGM_RSRC3_GFX90A:ACCUM_OFFSET: 3
; COMPUTE_PGM_RSRC3_GFX90A:TG_SPLIT: 0
	.section	.text._ZN12_GLOBAL__N_121softmax_warp_backwardIfN3c108BFloat16EfLi5ELb0ELb0ELi64EEEvPT0_PKT_S7_iiiPKb,"axG",@progbits,_ZN12_GLOBAL__N_121softmax_warp_backwardIfN3c108BFloat16EfLi5ELb0ELb0ELi64EEEvPT0_PKT_S7_iiiPKb,comdat
	.globl	_ZN12_GLOBAL__N_121softmax_warp_backwardIfN3c108BFloat16EfLi5ELb0ELb0ELi64EEEvPT0_PKT_S7_iiiPKb ; -- Begin function _ZN12_GLOBAL__N_121softmax_warp_backwardIfN3c108BFloat16EfLi5ELb0ELb0ELi64EEEvPT0_PKT_S7_iiiPKb
	.p2align	8
	.type	_ZN12_GLOBAL__N_121softmax_warp_backwardIfN3c108BFloat16EfLi5ELb0ELb0ELi64EEEvPT0_PKT_S7_iiiPKb,@function
_ZN12_GLOBAL__N_121softmax_warp_backwardIfN3c108BFloat16EfLi5ELb0ELb0ELi64EEEvPT0_PKT_S7_iiiPKb: ; @_ZN12_GLOBAL__N_121softmax_warp_backwardIfN3c108BFloat16EfLi5ELb0ELb0ELi64EEEvPT0_PKT_S7_iiiPKb
; %bb.0:
	s_load_dword s2, s[4:5], 0x3c
	s_load_dwordx4 s[8:11], s[4:5], 0x18
	s_load_dwordx4 s[12:15], s[4:5], 0x0
	s_load_dwordx2 s[0:1], s[4:5], 0x10
	v_bfe_u32 v1, v0, 10, 10
	s_waitcnt lgkmcnt(0)
	s_lshr_b32 s2, s2, 16
	s_mul_i32 s6, s6, s2
	v_add_lshl_u32 v1, s6, v1, 1
	v_and_b32_e32 v0, 31, v0
	v_mad_u64_u32 v[2:3], s[2:3], v1, s9, v[0:1]
	v_ashrrev_i32_e32 v3, 31, v2
	v_lshlrev_b64 v[6:7], 2, v[2:3]
	v_sub_u32_e32 v8, s8, v1
	v_mov_b32_e32 v1, s15
	v_add_co_u32_e32 v4, vcc, s14, v6
	v_addc_co_u32_e32 v5, vcc, v1, v7, vcc
	v_mov_b32_e32 v1, s1
	v_add_co_u32_e32 v6, vcc, s0, v6
	v_addc_co_u32_e32 v7, vcc, v1, v7, vcc
	v_cmp_gt_i32_e32 vcc, s10, v0
	v_cmp_lt_i32_e64 s[0:1], 0, v8
	s_and_b64 s[4:5], vcc, s[0:1]
	v_mov_b32_e32 v1, 0
	v_mov_b32_e32 v0, 0
	;; [unrolled: 1-line block ×3, first 2 shown]
	s_and_saveexec_b64 s[2:3], s[4:5]
	s_cbranch_execz .LBB652_2
; %bb.1:
	global_load_dword v0, v[4:5], off
	global_load_dword v9, v[6:7], off
.LBB652_2:
	s_or_b64 exec, exec, s[2:3]
	v_cmp_lt_i32_e64 s[2:3], 1, v8
	s_and_b64 s[2:3], vcc, s[2:3]
	s_mov_b32 s11, 0
	v_mov_b32_e32 v10, 0
	s_and_saveexec_b64 s[4:5], s[2:3]
	s_cbranch_execz .LBB652_4
; %bb.3:
	s_lshl_b64 s[6:7], s[10:11], 2
	v_mov_b32_e32 v10, s7
	v_add_co_u32_e64 v4, s[2:3], s6, v4
	v_addc_co_u32_e64 v5, s[2:3], v5, v10, s[2:3]
	global_load_dword v1, v[4:5], off
	v_add_co_u32_e64 v4, s[2:3], s6, v6
	v_addc_co_u32_e64 v5, s[2:3], v7, v10, s[2:3]
	global_load_dword v10, v[4:5], off
.LBB652_4:
	s_or_b64 exec, exec, s[4:5]
	v_mbcnt_lo_u32_b32 v6, -1, 0
	v_mbcnt_hi_u32_b32 v11, -1, v6
	v_and_b32_e32 v6, 0x60, v11
	v_add_u32_e32 v12, 32, v6
	v_xor_b32_e32 v6, 16, v11
	v_cmp_lt_i32_e64 s[2:3], v6, v12
	v_cndmask_b32_e64 v6, v11, v6, s[2:3]
	s_waitcnt vmcnt(1)
	v_pk_add_f32 v[4:5], v[0:1], 0 op_sel_hi:[1,0]
	v_lshlrev_b32_e32 v7, 2, v6
	ds_bpermute_b32 v6, v7, v4
	ds_bpermute_b32 v7, v7, v5
	v_xor_b32_e32 v13, 8, v11
	v_cmp_lt_i32_e64 s[2:3], v13, v12
	v_cndmask_b32_e64 v13, v11, v13, s[2:3]
	v_lshlrev_b32_e32 v13, 2, v13
	s_waitcnt lgkmcnt(0)
	v_pk_add_f32 v[4:5], v[4:5], v[6:7]
	ds_bpermute_b32 v6, v13, v4
	ds_bpermute_b32 v7, v13, v5
	v_xor_b32_e32 v13, 4, v11
	v_cmp_lt_i32_e64 s[2:3], v13, v12
	v_cndmask_b32_e64 v13, v11, v13, s[2:3]
	v_lshlrev_b32_e32 v13, 2, v13
	s_waitcnt lgkmcnt(0)
	v_pk_add_f32 v[4:5], v[4:5], v[6:7]
	ds_bpermute_b32 v6, v13, v4
	ds_bpermute_b32 v7, v13, v5
	v_xor_b32_e32 v13, 2, v11
	v_cmp_lt_i32_e64 s[2:3], v13, v12
	v_cndmask_b32_e64 v13, v11, v13, s[2:3]
	v_lshlrev_b32_e32 v13, 2, v13
	s_waitcnt lgkmcnt(0)
	v_pk_add_f32 v[4:5], v[4:5], v[6:7]
	ds_bpermute_b32 v6, v13, v4
	ds_bpermute_b32 v7, v13, v5
	v_xor_b32_e32 v13, 1, v11
	v_cmp_lt_i32_e64 s[2:3], v13, v12
	v_cndmask_b32_e64 v11, v11, v13, s[2:3]
	v_lshlrev_b32_e32 v11, 2, v11
	s_waitcnt lgkmcnt(0)
	v_pk_add_f32 v[4:5], v[4:5], v[6:7]
	ds_bpermute_b32 v6, v11, v4
	ds_bpermute_b32 v7, v11, v5
	s_and_saveexec_b64 s[2:3], s[0:1]
	s_cbranch_execz .LBB652_10
; %bb.5:
	v_lshlrev_b64 v[2:3], 1, v[2:3]
	v_mov_b32_e32 v11, s13
	v_add_co_u32_e64 v2, s[0:1], s12, v2
	v_addc_co_u32_e64 v3, s[0:1], v11, v3, s[0:1]
	s_waitcnt lgkmcnt(0)
	v_pk_add_f32 v[4:5], v[4:5], v[6:7]
	s_and_saveexec_b64 s[2:3], vcc
	s_cbranch_execz .LBB652_7
; %bb.6:
	s_waitcnt vmcnt(0)
	v_fma_f32 v0, -v4, v9, v0
	v_bfe_u32 v4, v0, 16, 1
	s_movk_i32 s0, 0x7fff
	v_add3_u32 v4, v0, v4, s0
	v_lshrrev_b32_e32 v4, 16, v4
	v_mov_b32_e32 v6, 0x7fc0
	v_cmp_o_f32_e64 s[0:1], v0, v0
	v_cndmask_b32_e64 v0, v6, v4, s[0:1]
	global_store_short v[2:3], v0, off
.LBB652_7:
	s_or_b64 exec, exec, s[2:3]
	v_cmp_ne_u32_e64 s[0:1], 1, v8
	s_and_b64 exec, exec, s[0:1]
	s_cbranch_execz .LBB652_10
; %bb.8:
	s_and_b64 exec, exec, vcc
	s_cbranch_execz .LBB652_10
; %bb.9:
	s_waitcnt vmcnt(0)
	v_fma_f32 v0, -v5, v10, v1
	v_bfe_u32 v1, v0, 16, 1
	s_movk_i32 s0, 0x7fff
	v_add3_u32 v1, v0, v1, s0
	v_lshrrev_b32_e32 v1, 16, v1
	v_mov_b32_e32 v4, 0x7fc0
	v_cmp_o_f32_e32 vcc, v0, v0
	s_lshl_b64 s[0:1], s[10:11], 1
	v_cndmask_b32_e32 v4, v4, v1, vcc
	v_mov_b32_e32 v1, s1
	v_add_co_u32_e32 v0, vcc, s0, v2
	v_addc_co_u32_e32 v1, vcc, v3, v1, vcc
	global_store_short v[0:1], v4, off
.LBB652_10:
	s_endpgm
	.section	.rodata,"a",@progbits
	.p2align	6, 0x0
	.amdhsa_kernel _ZN12_GLOBAL__N_121softmax_warp_backwardIfN3c108BFloat16EfLi5ELb0ELb0ELi64EEEvPT0_PKT_S7_iiiPKb
		.amdhsa_group_segment_fixed_size 0
		.amdhsa_private_segment_fixed_size 0
		.amdhsa_kernarg_size 304
		.amdhsa_user_sgpr_count 6
		.amdhsa_user_sgpr_private_segment_buffer 1
		.amdhsa_user_sgpr_dispatch_ptr 0
		.amdhsa_user_sgpr_queue_ptr 0
		.amdhsa_user_sgpr_kernarg_segment_ptr 1
		.amdhsa_user_sgpr_dispatch_id 0
		.amdhsa_user_sgpr_flat_scratch_init 0
		.amdhsa_user_sgpr_kernarg_preload_length 0
		.amdhsa_user_sgpr_kernarg_preload_offset 0
		.amdhsa_user_sgpr_private_segment_size 0
		.amdhsa_uses_dynamic_stack 0
		.amdhsa_system_sgpr_private_segment_wavefront_offset 0
		.amdhsa_system_sgpr_workgroup_id_x 1
		.amdhsa_system_sgpr_workgroup_id_y 0
		.amdhsa_system_sgpr_workgroup_id_z 0
		.amdhsa_system_sgpr_workgroup_info 0
		.amdhsa_system_vgpr_workitem_id 1
		.amdhsa_next_free_vgpr 14
		.amdhsa_next_free_sgpr 16
		.amdhsa_accum_offset 16
		.amdhsa_reserve_vcc 1
		.amdhsa_reserve_flat_scratch 0
		.amdhsa_float_round_mode_32 0
		.amdhsa_float_round_mode_16_64 0
		.amdhsa_float_denorm_mode_32 3
		.amdhsa_float_denorm_mode_16_64 3
		.amdhsa_dx10_clamp 1
		.amdhsa_ieee_mode 1
		.amdhsa_fp16_overflow 0
		.amdhsa_tg_split 0
		.amdhsa_exception_fp_ieee_invalid_op 0
		.amdhsa_exception_fp_denorm_src 0
		.amdhsa_exception_fp_ieee_div_zero 0
		.amdhsa_exception_fp_ieee_overflow 0
		.amdhsa_exception_fp_ieee_underflow 0
		.amdhsa_exception_fp_ieee_inexact 0
		.amdhsa_exception_int_div_zero 0
	.end_amdhsa_kernel
	.section	.text._ZN12_GLOBAL__N_121softmax_warp_backwardIfN3c108BFloat16EfLi5ELb0ELb0ELi64EEEvPT0_PKT_S7_iiiPKb,"axG",@progbits,_ZN12_GLOBAL__N_121softmax_warp_backwardIfN3c108BFloat16EfLi5ELb0ELb0ELi64EEEvPT0_PKT_S7_iiiPKb,comdat
.Lfunc_end652:
	.size	_ZN12_GLOBAL__N_121softmax_warp_backwardIfN3c108BFloat16EfLi5ELb0ELb0ELi64EEEvPT0_PKT_S7_iiiPKb, .Lfunc_end652-_ZN12_GLOBAL__N_121softmax_warp_backwardIfN3c108BFloat16EfLi5ELb0ELb0ELi64EEEvPT0_PKT_S7_iiiPKb
                                        ; -- End function
	.section	.AMDGPU.csdata,"",@progbits
; Kernel info:
; codeLenInByte = 776
; NumSgprs: 20
; NumVgprs: 14
; NumAgprs: 0
; TotalNumVgprs: 14
; ScratchSize: 0
; MemoryBound: 0
; FloatMode: 240
; IeeeMode: 1
; LDSByteSize: 0 bytes/workgroup (compile time only)
; SGPRBlocks: 2
; VGPRBlocks: 1
; NumSGPRsForWavesPerEU: 20
; NumVGPRsForWavesPerEU: 14
; AccumOffset: 16
; Occupancy: 8
; WaveLimiterHint : 0
; COMPUTE_PGM_RSRC2:SCRATCH_EN: 0
; COMPUTE_PGM_RSRC2:USER_SGPR: 6
; COMPUTE_PGM_RSRC2:TRAP_HANDLER: 0
; COMPUTE_PGM_RSRC2:TGID_X_EN: 1
; COMPUTE_PGM_RSRC2:TGID_Y_EN: 0
; COMPUTE_PGM_RSRC2:TGID_Z_EN: 0
; COMPUTE_PGM_RSRC2:TIDIG_COMP_CNT: 1
; COMPUTE_PGM_RSRC3_GFX90A:ACCUM_OFFSET: 3
; COMPUTE_PGM_RSRC3_GFX90A:TG_SPLIT: 0
	.section	.text._ZN12_GLOBAL__N_121softmax_warp_backwardIfN3c108BFloat16EfLi5ELb0ELb0ELi32EEEvPT0_PKT_S7_iiiPKb,"axG",@progbits,_ZN12_GLOBAL__N_121softmax_warp_backwardIfN3c108BFloat16EfLi5ELb0ELb0ELi32EEEvPT0_PKT_S7_iiiPKb,comdat
	.globl	_ZN12_GLOBAL__N_121softmax_warp_backwardIfN3c108BFloat16EfLi5ELb0ELb0ELi32EEEvPT0_PKT_S7_iiiPKb ; -- Begin function _ZN12_GLOBAL__N_121softmax_warp_backwardIfN3c108BFloat16EfLi5ELb0ELb0ELi32EEEvPT0_PKT_S7_iiiPKb
	.p2align	8
	.type	_ZN12_GLOBAL__N_121softmax_warp_backwardIfN3c108BFloat16EfLi5ELb0ELb0ELi32EEEvPT0_PKT_S7_iiiPKb,@function
_ZN12_GLOBAL__N_121softmax_warp_backwardIfN3c108BFloat16EfLi5ELb0ELb0ELi32EEEvPT0_PKT_S7_iiiPKb: ; @_ZN12_GLOBAL__N_121softmax_warp_backwardIfN3c108BFloat16EfLi5ELb0ELb0ELi32EEEvPT0_PKT_S7_iiiPKb
; %bb.0:
	s_load_dword s2, s[4:5], 0x3c
	s_load_dwordx4 s[8:11], s[4:5], 0x18
	s_load_dwordx4 s[12:15], s[4:5], 0x0
	s_load_dwordx2 s[0:1], s[4:5], 0x10
	v_bfe_u32 v1, v0, 10, 10
	s_waitcnt lgkmcnt(0)
	s_lshr_b32 s2, s2, 16
	s_mul_i32 s6, s6, s2
	v_add_lshl_u32 v1, s6, v1, 1
	v_and_b32_e32 v0, 31, v0
	v_mad_u64_u32 v[2:3], s[2:3], v1, s9, v[0:1]
	v_ashrrev_i32_e32 v3, 31, v2
	v_lshlrev_b64 v[6:7], 2, v[2:3]
	v_sub_u32_e32 v8, s8, v1
	v_mov_b32_e32 v1, s15
	v_add_co_u32_e32 v4, vcc, s14, v6
	v_addc_co_u32_e32 v5, vcc, v1, v7, vcc
	v_mov_b32_e32 v1, s1
	v_add_co_u32_e32 v6, vcc, s0, v6
	v_addc_co_u32_e32 v7, vcc, v1, v7, vcc
	v_cmp_gt_i32_e32 vcc, s10, v0
	v_cmp_lt_i32_e64 s[0:1], 0, v8
	s_and_b64 s[4:5], vcc, s[0:1]
	v_mov_b32_e32 v1, 0
	v_mov_b32_e32 v0, 0
	;; [unrolled: 1-line block ×3, first 2 shown]
	s_and_saveexec_b64 s[2:3], s[4:5]
	s_cbranch_execz .LBB653_2
; %bb.1:
	global_load_dword v0, v[4:5], off
	global_load_dword v9, v[6:7], off
.LBB653_2:
	s_or_b64 exec, exec, s[2:3]
	v_cmp_lt_i32_e64 s[2:3], 1, v8
	s_and_b64 s[2:3], vcc, s[2:3]
	s_mov_b32 s11, 0
	v_mov_b32_e32 v10, 0
	s_and_saveexec_b64 s[4:5], s[2:3]
	s_cbranch_execz .LBB653_4
; %bb.3:
	s_lshl_b64 s[6:7], s[10:11], 2
	v_mov_b32_e32 v10, s7
	v_add_co_u32_e64 v4, s[2:3], s6, v4
	v_addc_co_u32_e64 v5, s[2:3], v5, v10, s[2:3]
	global_load_dword v1, v[4:5], off
	v_add_co_u32_e64 v4, s[2:3], s6, v6
	v_addc_co_u32_e64 v5, s[2:3], v7, v10, s[2:3]
	global_load_dword v10, v[4:5], off
.LBB653_4:
	s_or_b64 exec, exec, s[4:5]
	v_mbcnt_lo_u32_b32 v6, -1, 0
	v_mbcnt_hi_u32_b32 v11, -1, v6
	v_and_b32_e32 v6, 0x60, v11
	v_add_u32_e32 v12, 32, v6
	v_xor_b32_e32 v6, 16, v11
	v_cmp_lt_i32_e64 s[2:3], v6, v12
	v_cndmask_b32_e64 v6, v11, v6, s[2:3]
	s_waitcnt vmcnt(1)
	v_pk_add_f32 v[4:5], v[0:1], 0 op_sel_hi:[1,0]
	v_lshlrev_b32_e32 v7, 2, v6
	ds_bpermute_b32 v6, v7, v4
	ds_bpermute_b32 v7, v7, v5
	v_xor_b32_e32 v13, 8, v11
	v_cmp_lt_i32_e64 s[2:3], v13, v12
	v_cndmask_b32_e64 v13, v11, v13, s[2:3]
	v_lshlrev_b32_e32 v13, 2, v13
	s_waitcnt lgkmcnt(0)
	v_pk_add_f32 v[4:5], v[4:5], v[6:7]
	ds_bpermute_b32 v6, v13, v4
	ds_bpermute_b32 v7, v13, v5
	v_xor_b32_e32 v13, 4, v11
	v_cmp_lt_i32_e64 s[2:3], v13, v12
	v_cndmask_b32_e64 v13, v11, v13, s[2:3]
	v_lshlrev_b32_e32 v13, 2, v13
	s_waitcnt lgkmcnt(0)
	v_pk_add_f32 v[4:5], v[4:5], v[6:7]
	;; [unrolled: 8-line block ×4, first 2 shown]
	ds_bpermute_b32 v6, v11, v4
	ds_bpermute_b32 v7, v11, v5
	s_and_saveexec_b64 s[2:3], s[0:1]
	s_cbranch_execz .LBB653_10
; %bb.5:
	v_lshlrev_b64 v[2:3], 1, v[2:3]
	v_mov_b32_e32 v11, s13
	v_add_co_u32_e64 v2, s[0:1], s12, v2
	v_addc_co_u32_e64 v3, s[0:1], v11, v3, s[0:1]
	s_waitcnt lgkmcnt(0)
	v_pk_add_f32 v[4:5], v[4:5], v[6:7]
	s_and_saveexec_b64 s[2:3], vcc
	s_cbranch_execz .LBB653_7
; %bb.6:
	s_waitcnt vmcnt(0)
	v_fma_f32 v0, -v4, v9, v0
	v_bfe_u32 v4, v0, 16, 1
	s_movk_i32 s0, 0x7fff
	v_add3_u32 v4, v0, v4, s0
	v_lshrrev_b32_e32 v4, 16, v4
	v_mov_b32_e32 v6, 0x7fc0
	v_cmp_o_f32_e64 s[0:1], v0, v0
	v_cndmask_b32_e64 v0, v6, v4, s[0:1]
	global_store_short v[2:3], v0, off
.LBB653_7:
	s_or_b64 exec, exec, s[2:3]
	v_cmp_ne_u32_e64 s[0:1], 1, v8
	s_and_b64 exec, exec, s[0:1]
	s_cbranch_execz .LBB653_10
; %bb.8:
	s_and_b64 exec, exec, vcc
	s_cbranch_execz .LBB653_10
; %bb.9:
	s_waitcnt vmcnt(0)
	v_fma_f32 v0, -v5, v10, v1
	v_bfe_u32 v1, v0, 16, 1
	s_movk_i32 s0, 0x7fff
	v_add3_u32 v1, v0, v1, s0
	v_lshrrev_b32_e32 v1, 16, v1
	v_mov_b32_e32 v4, 0x7fc0
	v_cmp_o_f32_e32 vcc, v0, v0
	s_lshl_b64 s[0:1], s[10:11], 1
	v_cndmask_b32_e32 v4, v4, v1, vcc
	v_mov_b32_e32 v1, s1
	v_add_co_u32_e32 v0, vcc, s0, v2
	v_addc_co_u32_e32 v1, vcc, v3, v1, vcc
	global_store_short v[0:1], v4, off
.LBB653_10:
	s_endpgm
	.section	.rodata,"a",@progbits
	.p2align	6, 0x0
	.amdhsa_kernel _ZN12_GLOBAL__N_121softmax_warp_backwardIfN3c108BFloat16EfLi5ELb0ELb0ELi32EEEvPT0_PKT_S7_iiiPKb
		.amdhsa_group_segment_fixed_size 0
		.amdhsa_private_segment_fixed_size 0
		.amdhsa_kernarg_size 304
		.amdhsa_user_sgpr_count 6
		.amdhsa_user_sgpr_private_segment_buffer 1
		.amdhsa_user_sgpr_dispatch_ptr 0
		.amdhsa_user_sgpr_queue_ptr 0
		.amdhsa_user_sgpr_kernarg_segment_ptr 1
		.amdhsa_user_sgpr_dispatch_id 0
		.amdhsa_user_sgpr_flat_scratch_init 0
		.amdhsa_user_sgpr_kernarg_preload_length 0
		.amdhsa_user_sgpr_kernarg_preload_offset 0
		.amdhsa_user_sgpr_private_segment_size 0
		.amdhsa_uses_dynamic_stack 0
		.amdhsa_system_sgpr_private_segment_wavefront_offset 0
		.amdhsa_system_sgpr_workgroup_id_x 1
		.amdhsa_system_sgpr_workgroup_id_y 0
		.amdhsa_system_sgpr_workgroup_id_z 0
		.amdhsa_system_sgpr_workgroup_info 0
		.amdhsa_system_vgpr_workitem_id 1
		.amdhsa_next_free_vgpr 14
		.amdhsa_next_free_sgpr 16
		.amdhsa_accum_offset 16
		.amdhsa_reserve_vcc 1
		.amdhsa_reserve_flat_scratch 0
		.amdhsa_float_round_mode_32 0
		.amdhsa_float_round_mode_16_64 0
		.amdhsa_float_denorm_mode_32 3
		.amdhsa_float_denorm_mode_16_64 3
		.amdhsa_dx10_clamp 1
		.amdhsa_ieee_mode 1
		.amdhsa_fp16_overflow 0
		.amdhsa_tg_split 0
		.amdhsa_exception_fp_ieee_invalid_op 0
		.amdhsa_exception_fp_denorm_src 0
		.amdhsa_exception_fp_ieee_div_zero 0
		.amdhsa_exception_fp_ieee_overflow 0
		.amdhsa_exception_fp_ieee_underflow 0
		.amdhsa_exception_fp_ieee_inexact 0
		.amdhsa_exception_int_div_zero 0
	.end_amdhsa_kernel
	.section	.text._ZN12_GLOBAL__N_121softmax_warp_backwardIfN3c108BFloat16EfLi5ELb0ELb0ELi32EEEvPT0_PKT_S7_iiiPKb,"axG",@progbits,_ZN12_GLOBAL__N_121softmax_warp_backwardIfN3c108BFloat16EfLi5ELb0ELb0ELi32EEEvPT0_PKT_S7_iiiPKb,comdat
.Lfunc_end653:
	.size	_ZN12_GLOBAL__N_121softmax_warp_backwardIfN3c108BFloat16EfLi5ELb0ELb0ELi32EEEvPT0_PKT_S7_iiiPKb, .Lfunc_end653-_ZN12_GLOBAL__N_121softmax_warp_backwardIfN3c108BFloat16EfLi5ELb0ELb0ELi32EEEvPT0_PKT_S7_iiiPKb
                                        ; -- End function
	.section	.AMDGPU.csdata,"",@progbits
; Kernel info:
; codeLenInByte = 776
; NumSgprs: 20
; NumVgprs: 14
; NumAgprs: 0
; TotalNumVgprs: 14
; ScratchSize: 0
; MemoryBound: 0
; FloatMode: 240
; IeeeMode: 1
; LDSByteSize: 0 bytes/workgroup (compile time only)
; SGPRBlocks: 2
; VGPRBlocks: 1
; NumSGPRsForWavesPerEU: 20
; NumVGPRsForWavesPerEU: 14
; AccumOffset: 16
; Occupancy: 8
; WaveLimiterHint : 0
; COMPUTE_PGM_RSRC2:SCRATCH_EN: 0
; COMPUTE_PGM_RSRC2:USER_SGPR: 6
; COMPUTE_PGM_RSRC2:TRAP_HANDLER: 0
; COMPUTE_PGM_RSRC2:TGID_X_EN: 1
; COMPUTE_PGM_RSRC2:TGID_Y_EN: 0
; COMPUTE_PGM_RSRC2:TGID_Z_EN: 0
; COMPUTE_PGM_RSRC2:TIDIG_COMP_CNT: 1
; COMPUTE_PGM_RSRC3_GFX90A:ACCUM_OFFSET: 3
; COMPUTE_PGM_RSRC3_GFX90A:TG_SPLIT: 0
	.section	.text._ZN12_GLOBAL__N_121softmax_warp_backwardIfN3c108BFloat16EfLi6ELb0ELb0ELi64EEEvPT0_PKT_S7_iiiPKb,"axG",@progbits,_ZN12_GLOBAL__N_121softmax_warp_backwardIfN3c108BFloat16EfLi6ELb0ELb0ELi64EEEvPT0_PKT_S7_iiiPKb,comdat
	.globl	_ZN12_GLOBAL__N_121softmax_warp_backwardIfN3c108BFloat16EfLi6ELb0ELb0ELi64EEEvPT0_PKT_S7_iiiPKb ; -- Begin function _ZN12_GLOBAL__N_121softmax_warp_backwardIfN3c108BFloat16EfLi6ELb0ELb0ELi64EEEvPT0_PKT_S7_iiiPKb
	.p2align	8
	.type	_ZN12_GLOBAL__N_121softmax_warp_backwardIfN3c108BFloat16EfLi6ELb0ELb0ELi64EEEvPT0_PKT_S7_iiiPKb,@function
_ZN12_GLOBAL__N_121softmax_warp_backwardIfN3c108BFloat16EfLi6ELb0ELb0ELi64EEEvPT0_PKT_S7_iiiPKb: ; @_ZN12_GLOBAL__N_121softmax_warp_backwardIfN3c108BFloat16EfLi6ELb0ELb0ELi64EEEvPT0_PKT_S7_iiiPKb
; %bb.0:
	s_load_dword s2, s[4:5], 0x3c
	s_load_dwordx4 s[8:11], s[4:5], 0x18
	s_load_dwordx4 s[12:15], s[4:5], 0x0
	s_load_dwordx2 s[0:1], s[4:5], 0x10
	v_bfe_u32 v1, v0, 10, 10
	s_waitcnt lgkmcnt(0)
	s_lshr_b32 s2, s2, 16
	s_mul_i32 s6, s6, s2
	v_add_lshl_u32 v1, s6, v1, 1
	v_and_b32_e32 v0, 63, v0
	v_mad_u64_u32 v[2:3], s[2:3], v1, s9, v[0:1]
	v_ashrrev_i32_e32 v3, 31, v2
	v_lshlrev_b64 v[6:7], 2, v[2:3]
	v_sub_u32_e32 v8, s8, v1
	v_mov_b32_e32 v1, s15
	v_add_co_u32_e32 v4, vcc, s14, v6
	v_addc_co_u32_e32 v5, vcc, v1, v7, vcc
	v_mov_b32_e32 v1, s1
	v_add_co_u32_e32 v6, vcc, s0, v6
	v_addc_co_u32_e32 v7, vcc, v1, v7, vcc
	v_cmp_gt_i32_e32 vcc, s10, v0
	v_cmp_lt_i32_e64 s[0:1], 0, v8
	s_and_b64 s[4:5], vcc, s[0:1]
	v_mov_b32_e32 v1, 0
	v_mov_b32_e32 v0, 0
	;; [unrolled: 1-line block ×3, first 2 shown]
	s_and_saveexec_b64 s[2:3], s[4:5]
	s_cbranch_execz .LBB654_2
; %bb.1:
	global_load_dword v0, v[4:5], off
	global_load_dword v9, v[6:7], off
.LBB654_2:
	s_or_b64 exec, exec, s[2:3]
	v_cmp_lt_i32_e64 s[2:3], 1, v8
	s_and_b64 s[2:3], vcc, s[2:3]
	s_mov_b32 s11, 0
	v_mov_b32_e32 v10, 0
	s_and_saveexec_b64 s[4:5], s[2:3]
	s_cbranch_execz .LBB654_4
; %bb.3:
	s_lshl_b64 s[6:7], s[10:11], 2
	v_mov_b32_e32 v10, s7
	v_add_co_u32_e64 v4, s[2:3], s6, v4
	v_addc_co_u32_e64 v5, s[2:3], v5, v10, s[2:3]
	global_load_dword v1, v[4:5], off
	v_add_co_u32_e64 v4, s[2:3], s6, v6
	v_addc_co_u32_e64 v5, s[2:3], v7, v10, s[2:3]
	global_load_dword v10, v[4:5], off
.LBB654_4:
	s_or_b64 exec, exec, s[4:5]
	v_mbcnt_lo_u32_b32 v6, -1, 0
	v_mbcnt_hi_u32_b32 v11, -1, v6
	v_and_b32_e32 v6, 64, v11
	v_add_u32_e32 v12, 64, v6
	v_xor_b32_e32 v6, 32, v11
	v_cmp_lt_i32_e64 s[2:3], v6, v12
	v_cndmask_b32_e64 v6, v11, v6, s[2:3]
	s_waitcnt vmcnt(1)
	v_pk_add_f32 v[4:5], v[0:1], 0 op_sel_hi:[1,0]
	v_lshlrev_b32_e32 v7, 2, v6
	ds_bpermute_b32 v6, v7, v4
	ds_bpermute_b32 v7, v7, v5
	v_xor_b32_e32 v13, 16, v11
	v_cmp_lt_i32_e64 s[2:3], v13, v12
	v_cndmask_b32_e64 v13, v11, v13, s[2:3]
	v_lshlrev_b32_e32 v13, 2, v13
	s_waitcnt lgkmcnt(0)
	v_pk_add_f32 v[4:5], v[4:5], v[6:7]
	ds_bpermute_b32 v6, v13, v4
	ds_bpermute_b32 v7, v13, v5
	v_xor_b32_e32 v13, 8, v11
	v_cmp_lt_i32_e64 s[2:3], v13, v12
	v_cndmask_b32_e64 v13, v11, v13, s[2:3]
	v_lshlrev_b32_e32 v13, 2, v13
	s_waitcnt lgkmcnt(0)
	v_pk_add_f32 v[4:5], v[4:5], v[6:7]
	;; [unrolled: 8-line block ×5, first 2 shown]
	ds_bpermute_b32 v6, v11, v4
	ds_bpermute_b32 v7, v11, v5
	s_and_saveexec_b64 s[2:3], s[0:1]
	s_cbranch_execz .LBB654_10
; %bb.5:
	v_lshlrev_b64 v[2:3], 1, v[2:3]
	v_mov_b32_e32 v11, s13
	v_add_co_u32_e64 v2, s[0:1], s12, v2
	v_addc_co_u32_e64 v3, s[0:1], v11, v3, s[0:1]
	s_waitcnt lgkmcnt(0)
	v_pk_add_f32 v[4:5], v[4:5], v[6:7]
	s_and_saveexec_b64 s[2:3], vcc
	s_cbranch_execz .LBB654_7
; %bb.6:
	s_waitcnt vmcnt(0)
	v_fma_f32 v0, -v4, v9, v0
	v_bfe_u32 v4, v0, 16, 1
	s_movk_i32 s0, 0x7fff
	v_add3_u32 v4, v0, v4, s0
	v_lshrrev_b32_e32 v4, 16, v4
	v_mov_b32_e32 v6, 0x7fc0
	v_cmp_o_f32_e64 s[0:1], v0, v0
	v_cndmask_b32_e64 v0, v6, v4, s[0:1]
	global_store_short v[2:3], v0, off
.LBB654_7:
	s_or_b64 exec, exec, s[2:3]
	v_cmp_ne_u32_e64 s[0:1], 1, v8
	s_and_b64 exec, exec, s[0:1]
	s_cbranch_execz .LBB654_10
; %bb.8:
	s_and_b64 exec, exec, vcc
	s_cbranch_execz .LBB654_10
; %bb.9:
	s_waitcnt vmcnt(0)
	v_fma_f32 v0, -v5, v10, v1
	v_bfe_u32 v1, v0, 16, 1
	s_movk_i32 s0, 0x7fff
	v_add3_u32 v1, v0, v1, s0
	v_lshrrev_b32_e32 v1, 16, v1
	v_mov_b32_e32 v4, 0x7fc0
	v_cmp_o_f32_e32 vcc, v0, v0
	s_lshl_b64 s[0:1], s[10:11], 1
	v_cndmask_b32_e32 v4, v4, v1, vcc
	v_mov_b32_e32 v1, s1
	v_add_co_u32_e32 v0, vcc, s0, v2
	v_addc_co_u32_e32 v1, vcc, v3, v1, vcc
	global_store_short v[0:1], v4, off
.LBB654_10:
	s_endpgm
	.section	.rodata,"a",@progbits
	.p2align	6, 0x0
	.amdhsa_kernel _ZN12_GLOBAL__N_121softmax_warp_backwardIfN3c108BFloat16EfLi6ELb0ELb0ELi64EEEvPT0_PKT_S7_iiiPKb
		.amdhsa_group_segment_fixed_size 0
		.amdhsa_private_segment_fixed_size 0
		.amdhsa_kernarg_size 304
		.amdhsa_user_sgpr_count 6
		.amdhsa_user_sgpr_private_segment_buffer 1
		.amdhsa_user_sgpr_dispatch_ptr 0
		.amdhsa_user_sgpr_queue_ptr 0
		.amdhsa_user_sgpr_kernarg_segment_ptr 1
		.amdhsa_user_sgpr_dispatch_id 0
		.amdhsa_user_sgpr_flat_scratch_init 0
		.amdhsa_user_sgpr_kernarg_preload_length 0
		.amdhsa_user_sgpr_kernarg_preload_offset 0
		.amdhsa_user_sgpr_private_segment_size 0
		.amdhsa_uses_dynamic_stack 0
		.amdhsa_system_sgpr_private_segment_wavefront_offset 0
		.amdhsa_system_sgpr_workgroup_id_x 1
		.amdhsa_system_sgpr_workgroup_id_y 0
		.amdhsa_system_sgpr_workgroup_id_z 0
		.amdhsa_system_sgpr_workgroup_info 0
		.amdhsa_system_vgpr_workitem_id 1
		.amdhsa_next_free_vgpr 14
		.amdhsa_next_free_sgpr 16
		.amdhsa_accum_offset 16
		.amdhsa_reserve_vcc 1
		.amdhsa_reserve_flat_scratch 0
		.amdhsa_float_round_mode_32 0
		.amdhsa_float_round_mode_16_64 0
		.amdhsa_float_denorm_mode_32 3
		.amdhsa_float_denorm_mode_16_64 3
		.amdhsa_dx10_clamp 1
		.amdhsa_ieee_mode 1
		.amdhsa_fp16_overflow 0
		.amdhsa_tg_split 0
		.amdhsa_exception_fp_ieee_invalid_op 0
		.amdhsa_exception_fp_denorm_src 0
		.amdhsa_exception_fp_ieee_div_zero 0
		.amdhsa_exception_fp_ieee_overflow 0
		.amdhsa_exception_fp_ieee_underflow 0
		.amdhsa_exception_fp_ieee_inexact 0
		.amdhsa_exception_int_div_zero 0
	.end_amdhsa_kernel
	.section	.text._ZN12_GLOBAL__N_121softmax_warp_backwardIfN3c108BFloat16EfLi6ELb0ELb0ELi64EEEvPT0_PKT_S7_iiiPKb,"axG",@progbits,_ZN12_GLOBAL__N_121softmax_warp_backwardIfN3c108BFloat16EfLi6ELb0ELb0ELi64EEEvPT0_PKT_S7_iiiPKb,comdat
.Lfunc_end654:
	.size	_ZN12_GLOBAL__N_121softmax_warp_backwardIfN3c108BFloat16EfLi6ELb0ELb0ELi64EEEvPT0_PKT_S7_iiiPKb, .Lfunc_end654-_ZN12_GLOBAL__N_121softmax_warp_backwardIfN3c108BFloat16EfLi6ELb0ELb0ELi64EEEvPT0_PKT_S7_iiiPKb
                                        ; -- End function
	.section	.AMDGPU.csdata,"",@progbits
; Kernel info:
; codeLenInByte = 824
; NumSgprs: 20
; NumVgprs: 14
; NumAgprs: 0
; TotalNumVgprs: 14
; ScratchSize: 0
; MemoryBound: 0
; FloatMode: 240
; IeeeMode: 1
; LDSByteSize: 0 bytes/workgroup (compile time only)
; SGPRBlocks: 2
; VGPRBlocks: 1
; NumSGPRsForWavesPerEU: 20
; NumVGPRsForWavesPerEU: 14
; AccumOffset: 16
; Occupancy: 8
; WaveLimiterHint : 0
; COMPUTE_PGM_RSRC2:SCRATCH_EN: 0
; COMPUTE_PGM_RSRC2:USER_SGPR: 6
; COMPUTE_PGM_RSRC2:TRAP_HANDLER: 0
; COMPUTE_PGM_RSRC2:TGID_X_EN: 1
; COMPUTE_PGM_RSRC2:TGID_Y_EN: 0
; COMPUTE_PGM_RSRC2:TGID_Z_EN: 0
; COMPUTE_PGM_RSRC2:TIDIG_COMP_CNT: 1
; COMPUTE_PGM_RSRC3_GFX90A:ACCUM_OFFSET: 3
; COMPUTE_PGM_RSRC3_GFX90A:TG_SPLIT: 0
	.section	.text._ZN12_GLOBAL__N_121softmax_warp_backwardIfN3c108BFloat16EfLi6ELb0ELb0ELi32EEEvPT0_PKT_S7_iiiPKb,"axG",@progbits,_ZN12_GLOBAL__N_121softmax_warp_backwardIfN3c108BFloat16EfLi6ELb0ELb0ELi32EEEvPT0_PKT_S7_iiiPKb,comdat
	.globl	_ZN12_GLOBAL__N_121softmax_warp_backwardIfN3c108BFloat16EfLi6ELb0ELb0ELi32EEEvPT0_PKT_S7_iiiPKb ; -- Begin function _ZN12_GLOBAL__N_121softmax_warp_backwardIfN3c108BFloat16EfLi6ELb0ELb0ELi32EEEvPT0_PKT_S7_iiiPKb
	.p2align	8
	.type	_ZN12_GLOBAL__N_121softmax_warp_backwardIfN3c108BFloat16EfLi6ELb0ELb0ELi32EEEvPT0_PKT_S7_iiiPKb,@function
_ZN12_GLOBAL__N_121softmax_warp_backwardIfN3c108BFloat16EfLi6ELb0ELb0ELi32EEEvPT0_PKT_S7_iiiPKb: ; @_ZN12_GLOBAL__N_121softmax_warp_backwardIfN3c108BFloat16EfLi6ELb0ELb0ELi32EEEvPT0_PKT_S7_iiiPKb
; %bb.0:
	s_load_dword s2, s[4:5], 0x3c
	s_load_dwordx4 s[8:11], s[4:5], 0x18
	s_load_dwordx4 s[12:15], s[4:5], 0x0
	s_load_dwordx2 s[0:1], s[4:5], 0x10
	v_bfe_u32 v1, v0, 10, 10
	s_waitcnt lgkmcnt(0)
	s_lshr_b32 s2, s2, 16
	s_mul_i32 s6, s6, s2
	v_add_lshl_u32 v1, s6, v1, 1
	v_sub_u32_e32 v11, s8, v1
	v_and_b32_e32 v10, 31, v0
	v_mad_u64_u32 v[4:5], s[2:3], v1, s9, v[10:11]
	v_ashrrev_i32_e32 v5, 31, v4
	v_lshlrev_b64 v[0:1], 2, v[4:5]
	v_mov_b32_e32 v2, s15
	v_add_co_u32_e32 v6, vcc, s14, v0
	v_addc_co_u32_e32 v7, vcc, v2, v1, vcc
	v_mov_b32_e32 v2, s1
	v_add_co_u32_e32 v8, vcc, s0, v0
	v_cmp_lt_i32_e64 s[2:3], 0, v11
	v_cmp_gt_i32_e64 s[0:1], s10, v10
	v_addc_co_u32_e32 v9, vcc, v2, v1, vcc
	s_and_b64 s[6:7], s[2:3], s[0:1]
	v_mov_b32_e32 v0, 0
	v_mov_b32_e32 v2, 0
	;; [unrolled: 1-line block ×3, first 2 shown]
	s_and_saveexec_b64 s[4:5], s[6:7]
	s_cbranch_execz .LBB655_2
; %bb.1:
	global_load_dword v2, v[6:7], off
	global_load_dword v12, v[8:9], off
.LBB655_2:
	s_or_b64 exec, exec, s[4:5]
	v_or_b32_e32 v1, 32, v10
	v_cmp_gt_i32_e32 vcc, s10, v1
	s_and_b64 s[6:7], s[2:3], vcc
	v_mov_b32_e32 v10, 0
	s_and_saveexec_b64 s[4:5], s[6:7]
	s_cbranch_execz .LBB655_4
; %bb.3:
	global_load_dword v0, v[6:7], off offset:128
	global_load_dword v10, v[8:9], off offset:128
.LBB655_4:
	s_or_b64 exec, exec, s[4:5]
	v_cmp_lt_i32_e64 s[4:5], 1, v11
	s_and_b64 s[6:7], s[4:5], s[0:1]
	s_mov_b32 s11, 0
	v_mov_b32_e32 v1, 0
	v_mov_b32_e32 v3, 0
	;; [unrolled: 1-line block ×3, first 2 shown]
	s_and_saveexec_b64 s[8:9], s[6:7]
	s_cbranch_execz .LBB655_6
; %bb.5:
	s_lshl_b64 s[14:15], s[10:11], 2
	v_mov_b32_e32 v13, s15
	v_add_co_u32_e64 v14, s[6:7], s14, v6
	v_addc_co_u32_e64 v15, s[6:7], v7, v13, s[6:7]
	global_load_dword v3, v[14:15], off
	v_add_co_u32_e64 v14, s[6:7], s14, v8
	v_addc_co_u32_e64 v15, s[6:7], v9, v13, s[6:7]
	global_load_dword v13, v[14:15], off
.LBB655_6:
	s_or_b64 exec, exec, s[8:9]
	s_and_b64 s[4:5], s[4:5], vcc
	v_mov_b32_e32 v14, 0
	s_and_saveexec_b64 s[6:7], s[4:5]
	s_cbranch_execz .LBB655_8
; %bb.7:
	s_lshl_b64 s[8:9], s[10:11], 2
	v_mov_b32_e32 v14, s9
	v_add_co_u32_e64 v6, s[4:5], s8, v6
	v_addc_co_u32_e64 v7, s[4:5], v7, v14, s[4:5]
	global_load_dword v1, v[6:7], off offset:128
	v_add_co_u32_e64 v6, s[4:5], s8, v8
	v_addc_co_u32_e64 v7, s[4:5], v9, v14, s[4:5]
	global_load_dword v14, v[6:7], off offset:128
.LBB655_8:
	s_or_b64 exec, exec, s[6:7]
	v_mbcnt_lo_u32_b32 v8, -1, 0
	v_mbcnt_hi_u32_b32 v15, -1, v8
	v_and_b32_e32 v8, 0x60, v15
	v_add_u32_e32 v16, 32, v8
	v_xor_b32_e32 v8, 16, v15
	v_cmp_lt_i32_e64 s[4:5], v8, v16
	s_waitcnt vmcnt(1)
	v_pk_add_f32 v[6:7], v[2:3], 0 op_sel_hi:[1,0]
	v_cndmask_b32_e64 v8, v15, v8, s[4:5]
	v_lshlrev_b32_e32 v9, 2, v8
	v_pk_add_f32 v[6:7], v[6:7], v[0:1]
	ds_bpermute_b32 v8, v9, v6
	ds_bpermute_b32 v9, v9, v7
	v_xor_b32_e32 v17, 8, v15
	v_cmp_lt_i32_e64 s[4:5], v17, v16
	v_cndmask_b32_e64 v17, v15, v17, s[4:5]
	v_lshlrev_b32_e32 v17, 2, v17
	s_waitcnt lgkmcnt(0)
	v_pk_add_f32 v[6:7], v[6:7], v[8:9]
	ds_bpermute_b32 v8, v17, v6
	ds_bpermute_b32 v9, v17, v7
	v_xor_b32_e32 v17, 4, v15
	v_cmp_lt_i32_e64 s[4:5], v17, v16
	v_cndmask_b32_e64 v17, v15, v17, s[4:5]
	v_lshlrev_b32_e32 v17, 2, v17
	s_waitcnt lgkmcnt(0)
	;; [unrolled: 8-line block ×4, first 2 shown]
	v_pk_add_f32 v[6:7], v[6:7], v[8:9]
	ds_bpermute_b32 v8, v15, v6
	ds_bpermute_b32 v9, v15, v7
	s_and_saveexec_b64 s[4:5], s[2:3]
	s_cbranch_execz .LBB655_12
; %bb.9:
	v_lshlrev_b64 v[4:5], 1, v[4:5]
	v_mov_b32_e32 v15, s13
	v_add_co_u32_e64 v4, s[2:3], s12, v4
	v_addc_co_u32_e64 v5, s[2:3], v15, v5, s[2:3]
	s_waitcnt lgkmcnt(0)
	v_pk_add_f32 v[6:7], v[6:7], v[8:9]
	s_and_saveexec_b64 s[4:5], s[0:1]
	s_cbranch_execnz .LBB655_13
; %bb.10:
	s_or_b64 exec, exec, s[4:5]
	s_and_saveexec_b64 s[4:5], vcc
	s_cbranch_execnz .LBB655_14
.LBB655_11:
	s_or_b64 exec, exec, s[4:5]
	v_cmp_ne_u32_e64 s[2:3], 1, v11
	s_and_b64 exec, exec, s[2:3]
	s_cbranch_execnz .LBB655_15
.LBB655_12:
	s_endpgm
.LBB655_13:
	s_waitcnt vmcnt(0)
	v_fma_f32 v2, -v6, v12, v2
	v_bfe_u32 v8, v2, 16, 1
	s_movk_i32 s2, 0x7fff
	v_add3_u32 v8, v2, v8, s2
	v_lshrrev_b32_e32 v8, 16, v8
	v_mov_b32_e32 v9, 0x7fc0
	v_cmp_o_f32_e64 s[2:3], v2, v2
	v_cndmask_b32_e64 v2, v9, v8, s[2:3]
	global_store_short v[4:5], v2, off
	s_or_b64 exec, exec, s[4:5]
	s_and_saveexec_b64 s[4:5], vcc
	s_cbranch_execz .LBB655_11
.LBB655_14:
	s_waitcnt vmcnt(0)
	v_fma_f32 v0, -v6, v10, v0
	v_bfe_u32 v2, v0, 16, 1
	s_movk_i32 s2, 0x7fff
	v_add3_u32 v2, v0, v2, s2
	v_lshrrev_b32_e32 v2, 16, v2
	v_mov_b32_e32 v6, 0x7fc0
	v_cmp_o_f32_e64 s[2:3], v0, v0
	v_cndmask_b32_e64 v0, v6, v2, s[2:3]
	global_store_short v[4:5], v0, off offset:64
	s_or_b64 exec, exec, s[4:5]
	v_cmp_ne_u32_e64 s[2:3], 1, v11
	s_and_b64 exec, exec, s[2:3]
	s_cbranch_execz .LBB655_12
.LBB655_15:
	s_and_saveexec_b64 s[2:3], s[0:1]
	s_cbranch_execz .LBB655_17
; %bb.16:
	s_waitcnt vmcnt(0)
	v_fma_f32 v0, -v7, v13, v3
	v_bfe_u32 v2, v0, 16, 1
	s_movk_i32 s0, 0x7fff
	v_add3_u32 v2, v0, v2, s0
	v_lshrrev_b32_e32 v2, 16, v2
	v_mov_b32_e32 v3, 0x7fc0
	v_cmp_o_f32_e64 s[0:1], v0, v0
	v_cndmask_b32_e64 v0, v3, v2, s[0:1]
	s_lshl_b64 s[0:1], s[10:11], 1
	v_mov_b32_e32 v3, s1
	v_add_co_u32_e64 v2, s[0:1], s0, v4
	v_addc_co_u32_e64 v3, s[0:1], v5, v3, s[0:1]
	global_store_short v[2:3], v0, off
.LBB655_17:
	s_or_b64 exec, exec, s[2:3]
	s_and_b64 exec, exec, vcc
	s_cbranch_execz .LBB655_12
; %bb.18:
	s_waitcnt vmcnt(0)
	v_fma_f32 v0, -v7, v14, v1
	v_bfe_u32 v1, v0, 16, 1
	s_movk_i32 s0, 0x7fff
	v_add3_u32 v1, v0, v1, s0
	s_ashr_i32 s11, s10, 31
	v_lshrrev_b32_e32 v1, 16, v1
	v_mov_b32_e32 v2, 0x7fc0
	v_cmp_o_f32_e32 vcc, v0, v0
	s_lshl_b64 s[0:1], s[10:11], 1
	v_cndmask_b32_e32 v2, v2, v1, vcc
	v_mov_b32_e32 v1, s1
	v_add_co_u32_e32 v0, vcc, s0, v4
	v_addc_co_u32_e32 v1, vcc, v5, v1, vcc
	global_store_short v[0:1], v2, off offset:64
	s_endpgm
	.section	.rodata,"a",@progbits
	.p2align	6, 0x0
	.amdhsa_kernel _ZN12_GLOBAL__N_121softmax_warp_backwardIfN3c108BFloat16EfLi6ELb0ELb0ELi32EEEvPT0_PKT_S7_iiiPKb
		.amdhsa_group_segment_fixed_size 0
		.amdhsa_private_segment_fixed_size 0
		.amdhsa_kernarg_size 304
		.amdhsa_user_sgpr_count 6
		.amdhsa_user_sgpr_private_segment_buffer 1
		.amdhsa_user_sgpr_dispatch_ptr 0
		.amdhsa_user_sgpr_queue_ptr 0
		.amdhsa_user_sgpr_kernarg_segment_ptr 1
		.amdhsa_user_sgpr_dispatch_id 0
		.amdhsa_user_sgpr_flat_scratch_init 0
		.amdhsa_user_sgpr_kernarg_preload_length 0
		.amdhsa_user_sgpr_kernarg_preload_offset 0
		.amdhsa_user_sgpr_private_segment_size 0
		.amdhsa_uses_dynamic_stack 0
		.amdhsa_system_sgpr_private_segment_wavefront_offset 0
		.amdhsa_system_sgpr_workgroup_id_x 1
		.amdhsa_system_sgpr_workgroup_id_y 0
		.amdhsa_system_sgpr_workgroup_id_z 0
		.amdhsa_system_sgpr_workgroup_info 0
		.amdhsa_system_vgpr_workitem_id 1
		.amdhsa_next_free_vgpr 18
		.amdhsa_next_free_sgpr 16
		.amdhsa_accum_offset 20
		.amdhsa_reserve_vcc 1
		.amdhsa_reserve_flat_scratch 0
		.amdhsa_float_round_mode_32 0
		.amdhsa_float_round_mode_16_64 0
		.amdhsa_float_denorm_mode_32 3
		.amdhsa_float_denorm_mode_16_64 3
		.amdhsa_dx10_clamp 1
		.amdhsa_ieee_mode 1
		.amdhsa_fp16_overflow 0
		.amdhsa_tg_split 0
		.amdhsa_exception_fp_ieee_invalid_op 0
		.amdhsa_exception_fp_denorm_src 0
		.amdhsa_exception_fp_ieee_div_zero 0
		.amdhsa_exception_fp_ieee_overflow 0
		.amdhsa_exception_fp_ieee_underflow 0
		.amdhsa_exception_fp_ieee_inexact 0
		.amdhsa_exception_int_div_zero 0
	.end_amdhsa_kernel
	.section	.text._ZN12_GLOBAL__N_121softmax_warp_backwardIfN3c108BFloat16EfLi6ELb0ELb0ELi32EEEvPT0_PKT_S7_iiiPKb,"axG",@progbits,_ZN12_GLOBAL__N_121softmax_warp_backwardIfN3c108BFloat16EfLi6ELb0ELb0ELi32EEEvPT0_PKT_S7_iiiPKb,comdat
.Lfunc_end655:
	.size	_ZN12_GLOBAL__N_121softmax_warp_backwardIfN3c108BFloat16EfLi6ELb0ELb0ELi32EEEvPT0_PKT_S7_iiiPKb, .Lfunc_end655-_ZN12_GLOBAL__N_121softmax_warp_backwardIfN3c108BFloat16EfLi6ELb0ELb0ELi32EEEvPT0_PKT_S7_iiiPKb
                                        ; -- End function
	.section	.AMDGPU.csdata,"",@progbits
; Kernel info:
; codeLenInByte = 1140
; NumSgprs: 20
; NumVgprs: 18
; NumAgprs: 0
; TotalNumVgprs: 18
; ScratchSize: 0
; MemoryBound: 0
; FloatMode: 240
; IeeeMode: 1
; LDSByteSize: 0 bytes/workgroup (compile time only)
; SGPRBlocks: 2
; VGPRBlocks: 2
; NumSGPRsForWavesPerEU: 20
; NumVGPRsForWavesPerEU: 18
; AccumOffset: 20
; Occupancy: 8
; WaveLimiterHint : 0
; COMPUTE_PGM_RSRC2:SCRATCH_EN: 0
; COMPUTE_PGM_RSRC2:USER_SGPR: 6
; COMPUTE_PGM_RSRC2:TRAP_HANDLER: 0
; COMPUTE_PGM_RSRC2:TGID_X_EN: 1
; COMPUTE_PGM_RSRC2:TGID_Y_EN: 0
; COMPUTE_PGM_RSRC2:TGID_Z_EN: 0
; COMPUTE_PGM_RSRC2:TIDIG_COMP_CNT: 1
; COMPUTE_PGM_RSRC3_GFX90A:ACCUM_OFFSET: 4
; COMPUTE_PGM_RSRC3_GFX90A:TG_SPLIT: 0
	.section	.text._ZN12_GLOBAL__N_121softmax_warp_backwardIfN3c108BFloat16EfLi7ELb0ELb0ELi64EEEvPT0_PKT_S7_iiiPKb,"axG",@progbits,_ZN12_GLOBAL__N_121softmax_warp_backwardIfN3c108BFloat16EfLi7ELb0ELb0ELi64EEEvPT0_PKT_S7_iiiPKb,comdat
	.globl	_ZN12_GLOBAL__N_121softmax_warp_backwardIfN3c108BFloat16EfLi7ELb0ELb0ELi64EEEvPT0_PKT_S7_iiiPKb ; -- Begin function _ZN12_GLOBAL__N_121softmax_warp_backwardIfN3c108BFloat16EfLi7ELb0ELb0ELi64EEEvPT0_PKT_S7_iiiPKb
	.p2align	8
	.type	_ZN12_GLOBAL__N_121softmax_warp_backwardIfN3c108BFloat16EfLi7ELb0ELb0ELi64EEEvPT0_PKT_S7_iiiPKb,@function
_ZN12_GLOBAL__N_121softmax_warp_backwardIfN3c108BFloat16EfLi7ELb0ELb0ELi64EEEvPT0_PKT_S7_iiiPKb: ; @_ZN12_GLOBAL__N_121softmax_warp_backwardIfN3c108BFloat16EfLi7ELb0ELb0ELi64EEEvPT0_PKT_S7_iiiPKb
; %bb.0:
	s_load_dword s2, s[4:5], 0x3c
	s_load_dwordx4 s[8:11], s[4:5], 0x18
	s_load_dwordx4 s[12:15], s[4:5], 0x0
	s_load_dwordx2 s[0:1], s[4:5], 0x10
	v_bfe_u32 v1, v0, 10, 10
	s_waitcnt lgkmcnt(0)
	s_lshr_b32 s2, s2, 16
	s_mul_i32 s6, s6, s2
	v_add_lshl_u32 v1, s6, v1, 1
	v_sub_u32_e32 v11, s8, v1
	v_and_b32_e32 v10, 63, v0
	v_mad_u64_u32 v[4:5], s[2:3], v1, s9, v[10:11]
	v_ashrrev_i32_e32 v5, 31, v4
	v_lshlrev_b64 v[0:1], 2, v[4:5]
	v_mov_b32_e32 v2, s15
	v_add_co_u32_e32 v6, vcc, s14, v0
	v_addc_co_u32_e32 v7, vcc, v2, v1, vcc
	v_mov_b32_e32 v2, s1
	v_add_co_u32_e32 v8, vcc, s0, v0
	v_cmp_lt_i32_e64 s[2:3], 0, v11
	v_cmp_gt_i32_e64 s[0:1], s10, v10
	v_addc_co_u32_e32 v9, vcc, v2, v1, vcc
	s_and_b64 s[6:7], s[2:3], s[0:1]
	v_mov_b32_e32 v0, 0
	v_mov_b32_e32 v2, 0
	;; [unrolled: 1-line block ×3, first 2 shown]
	s_and_saveexec_b64 s[4:5], s[6:7]
	s_cbranch_execz .LBB656_2
; %bb.1:
	global_load_dword v2, v[6:7], off
	global_load_dword v12, v[8:9], off
.LBB656_2:
	s_or_b64 exec, exec, s[4:5]
	v_or_b32_e32 v1, 64, v10
	v_cmp_gt_i32_e32 vcc, s10, v1
	s_and_b64 s[6:7], s[2:3], vcc
	v_mov_b32_e32 v10, 0
	s_and_saveexec_b64 s[4:5], s[6:7]
	s_cbranch_execz .LBB656_4
; %bb.3:
	global_load_dword v0, v[6:7], off offset:256
	global_load_dword v10, v[8:9], off offset:256
.LBB656_4:
	s_or_b64 exec, exec, s[4:5]
	v_cmp_lt_i32_e64 s[4:5], 1, v11
	s_and_b64 s[6:7], s[4:5], s[0:1]
	s_mov_b32 s11, 0
	v_mov_b32_e32 v1, 0
	v_mov_b32_e32 v3, 0
	;; [unrolled: 1-line block ×3, first 2 shown]
	s_and_saveexec_b64 s[8:9], s[6:7]
	s_cbranch_execz .LBB656_6
; %bb.5:
	s_lshl_b64 s[14:15], s[10:11], 2
	v_mov_b32_e32 v13, s15
	v_add_co_u32_e64 v14, s[6:7], s14, v6
	v_addc_co_u32_e64 v15, s[6:7], v7, v13, s[6:7]
	global_load_dword v3, v[14:15], off
	v_add_co_u32_e64 v14, s[6:7], s14, v8
	v_addc_co_u32_e64 v15, s[6:7], v9, v13, s[6:7]
	global_load_dword v13, v[14:15], off
.LBB656_6:
	s_or_b64 exec, exec, s[8:9]
	s_and_b64 s[4:5], s[4:5], vcc
	v_mov_b32_e32 v14, 0
	s_and_saveexec_b64 s[6:7], s[4:5]
	s_cbranch_execz .LBB656_8
; %bb.7:
	s_lshl_b64 s[8:9], s[10:11], 2
	v_mov_b32_e32 v14, s9
	v_add_co_u32_e64 v6, s[4:5], s8, v6
	v_addc_co_u32_e64 v7, s[4:5], v7, v14, s[4:5]
	global_load_dword v1, v[6:7], off offset:256
	v_add_co_u32_e64 v6, s[4:5], s8, v8
	v_addc_co_u32_e64 v7, s[4:5], v9, v14, s[4:5]
	global_load_dword v14, v[6:7], off offset:256
.LBB656_8:
	s_or_b64 exec, exec, s[6:7]
	v_mbcnt_lo_u32_b32 v8, -1, 0
	v_mbcnt_hi_u32_b32 v15, -1, v8
	v_and_b32_e32 v8, 64, v15
	v_add_u32_e32 v16, 64, v8
	v_xor_b32_e32 v8, 32, v15
	v_cmp_lt_i32_e64 s[4:5], v8, v16
	s_waitcnt vmcnt(1)
	v_pk_add_f32 v[6:7], v[2:3], 0 op_sel_hi:[1,0]
	v_cndmask_b32_e64 v8, v15, v8, s[4:5]
	v_lshlrev_b32_e32 v9, 2, v8
	v_pk_add_f32 v[6:7], v[6:7], v[0:1]
	ds_bpermute_b32 v8, v9, v6
	ds_bpermute_b32 v9, v9, v7
	v_xor_b32_e32 v17, 16, v15
	v_cmp_lt_i32_e64 s[4:5], v17, v16
	v_cndmask_b32_e64 v17, v15, v17, s[4:5]
	v_lshlrev_b32_e32 v17, 2, v17
	s_waitcnt lgkmcnt(0)
	v_pk_add_f32 v[6:7], v[6:7], v[8:9]
	ds_bpermute_b32 v8, v17, v6
	ds_bpermute_b32 v9, v17, v7
	v_xor_b32_e32 v17, 8, v15
	v_cmp_lt_i32_e64 s[4:5], v17, v16
	v_cndmask_b32_e64 v17, v15, v17, s[4:5]
	v_lshlrev_b32_e32 v17, 2, v17
	s_waitcnt lgkmcnt(0)
	;; [unrolled: 8-line block ×5, first 2 shown]
	v_pk_add_f32 v[6:7], v[6:7], v[8:9]
	ds_bpermute_b32 v8, v15, v6
	ds_bpermute_b32 v9, v15, v7
	s_and_saveexec_b64 s[4:5], s[2:3]
	s_cbranch_execz .LBB656_12
; %bb.9:
	v_lshlrev_b64 v[4:5], 1, v[4:5]
	v_mov_b32_e32 v15, s13
	v_add_co_u32_e64 v4, s[2:3], s12, v4
	v_addc_co_u32_e64 v5, s[2:3], v15, v5, s[2:3]
	s_waitcnt lgkmcnt(0)
	v_pk_add_f32 v[6:7], v[6:7], v[8:9]
	s_and_saveexec_b64 s[4:5], s[0:1]
	s_cbranch_execnz .LBB656_13
; %bb.10:
	s_or_b64 exec, exec, s[4:5]
	s_and_saveexec_b64 s[4:5], vcc
	s_cbranch_execnz .LBB656_14
.LBB656_11:
	s_or_b64 exec, exec, s[4:5]
	v_cmp_ne_u32_e64 s[2:3], 1, v11
	s_and_b64 exec, exec, s[2:3]
	s_cbranch_execnz .LBB656_15
.LBB656_12:
	s_endpgm
.LBB656_13:
	s_waitcnt vmcnt(0)
	v_fma_f32 v2, -v6, v12, v2
	v_bfe_u32 v8, v2, 16, 1
	s_movk_i32 s2, 0x7fff
	v_add3_u32 v8, v2, v8, s2
	v_lshrrev_b32_e32 v8, 16, v8
	v_mov_b32_e32 v9, 0x7fc0
	v_cmp_o_f32_e64 s[2:3], v2, v2
	v_cndmask_b32_e64 v2, v9, v8, s[2:3]
	global_store_short v[4:5], v2, off
	s_or_b64 exec, exec, s[4:5]
	s_and_saveexec_b64 s[4:5], vcc
	s_cbranch_execz .LBB656_11
.LBB656_14:
	s_waitcnt vmcnt(0)
	v_fma_f32 v0, -v6, v10, v0
	v_bfe_u32 v2, v0, 16, 1
	s_movk_i32 s2, 0x7fff
	v_add3_u32 v2, v0, v2, s2
	v_lshrrev_b32_e32 v2, 16, v2
	v_mov_b32_e32 v6, 0x7fc0
	v_cmp_o_f32_e64 s[2:3], v0, v0
	v_cndmask_b32_e64 v0, v6, v2, s[2:3]
	global_store_short v[4:5], v0, off offset:128
	s_or_b64 exec, exec, s[4:5]
	v_cmp_ne_u32_e64 s[2:3], 1, v11
	s_and_b64 exec, exec, s[2:3]
	s_cbranch_execz .LBB656_12
.LBB656_15:
	s_and_saveexec_b64 s[2:3], s[0:1]
	s_cbranch_execz .LBB656_17
; %bb.16:
	s_waitcnt vmcnt(0)
	v_fma_f32 v0, -v7, v13, v3
	v_bfe_u32 v2, v0, 16, 1
	s_movk_i32 s0, 0x7fff
	v_add3_u32 v2, v0, v2, s0
	v_lshrrev_b32_e32 v2, 16, v2
	v_mov_b32_e32 v3, 0x7fc0
	v_cmp_o_f32_e64 s[0:1], v0, v0
	v_cndmask_b32_e64 v0, v3, v2, s[0:1]
	s_lshl_b64 s[0:1], s[10:11], 1
	v_mov_b32_e32 v3, s1
	v_add_co_u32_e64 v2, s[0:1], s0, v4
	v_addc_co_u32_e64 v3, s[0:1], v5, v3, s[0:1]
	global_store_short v[2:3], v0, off
.LBB656_17:
	s_or_b64 exec, exec, s[2:3]
	s_and_b64 exec, exec, vcc
	s_cbranch_execz .LBB656_12
; %bb.18:
	s_waitcnt vmcnt(0)
	v_fma_f32 v0, -v7, v14, v1
	v_bfe_u32 v1, v0, 16, 1
	s_movk_i32 s0, 0x7fff
	v_add3_u32 v1, v0, v1, s0
	s_ashr_i32 s11, s10, 31
	v_lshrrev_b32_e32 v1, 16, v1
	v_mov_b32_e32 v2, 0x7fc0
	v_cmp_o_f32_e32 vcc, v0, v0
	s_lshl_b64 s[0:1], s[10:11], 1
	v_cndmask_b32_e32 v2, v2, v1, vcc
	v_mov_b32_e32 v1, s1
	v_add_co_u32_e32 v0, vcc, s0, v4
	v_addc_co_u32_e32 v1, vcc, v5, v1, vcc
	global_store_short v[0:1], v2, off offset:128
	s_endpgm
	.section	.rodata,"a",@progbits
	.p2align	6, 0x0
	.amdhsa_kernel _ZN12_GLOBAL__N_121softmax_warp_backwardIfN3c108BFloat16EfLi7ELb0ELb0ELi64EEEvPT0_PKT_S7_iiiPKb
		.amdhsa_group_segment_fixed_size 0
		.amdhsa_private_segment_fixed_size 0
		.amdhsa_kernarg_size 304
		.amdhsa_user_sgpr_count 6
		.amdhsa_user_sgpr_private_segment_buffer 1
		.amdhsa_user_sgpr_dispatch_ptr 0
		.amdhsa_user_sgpr_queue_ptr 0
		.amdhsa_user_sgpr_kernarg_segment_ptr 1
		.amdhsa_user_sgpr_dispatch_id 0
		.amdhsa_user_sgpr_flat_scratch_init 0
		.amdhsa_user_sgpr_kernarg_preload_length 0
		.amdhsa_user_sgpr_kernarg_preload_offset 0
		.amdhsa_user_sgpr_private_segment_size 0
		.amdhsa_uses_dynamic_stack 0
		.amdhsa_system_sgpr_private_segment_wavefront_offset 0
		.amdhsa_system_sgpr_workgroup_id_x 1
		.amdhsa_system_sgpr_workgroup_id_y 0
		.amdhsa_system_sgpr_workgroup_id_z 0
		.amdhsa_system_sgpr_workgroup_info 0
		.amdhsa_system_vgpr_workitem_id 1
		.amdhsa_next_free_vgpr 18
		.amdhsa_next_free_sgpr 16
		.amdhsa_accum_offset 20
		.amdhsa_reserve_vcc 1
		.amdhsa_reserve_flat_scratch 0
		.amdhsa_float_round_mode_32 0
		.amdhsa_float_round_mode_16_64 0
		.amdhsa_float_denorm_mode_32 3
		.amdhsa_float_denorm_mode_16_64 3
		.amdhsa_dx10_clamp 1
		.amdhsa_ieee_mode 1
		.amdhsa_fp16_overflow 0
		.amdhsa_tg_split 0
		.amdhsa_exception_fp_ieee_invalid_op 0
		.amdhsa_exception_fp_denorm_src 0
		.amdhsa_exception_fp_ieee_div_zero 0
		.amdhsa_exception_fp_ieee_overflow 0
		.amdhsa_exception_fp_ieee_underflow 0
		.amdhsa_exception_fp_ieee_inexact 0
		.amdhsa_exception_int_div_zero 0
	.end_amdhsa_kernel
	.section	.text._ZN12_GLOBAL__N_121softmax_warp_backwardIfN3c108BFloat16EfLi7ELb0ELb0ELi64EEEvPT0_PKT_S7_iiiPKb,"axG",@progbits,_ZN12_GLOBAL__N_121softmax_warp_backwardIfN3c108BFloat16EfLi7ELb0ELb0ELi64EEEvPT0_PKT_S7_iiiPKb,comdat
.Lfunc_end656:
	.size	_ZN12_GLOBAL__N_121softmax_warp_backwardIfN3c108BFloat16EfLi7ELb0ELb0ELi64EEEvPT0_PKT_S7_iiiPKb, .Lfunc_end656-_ZN12_GLOBAL__N_121softmax_warp_backwardIfN3c108BFloat16EfLi7ELb0ELb0ELi64EEEvPT0_PKT_S7_iiiPKb
                                        ; -- End function
	.section	.AMDGPU.csdata,"",@progbits
; Kernel info:
; codeLenInByte = 1188
; NumSgprs: 20
; NumVgprs: 18
; NumAgprs: 0
; TotalNumVgprs: 18
; ScratchSize: 0
; MemoryBound: 0
; FloatMode: 240
; IeeeMode: 1
; LDSByteSize: 0 bytes/workgroup (compile time only)
; SGPRBlocks: 2
; VGPRBlocks: 2
; NumSGPRsForWavesPerEU: 20
; NumVGPRsForWavesPerEU: 18
; AccumOffset: 20
; Occupancy: 8
; WaveLimiterHint : 0
; COMPUTE_PGM_RSRC2:SCRATCH_EN: 0
; COMPUTE_PGM_RSRC2:USER_SGPR: 6
; COMPUTE_PGM_RSRC2:TRAP_HANDLER: 0
; COMPUTE_PGM_RSRC2:TGID_X_EN: 1
; COMPUTE_PGM_RSRC2:TGID_Y_EN: 0
; COMPUTE_PGM_RSRC2:TGID_Z_EN: 0
; COMPUTE_PGM_RSRC2:TIDIG_COMP_CNT: 1
; COMPUTE_PGM_RSRC3_GFX90A:ACCUM_OFFSET: 4
; COMPUTE_PGM_RSRC3_GFX90A:TG_SPLIT: 0
	.section	.text._ZN12_GLOBAL__N_121softmax_warp_backwardIfN3c108BFloat16EfLi7ELb0ELb0ELi32EEEvPT0_PKT_S7_iiiPKb,"axG",@progbits,_ZN12_GLOBAL__N_121softmax_warp_backwardIfN3c108BFloat16EfLi7ELb0ELb0ELi32EEEvPT0_PKT_S7_iiiPKb,comdat
	.globl	_ZN12_GLOBAL__N_121softmax_warp_backwardIfN3c108BFloat16EfLi7ELb0ELb0ELi32EEEvPT0_PKT_S7_iiiPKb ; -- Begin function _ZN12_GLOBAL__N_121softmax_warp_backwardIfN3c108BFloat16EfLi7ELb0ELb0ELi32EEEvPT0_PKT_S7_iiiPKb
	.p2align	8
	.type	_ZN12_GLOBAL__N_121softmax_warp_backwardIfN3c108BFloat16EfLi7ELb0ELb0ELi32EEEvPT0_PKT_S7_iiiPKb,@function
_ZN12_GLOBAL__N_121softmax_warp_backwardIfN3c108BFloat16EfLi7ELb0ELb0ELi32EEEvPT0_PKT_S7_iiiPKb: ; @_ZN12_GLOBAL__N_121softmax_warp_backwardIfN3c108BFloat16EfLi7ELb0ELb0ELi32EEEvPT0_PKT_S7_iiiPKb
; %bb.0:
	s_load_dword s2, s[4:5], 0x3c
	s_load_dwordx4 s[12:15], s[4:5], 0x18
	s_load_dwordx4 s[16:19], s[4:5], 0x0
	s_load_dwordx2 s[0:1], s[4:5], 0x10
	v_bfe_u32 v1, v0, 10, 10
	s_waitcnt lgkmcnt(0)
	s_lshr_b32 s2, s2, 16
	s_mul_i32 s6, s6, s2
	v_add_lshl_u32 v1, s6, v1, 1
	v_and_b32_e32 v14, 31, v0
	v_mad_u64_u32 v[8:9], s[2:3], v1, s13, v[14:15]
	v_ashrrev_i32_e32 v9, 31, v8
	v_sub_u32_e32 v16, s12, v1
	v_lshlrev_b64 v[0:1], 2, v[8:9]
	v_mov_b32_e32 v2, s19
	v_add_co_u32_e32 v10, vcc, s18, v0
	v_addc_co_u32_e32 v11, vcc, v2, v1, vcc
	v_mov_b32_e32 v2, s1
	v_add_co_u32_e32 v12, vcc, s0, v0
	v_addc_co_u32_e32 v13, vcc, v2, v1, vcc
	v_cmp_lt_i32_e64 s[6:7], 0, v16
	v_cmp_gt_i32_e32 vcc, s14, v14
	s_and_b64 s[2:3], s[6:7], vcc
	v_mov_b32_e32 v0, 0
	v_mov_b32_e32 v4, 0
	;; [unrolled: 1-line block ×3, first 2 shown]
	s_and_saveexec_b64 s[0:1], s[2:3]
	s_cbranch_execz .LBB657_2
; %bb.1:
	global_load_dword v4, v[10:11], off
	global_load_dword v17, v[12:13], off
.LBB657_2:
	s_or_b64 exec, exec, s[0:1]
	v_or_b32_e32 v1, 32, v14
	v_cmp_gt_i32_e64 s[0:1], s14, v1
	s_and_b64 s[4:5], s[6:7], s[0:1]
	v_mov_b32_e32 v18, 0
	s_and_saveexec_b64 s[2:3], s[4:5]
	s_cbranch_execz .LBB657_4
; %bb.3:
	global_load_dword v0, v[10:11], off offset:128
	global_load_dword v18, v[12:13], off offset:128
.LBB657_4:
	s_or_b64 exec, exec, s[2:3]
	v_or_b32_e32 v1, 64, v14
	v_cmp_gt_i32_e64 s[2:3], s14, v1
	s_and_b64 s[8:9], s[6:7], s[2:3]
	v_mov_b32_e32 v2, 0
	v_mov_b32_e32 v6, 0
	v_mov_b32_e32 v20, 0
	s_and_saveexec_b64 s[4:5], s[8:9]
	s_cbranch_execz .LBB657_6
; %bb.5:
	global_load_dword v6, v[10:11], off offset:256
	global_load_dword v20, v[12:13], off offset:256
.LBB657_6:
	s_or_b64 exec, exec, s[4:5]
	v_or_b32_e32 v1, 0x60, v14
	v_cmp_gt_i32_e64 s[4:5], s14, v1
	s_and_b64 s[10:11], s[6:7], s[4:5]
	v_mov_b32_e32 v21, 0
	s_and_saveexec_b64 s[8:9], s[10:11]
	s_cbranch_execz .LBB657_8
; %bb.7:
	global_load_dword v2, v[10:11], off offset:384
	global_load_dword v21, v[12:13], off offset:384
.LBB657_8:
	s_or_b64 exec, exec, s[8:9]
	v_cmp_lt_i32_e64 s[8:9], 1, v16
	s_and_b64 s[10:11], s[8:9], vcc
	s_mov_b32 s15, 0
	v_mov_b32_e32 v1, 0
	v_mov_b32_e32 v5, 0
	;; [unrolled: 1-line block ×3, first 2 shown]
	s_and_saveexec_b64 s[12:13], s[10:11]
	s_cbranch_execz .LBB657_10
; %bb.9:
	s_lshl_b64 s[18:19], s[14:15], 2
	v_mov_b32_e32 v3, s19
	v_add_co_u32_e64 v14, s[10:11], s18, v10
	v_addc_co_u32_e64 v15, s[10:11], v11, v3, s[10:11]
	global_load_dword v5, v[14:15], off
	v_add_co_u32_e64 v14, s[10:11], s18, v12
	v_addc_co_u32_e64 v15, s[10:11], v13, v3, s[10:11]
	global_load_dword v19, v[14:15], off
.LBB657_10:
	s_or_b64 exec, exec, s[12:13]
	s_and_b64 s[10:11], s[8:9], s[0:1]
	v_mov_b32_e32 v22, 0
	s_and_saveexec_b64 s[12:13], s[10:11]
	s_cbranch_execz .LBB657_12
; %bb.11:
	s_lshl_b64 s[18:19], s[14:15], 2
	v_mov_b32_e32 v3, s19
	v_add_co_u32_e64 v14, s[10:11], s18, v10
	v_addc_co_u32_e64 v15, s[10:11], v11, v3, s[10:11]
	global_load_dword v1, v[14:15], off offset:128
	v_add_co_u32_e64 v14, s[10:11], s18, v12
	v_addc_co_u32_e64 v15, s[10:11], v13, v3, s[10:11]
	global_load_dword v22, v[14:15], off offset:128
.LBB657_12:
	s_or_b64 exec, exec, s[12:13]
	s_and_b64 s[10:11], s[8:9], s[2:3]
	v_mov_b32_e32 v3, 0
	v_mov_b32_e32 v7, 0
	;; [unrolled: 1-line block ×3, first 2 shown]
	s_and_saveexec_b64 s[12:13], s[10:11]
	s_cbranch_execz .LBB657_14
; %bb.13:
	s_lshl_b64 s[18:19], s[14:15], 2
	v_mov_b32_e32 v23, s19
	v_add_co_u32_e64 v14, s[10:11], s18, v10
	v_addc_co_u32_e64 v15, s[10:11], v11, v23, s[10:11]
	global_load_dword v7, v[14:15], off offset:256
	v_add_co_u32_e64 v14, s[10:11], s18, v12
	v_addc_co_u32_e64 v15, s[10:11], v13, v23, s[10:11]
	global_load_dword v23, v[14:15], off offset:256
.LBB657_14:
	s_or_b64 exec, exec, s[12:13]
	s_and_b64 s[8:9], s[8:9], s[4:5]
	v_mov_b32_e32 v24, 0
	s_and_saveexec_b64 s[10:11], s[8:9]
	s_cbranch_execz .LBB657_16
; %bb.15:
	s_lshl_b64 s[12:13], s[14:15], 2
	v_mov_b32_e32 v14, s13
	v_add_co_u32_e64 v10, s[8:9], s12, v10
	v_addc_co_u32_e64 v11, s[8:9], v11, v14, s[8:9]
	global_load_dword v3, v[10:11], off offset:384
	v_add_co_u32_e64 v10, s[8:9], s12, v12
	v_addc_co_u32_e64 v11, s[8:9], v13, v14, s[8:9]
	global_load_dword v24, v[10:11], off offset:384
.LBB657_16:
	s_or_b64 exec, exec, s[10:11]
	v_mbcnt_lo_u32_b32 v12, -1, 0
	v_mbcnt_hi_u32_b32 v14, -1, v12
	v_and_b32_e32 v12, 0x60, v14
	s_waitcnt vmcnt(1)
	v_pk_add_f32 v[10:11], v[4:5], 0 op_sel_hi:[1,0]
	v_add_u32_e32 v15, 32, v12
	v_xor_b32_e32 v12, 16, v14
	v_cmp_lt_i32_e64 s[8:9], v12, v15
	v_pk_add_f32 v[10:11], v[10:11], v[0:1]
	v_cndmask_b32_e64 v12, v14, v12, s[8:9]
	v_pk_add_f32 v[10:11], v[10:11], v[6:7]
	v_lshlrev_b32_e32 v13, 2, v12
	v_pk_add_f32 v[10:11], v[10:11], v[2:3]
	ds_bpermute_b32 v12, v13, v10
	ds_bpermute_b32 v13, v13, v11
	v_xor_b32_e32 v25, 8, v14
	v_cmp_lt_i32_e64 s[8:9], v25, v15
	v_cndmask_b32_e64 v25, v14, v25, s[8:9]
	v_lshlrev_b32_e32 v25, 2, v25
	s_waitcnt lgkmcnt(0)
	v_pk_add_f32 v[10:11], v[10:11], v[12:13]
	ds_bpermute_b32 v12, v25, v10
	ds_bpermute_b32 v13, v25, v11
	v_xor_b32_e32 v25, 4, v14
	v_cmp_lt_i32_e64 s[8:9], v25, v15
	v_cndmask_b32_e64 v25, v14, v25, s[8:9]
	v_lshlrev_b32_e32 v25, 2, v25
	s_waitcnt lgkmcnt(0)
	;; [unrolled: 8-line block ×4, first 2 shown]
	v_pk_add_f32 v[12:13], v[10:11], v[12:13]
	ds_bpermute_b32 v14, v15, v12
	ds_bpermute_b32 v15, v15, v13
	s_and_saveexec_b64 s[8:9], s[6:7]
	s_cbranch_execz .LBB657_22
; %bb.17:
	v_lshlrev_b64 v[8:9], 1, v[8:9]
	v_mov_b32_e32 v11, s17
	v_add_co_u32_e64 v10, s[6:7], s16, v8
	v_addc_co_u32_e64 v11, s[6:7], v11, v9, s[6:7]
	s_waitcnt lgkmcnt(0)
	v_pk_add_f32 v[8:9], v[12:13], v[14:15]
	s_and_saveexec_b64 s[8:9], vcc
	s_cbranch_execnz .LBB657_23
; %bb.18:
	s_or_b64 exec, exec, s[8:9]
	s_and_saveexec_b64 s[8:9], s[0:1]
	s_cbranch_execnz .LBB657_24
.LBB657_19:
	s_or_b64 exec, exec, s[8:9]
	s_and_saveexec_b64 s[8:9], s[2:3]
	s_cbranch_execnz .LBB657_25
.LBB657_20:
	s_or_b64 exec, exec, s[8:9]
	s_and_saveexec_b64 s[8:9], s[4:5]
	s_cbranch_execnz .LBB657_26
.LBB657_21:
	s_or_b64 exec, exec, s[8:9]
	v_cmp_ne_u32_e64 s[6:7], 1, v16
	s_and_b64 exec, exec, s[6:7]
	s_cbranch_execnz .LBB657_27
.LBB657_22:
	s_endpgm
.LBB657_23:
	s_waitcnt vmcnt(0)
	v_fma_f32 v4, -v8, v17, v4
	v_bfe_u32 v12, v4, 16, 1
	s_movk_i32 s6, 0x7fff
	v_add3_u32 v12, v4, v12, s6
	v_lshrrev_b32_e32 v12, 16, v12
	v_mov_b32_e32 v13, 0x7fc0
	v_cmp_o_f32_e64 s[6:7], v4, v4
	v_cndmask_b32_e64 v4, v13, v12, s[6:7]
	global_store_short v[10:11], v4, off
	s_or_b64 exec, exec, s[8:9]
	s_and_saveexec_b64 s[8:9], s[0:1]
	s_cbranch_execz .LBB657_19
.LBB657_24:
	s_waitcnt vmcnt(0)
	v_fma_f32 v0, -v8, v18, v0
	v_bfe_u32 v4, v0, 16, 1
	s_movk_i32 s6, 0x7fff
	v_add3_u32 v4, v0, v4, s6
	v_lshrrev_b32_e32 v4, 16, v4
	v_mov_b32_e32 v12, 0x7fc0
	v_cmp_o_f32_e64 s[6:7], v0, v0
	v_cndmask_b32_e64 v0, v12, v4, s[6:7]
	global_store_short v[10:11], v0, off offset:64
	s_or_b64 exec, exec, s[8:9]
	s_and_saveexec_b64 s[8:9], s[2:3]
	s_cbranch_execz .LBB657_20
.LBB657_25:
	s_waitcnt vmcnt(0)
	v_fma_f32 v0, -v8, v20, v6
	v_bfe_u32 v4, v0, 16, 1
	s_movk_i32 s6, 0x7fff
	v_add3_u32 v4, v0, v4, s6
	v_lshrrev_b32_e32 v4, 16, v4
	v_mov_b32_e32 v6, 0x7fc0
	v_cmp_o_f32_e64 s[6:7], v0, v0
	v_cndmask_b32_e64 v0, v6, v4, s[6:7]
	global_store_short v[10:11], v0, off offset:128
	s_or_b64 exec, exec, s[8:9]
	s_and_saveexec_b64 s[8:9], s[4:5]
	s_cbranch_execz .LBB657_21
.LBB657_26:
	s_waitcnt vmcnt(0)
	v_fma_f32 v0, -v8, v21, v2
	v_bfe_u32 v2, v0, 16, 1
	s_movk_i32 s6, 0x7fff
	v_add3_u32 v2, v0, v2, s6
	v_lshrrev_b32_e32 v2, 16, v2
	v_mov_b32_e32 v4, 0x7fc0
	v_cmp_o_f32_e64 s[6:7], v0, v0
	v_cndmask_b32_e64 v0, v4, v2, s[6:7]
	global_store_short v[10:11], v0, off offset:192
	s_or_b64 exec, exec, s[8:9]
	v_cmp_ne_u32_e64 s[6:7], 1, v16
	s_and_b64 exec, exec, s[6:7]
	s_cbranch_execz .LBB657_22
.LBB657_27:
	s_ashr_i32 s15, s14, 31
	s_lshl_b64 s[6:7], s[14:15], 1
	v_mov_b32_e32 v0, s7
	v_add_co_u32_e64 v10, s[6:7], s6, v10
	v_addc_co_u32_e64 v11, s[6:7], v11, v0, s[6:7]
	s_and_saveexec_b64 s[6:7], vcc
	s_cbranch_execnz .LBB657_31
; %bb.28:
	s_or_b64 exec, exec, s[6:7]
	s_and_saveexec_b64 s[6:7], s[0:1]
	s_cbranch_execnz .LBB657_32
.LBB657_29:
	s_or_b64 exec, exec, s[6:7]
	s_and_saveexec_b64 s[0:1], s[2:3]
	s_cbranch_execnz .LBB657_33
.LBB657_30:
	s_or_b64 exec, exec, s[0:1]
	s_and_b64 exec, exec, s[4:5]
	s_cbranch_execz .LBB657_22
	s_branch .LBB657_34
.LBB657_31:
	s_waitcnt vmcnt(0)
	v_fma_f32 v0, -v9, v19, v5
	v_bfe_u32 v2, v0, 16, 1
	s_movk_i32 s8, 0x7fff
	v_add3_u32 v2, v0, v2, s8
	v_lshrrev_b32_e32 v2, 16, v2
	v_mov_b32_e32 v4, 0x7fc0
	v_cmp_o_f32_e32 vcc, v0, v0
	v_cndmask_b32_e32 v0, v4, v2, vcc
	global_store_short v[10:11], v0, off
	s_or_b64 exec, exec, s[6:7]
	s_and_saveexec_b64 s[6:7], s[0:1]
	s_cbranch_execz .LBB657_29
.LBB657_32:
	s_waitcnt vmcnt(0)
	v_fma_f32 v0, -v9, v22, v1
	v_bfe_u32 v1, v0, 16, 1
	s_movk_i32 s0, 0x7fff
	v_add3_u32 v1, v0, v1, s0
	v_lshrrev_b32_e32 v1, 16, v1
	v_mov_b32_e32 v2, 0x7fc0
	v_cmp_o_f32_e32 vcc, v0, v0
	v_cndmask_b32_e32 v0, v2, v1, vcc
	global_store_short v[10:11], v0, off offset:64
	s_or_b64 exec, exec, s[6:7]
	s_and_saveexec_b64 s[0:1], s[2:3]
	s_cbranch_execz .LBB657_30
.LBB657_33:
	s_waitcnt vmcnt(0)
	v_fma_f32 v0, -v9, v23, v7
	v_bfe_u32 v1, v0, 16, 1
	s_movk_i32 s2, 0x7fff
	v_add3_u32 v1, v0, v1, s2
	v_lshrrev_b32_e32 v1, 16, v1
	v_mov_b32_e32 v2, 0x7fc0
	v_cmp_o_f32_e32 vcc, v0, v0
	v_cndmask_b32_e32 v0, v2, v1, vcc
	global_store_short v[10:11], v0, off offset:128
	s_or_b64 exec, exec, s[0:1]
	s_and_b64 exec, exec, s[4:5]
	s_cbranch_execz .LBB657_22
.LBB657_34:
	s_waitcnt vmcnt(0)
	v_fma_f32 v0, -v9, v24, v3
	v_bfe_u32 v1, v0, 16, 1
	s_movk_i32 s0, 0x7fff
	v_add3_u32 v1, v0, v1, s0
	v_lshrrev_b32_e32 v1, 16, v1
	v_mov_b32_e32 v2, 0x7fc0
	v_cmp_o_f32_e32 vcc, v0, v0
	v_cndmask_b32_e32 v0, v2, v1, vcc
	global_store_short v[10:11], v0, off offset:192
	s_endpgm
	.section	.rodata,"a",@progbits
	.p2align	6, 0x0
	.amdhsa_kernel _ZN12_GLOBAL__N_121softmax_warp_backwardIfN3c108BFloat16EfLi7ELb0ELb0ELi32EEEvPT0_PKT_S7_iiiPKb
		.amdhsa_group_segment_fixed_size 0
		.amdhsa_private_segment_fixed_size 0
		.amdhsa_kernarg_size 304
		.amdhsa_user_sgpr_count 6
		.amdhsa_user_sgpr_private_segment_buffer 1
		.amdhsa_user_sgpr_dispatch_ptr 0
		.amdhsa_user_sgpr_queue_ptr 0
		.amdhsa_user_sgpr_kernarg_segment_ptr 1
		.amdhsa_user_sgpr_dispatch_id 0
		.amdhsa_user_sgpr_flat_scratch_init 0
		.amdhsa_user_sgpr_kernarg_preload_length 0
		.amdhsa_user_sgpr_kernarg_preload_offset 0
		.amdhsa_user_sgpr_private_segment_size 0
		.amdhsa_uses_dynamic_stack 0
		.amdhsa_system_sgpr_private_segment_wavefront_offset 0
		.amdhsa_system_sgpr_workgroup_id_x 1
		.amdhsa_system_sgpr_workgroup_id_y 0
		.amdhsa_system_sgpr_workgroup_id_z 0
		.amdhsa_system_sgpr_workgroup_info 0
		.amdhsa_system_vgpr_workitem_id 1
		.amdhsa_next_free_vgpr 26
		.amdhsa_next_free_sgpr 20
		.amdhsa_accum_offset 28
		.amdhsa_reserve_vcc 1
		.amdhsa_reserve_flat_scratch 0
		.amdhsa_float_round_mode_32 0
		.amdhsa_float_round_mode_16_64 0
		.amdhsa_float_denorm_mode_32 3
		.amdhsa_float_denorm_mode_16_64 3
		.amdhsa_dx10_clamp 1
		.amdhsa_ieee_mode 1
		.amdhsa_fp16_overflow 0
		.amdhsa_tg_split 0
		.amdhsa_exception_fp_ieee_invalid_op 0
		.amdhsa_exception_fp_denorm_src 0
		.amdhsa_exception_fp_ieee_div_zero 0
		.amdhsa_exception_fp_ieee_overflow 0
		.amdhsa_exception_fp_ieee_underflow 0
		.amdhsa_exception_fp_ieee_inexact 0
		.amdhsa_exception_int_div_zero 0
	.end_amdhsa_kernel
	.section	.text._ZN12_GLOBAL__N_121softmax_warp_backwardIfN3c108BFloat16EfLi7ELb0ELb0ELi32EEEvPT0_PKT_S7_iiiPKb,"axG",@progbits,_ZN12_GLOBAL__N_121softmax_warp_backwardIfN3c108BFloat16EfLi7ELb0ELb0ELi32EEEvPT0_PKT_S7_iiiPKb,comdat
.Lfunc_end657:
	.size	_ZN12_GLOBAL__N_121softmax_warp_backwardIfN3c108BFloat16EfLi7ELb0ELb0ELi32EEEvPT0_PKT_S7_iiiPKb, .Lfunc_end657-_ZN12_GLOBAL__N_121softmax_warp_backwardIfN3c108BFloat16EfLi7ELb0ELb0ELi32EEEvPT0_PKT_S7_iiiPKb
                                        ; -- End function
	.section	.AMDGPU.csdata,"",@progbits
; Kernel info:
; codeLenInByte = 1768
; NumSgprs: 24
; NumVgprs: 26
; NumAgprs: 0
; TotalNumVgprs: 26
; ScratchSize: 0
; MemoryBound: 0
; FloatMode: 240
; IeeeMode: 1
; LDSByteSize: 0 bytes/workgroup (compile time only)
; SGPRBlocks: 2
; VGPRBlocks: 3
; NumSGPRsForWavesPerEU: 24
; NumVGPRsForWavesPerEU: 26
; AccumOffset: 28
; Occupancy: 8
; WaveLimiterHint : 0
; COMPUTE_PGM_RSRC2:SCRATCH_EN: 0
; COMPUTE_PGM_RSRC2:USER_SGPR: 6
; COMPUTE_PGM_RSRC2:TRAP_HANDLER: 0
; COMPUTE_PGM_RSRC2:TGID_X_EN: 1
; COMPUTE_PGM_RSRC2:TGID_Y_EN: 0
; COMPUTE_PGM_RSRC2:TGID_Z_EN: 0
; COMPUTE_PGM_RSRC2:TIDIG_COMP_CNT: 1
; COMPUTE_PGM_RSRC3_GFX90A:ACCUM_OFFSET: 6
; COMPUTE_PGM_RSRC3_GFX90A:TG_SPLIT: 0
	.section	.text._ZN12_GLOBAL__N_121softmax_warp_backwardIfN3c108BFloat16EfLi8ELb0ELb0ELi64EEEvPT0_PKT_S7_iiiPKb,"axG",@progbits,_ZN12_GLOBAL__N_121softmax_warp_backwardIfN3c108BFloat16EfLi8ELb0ELb0ELi64EEEvPT0_PKT_S7_iiiPKb,comdat
	.globl	_ZN12_GLOBAL__N_121softmax_warp_backwardIfN3c108BFloat16EfLi8ELb0ELb0ELi64EEEvPT0_PKT_S7_iiiPKb ; -- Begin function _ZN12_GLOBAL__N_121softmax_warp_backwardIfN3c108BFloat16EfLi8ELb0ELb0ELi64EEEvPT0_PKT_S7_iiiPKb
	.p2align	8
	.type	_ZN12_GLOBAL__N_121softmax_warp_backwardIfN3c108BFloat16EfLi8ELb0ELb0ELi64EEEvPT0_PKT_S7_iiiPKb,@function
_ZN12_GLOBAL__N_121softmax_warp_backwardIfN3c108BFloat16EfLi8ELb0ELb0ELi64EEEvPT0_PKT_S7_iiiPKb: ; @_ZN12_GLOBAL__N_121softmax_warp_backwardIfN3c108BFloat16EfLi8ELb0ELb0ELi64EEEvPT0_PKT_S7_iiiPKb
; %bb.0:
	s_load_dword s2, s[4:5], 0x3c
	s_load_dwordx4 s[12:15], s[4:5], 0x18
	s_load_dwordx4 s[8:11], s[4:5], 0x0
	s_load_dwordx2 s[0:1], s[4:5], 0x10
	v_bfe_u32 v1, v0, 10, 10
	s_waitcnt lgkmcnt(0)
	s_lshr_b32 s2, s2, 16
	s_mul_i32 s6, s6, s2
	v_add_u32_e32 v1, s6, v1
	v_and_b32_e32 v4, 63, v0
	v_sub_u32_e32 v9, s12, v1
	v_mad_u64_u32 v[0:1], s[2:3], v1, s13, v[4:5]
	v_ashrrev_i32_e32 v1, 31, v0
	v_lshlrev_b64 v[6:7], 2, v[0:1]
	v_mov_b32_e32 v3, s11
	v_add_co_u32_e32 v2, vcc, s10, v6
	v_addc_co_u32_e32 v3, vcc, v3, v7, vcc
	v_mov_b32_e32 v5, s1
	v_add_co_u32_e32 v6, vcc, s0, v6
	v_addc_co_u32_e32 v7, vcc, v5, v7, vcc
	v_cmp_lt_i32_e64 s[6:7], 0, v9
	v_cmp_gt_i32_e32 vcc, s14, v4
	s_and_b64 s[2:3], s[6:7], vcc
	v_mov_b32_e32 v5, 0
	v_mov_b32_e32 v10, 0
	;; [unrolled: 1-line block ×3, first 2 shown]
	s_and_saveexec_b64 s[0:1], s[2:3]
	s_cbranch_execz .LBB658_2
; %bb.1:
	global_load_dword v10, v[2:3], off
	global_load_dword v11, v[6:7], off
.LBB658_2:
	s_or_b64 exec, exec, s[0:1]
	v_or_b32_e32 v8, 64, v4
	v_cmp_gt_i32_e64 s[0:1], s14, v8
	s_and_b64 s[4:5], s[6:7], s[0:1]
	v_mov_b32_e32 v12, 0
	s_and_saveexec_b64 s[2:3], s[4:5]
	s_cbranch_execz .LBB658_4
; %bb.3:
	global_load_dword v5, v[2:3], off offset:256
	global_load_dword v12, v[6:7], off offset:256
.LBB658_4:
	s_or_b64 exec, exec, s[2:3]
	v_or_b32_e32 v8, 0x80, v4
	v_cmp_gt_i32_e64 s[2:3], s14, v8
	s_and_b64 s[10:11], s[6:7], s[2:3]
	v_mov_b32_e32 v8, 0
	v_mov_b32_e32 v13, 0
	;; [unrolled: 1-line block ×3, first 2 shown]
	s_and_saveexec_b64 s[4:5], s[10:11]
	s_cbranch_execz .LBB658_6
; %bb.5:
	global_load_dword v13, v[2:3], off offset:512
	global_load_dword v14, v[6:7], off offset:512
.LBB658_6:
	s_or_b64 exec, exec, s[4:5]
	v_or_b32_e32 v4, 0xc0, v4
	v_cmp_gt_i32_e64 s[4:5], s14, v4
	s_and_b64 s[10:11], s[6:7], s[4:5]
	v_mov_b32_e32 v4, 0
	s_and_saveexec_b64 s[6:7], s[10:11]
	s_cbranch_execz .LBB658_8
; %bb.7:
	global_load_dword v8, v[2:3], off offset:768
	global_load_dword v4, v[6:7], off offset:768
.LBB658_8:
	s_or_b64 exec, exec, s[6:7]
	v_mbcnt_lo_u32_b32 v3, -1, 0
	v_mbcnt_hi_u32_b32 v3, -1, v3
	v_and_b32_e32 v6, 64, v3
	s_waitcnt vmcnt(1)
	v_add_f32_e32 v2, 0, v10
	v_add_u32_e32 v6, 64, v6
	v_xor_b32_e32 v7, 32, v3
	v_add_f32_e32 v2, v2, v5
	v_cmp_lt_i32_e64 s[6:7], v7, v6
	v_add_f32_e32 v2, v2, v13
	v_cndmask_b32_e64 v7, v3, v7, s[6:7]
	v_add_f32_e32 v2, v2, v8
	v_lshlrev_b32_e32 v7, 2, v7
	ds_bpermute_b32 v7, v7, v2
	s_waitcnt lgkmcnt(0)
	v_add_f32_e32 v2, v2, v7
	v_xor_b32_e32 v7, 16, v3
	v_cmp_lt_i32_e64 s[6:7], v7, v6
	v_cndmask_b32_e64 v7, v3, v7, s[6:7]
	v_lshlrev_b32_e32 v7, 2, v7
	ds_bpermute_b32 v7, v7, v2
	s_waitcnt lgkmcnt(0)
	v_add_f32_e32 v2, v2, v7
	v_xor_b32_e32 v7, 8, v3
	v_cmp_lt_i32_e64 s[6:7], v7, v6
	v_cndmask_b32_e64 v7, v3, v7, s[6:7]
	;; [unrolled: 7-line block ×5, first 2 shown]
	v_lshlrev_b32_e32 v3, 2, v3
	ds_bpermute_b32 v3, v3, v2
	v_cmp_lt_i32_e64 s[6:7], 0, v9
	s_and_saveexec_b64 s[10:11], s[6:7]
	s_cbranch_execz .LBB658_14
; %bb.9:
	v_lshlrev_b64 v[0:1], 1, v[0:1]
	v_mov_b32_e32 v6, s9
	v_add_co_u32_e64 v0, s[6:7], s8, v0
	v_addc_co_u32_e64 v1, s[6:7], v6, v1, s[6:7]
	s_waitcnt lgkmcnt(0)
	v_add_f32_e32 v2, v2, v3
	s_and_saveexec_b64 s[6:7], vcc
	s_cbranch_execnz .LBB658_15
; %bb.10:
	s_or_b64 exec, exec, s[6:7]
	s_and_saveexec_b64 s[6:7], s[0:1]
	s_cbranch_execnz .LBB658_16
.LBB658_11:
	s_or_b64 exec, exec, s[6:7]
	s_and_saveexec_b64 s[0:1], s[2:3]
	s_cbranch_execnz .LBB658_17
.LBB658_12:
	s_or_b64 exec, exec, s[0:1]
	s_and_b64 exec, exec, s[4:5]
	s_cbranch_execz .LBB658_14
.LBB658_13:
	s_waitcnt vmcnt(0)
	v_fma_f32 v2, -v2, v4, v8
	v_bfe_u32 v3, v2, 16, 1
	s_movk_i32 s0, 0x7fff
	v_add3_u32 v3, v2, v3, s0
	v_lshrrev_b32_e32 v3, 16, v3
	v_mov_b32_e32 v4, 0x7fc0
	v_cmp_o_f32_e32 vcc, v2, v2
	v_cndmask_b32_e32 v2, v4, v3, vcc
	global_store_short v[0:1], v2, off offset:384
.LBB658_14:
	s_endpgm
.LBB658_15:
	s_waitcnt vmcnt(0)
	v_fma_f32 v3, -v2, v11, v10
	v_bfe_u32 v6, v3, 16, 1
	s_movk_i32 s8, 0x7fff
	v_add3_u32 v6, v3, v6, s8
	v_lshrrev_b32_e32 v6, 16, v6
	v_mov_b32_e32 v7, 0x7fc0
	v_cmp_o_f32_e32 vcc, v3, v3
	v_cndmask_b32_e32 v3, v7, v6, vcc
	global_store_short v[0:1], v3, off
	s_or_b64 exec, exec, s[6:7]
	s_and_saveexec_b64 s[6:7], s[0:1]
	s_cbranch_execz .LBB658_11
.LBB658_16:
	s_waitcnt vmcnt(0)
	v_fma_f32 v3, -v2, v12, v5
	v_bfe_u32 v5, v3, 16, 1
	s_movk_i32 s0, 0x7fff
	v_add3_u32 v5, v3, v5, s0
	v_lshrrev_b32_e32 v5, 16, v5
	v_mov_b32_e32 v6, 0x7fc0
	v_cmp_o_f32_e32 vcc, v3, v3
	v_cndmask_b32_e32 v3, v6, v5, vcc
	global_store_short v[0:1], v3, off offset:128
	s_or_b64 exec, exec, s[6:7]
	s_and_saveexec_b64 s[0:1], s[2:3]
	s_cbranch_execz .LBB658_12
.LBB658_17:
	s_waitcnt vmcnt(0)
	v_fma_f32 v3, -v2, v14, v13
	v_bfe_u32 v5, v3, 16, 1
	s_movk_i32 s2, 0x7fff
	v_add3_u32 v5, v3, v5, s2
	v_lshrrev_b32_e32 v5, 16, v5
	v_mov_b32_e32 v6, 0x7fc0
	v_cmp_o_f32_e32 vcc, v3, v3
	v_cndmask_b32_e32 v3, v6, v5, vcc
	global_store_short v[0:1], v3, off offset:256
	s_or_b64 exec, exec, s[0:1]
	s_and_b64 exec, exec, s[4:5]
	s_cbranch_execnz .LBB658_13
	s_branch .LBB658_14
	.section	.rodata,"a",@progbits
	.p2align	6, 0x0
	.amdhsa_kernel _ZN12_GLOBAL__N_121softmax_warp_backwardIfN3c108BFloat16EfLi8ELb0ELb0ELi64EEEvPT0_PKT_S7_iiiPKb
		.amdhsa_group_segment_fixed_size 0
		.amdhsa_private_segment_fixed_size 0
		.amdhsa_kernarg_size 304
		.amdhsa_user_sgpr_count 6
		.amdhsa_user_sgpr_private_segment_buffer 1
		.amdhsa_user_sgpr_dispatch_ptr 0
		.amdhsa_user_sgpr_queue_ptr 0
		.amdhsa_user_sgpr_kernarg_segment_ptr 1
		.amdhsa_user_sgpr_dispatch_id 0
		.amdhsa_user_sgpr_flat_scratch_init 0
		.amdhsa_user_sgpr_kernarg_preload_length 0
		.amdhsa_user_sgpr_kernarg_preload_offset 0
		.amdhsa_user_sgpr_private_segment_size 0
		.amdhsa_uses_dynamic_stack 0
		.amdhsa_system_sgpr_private_segment_wavefront_offset 0
		.amdhsa_system_sgpr_workgroup_id_x 1
		.amdhsa_system_sgpr_workgroup_id_y 0
		.amdhsa_system_sgpr_workgroup_id_z 0
		.amdhsa_system_sgpr_workgroup_info 0
		.amdhsa_system_vgpr_workitem_id 1
		.amdhsa_next_free_vgpr 15
		.amdhsa_next_free_sgpr 16
		.amdhsa_accum_offset 16
		.amdhsa_reserve_vcc 1
		.amdhsa_reserve_flat_scratch 0
		.amdhsa_float_round_mode_32 0
		.amdhsa_float_round_mode_16_64 0
		.amdhsa_float_denorm_mode_32 3
		.amdhsa_float_denorm_mode_16_64 3
		.amdhsa_dx10_clamp 1
		.amdhsa_ieee_mode 1
		.amdhsa_fp16_overflow 0
		.amdhsa_tg_split 0
		.amdhsa_exception_fp_ieee_invalid_op 0
		.amdhsa_exception_fp_denorm_src 0
		.amdhsa_exception_fp_ieee_div_zero 0
		.amdhsa_exception_fp_ieee_overflow 0
		.amdhsa_exception_fp_ieee_underflow 0
		.amdhsa_exception_fp_ieee_inexact 0
		.amdhsa_exception_int_div_zero 0
	.end_amdhsa_kernel
	.section	.text._ZN12_GLOBAL__N_121softmax_warp_backwardIfN3c108BFloat16EfLi8ELb0ELb0ELi64EEEvPT0_PKT_S7_iiiPKb,"axG",@progbits,_ZN12_GLOBAL__N_121softmax_warp_backwardIfN3c108BFloat16EfLi8ELb0ELb0ELi64EEEvPT0_PKT_S7_iiiPKb,comdat
.Lfunc_end658:
	.size	_ZN12_GLOBAL__N_121softmax_warp_backwardIfN3c108BFloat16EfLi8ELb0ELb0ELi64EEEvPT0_PKT_S7_iiiPKb, .Lfunc_end658-_ZN12_GLOBAL__N_121softmax_warp_backwardIfN3c108BFloat16EfLi8ELb0ELb0ELi64EEEvPT0_PKT_S7_iiiPKb
                                        ; -- End function
	.section	.AMDGPU.csdata,"",@progbits
; Kernel info:
; codeLenInByte = 980
; NumSgprs: 20
; NumVgprs: 15
; NumAgprs: 0
; TotalNumVgprs: 15
; ScratchSize: 0
; MemoryBound: 0
; FloatMode: 240
; IeeeMode: 1
; LDSByteSize: 0 bytes/workgroup (compile time only)
; SGPRBlocks: 2
; VGPRBlocks: 1
; NumSGPRsForWavesPerEU: 20
; NumVGPRsForWavesPerEU: 15
; AccumOffset: 16
; Occupancy: 8
; WaveLimiterHint : 0
; COMPUTE_PGM_RSRC2:SCRATCH_EN: 0
; COMPUTE_PGM_RSRC2:USER_SGPR: 6
; COMPUTE_PGM_RSRC2:TRAP_HANDLER: 0
; COMPUTE_PGM_RSRC2:TGID_X_EN: 1
; COMPUTE_PGM_RSRC2:TGID_Y_EN: 0
; COMPUTE_PGM_RSRC2:TGID_Z_EN: 0
; COMPUTE_PGM_RSRC2:TIDIG_COMP_CNT: 1
; COMPUTE_PGM_RSRC3_GFX90A:ACCUM_OFFSET: 3
; COMPUTE_PGM_RSRC3_GFX90A:TG_SPLIT: 0
	.section	.text._ZN12_GLOBAL__N_121softmax_warp_backwardIfN3c108BFloat16EfLi8ELb0ELb0ELi32EEEvPT0_PKT_S7_iiiPKb,"axG",@progbits,_ZN12_GLOBAL__N_121softmax_warp_backwardIfN3c108BFloat16EfLi8ELb0ELb0ELi32EEEvPT0_PKT_S7_iiiPKb,comdat
	.globl	_ZN12_GLOBAL__N_121softmax_warp_backwardIfN3c108BFloat16EfLi8ELb0ELb0ELi32EEEvPT0_PKT_S7_iiiPKb ; -- Begin function _ZN12_GLOBAL__N_121softmax_warp_backwardIfN3c108BFloat16EfLi8ELb0ELb0ELi32EEEvPT0_PKT_S7_iiiPKb
	.p2align	8
	.type	_ZN12_GLOBAL__N_121softmax_warp_backwardIfN3c108BFloat16EfLi8ELb0ELb0ELi32EEEvPT0_PKT_S7_iiiPKb,@function
_ZN12_GLOBAL__N_121softmax_warp_backwardIfN3c108BFloat16EfLi8ELb0ELb0ELi32EEEvPT0_PKT_S7_iiiPKb: ; @_ZN12_GLOBAL__N_121softmax_warp_backwardIfN3c108BFloat16EfLi8ELb0ELb0ELi32EEEvPT0_PKT_S7_iiiPKb
; %bb.0:
	s_load_dword s2, s[4:5], 0x3c
	s_load_dwordx4 s[20:23], s[4:5], 0x18
	s_load_dwordx4 s[16:19], s[4:5], 0x0
	s_load_dwordx2 s[0:1], s[4:5], 0x10
	v_bfe_u32 v1, v0, 10, 10
	s_waitcnt lgkmcnt(0)
	s_lshr_b32 s2, s2, 16
	s_mul_i32 s6, s6, s2
	v_add_u32_e32 v1, s6, v1
	v_and_b32_e32 v4, 31, v0
	v_sub_u32_e32 v11, s20, v1
	v_mad_u64_u32 v[0:1], s[2:3], v1, s21, v[4:5]
	v_ashrrev_i32_e32 v1, 31, v0
	v_lshlrev_b64 v[6:7], 2, v[0:1]
	v_mov_b32_e32 v3, s19
	v_add_co_u32_e32 v2, vcc, s18, v6
	v_addc_co_u32_e32 v3, vcc, v3, v7, vcc
	v_mov_b32_e32 v5, s1
	v_add_co_u32_e32 v6, vcc, s0, v6
	v_addc_co_u32_e32 v7, vcc, v5, v7, vcc
	v_cmp_lt_i32_e64 s[14:15], 0, v11
	v_cmp_gt_i32_e32 vcc, s22, v4
	s_and_b64 s[2:3], s[14:15], vcc
	v_mov_b32_e32 v5, 0
	v_mov_b32_e32 v12, 0
	;; [unrolled: 1-line block ×3, first 2 shown]
	s_and_saveexec_b64 s[0:1], s[2:3]
	s_cbranch_execz .LBB659_2
; %bb.1:
	global_load_dword v12, v[2:3], off
	global_load_dword v13, v[6:7], off
.LBB659_2:
	s_or_b64 exec, exec, s[0:1]
	v_or_b32_e32 v8, 32, v4
	v_cmp_gt_i32_e64 s[0:1], s22, v8
	s_and_b64 s[4:5], s[14:15], s[0:1]
	v_mov_b32_e32 v14, 0
	s_and_saveexec_b64 s[2:3], s[4:5]
	s_cbranch_execz .LBB659_4
; %bb.3:
	global_load_dword v5, v[2:3], off offset:128
	global_load_dword v14, v[6:7], off offset:128
.LBB659_4:
	s_or_b64 exec, exec, s[2:3]
	v_or_b32_e32 v8, 64, v4
	v_cmp_gt_i32_e64 s[2:3], s22, v8
	s_and_b64 s[6:7], s[14:15], s[2:3]
	v_mov_b32_e32 v8, 0
	v_mov_b32_e32 v15, 0
	v_mov_b32_e32 v16, 0
	s_and_saveexec_b64 s[4:5], s[6:7]
	s_cbranch_execz .LBB659_6
; %bb.5:
	global_load_dword v15, v[2:3], off offset:256
	global_load_dword v16, v[6:7], off offset:256
.LBB659_6:
	s_or_b64 exec, exec, s[4:5]
	v_or_b32_e32 v9, 0x60, v4
	v_cmp_gt_i32_e64 s[4:5], s22, v9
	s_and_b64 s[8:9], s[14:15], s[4:5]
	v_mov_b32_e32 v17, 0
	s_and_saveexec_b64 s[6:7], s[8:9]
	s_cbranch_execz .LBB659_8
; %bb.7:
	global_load_dword v8, v[2:3], off offset:384
	global_load_dword v17, v[6:7], off offset:384
.LBB659_8:
	s_or_b64 exec, exec, s[6:7]
	v_or_b32_e32 v9, 0x80, v4
	v_cmp_gt_i32_e64 s[6:7], s22, v9
	s_and_b64 s[10:11], s[14:15], s[6:7]
	v_mov_b32_e32 v9, 0
	v_mov_b32_e32 v18, 0
	v_mov_b32_e32 v19, 0
	s_and_saveexec_b64 s[8:9], s[10:11]
	s_cbranch_execz .LBB659_10
; %bb.9:
	global_load_dword v18, v[2:3], off offset:512
	global_load_dword v19, v[6:7], off offset:512
.LBB659_10:
	s_or_b64 exec, exec, s[8:9]
	v_or_b32_e32 v10, 0xa0, v4
	v_cmp_gt_i32_e64 s[8:9], s22, v10
	s_and_b64 s[12:13], s[14:15], s[8:9]
	v_mov_b32_e32 v20, 0
	s_and_saveexec_b64 s[10:11], s[12:13]
	s_cbranch_execz .LBB659_12
; %bb.11:
	global_load_dword v9, v[2:3], off offset:640
	global_load_dword v20, v[6:7], off offset:640
.LBB659_12:
	s_or_b64 exec, exec, s[10:11]
	v_or_b32_e32 v10, 0xc0, v4
	v_cmp_gt_i32_e64 s[10:11], s22, v10
	s_and_b64 s[18:19], s[14:15], s[10:11]
	v_mov_b32_e32 v10, 0
	v_mov_b32_e32 v21, 0
	v_mov_b32_e32 v22, 0
	s_and_saveexec_b64 s[12:13], s[18:19]
	s_cbranch_execz .LBB659_14
; %bb.13:
	global_load_dword v21, v[2:3], off offset:768
	global_load_dword v22, v[6:7], off offset:768
.LBB659_14:
	s_or_b64 exec, exec, s[12:13]
	v_or_b32_e32 v4, 0xe0, v4
	v_cmp_gt_i32_e64 s[12:13], s22, v4
	s_and_b64 s[18:19], s[14:15], s[12:13]
	v_mov_b32_e32 v4, 0
	s_and_saveexec_b64 s[14:15], s[18:19]
	s_cbranch_execz .LBB659_16
; %bb.15:
	global_load_dword v10, v[2:3], off offset:896
	global_load_dword v4, v[6:7], off offset:896
.LBB659_16:
	s_or_b64 exec, exec, s[14:15]
	s_waitcnt vmcnt(1)
	v_add_f32_e32 v2, 0, v12
	v_add_f32_e32 v2, v2, v5
	v_mbcnt_lo_u32_b32 v3, -1, 0
	v_add_f32_e32 v2, v2, v15
	v_mbcnt_hi_u32_b32 v3, -1, v3
	v_add_f32_e32 v2, v2, v8
	v_and_b32_e32 v6, 0x60, v3
	v_add_f32_e32 v2, v2, v18
	v_add_u32_e32 v6, 32, v6
	v_xor_b32_e32 v7, 16, v3
	v_add_f32_e32 v2, v2, v9
	v_cmp_lt_i32_e64 s[14:15], v7, v6
	v_add_f32_e32 v2, v2, v21
	v_cndmask_b32_e64 v7, v3, v7, s[14:15]
	v_add_f32_e32 v2, v2, v10
	v_lshlrev_b32_e32 v7, 2, v7
	ds_bpermute_b32 v7, v7, v2
	s_waitcnt lgkmcnt(0)
	v_add_f32_e32 v2, v2, v7
	v_xor_b32_e32 v7, 8, v3
	v_cmp_lt_i32_e64 s[14:15], v7, v6
	v_cndmask_b32_e64 v7, v3, v7, s[14:15]
	v_lshlrev_b32_e32 v7, 2, v7
	ds_bpermute_b32 v7, v7, v2
	s_waitcnt lgkmcnt(0)
	v_add_f32_e32 v2, v2, v7
	v_xor_b32_e32 v7, 4, v3
	v_cmp_lt_i32_e64 s[14:15], v7, v6
	v_cndmask_b32_e64 v7, v3, v7, s[14:15]
	v_lshlrev_b32_e32 v7, 2, v7
	ds_bpermute_b32 v7, v7, v2
	s_waitcnt lgkmcnt(0)
	v_add_f32_e32 v2, v2, v7
	v_xor_b32_e32 v7, 2, v3
	v_cmp_lt_i32_e64 s[14:15], v7, v6
	v_cndmask_b32_e64 v7, v3, v7, s[14:15]
	v_lshlrev_b32_e32 v7, 2, v7
	ds_bpermute_b32 v7, v7, v2
	s_waitcnt lgkmcnt(0)
	v_add_f32_e32 v2, v2, v7
	v_xor_b32_e32 v7, 1, v3
	v_cmp_lt_i32_e64 s[14:15], v7, v6
	v_cndmask_b32_e64 v3, v3, v7, s[14:15]
	v_lshlrev_b32_e32 v3, 2, v3
	ds_bpermute_b32 v3, v3, v2
	v_cmp_lt_i32_e64 s[14:15], 0, v11
	s_and_saveexec_b64 s[18:19], s[14:15]
	s_cbranch_execz .LBB659_26
; %bb.17:
	v_lshlrev_b64 v[0:1], 1, v[0:1]
	v_mov_b32_e32 v6, s17
	v_add_co_u32_e64 v0, s[14:15], s16, v0
	v_addc_co_u32_e64 v1, s[14:15], v6, v1, s[14:15]
	s_waitcnt lgkmcnt(0)
	v_add_f32_e32 v2, v2, v3
	s_and_saveexec_b64 s[14:15], vcc
	s_cbranch_execnz .LBB659_27
; %bb.18:
	s_or_b64 exec, exec, s[14:15]
	s_and_saveexec_b64 s[14:15], s[0:1]
	s_cbranch_execnz .LBB659_28
.LBB659_19:
	s_or_b64 exec, exec, s[14:15]
	s_and_saveexec_b64 s[0:1], s[2:3]
	s_cbranch_execnz .LBB659_29
.LBB659_20:
	s_or_b64 exec, exec, s[0:1]
	s_and_saveexec_b64 s[0:1], s[4:5]
	s_cbranch_execnz .LBB659_30
.LBB659_21:
	s_or_b64 exec, exec, s[0:1]
	s_and_saveexec_b64 s[0:1], s[6:7]
	s_cbranch_execnz .LBB659_31
.LBB659_22:
	s_or_b64 exec, exec, s[0:1]
	s_and_saveexec_b64 s[0:1], s[8:9]
	s_cbranch_execnz .LBB659_32
.LBB659_23:
	s_or_b64 exec, exec, s[0:1]
	s_and_saveexec_b64 s[0:1], s[10:11]
	s_cbranch_execnz .LBB659_33
.LBB659_24:
	s_or_b64 exec, exec, s[0:1]
	s_and_b64 exec, exec, s[12:13]
	s_cbranch_execz .LBB659_26
.LBB659_25:
	s_waitcnt vmcnt(0)
	v_fma_f32 v2, -v2, v4, v10
	v_bfe_u32 v3, v2, 16, 1
	s_movk_i32 s0, 0x7fff
	v_add3_u32 v3, v2, v3, s0
	v_lshrrev_b32_e32 v3, 16, v3
	v_mov_b32_e32 v4, 0x7fc0
	v_cmp_o_f32_e32 vcc, v2, v2
	v_cndmask_b32_e32 v2, v4, v3, vcc
	global_store_short v[0:1], v2, off offset:448
.LBB659_26:
	s_endpgm
.LBB659_27:
	s_waitcnt vmcnt(0)
	v_fma_f32 v3, -v2, v13, v12
	v_bfe_u32 v6, v3, 16, 1
	s_movk_i32 s16, 0x7fff
	v_add3_u32 v6, v3, v6, s16
	v_lshrrev_b32_e32 v6, 16, v6
	v_mov_b32_e32 v7, 0x7fc0
	v_cmp_o_f32_e32 vcc, v3, v3
	v_cndmask_b32_e32 v3, v7, v6, vcc
	global_store_short v[0:1], v3, off
	s_or_b64 exec, exec, s[14:15]
	s_and_saveexec_b64 s[14:15], s[0:1]
	s_cbranch_execz .LBB659_19
.LBB659_28:
	s_waitcnt vmcnt(0)
	v_fma_f32 v3, -v2, v14, v5
	v_bfe_u32 v5, v3, 16, 1
	s_movk_i32 s0, 0x7fff
	v_add3_u32 v5, v3, v5, s0
	v_lshrrev_b32_e32 v5, 16, v5
	v_mov_b32_e32 v6, 0x7fc0
	v_cmp_o_f32_e32 vcc, v3, v3
	v_cndmask_b32_e32 v3, v6, v5, vcc
	global_store_short v[0:1], v3, off offset:64
	s_or_b64 exec, exec, s[14:15]
	s_and_saveexec_b64 s[0:1], s[2:3]
	s_cbranch_execz .LBB659_20
.LBB659_29:
	s_waitcnt vmcnt(0)
	v_fma_f32 v3, -v2, v16, v15
	v_bfe_u32 v5, v3, 16, 1
	s_movk_i32 s2, 0x7fff
	v_add3_u32 v5, v3, v5, s2
	v_lshrrev_b32_e32 v5, 16, v5
	v_mov_b32_e32 v6, 0x7fc0
	v_cmp_o_f32_e32 vcc, v3, v3
	v_cndmask_b32_e32 v3, v6, v5, vcc
	global_store_short v[0:1], v3, off offset:128
	s_or_b64 exec, exec, s[0:1]
	s_and_saveexec_b64 s[0:1], s[4:5]
	s_cbranch_execz .LBB659_21
.LBB659_30:
	s_waitcnt vmcnt(0)
	v_fma_f32 v3, -v2, v17, v8
	v_bfe_u32 v5, v3, 16, 1
	s_movk_i32 s2, 0x7fff
	v_add3_u32 v5, v3, v5, s2
	v_lshrrev_b32_e32 v5, 16, v5
	v_mov_b32_e32 v6, 0x7fc0
	v_cmp_o_f32_e32 vcc, v3, v3
	v_cndmask_b32_e32 v3, v6, v5, vcc
	global_store_short v[0:1], v3, off offset:192
	s_or_b64 exec, exec, s[0:1]
	s_and_saveexec_b64 s[0:1], s[6:7]
	s_cbranch_execz .LBB659_22
.LBB659_31:
	s_waitcnt vmcnt(0)
	v_fma_f32 v3, -v2, v19, v18
	v_bfe_u32 v5, v3, 16, 1
	s_movk_i32 s2, 0x7fff
	v_add3_u32 v5, v3, v5, s2
	v_lshrrev_b32_e32 v5, 16, v5
	v_mov_b32_e32 v6, 0x7fc0
	v_cmp_o_f32_e32 vcc, v3, v3
	v_cndmask_b32_e32 v3, v6, v5, vcc
	global_store_short v[0:1], v3, off offset:256
	s_or_b64 exec, exec, s[0:1]
	s_and_saveexec_b64 s[0:1], s[8:9]
	s_cbranch_execz .LBB659_23
.LBB659_32:
	s_waitcnt vmcnt(0)
	v_fma_f32 v3, -v2, v20, v9
	v_bfe_u32 v5, v3, 16, 1
	s_movk_i32 s2, 0x7fff
	v_add3_u32 v5, v3, v5, s2
	v_lshrrev_b32_e32 v5, 16, v5
	v_mov_b32_e32 v6, 0x7fc0
	v_cmp_o_f32_e32 vcc, v3, v3
	v_cndmask_b32_e32 v3, v6, v5, vcc
	global_store_short v[0:1], v3, off offset:320
	s_or_b64 exec, exec, s[0:1]
	s_and_saveexec_b64 s[0:1], s[10:11]
	s_cbranch_execz .LBB659_24
.LBB659_33:
	s_waitcnt vmcnt(0)
	v_fma_f32 v3, -v2, v22, v21
	v_bfe_u32 v5, v3, 16, 1
	s_movk_i32 s2, 0x7fff
	v_add3_u32 v5, v3, v5, s2
	v_lshrrev_b32_e32 v5, 16, v5
	v_mov_b32_e32 v6, 0x7fc0
	v_cmp_o_f32_e32 vcc, v3, v3
	v_cndmask_b32_e32 v3, v6, v5, vcc
	global_store_short v[0:1], v3, off offset:384
	s_or_b64 exec, exec, s[0:1]
	s_and_b64 exec, exec, s[12:13]
	s_cbranch_execnz .LBB659_25
	s_branch .LBB659_26
	.section	.rodata,"a",@progbits
	.p2align	6, 0x0
	.amdhsa_kernel _ZN12_GLOBAL__N_121softmax_warp_backwardIfN3c108BFloat16EfLi8ELb0ELb0ELi32EEEvPT0_PKT_S7_iiiPKb
		.amdhsa_group_segment_fixed_size 0
		.amdhsa_private_segment_fixed_size 0
		.amdhsa_kernarg_size 304
		.amdhsa_user_sgpr_count 6
		.amdhsa_user_sgpr_private_segment_buffer 1
		.amdhsa_user_sgpr_dispatch_ptr 0
		.amdhsa_user_sgpr_queue_ptr 0
		.amdhsa_user_sgpr_kernarg_segment_ptr 1
		.amdhsa_user_sgpr_dispatch_id 0
		.amdhsa_user_sgpr_flat_scratch_init 0
		.amdhsa_user_sgpr_kernarg_preload_length 0
		.amdhsa_user_sgpr_kernarg_preload_offset 0
		.amdhsa_user_sgpr_private_segment_size 0
		.amdhsa_uses_dynamic_stack 0
		.amdhsa_system_sgpr_private_segment_wavefront_offset 0
		.amdhsa_system_sgpr_workgroup_id_x 1
		.amdhsa_system_sgpr_workgroup_id_y 0
		.amdhsa_system_sgpr_workgroup_id_z 0
		.amdhsa_system_sgpr_workgroup_info 0
		.amdhsa_system_vgpr_workitem_id 1
		.amdhsa_next_free_vgpr 23
		.amdhsa_next_free_sgpr 24
		.amdhsa_accum_offset 24
		.amdhsa_reserve_vcc 1
		.amdhsa_reserve_flat_scratch 0
		.amdhsa_float_round_mode_32 0
		.amdhsa_float_round_mode_16_64 0
		.amdhsa_float_denorm_mode_32 3
		.amdhsa_float_denorm_mode_16_64 3
		.amdhsa_dx10_clamp 1
		.amdhsa_ieee_mode 1
		.amdhsa_fp16_overflow 0
		.amdhsa_tg_split 0
		.amdhsa_exception_fp_ieee_invalid_op 0
		.amdhsa_exception_fp_denorm_src 0
		.amdhsa_exception_fp_ieee_div_zero 0
		.amdhsa_exception_fp_ieee_overflow 0
		.amdhsa_exception_fp_ieee_underflow 0
		.amdhsa_exception_fp_ieee_inexact 0
		.amdhsa_exception_int_div_zero 0
	.end_amdhsa_kernel
	.section	.text._ZN12_GLOBAL__N_121softmax_warp_backwardIfN3c108BFloat16EfLi8ELb0ELb0ELi32EEEvPT0_PKT_S7_iiiPKb,"axG",@progbits,_ZN12_GLOBAL__N_121softmax_warp_backwardIfN3c108BFloat16EfLi8ELb0ELb0ELi32EEEvPT0_PKT_S7_iiiPKb,comdat
.Lfunc_end659:
	.size	_ZN12_GLOBAL__N_121softmax_warp_backwardIfN3c108BFloat16EfLi8ELb0ELb0ELi32EEEvPT0_PKT_S7_iiiPKb, .Lfunc_end659-_ZN12_GLOBAL__N_121softmax_warp_backwardIfN3c108BFloat16EfLi8ELb0ELb0ELi32EEEvPT0_PKT_S7_iiiPKb
                                        ; -- End function
	.section	.AMDGPU.csdata,"",@progbits
; Kernel info:
; codeLenInByte = 1516
; NumSgprs: 28
; NumVgprs: 23
; NumAgprs: 0
; TotalNumVgprs: 23
; ScratchSize: 0
; MemoryBound: 0
; FloatMode: 240
; IeeeMode: 1
; LDSByteSize: 0 bytes/workgroup (compile time only)
; SGPRBlocks: 3
; VGPRBlocks: 2
; NumSGPRsForWavesPerEU: 28
; NumVGPRsForWavesPerEU: 23
; AccumOffset: 24
; Occupancy: 8
; WaveLimiterHint : 0
; COMPUTE_PGM_RSRC2:SCRATCH_EN: 0
; COMPUTE_PGM_RSRC2:USER_SGPR: 6
; COMPUTE_PGM_RSRC2:TRAP_HANDLER: 0
; COMPUTE_PGM_RSRC2:TGID_X_EN: 1
; COMPUTE_PGM_RSRC2:TGID_Y_EN: 0
; COMPUTE_PGM_RSRC2:TGID_Z_EN: 0
; COMPUTE_PGM_RSRC2:TIDIG_COMP_CNT: 1
; COMPUTE_PGM_RSRC3_GFX90A:ACCUM_OFFSET: 5
; COMPUTE_PGM_RSRC3_GFX90A:TG_SPLIT: 0
	.section	.text._ZN12_GLOBAL__N_121softmax_warp_backwardIfN3c108BFloat16EfLi9ELb0ELb0ELi64EEEvPT0_PKT_S7_iiiPKb,"axG",@progbits,_ZN12_GLOBAL__N_121softmax_warp_backwardIfN3c108BFloat16EfLi9ELb0ELb0ELi64EEEvPT0_PKT_S7_iiiPKb,comdat
	.globl	_ZN12_GLOBAL__N_121softmax_warp_backwardIfN3c108BFloat16EfLi9ELb0ELb0ELi64EEEvPT0_PKT_S7_iiiPKb ; -- Begin function _ZN12_GLOBAL__N_121softmax_warp_backwardIfN3c108BFloat16EfLi9ELb0ELb0ELi64EEEvPT0_PKT_S7_iiiPKb
	.p2align	8
	.type	_ZN12_GLOBAL__N_121softmax_warp_backwardIfN3c108BFloat16EfLi9ELb0ELb0ELi64EEEvPT0_PKT_S7_iiiPKb,@function
_ZN12_GLOBAL__N_121softmax_warp_backwardIfN3c108BFloat16EfLi9ELb0ELb0ELi64EEEvPT0_PKT_S7_iiiPKb: ; @_ZN12_GLOBAL__N_121softmax_warp_backwardIfN3c108BFloat16EfLi9ELb0ELb0ELi64EEEvPT0_PKT_S7_iiiPKb
; %bb.0:
	s_load_dword s2, s[4:5], 0x3c
	s_load_dwordx4 s[20:23], s[4:5], 0x18
	s_load_dwordx4 s[16:19], s[4:5], 0x0
	s_load_dwordx2 s[0:1], s[4:5], 0x10
	v_bfe_u32 v1, v0, 10, 10
	s_waitcnt lgkmcnt(0)
	s_lshr_b32 s2, s2, 16
	s_mul_i32 s6, s6, s2
	v_add_u32_e32 v1, s6, v1
	v_and_b32_e32 v4, 63, v0
	v_sub_u32_e32 v11, s20, v1
	v_mad_u64_u32 v[0:1], s[2:3], v1, s21, v[4:5]
	v_ashrrev_i32_e32 v1, 31, v0
	v_lshlrev_b64 v[6:7], 2, v[0:1]
	v_mov_b32_e32 v3, s19
	v_add_co_u32_e32 v2, vcc, s18, v6
	v_addc_co_u32_e32 v3, vcc, v3, v7, vcc
	v_mov_b32_e32 v5, s1
	v_add_co_u32_e32 v6, vcc, s0, v6
	v_addc_co_u32_e32 v7, vcc, v5, v7, vcc
	v_cmp_lt_i32_e64 s[14:15], 0, v11
	v_cmp_gt_i32_e32 vcc, s22, v4
	s_and_b64 s[2:3], s[14:15], vcc
	v_mov_b32_e32 v5, 0
	v_mov_b32_e32 v12, 0
	;; [unrolled: 1-line block ×3, first 2 shown]
	s_and_saveexec_b64 s[0:1], s[2:3]
	s_cbranch_execz .LBB660_2
; %bb.1:
	global_load_dword v12, v[2:3], off
	global_load_dword v13, v[6:7], off
.LBB660_2:
	s_or_b64 exec, exec, s[0:1]
	v_or_b32_e32 v8, 64, v4
	v_cmp_gt_i32_e64 s[0:1], s22, v8
	s_and_b64 s[4:5], s[14:15], s[0:1]
	v_mov_b32_e32 v14, 0
	s_and_saveexec_b64 s[2:3], s[4:5]
	s_cbranch_execz .LBB660_4
; %bb.3:
	global_load_dword v5, v[2:3], off offset:256
	global_load_dword v14, v[6:7], off offset:256
.LBB660_4:
	s_or_b64 exec, exec, s[2:3]
	v_or_b32_e32 v8, 0x80, v4
	v_cmp_gt_i32_e64 s[2:3], s22, v8
	s_and_b64 s[6:7], s[14:15], s[2:3]
	v_mov_b32_e32 v8, 0
	v_mov_b32_e32 v15, 0
	v_mov_b32_e32 v16, 0
	s_and_saveexec_b64 s[4:5], s[6:7]
	s_cbranch_execz .LBB660_6
; %bb.5:
	global_load_dword v15, v[2:3], off offset:512
	global_load_dword v16, v[6:7], off offset:512
.LBB660_6:
	s_or_b64 exec, exec, s[4:5]
	v_or_b32_e32 v9, 0xc0, v4
	v_cmp_gt_i32_e64 s[4:5], s22, v9
	s_and_b64 s[8:9], s[14:15], s[4:5]
	v_mov_b32_e32 v17, 0
	s_and_saveexec_b64 s[6:7], s[8:9]
	s_cbranch_execz .LBB660_8
; %bb.7:
	global_load_dword v8, v[2:3], off offset:768
	global_load_dword v17, v[6:7], off offset:768
.LBB660_8:
	s_or_b64 exec, exec, s[6:7]
	v_or_b32_e32 v9, 0x100, v4
	v_cmp_gt_i32_e64 s[6:7], s22, v9
	s_and_b64 s[10:11], s[14:15], s[6:7]
	v_mov_b32_e32 v9, 0
	v_mov_b32_e32 v18, 0
	v_mov_b32_e32 v19, 0
	s_and_saveexec_b64 s[8:9], s[10:11]
	s_cbranch_execz .LBB660_10
; %bb.9:
	global_load_dword v18, v[2:3], off offset:1024
	global_load_dword v19, v[6:7], off offset:1024
.LBB660_10:
	s_or_b64 exec, exec, s[8:9]
	v_or_b32_e32 v10, 0x140, v4
	v_cmp_gt_i32_e64 s[8:9], s22, v10
	s_and_b64 s[12:13], s[14:15], s[8:9]
	v_mov_b32_e32 v20, 0
	s_and_saveexec_b64 s[10:11], s[12:13]
	s_cbranch_execz .LBB660_12
; %bb.11:
	global_load_dword v9, v[2:3], off offset:1280
	global_load_dword v20, v[6:7], off offset:1280
.LBB660_12:
	s_or_b64 exec, exec, s[10:11]
	v_or_b32_e32 v10, 0x180, v4
	v_cmp_gt_i32_e64 s[10:11], s22, v10
	s_and_b64 s[18:19], s[14:15], s[10:11]
	v_mov_b32_e32 v10, 0
	v_mov_b32_e32 v21, 0
	v_mov_b32_e32 v22, 0
	s_and_saveexec_b64 s[12:13], s[18:19]
	s_cbranch_execz .LBB660_14
; %bb.13:
	global_load_dword v21, v[2:3], off offset:1536
	global_load_dword v22, v[6:7], off offset:1536
.LBB660_14:
	s_or_b64 exec, exec, s[12:13]
	v_or_b32_e32 v4, 0x1c0, v4
	v_cmp_gt_i32_e64 s[12:13], s22, v4
	s_and_b64 s[18:19], s[14:15], s[12:13]
	v_mov_b32_e32 v4, 0
	s_and_saveexec_b64 s[14:15], s[18:19]
	s_cbranch_execz .LBB660_16
; %bb.15:
	global_load_dword v10, v[2:3], off offset:1792
	global_load_dword v4, v[6:7], off offset:1792
.LBB660_16:
	s_or_b64 exec, exec, s[14:15]
	s_waitcnt vmcnt(1)
	v_add_f32_e32 v2, 0, v12
	v_add_f32_e32 v2, v2, v5
	v_mbcnt_lo_u32_b32 v3, -1, 0
	v_add_f32_e32 v2, v2, v15
	v_mbcnt_hi_u32_b32 v3, -1, v3
	v_add_f32_e32 v2, v2, v8
	v_and_b32_e32 v6, 64, v3
	v_add_f32_e32 v2, v2, v18
	v_add_u32_e32 v6, 64, v6
	v_xor_b32_e32 v7, 32, v3
	v_add_f32_e32 v2, v2, v9
	v_cmp_lt_i32_e64 s[14:15], v7, v6
	v_add_f32_e32 v2, v2, v21
	v_cndmask_b32_e64 v7, v3, v7, s[14:15]
	v_add_f32_e32 v2, v2, v10
	v_lshlrev_b32_e32 v7, 2, v7
	ds_bpermute_b32 v7, v7, v2
	s_waitcnt lgkmcnt(0)
	v_add_f32_e32 v2, v2, v7
	v_xor_b32_e32 v7, 16, v3
	v_cmp_lt_i32_e64 s[14:15], v7, v6
	v_cndmask_b32_e64 v7, v3, v7, s[14:15]
	v_lshlrev_b32_e32 v7, 2, v7
	ds_bpermute_b32 v7, v7, v2
	s_waitcnt lgkmcnt(0)
	v_add_f32_e32 v2, v2, v7
	v_xor_b32_e32 v7, 8, v3
	v_cmp_lt_i32_e64 s[14:15], v7, v6
	v_cndmask_b32_e64 v7, v3, v7, s[14:15]
	;; [unrolled: 7-line block ×5, first 2 shown]
	v_lshlrev_b32_e32 v3, 2, v3
	ds_bpermute_b32 v3, v3, v2
	v_cmp_lt_i32_e64 s[14:15], 0, v11
	s_and_saveexec_b64 s[18:19], s[14:15]
	s_cbranch_execz .LBB660_26
; %bb.17:
	v_lshlrev_b64 v[0:1], 1, v[0:1]
	v_mov_b32_e32 v6, s17
	v_add_co_u32_e64 v0, s[14:15], s16, v0
	v_addc_co_u32_e64 v1, s[14:15], v6, v1, s[14:15]
	s_waitcnt lgkmcnt(0)
	v_add_f32_e32 v2, v2, v3
	s_and_saveexec_b64 s[14:15], vcc
	s_cbranch_execnz .LBB660_27
; %bb.18:
	s_or_b64 exec, exec, s[14:15]
	s_and_saveexec_b64 s[14:15], s[0:1]
	s_cbranch_execnz .LBB660_28
.LBB660_19:
	s_or_b64 exec, exec, s[14:15]
	s_and_saveexec_b64 s[0:1], s[2:3]
	s_cbranch_execnz .LBB660_29
.LBB660_20:
	s_or_b64 exec, exec, s[0:1]
	s_and_saveexec_b64 s[0:1], s[4:5]
	s_cbranch_execnz .LBB660_30
.LBB660_21:
	s_or_b64 exec, exec, s[0:1]
	s_and_saveexec_b64 s[0:1], s[6:7]
	s_cbranch_execnz .LBB660_31
.LBB660_22:
	s_or_b64 exec, exec, s[0:1]
	s_and_saveexec_b64 s[0:1], s[8:9]
	s_cbranch_execnz .LBB660_32
.LBB660_23:
	s_or_b64 exec, exec, s[0:1]
	s_and_saveexec_b64 s[0:1], s[10:11]
	s_cbranch_execnz .LBB660_33
.LBB660_24:
	s_or_b64 exec, exec, s[0:1]
	s_and_b64 exec, exec, s[12:13]
	s_cbranch_execz .LBB660_26
.LBB660_25:
	s_waitcnt vmcnt(0)
	v_fma_f32 v2, -v2, v4, v10
	v_bfe_u32 v3, v2, 16, 1
	s_movk_i32 s0, 0x7fff
	v_add3_u32 v3, v2, v3, s0
	v_lshrrev_b32_e32 v3, 16, v3
	v_mov_b32_e32 v4, 0x7fc0
	v_cmp_o_f32_e32 vcc, v2, v2
	v_cndmask_b32_e32 v2, v4, v3, vcc
	global_store_short v[0:1], v2, off offset:896
.LBB660_26:
	s_endpgm
.LBB660_27:
	s_waitcnt vmcnt(0)
	v_fma_f32 v3, -v2, v13, v12
	v_bfe_u32 v6, v3, 16, 1
	s_movk_i32 s16, 0x7fff
	v_add3_u32 v6, v3, v6, s16
	v_lshrrev_b32_e32 v6, 16, v6
	v_mov_b32_e32 v7, 0x7fc0
	v_cmp_o_f32_e32 vcc, v3, v3
	v_cndmask_b32_e32 v3, v7, v6, vcc
	global_store_short v[0:1], v3, off
	s_or_b64 exec, exec, s[14:15]
	s_and_saveexec_b64 s[14:15], s[0:1]
	s_cbranch_execz .LBB660_19
.LBB660_28:
	s_waitcnt vmcnt(0)
	v_fma_f32 v3, -v2, v14, v5
	v_bfe_u32 v5, v3, 16, 1
	s_movk_i32 s0, 0x7fff
	v_add3_u32 v5, v3, v5, s0
	v_lshrrev_b32_e32 v5, 16, v5
	v_mov_b32_e32 v6, 0x7fc0
	v_cmp_o_f32_e32 vcc, v3, v3
	v_cndmask_b32_e32 v3, v6, v5, vcc
	global_store_short v[0:1], v3, off offset:128
	s_or_b64 exec, exec, s[14:15]
	s_and_saveexec_b64 s[0:1], s[2:3]
	s_cbranch_execz .LBB660_20
.LBB660_29:
	s_waitcnt vmcnt(0)
	v_fma_f32 v3, -v2, v16, v15
	v_bfe_u32 v5, v3, 16, 1
	s_movk_i32 s2, 0x7fff
	v_add3_u32 v5, v3, v5, s2
	v_lshrrev_b32_e32 v5, 16, v5
	v_mov_b32_e32 v6, 0x7fc0
	v_cmp_o_f32_e32 vcc, v3, v3
	v_cndmask_b32_e32 v3, v6, v5, vcc
	global_store_short v[0:1], v3, off offset:256
	s_or_b64 exec, exec, s[0:1]
	s_and_saveexec_b64 s[0:1], s[4:5]
	s_cbranch_execz .LBB660_21
.LBB660_30:
	s_waitcnt vmcnt(0)
	v_fma_f32 v3, -v2, v17, v8
	v_bfe_u32 v5, v3, 16, 1
	s_movk_i32 s2, 0x7fff
	v_add3_u32 v5, v3, v5, s2
	v_lshrrev_b32_e32 v5, 16, v5
	v_mov_b32_e32 v6, 0x7fc0
	v_cmp_o_f32_e32 vcc, v3, v3
	v_cndmask_b32_e32 v3, v6, v5, vcc
	global_store_short v[0:1], v3, off offset:384
	s_or_b64 exec, exec, s[0:1]
	s_and_saveexec_b64 s[0:1], s[6:7]
	s_cbranch_execz .LBB660_22
.LBB660_31:
	s_waitcnt vmcnt(0)
	v_fma_f32 v3, -v2, v19, v18
	v_bfe_u32 v5, v3, 16, 1
	s_movk_i32 s2, 0x7fff
	v_add3_u32 v5, v3, v5, s2
	v_lshrrev_b32_e32 v5, 16, v5
	v_mov_b32_e32 v6, 0x7fc0
	v_cmp_o_f32_e32 vcc, v3, v3
	v_cndmask_b32_e32 v3, v6, v5, vcc
	global_store_short v[0:1], v3, off offset:512
	s_or_b64 exec, exec, s[0:1]
	s_and_saveexec_b64 s[0:1], s[8:9]
	s_cbranch_execz .LBB660_23
.LBB660_32:
	s_waitcnt vmcnt(0)
	v_fma_f32 v3, -v2, v20, v9
	v_bfe_u32 v5, v3, 16, 1
	s_movk_i32 s2, 0x7fff
	v_add3_u32 v5, v3, v5, s2
	v_lshrrev_b32_e32 v5, 16, v5
	v_mov_b32_e32 v6, 0x7fc0
	v_cmp_o_f32_e32 vcc, v3, v3
	v_cndmask_b32_e32 v3, v6, v5, vcc
	global_store_short v[0:1], v3, off offset:640
	s_or_b64 exec, exec, s[0:1]
	s_and_saveexec_b64 s[0:1], s[10:11]
	s_cbranch_execz .LBB660_24
.LBB660_33:
	s_waitcnt vmcnt(0)
	v_fma_f32 v3, -v2, v22, v21
	v_bfe_u32 v5, v3, 16, 1
	s_movk_i32 s2, 0x7fff
	v_add3_u32 v5, v3, v5, s2
	v_lshrrev_b32_e32 v5, 16, v5
	v_mov_b32_e32 v6, 0x7fc0
	v_cmp_o_f32_e32 vcc, v3, v3
	v_cndmask_b32_e32 v3, v6, v5, vcc
	global_store_short v[0:1], v3, off offset:768
	s_or_b64 exec, exec, s[0:1]
	s_and_b64 exec, exec, s[12:13]
	s_cbranch_execnz .LBB660_25
	s_branch .LBB660_26
	.section	.rodata,"a",@progbits
	.p2align	6, 0x0
	.amdhsa_kernel _ZN12_GLOBAL__N_121softmax_warp_backwardIfN3c108BFloat16EfLi9ELb0ELb0ELi64EEEvPT0_PKT_S7_iiiPKb
		.amdhsa_group_segment_fixed_size 0
		.amdhsa_private_segment_fixed_size 0
		.amdhsa_kernarg_size 304
		.amdhsa_user_sgpr_count 6
		.amdhsa_user_sgpr_private_segment_buffer 1
		.amdhsa_user_sgpr_dispatch_ptr 0
		.amdhsa_user_sgpr_queue_ptr 0
		.amdhsa_user_sgpr_kernarg_segment_ptr 1
		.amdhsa_user_sgpr_dispatch_id 0
		.amdhsa_user_sgpr_flat_scratch_init 0
		.amdhsa_user_sgpr_kernarg_preload_length 0
		.amdhsa_user_sgpr_kernarg_preload_offset 0
		.amdhsa_user_sgpr_private_segment_size 0
		.amdhsa_uses_dynamic_stack 0
		.amdhsa_system_sgpr_private_segment_wavefront_offset 0
		.amdhsa_system_sgpr_workgroup_id_x 1
		.amdhsa_system_sgpr_workgroup_id_y 0
		.amdhsa_system_sgpr_workgroup_id_z 0
		.amdhsa_system_sgpr_workgroup_info 0
		.amdhsa_system_vgpr_workitem_id 1
		.amdhsa_next_free_vgpr 23
		.amdhsa_next_free_sgpr 24
		.amdhsa_accum_offset 24
		.amdhsa_reserve_vcc 1
		.amdhsa_reserve_flat_scratch 0
		.amdhsa_float_round_mode_32 0
		.amdhsa_float_round_mode_16_64 0
		.amdhsa_float_denorm_mode_32 3
		.amdhsa_float_denorm_mode_16_64 3
		.amdhsa_dx10_clamp 1
		.amdhsa_ieee_mode 1
		.amdhsa_fp16_overflow 0
		.amdhsa_tg_split 0
		.amdhsa_exception_fp_ieee_invalid_op 0
		.amdhsa_exception_fp_denorm_src 0
		.amdhsa_exception_fp_ieee_div_zero 0
		.amdhsa_exception_fp_ieee_overflow 0
		.amdhsa_exception_fp_ieee_underflow 0
		.amdhsa_exception_fp_ieee_inexact 0
		.amdhsa_exception_int_div_zero 0
	.end_amdhsa_kernel
	.section	.text._ZN12_GLOBAL__N_121softmax_warp_backwardIfN3c108BFloat16EfLi9ELb0ELb0ELi64EEEvPT0_PKT_S7_iiiPKb,"axG",@progbits,_ZN12_GLOBAL__N_121softmax_warp_backwardIfN3c108BFloat16EfLi9ELb0ELb0ELi64EEEvPT0_PKT_S7_iiiPKb,comdat
.Lfunc_end660:
	.size	_ZN12_GLOBAL__N_121softmax_warp_backwardIfN3c108BFloat16EfLi9ELb0ELb0ELi64EEEvPT0_PKT_S7_iiiPKb, .Lfunc_end660-_ZN12_GLOBAL__N_121softmax_warp_backwardIfN3c108BFloat16EfLi9ELb0ELb0ELi64EEEvPT0_PKT_S7_iiiPKb
                                        ; -- End function
	.section	.AMDGPU.csdata,"",@progbits
; Kernel info:
; codeLenInByte = 1556
; NumSgprs: 28
; NumVgprs: 23
; NumAgprs: 0
; TotalNumVgprs: 23
; ScratchSize: 0
; MemoryBound: 0
; FloatMode: 240
; IeeeMode: 1
; LDSByteSize: 0 bytes/workgroup (compile time only)
; SGPRBlocks: 3
; VGPRBlocks: 2
; NumSGPRsForWavesPerEU: 28
; NumVGPRsForWavesPerEU: 23
; AccumOffset: 24
; Occupancy: 8
; WaveLimiterHint : 0
; COMPUTE_PGM_RSRC2:SCRATCH_EN: 0
; COMPUTE_PGM_RSRC2:USER_SGPR: 6
; COMPUTE_PGM_RSRC2:TRAP_HANDLER: 0
; COMPUTE_PGM_RSRC2:TGID_X_EN: 1
; COMPUTE_PGM_RSRC2:TGID_Y_EN: 0
; COMPUTE_PGM_RSRC2:TGID_Z_EN: 0
; COMPUTE_PGM_RSRC2:TIDIG_COMP_CNT: 1
; COMPUTE_PGM_RSRC3_GFX90A:ACCUM_OFFSET: 5
; COMPUTE_PGM_RSRC3_GFX90A:TG_SPLIT: 0
	.section	.text._ZN12_GLOBAL__N_121softmax_warp_backwardIfN3c108BFloat16EfLi9ELb0ELb0ELi32EEEvPT0_PKT_S7_iiiPKb,"axG",@progbits,_ZN12_GLOBAL__N_121softmax_warp_backwardIfN3c108BFloat16EfLi9ELb0ELb0ELi32EEEvPT0_PKT_S7_iiiPKb,comdat
	.globl	_ZN12_GLOBAL__N_121softmax_warp_backwardIfN3c108BFloat16EfLi9ELb0ELb0ELi32EEEvPT0_PKT_S7_iiiPKb ; -- Begin function _ZN12_GLOBAL__N_121softmax_warp_backwardIfN3c108BFloat16EfLi9ELb0ELb0ELi32EEEvPT0_PKT_S7_iiiPKb
	.p2align	8
	.type	_ZN12_GLOBAL__N_121softmax_warp_backwardIfN3c108BFloat16EfLi9ELb0ELb0ELi32EEEvPT0_PKT_S7_iiiPKb,@function
_ZN12_GLOBAL__N_121softmax_warp_backwardIfN3c108BFloat16EfLi9ELb0ELb0ELi32EEEvPT0_PKT_S7_iiiPKb: ; @_ZN12_GLOBAL__N_121softmax_warp_backwardIfN3c108BFloat16EfLi9ELb0ELb0ELi32EEEvPT0_PKT_S7_iiiPKb
; %bb.0:
	s_load_dword s2, s[4:5], 0x3c
	s_load_dwordx4 s[40:43], s[4:5], 0x18
	s_load_dwordx4 s[36:39], s[4:5], 0x0
	s_load_dwordx2 s[0:1], s[4:5], 0x10
	v_bfe_u32 v1, v0, 10, 10
	s_waitcnt lgkmcnt(0)
	s_lshr_b32 s2, s2, 16
	s_mul_i32 s6, s6, s2
	v_add_u32_e32 v1, s6, v1
	v_and_b32_e32 v4, 31, v0
	v_sub_u32_e32 v13, s40, v1
	v_mad_u64_u32 v[0:1], s[2:3], v1, s41, v[4:5]
	v_ashrrev_i32_e32 v1, 31, v0
	v_lshlrev_b64 v[6:7], 2, v[0:1]
	v_mov_b32_e32 v3, s39
	v_add_co_u32_e32 v2, vcc, s38, v6
	v_addc_co_u32_e32 v3, vcc, v3, v7, vcc
	v_mov_b32_e32 v5, s1
	v_add_co_u32_e32 v6, vcc, s0, v6
	v_addc_co_u32_e32 v7, vcc, v5, v7, vcc
	v_cmp_lt_i32_e64 s[30:31], 0, v13
	v_cmp_gt_i32_e32 vcc, s42, v4
	s_and_b64 s[2:3], s[30:31], vcc
	v_mov_b32_e32 v5, 0
	v_mov_b32_e32 v15, 0
	;; [unrolled: 1-line block ×3, first 2 shown]
	s_and_saveexec_b64 s[0:1], s[2:3]
	s_cbranch_execz .LBB661_2
; %bb.1:
	global_load_dword v15, v[2:3], off
	global_load_dword v17, v[6:7], off
.LBB661_2:
	s_or_b64 exec, exec, s[0:1]
	v_or_b32_e32 v8, 32, v4
	v_cmp_gt_i32_e64 s[0:1], s42, v8
	s_and_b64 s[4:5], s[30:31], s[0:1]
	v_mov_b32_e32 v18, 0
	s_and_saveexec_b64 s[2:3], s[4:5]
	s_cbranch_execz .LBB661_4
; %bb.3:
	global_load_dword v5, v[2:3], off offset:128
	global_load_dword v18, v[6:7], off offset:128
.LBB661_4:
	s_or_b64 exec, exec, s[2:3]
	v_or_b32_e32 v8, 64, v4
	v_cmp_gt_i32_e64 s[2:3], s42, v8
	s_and_b64 s[6:7], s[30:31], s[2:3]
	v_mov_b32_e32 v8, 0
	v_mov_b32_e32 v19, 0
	v_mov_b32_e32 v20, 0
	s_and_saveexec_b64 s[4:5], s[6:7]
	s_cbranch_execz .LBB661_6
; %bb.5:
	global_load_dword v19, v[2:3], off offset:256
	global_load_dword v20, v[6:7], off offset:256
.LBB661_6:
	s_or_b64 exec, exec, s[4:5]
	v_or_b32_e32 v9, 0x60, v4
	v_cmp_gt_i32_e64 s[4:5], s42, v9
	s_and_b64 s[8:9], s[30:31], s[4:5]
	v_mov_b32_e32 v21, 0
	s_and_saveexec_b64 s[6:7], s[8:9]
	s_cbranch_execz .LBB661_8
; %bb.7:
	global_load_dword v8, v[2:3], off offset:384
	global_load_dword v21, v[6:7], off offset:384
.LBB661_8:
	s_or_b64 exec, exec, s[6:7]
	v_or_b32_e32 v9, 0x80, v4
	v_cmp_gt_i32_e64 s[6:7], s42, v9
	s_and_b64 s[10:11], s[30:31], s[6:7]
	v_mov_b32_e32 v9, 0
	v_mov_b32_e32 v22, 0
	v_mov_b32_e32 v23, 0
	s_and_saveexec_b64 s[8:9], s[10:11]
	s_cbranch_execz .LBB661_10
; %bb.9:
	global_load_dword v22, v[2:3], off offset:512
	global_load_dword v23, v[6:7], off offset:512
.LBB661_10:
	;; [unrolled: 24-line block ×7, first 2 shown]
	s_or_b64 exec, exec, s[28:29]
	v_or_b32_e32 v4, 0x1e0, v4
	v_cmp_gt_i32_e64 s[28:29], s42, v4
	s_and_b64 s[34:35], s[30:31], s[28:29]
	v_mov_b32_e32 v4, 0
	s_and_saveexec_b64 s[30:31], s[34:35]
	s_cbranch_execz .LBB661_32
; %bb.31:
	global_load_dword v16, v[2:3], off offset:1920
	global_load_dword v4, v[6:7], off offset:1920
.LBB661_32:
	s_or_b64 exec, exec, s[30:31]
	s_waitcnt vmcnt(1)
	v_add_f32_e32 v2, 0, v15
	v_add_f32_e32 v2, v2, v5
	;; [unrolled: 1-line block ×10, first 2 shown]
	v_mbcnt_lo_u32_b32 v3, -1, 0
	v_add_f32_e32 v2, v2, v31
	v_mbcnt_hi_u32_b32 v3, -1, v3
	v_add_f32_e32 v2, v2, v12
	v_and_b32_e32 v6, 0x60, v3
	v_add_f32_e32 v2, v2, v34
	v_add_u32_e32 v6, 32, v6
	v_xor_b32_e32 v7, 16, v3
	v_add_f32_e32 v2, v2, v14
	v_cmp_lt_i32_e64 s[30:31], v7, v6
	v_add_f32_e32 v2, v2, v37
	v_cndmask_b32_e64 v7, v3, v7, s[30:31]
	v_add_f32_e32 v2, v2, v16
	v_lshlrev_b32_e32 v7, 2, v7
	ds_bpermute_b32 v7, v7, v2
	s_waitcnt lgkmcnt(0)
	v_add_f32_e32 v2, v2, v7
	v_xor_b32_e32 v7, 8, v3
	v_cmp_lt_i32_e64 s[30:31], v7, v6
	v_cndmask_b32_e64 v7, v3, v7, s[30:31]
	v_lshlrev_b32_e32 v7, 2, v7
	ds_bpermute_b32 v7, v7, v2
	s_waitcnt lgkmcnt(0)
	v_add_f32_e32 v2, v2, v7
	v_xor_b32_e32 v7, 4, v3
	v_cmp_lt_i32_e64 s[30:31], v7, v6
	v_cndmask_b32_e64 v7, v3, v7, s[30:31]
	;; [unrolled: 7-line block ×4, first 2 shown]
	v_lshlrev_b32_e32 v3, 2, v3
	ds_bpermute_b32 v3, v3, v2
	v_cmp_lt_i32_e64 s[30:31], 0, v13
	s_and_saveexec_b64 s[34:35], s[30:31]
	s_cbranch_execz .LBB661_50
; %bb.33:
	v_lshlrev_b64 v[0:1], 1, v[0:1]
	v_mov_b32_e32 v6, s37
	v_add_co_u32_e64 v0, s[30:31], s36, v0
	v_addc_co_u32_e64 v1, s[30:31], v6, v1, s[30:31]
	s_waitcnt lgkmcnt(0)
	v_add_f32_e32 v2, v2, v3
	s_and_saveexec_b64 s[30:31], vcc
	s_cbranch_execnz .LBB661_51
; %bb.34:
	s_or_b64 exec, exec, s[30:31]
	s_and_saveexec_b64 s[30:31], s[0:1]
	s_cbranch_execnz .LBB661_52
.LBB661_35:
	s_or_b64 exec, exec, s[30:31]
	s_and_saveexec_b64 s[0:1], s[2:3]
	s_cbranch_execnz .LBB661_53
.LBB661_36:
	s_or_b64 exec, exec, s[0:1]
	s_and_saveexec_b64 s[0:1], s[4:5]
	s_cbranch_execnz .LBB661_54
.LBB661_37:
	s_or_b64 exec, exec, s[0:1]
	s_and_saveexec_b64 s[0:1], s[6:7]
	s_cbranch_execnz .LBB661_55
.LBB661_38:
	s_or_b64 exec, exec, s[0:1]
	s_and_saveexec_b64 s[0:1], s[8:9]
	s_cbranch_execnz .LBB661_56
.LBB661_39:
	s_or_b64 exec, exec, s[0:1]
	s_and_saveexec_b64 s[0:1], s[10:11]
	s_cbranch_execnz .LBB661_57
.LBB661_40:
	s_or_b64 exec, exec, s[0:1]
	s_and_saveexec_b64 s[0:1], s[12:13]
	s_cbranch_execnz .LBB661_58
.LBB661_41:
	s_or_b64 exec, exec, s[0:1]
	s_and_saveexec_b64 s[0:1], s[14:15]
	s_cbranch_execnz .LBB661_59
.LBB661_42:
	s_or_b64 exec, exec, s[0:1]
	s_and_saveexec_b64 s[0:1], s[16:17]
	s_cbranch_execnz .LBB661_60
.LBB661_43:
	s_or_b64 exec, exec, s[0:1]
	s_and_saveexec_b64 s[0:1], s[18:19]
	s_cbranch_execnz .LBB661_61
.LBB661_44:
	s_or_b64 exec, exec, s[0:1]
	s_and_saveexec_b64 s[0:1], s[20:21]
	s_cbranch_execnz .LBB661_62
.LBB661_45:
	s_or_b64 exec, exec, s[0:1]
	s_and_saveexec_b64 s[0:1], s[22:23]
	s_cbranch_execnz .LBB661_63
.LBB661_46:
	s_or_b64 exec, exec, s[0:1]
	s_and_saveexec_b64 s[0:1], s[24:25]
	s_cbranch_execnz .LBB661_64
.LBB661_47:
	s_or_b64 exec, exec, s[0:1]
	s_and_saveexec_b64 s[0:1], s[26:27]
	s_cbranch_execnz .LBB661_65
.LBB661_48:
	s_or_b64 exec, exec, s[0:1]
	s_and_b64 exec, exec, s[28:29]
	s_cbranch_execz .LBB661_50
.LBB661_49:
	s_waitcnt vmcnt(0)
	v_fma_f32 v2, -v2, v4, v16
	v_bfe_u32 v3, v2, 16, 1
	s_movk_i32 s0, 0x7fff
	v_add3_u32 v3, v2, v3, s0
	v_lshrrev_b32_e32 v3, 16, v3
	v_mov_b32_e32 v4, 0x7fc0
	v_cmp_o_f32_e32 vcc, v2, v2
	v_cndmask_b32_e32 v2, v4, v3, vcc
	global_store_short v[0:1], v2, off offset:960
.LBB661_50:
	s_endpgm
.LBB661_51:
	s_waitcnt vmcnt(0)
	v_fma_f32 v3, -v2, v17, v15
	v_bfe_u32 v6, v3, 16, 1
	s_movk_i32 s33, 0x7fff
	v_add3_u32 v6, v3, v6, s33
	v_lshrrev_b32_e32 v6, 16, v6
	v_mov_b32_e32 v7, 0x7fc0
	v_cmp_o_f32_e32 vcc, v3, v3
	v_cndmask_b32_e32 v3, v7, v6, vcc
	global_store_short v[0:1], v3, off
	s_or_b64 exec, exec, s[30:31]
	s_and_saveexec_b64 s[30:31], s[0:1]
	s_cbranch_execz .LBB661_35
.LBB661_52:
	s_waitcnt vmcnt(0)
	v_fma_f32 v3, -v2, v18, v5
	v_bfe_u32 v5, v3, 16, 1
	s_movk_i32 s0, 0x7fff
	v_add3_u32 v5, v3, v5, s0
	v_lshrrev_b32_e32 v5, 16, v5
	v_mov_b32_e32 v6, 0x7fc0
	v_cmp_o_f32_e32 vcc, v3, v3
	v_cndmask_b32_e32 v3, v6, v5, vcc
	global_store_short v[0:1], v3, off offset:64
	s_or_b64 exec, exec, s[30:31]
	s_and_saveexec_b64 s[0:1], s[2:3]
	s_cbranch_execz .LBB661_36
.LBB661_53:
	s_waitcnt vmcnt(0)
	v_fma_f32 v3, -v2, v20, v19
	v_bfe_u32 v5, v3, 16, 1
	s_movk_i32 s2, 0x7fff
	v_add3_u32 v5, v3, v5, s2
	v_lshrrev_b32_e32 v5, 16, v5
	v_mov_b32_e32 v6, 0x7fc0
	v_cmp_o_f32_e32 vcc, v3, v3
	v_cndmask_b32_e32 v3, v6, v5, vcc
	global_store_short v[0:1], v3, off offset:128
	s_or_b64 exec, exec, s[0:1]
	s_and_saveexec_b64 s[0:1], s[4:5]
	s_cbranch_execz .LBB661_37
.LBB661_54:
	s_waitcnt vmcnt(0)
	v_fma_f32 v3, -v2, v21, v8
	v_bfe_u32 v5, v3, 16, 1
	s_movk_i32 s2, 0x7fff
	v_add3_u32 v5, v3, v5, s2
	v_lshrrev_b32_e32 v5, 16, v5
	v_mov_b32_e32 v6, 0x7fc0
	v_cmp_o_f32_e32 vcc, v3, v3
	v_cndmask_b32_e32 v3, v6, v5, vcc
	global_store_short v[0:1], v3, off offset:192
	s_or_b64 exec, exec, s[0:1]
	s_and_saveexec_b64 s[0:1], s[6:7]
	s_cbranch_execz .LBB661_38
.LBB661_55:
	s_waitcnt vmcnt(0)
	v_fma_f32 v3, -v2, v23, v22
	v_bfe_u32 v5, v3, 16, 1
	s_movk_i32 s2, 0x7fff
	v_add3_u32 v5, v3, v5, s2
	v_lshrrev_b32_e32 v5, 16, v5
	v_mov_b32_e32 v6, 0x7fc0
	v_cmp_o_f32_e32 vcc, v3, v3
	v_cndmask_b32_e32 v3, v6, v5, vcc
	global_store_short v[0:1], v3, off offset:256
	s_or_b64 exec, exec, s[0:1]
	s_and_saveexec_b64 s[0:1], s[8:9]
	s_cbranch_execz .LBB661_39
.LBB661_56:
	s_waitcnt vmcnt(0)
	v_fma_f32 v3, -v2, v24, v9
	v_bfe_u32 v5, v3, 16, 1
	s_movk_i32 s2, 0x7fff
	v_add3_u32 v5, v3, v5, s2
	v_lshrrev_b32_e32 v5, 16, v5
	v_mov_b32_e32 v6, 0x7fc0
	v_cmp_o_f32_e32 vcc, v3, v3
	v_cndmask_b32_e32 v3, v6, v5, vcc
	global_store_short v[0:1], v3, off offset:320
	s_or_b64 exec, exec, s[0:1]
	s_and_saveexec_b64 s[0:1], s[10:11]
	s_cbranch_execz .LBB661_40
.LBB661_57:
	s_waitcnt vmcnt(0)
	v_fma_f32 v3, -v2, v26, v25
	v_bfe_u32 v5, v3, 16, 1
	s_movk_i32 s2, 0x7fff
	v_add3_u32 v5, v3, v5, s2
	v_lshrrev_b32_e32 v5, 16, v5
	v_mov_b32_e32 v6, 0x7fc0
	v_cmp_o_f32_e32 vcc, v3, v3
	v_cndmask_b32_e32 v3, v6, v5, vcc
	global_store_short v[0:1], v3, off offset:384
	s_or_b64 exec, exec, s[0:1]
	s_and_saveexec_b64 s[0:1], s[12:13]
	s_cbranch_execz .LBB661_41
.LBB661_58:
	s_waitcnt vmcnt(0)
	v_fma_f32 v3, -v2, v27, v10
	v_bfe_u32 v5, v3, 16, 1
	s_movk_i32 s2, 0x7fff
	v_add3_u32 v5, v3, v5, s2
	v_lshrrev_b32_e32 v5, 16, v5
	v_mov_b32_e32 v6, 0x7fc0
	v_cmp_o_f32_e32 vcc, v3, v3
	v_cndmask_b32_e32 v3, v6, v5, vcc
	global_store_short v[0:1], v3, off offset:448
	s_or_b64 exec, exec, s[0:1]
	s_and_saveexec_b64 s[0:1], s[14:15]
	s_cbranch_execz .LBB661_42
.LBB661_59:
	s_waitcnt vmcnt(0)
	v_fma_f32 v3, -v2, v29, v28
	v_bfe_u32 v5, v3, 16, 1
	s_movk_i32 s2, 0x7fff
	v_add3_u32 v5, v3, v5, s2
	v_lshrrev_b32_e32 v5, 16, v5
	v_mov_b32_e32 v6, 0x7fc0
	v_cmp_o_f32_e32 vcc, v3, v3
	v_cndmask_b32_e32 v3, v6, v5, vcc
	global_store_short v[0:1], v3, off offset:512
	s_or_b64 exec, exec, s[0:1]
	s_and_saveexec_b64 s[0:1], s[16:17]
	s_cbranch_execz .LBB661_43
.LBB661_60:
	s_waitcnt vmcnt(0)
	v_fma_f32 v3, -v2, v30, v11
	v_bfe_u32 v5, v3, 16, 1
	s_movk_i32 s2, 0x7fff
	v_add3_u32 v5, v3, v5, s2
	v_lshrrev_b32_e32 v5, 16, v5
	v_mov_b32_e32 v6, 0x7fc0
	v_cmp_o_f32_e32 vcc, v3, v3
	v_cndmask_b32_e32 v3, v6, v5, vcc
	global_store_short v[0:1], v3, off offset:576
	s_or_b64 exec, exec, s[0:1]
	s_and_saveexec_b64 s[0:1], s[18:19]
	s_cbranch_execz .LBB661_44
.LBB661_61:
	s_waitcnt vmcnt(0)
	v_fma_f32 v3, -v2, v32, v31
	v_bfe_u32 v5, v3, 16, 1
	s_movk_i32 s2, 0x7fff
	v_add3_u32 v5, v3, v5, s2
	v_lshrrev_b32_e32 v5, 16, v5
	v_mov_b32_e32 v6, 0x7fc0
	v_cmp_o_f32_e32 vcc, v3, v3
	v_cndmask_b32_e32 v3, v6, v5, vcc
	global_store_short v[0:1], v3, off offset:640
	s_or_b64 exec, exec, s[0:1]
	s_and_saveexec_b64 s[0:1], s[20:21]
	s_cbranch_execz .LBB661_45
.LBB661_62:
	s_waitcnt vmcnt(0)
	v_fma_f32 v3, -v2, v33, v12
	v_bfe_u32 v5, v3, 16, 1
	s_movk_i32 s2, 0x7fff
	v_add3_u32 v5, v3, v5, s2
	v_lshrrev_b32_e32 v5, 16, v5
	v_mov_b32_e32 v6, 0x7fc0
	v_cmp_o_f32_e32 vcc, v3, v3
	v_cndmask_b32_e32 v3, v6, v5, vcc
	global_store_short v[0:1], v3, off offset:704
	s_or_b64 exec, exec, s[0:1]
	s_and_saveexec_b64 s[0:1], s[22:23]
	s_cbranch_execz .LBB661_46
.LBB661_63:
	s_waitcnt vmcnt(0)
	v_fma_f32 v3, -v2, v35, v34
	v_bfe_u32 v5, v3, 16, 1
	s_movk_i32 s2, 0x7fff
	v_add3_u32 v5, v3, v5, s2
	v_lshrrev_b32_e32 v5, 16, v5
	v_mov_b32_e32 v6, 0x7fc0
	v_cmp_o_f32_e32 vcc, v3, v3
	v_cndmask_b32_e32 v3, v6, v5, vcc
	global_store_short v[0:1], v3, off offset:768
	s_or_b64 exec, exec, s[0:1]
	s_and_saveexec_b64 s[0:1], s[24:25]
	s_cbranch_execz .LBB661_47
.LBB661_64:
	s_waitcnt vmcnt(0)
	v_fma_f32 v3, -v2, v36, v14
	v_bfe_u32 v5, v3, 16, 1
	s_movk_i32 s2, 0x7fff
	v_add3_u32 v5, v3, v5, s2
	v_lshrrev_b32_e32 v5, 16, v5
	v_mov_b32_e32 v6, 0x7fc0
	v_cmp_o_f32_e32 vcc, v3, v3
	v_cndmask_b32_e32 v3, v6, v5, vcc
	global_store_short v[0:1], v3, off offset:832
	s_or_b64 exec, exec, s[0:1]
	s_and_saveexec_b64 s[0:1], s[26:27]
	s_cbranch_execz .LBB661_48
.LBB661_65:
	s_waitcnt vmcnt(0)
	v_fma_f32 v3, -v2, v38, v37
	v_bfe_u32 v5, v3, 16, 1
	s_movk_i32 s2, 0x7fff
	v_add3_u32 v5, v3, v5, s2
	v_lshrrev_b32_e32 v5, 16, v5
	v_mov_b32_e32 v6, 0x7fc0
	v_cmp_o_f32_e32 vcc, v3, v3
	v_cndmask_b32_e32 v3, v6, v5, vcc
	global_store_short v[0:1], v3, off offset:896
	s_or_b64 exec, exec, s[0:1]
	s_and_b64 exec, exec, s[28:29]
	s_cbranch_execnz .LBB661_49
	s_branch .LBB661_50
	.section	.rodata,"a",@progbits
	.p2align	6, 0x0
	.amdhsa_kernel _ZN12_GLOBAL__N_121softmax_warp_backwardIfN3c108BFloat16EfLi9ELb0ELb0ELi32EEEvPT0_PKT_S7_iiiPKb
		.amdhsa_group_segment_fixed_size 0
		.amdhsa_private_segment_fixed_size 0
		.amdhsa_kernarg_size 304
		.amdhsa_user_sgpr_count 6
		.amdhsa_user_sgpr_private_segment_buffer 1
		.amdhsa_user_sgpr_dispatch_ptr 0
		.amdhsa_user_sgpr_queue_ptr 0
		.amdhsa_user_sgpr_kernarg_segment_ptr 1
		.amdhsa_user_sgpr_dispatch_id 0
		.amdhsa_user_sgpr_flat_scratch_init 0
		.amdhsa_user_sgpr_kernarg_preload_length 0
		.amdhsa_user_sgpr_kernarg_preload_offset 0
		.amdhsa_user_sgpr_private_segment_size 0
		.amdhsa_uses_dynamic_stack 0
		.amdhsa_system_sgpr_private_segment_wavefront_offset 0
		.amdhsa_system_sgpr_workgroup_id_x 1
		.amdhsa_system_sgpr_workgroup_id_y 0
		.amdhsa_system_sgpr_workgroup_id_z 0
		.amdhsa_system_sgpr_workgroup_info 0
		.amdhsa_system_vgpr_workitem_id 1
		.amdhsa_next_free_vgpr 39
		.amdhsa_next_free_sgpr 44
		.amdhsa_accum_offset 40
		.amdhsa_reserve_vcc 1
		.amdhsa_reserve_flat_scratch 0
		.amdhsa_float_round_mode_32 0
		.amdhsa_float_round_mode_16_64 0
		.amdhsa_float_denorm_mode_32 3
		.amdhsa_float_denorm_mode_16_64 3
		.amdhsa_dx10_clamp 1
		.amdhsa_ieee_mode 1
		.amdhsa_fp16_overflow 0
		.amdhsa_tg_split 0
		.amdhsa_exception_fp_ieee_invalid_op 0
		.amdhsa_exception_fp_denorm_src 0
		.amdhsa_exception_fp_ieee_div_zero 0
		.amdhsa_exception_fp_ieee_overflow 0
		.amdhsa_exception_fp_ieee_underflow 0
		.amdhsa_exception_fp_ieee_inexact 0
		.amdhsa_exception_int_div_zero 0
	.end_amdhsa_kernel
	.section	.text._ZN12_GLOBAL__N_121softmax_warp_backwardIfN3c108BFloat16EfLi9ELb0ELb0ELi32EEEvPT0_PKT_S7_iiiPKb,"axG",@progbits,_ZN12_GLOBAL__N_121softmax_warp_backwardIfN3c108BFloat16EfLi9ELb0ELb0ELi32EEEvPT0_PKT_S7_iiiPKb,comdat
.Lfunc_end661:
	.size	_ZN12_GLOBAL__N_121softmax_warp_backwardIfN3c108BFloat16EfLi9ELb0ELb0ELi32EEEvPT0_PKT_S7_iiiPKb, .Lfunc_end661-_ZN12_GLOBAL__N_121softmax_warp_backwardIfN3c108BFloat16EfLi9ELb0ELb0ELi32EEEvPT0_PKT_S7_iiiPKb
                                        ; -- End function
	.section	.AMDGPU.csdata,"",@progbits
; Kernel info:
; codeLenInByte = 2668
; NumSgprs: 48
; NumVgprs: 39
; NumAgprs: 0
; TotalNumVgprs: 39
; ScratchSize: 0
; MemoryBound: 0
; FloatMode: 240
; IeeeMode: 1
; LDSByteSize: 0 bytes/workgroup (compile time only)
; SGPRBlocks: 5
; VGPRBlocks: 4
; NumSGPRsForWavesPerEU: 48
; NumVGPRsForWavesPerEU: 39
; AccumOffset: 40
; Occupancy: 8
; WaveLimiterHint : 0
; COMPUTE_PGM_RSRC2:SCRATCH_EN: 0
; COMPUTE_PGM_RSRC2:USER_SGPR: 6
; COMPUTE_PGM_RSRC2:TRAP_HANDLER: 0
; COMPUTE_PGM_RSRC2:TGID_X_EN: 1
; COMPUTE_PGM_RSRC2:TGID_Y_EN: 0
; COMPUTE_PGM_RSRC2:TGID_Z_EN: 0
; COMPUTE_PGM_RSRC2:TIDIG_COMP_CNT: 1
; COMPUTE_PGM_RSRC3_GFX90A:ACCUM_OFFSET: 9
; COMPUTE_PGM_RSRC3_GFX90A:TG_SPLIT: 0
	.section	.text._ZN12_GLOBAL__N_121softmax_warp_backwardIfN3c108BFloat16EfLi10ELb0ELb0ELi64EEEvPT0_PKT_S7_iiiPKb,"axG",@progbits,_ZN12_GLOBAL__N_121softmax_warp_backwardIfN3c108BFloat16EfLi10ELb0ELb0ELi64EEEvPT0_PKT_S7_iiiPKb,comdat
	.globl	_ZN12_GLOBAL__N_121softmax_warp_backwardIfN3c108BFloat16EfLi10ELb0ELb0ELi64EEEvPT0_PKT_S7_iiiPKb ; -- Begin function _ZN12_GLOBAL__N_121softmax_warp_backwardIfN3c108BFloat16EfLi10ELb0ELb0ELi64EEEvPT0_PKT_S7_iiiPKb
	.p2align	8
	.type	_ZN12_GLOBAL__N_121softmax_warp_backwardIfN3c108BFloat16EfLi10ELb0ELb0ELi64EEEvPT0_PKT_S7_iiiPKb,@function
_ZN12_GLOBAL__N_121softmax_warp_backwardIfN3c108BFloat16EfLi10ELb0ELb0ELi64EEEvPT0_PKT_S7_iiiPKb: ; @_ZN12_GLOBAL__N_121softmax_warp_backwardIfN3c108BFloat16EfLi10ELb0ELb0ELi64EEEvPT0_PKT_S7_iiiPKb
; %bb.0:
	s_load_dword s2, s[4:5], 0x3c
	s_load_dwordx4 s[40:43], s[4:5], 0x18
	s_load_dwordx4 s[36:39], s[4:5], 0x0
	s_load_dwordx2 s[0:1], s[4:5], 0x10
	v_bfe_u32 v1, v0, 10, 10
	s_waitcnt lgkmcnt(0)
	s_lshr_b32 s2, s2, 16
	s_mul_i32 s6, s6, s2
	v_and_b32_e32 v38, 0x3ff, v0
	v_add_u32_e32 v1, s6, v1
	v_and_b32_e32 v6, 63, v38
	v_sub_u32_e32 v12, s40, v1
	v_mad_u64_u32 v[0:1], s[2:3], v1, s41, v[6:7]
	v_ashrrev_i32_e32 v1, 31, v0
	v_lshlrev_b64 v[4:5], 2, v[0:1]
	v_mov_b32_e32 v3, s39
	v_add_co_u32_e32 v2, vcc, s38, v4
	v_addc_co_u32_e32 v3, vcc, v3, v5, vcc
	v_mov_b32_e32 v7, s1
	v_add_co_u32_e32 v4, vcc, s0, v4
	v_addc_co_u32_e32 v5, vcc, v7, v5, vcc
	v_cmp_lt_i32_e64 s[30:31], 0, v12
	v_cmp_gt_i32_e32 vcc, s42, v6
	s_and_b64 s[2:3], s[30:31], vcc
	v_mov_b32_e32 v7, 0
	v_mov_b32_e32 v15, 0
	;; [unrolled: 1-line block ×3, first 2 shown]
	s_and_saveexec_b64 s[0:1], s[2:3]
	s_cbranch_execz .LBB662_2
; %bb.1:
	global_load_dword v15, v[2:3], off
	global_load_dword v16, v[4:5], off
.LBB662_2:
	s_or_b64 exec, exec, s[0:1]
	v_or_b32_e32 v8, 64, v6
	v_cmp_gt_i32_e64 s[0:1], s42, v8
	s_and_b64 s[4:5], s[30:31], s[0:1]
	v_mov_b32_e32 v17, 0
	s_and_saveexec_b64 s[2:3], s[4:5]
	s_cbranch_execz .LBB662_4
; %bb.3:
	global_load_dword v7, v[2:3], off offset:256
	global_load_dword v17, v[4:5], off offset:256
.LBB662_4:
	s_or_b64 exec, exec, s[2:3]
	v_or_b32_e32 v8, 0x80, v6
	v_cmp_gt_i32_e64 s[2:3], s42, v8
	s_and_b64 s[6:7], s[30:31], s[2:3]
	v_mov_b32_e32 v8, 0
	v_mov_b32_e32 v18, 0
	v_mov_b32_e32 v19, 0
	s_and_saveexec_b64 s[4:5], s[6:7]
	s_cbranch_execz .LBB662_6
; %bb.5:
	global_load_dword v18, v[2:3], off offset:512
	global_load_dword v19, v[4:5], off offset:512
.LBB662_6:
	s_or_b64 exec, exec, s[4:5]
	v_or_b32_e32 v9, 0xc0, v6
	v_cmp_gt_i32_e64 s[4:5], s42, v9
	s_and_b64 s[8:9], s[30:31], s[4:5]
	v_mov_b32_e32 v20, 0
	s_and_saveexec_b64 s[6:7], s[8:9]
	s_cbranch_execz .LBB662_8
; %bb.7:
	global_load_dword v8, v[2:3], off offset:768
	global_load_dword v20, v[4:5], off offset:768
.LBB662_8:
	s_or_b64 exec, exec, s[6:7]
	v_or_b32_e32 v9, 0x100, v6
	v_cmp_gt_i32_e64 s[6:7], s42, v9
	s_and_b64 s[10:11], s[30:31], s[6:7]
	v_mov_b32_e32 v9, 0
	v_mov_b32_e32 v21, 0
	v_mov_b32_e32 v22, 0
	s_and_saveexec_b64 s[8:9], s[10:11]
	s_cbranch_execz .LBB662_10
; %bb.9:
	global_load_dword v21, v[2:3], off offset:1024
	global_load_dword v22, v[4:5], off offset:1024
.LBB662_10:
	;; [unrolled: 24-line block ×7, first 2 shown]
	s_or_b64 exec, exec, s[28:29]
	v_or_b32_e32 v38, 0x3c0, v38
	v_cmp_gt_i32_e64 s[28:29], s42, v38
	s_and_b64 s[34:35], s[30:31], s[28:29]
	v_mov_b32_e32 v38, 0
	s_and_saveexec_b64 s[30:31], s[34:35]
	s_cbranch_execz .LBB662_32
; %bb.31:
	global_load_dword v6, v[2:3], off offset:3840
	global_load_dword v38, v[4:5], off offset:3840
.LBB662_32:
	s_or_b64 exec, exec, s[30:31]
	s_waitcnt vmcnt(1)
	v_add_f32_e32 v2, 0, v15
	v_add_f32_e32 v2, v2, v7
	;; [unrolled: 1-line block ×10, first 2 shown]
	v_mbcnt_lo_u32_b32 v3, -1, 0
	v_add_f32_e32 v2, v2, v30
	v_mbcnt_hi_u32_b32 v3, -1, v3
	v_add_f32_e32 v2, v2, v13
	v_and_b32_e32 v4, 64, v3
	v_add_f32_e32 v2, v2, v33
	v_add_u32_e32 v4, 64, v4
	v_xor_b32_e32 v5, 32, v3
	v_add_f32_e32 v2, v2, v14
	v_cmp_lt_i32_e64 s[30:31], v5, v4
	v_add_f32_e32 v2, v2, v36
	v_cndmask_b32_e64 v5, v3, v5, s[30:31]
	v_add_f32_e32 v2, v2, v6
	v_lshlrev_b32_e32 v5, 2, v5
	ds_bpermute_b32 v5, v5, v2
	s_waitcnt lgkmcnt(0)
	v_add_f32_e32 v2, v2, v5
	v_xor_b32_e32 v5, 16, v3
	v_cmp_lt_i32_e64 s[30:31], v5, v4
	v_cndmask_b32_e64 v5, v3, v5, s[30:31]
	v_lshlrev_b32_e32 v5, 2, v5
	ds_bpermute_b32 v5, v5, v2
	s_waitcnt lgkmcnt(0)
	v_add_f32_e32 v2, v2, v5
	v_xor_b32_e32 v5, 8, v3
	v_cmp_lt_i32_e64 s[30:31], v5, v4
	v_cndmask_b32_e64 v5, v3, v5, s[30:31]
	;; [unrolled: 7-line block ×5, first 2 shown]
	v_lshlrev_b32_e32 v3, 2, v3
	ds_bpermute_b32 v3, v3, v2
	v_cmp_lt_i32_e64 s[30:31], 0, v12
	s_and_saveexec_b64 s[34:35], s[30:31]
	s_cbranch_execz .LBB662_50
; %bb.33:
	v_lshlrev_b64 v[0:1], 1, v[0:1]
	v_mov_b32_e32 v4, s37
	v_add_co_u32_e64 v0, s[30:31], s36, v0
	v_addc_co_u32_e64 v1, s[30:31], v4, v1, s[30:31]
	s_waitcnt lgkmcnt(0)
	v_add_f32_e32 v2, v2, v3
	s_and_saveexec_b64 s[30:31], vcc
	s_cbranch_execnz .LBB662_51
; %bb.34:
	s_or_b64 exec, exec, s[30:31]
	s_and_saveexec_b64 s[30:31], s[0:1]
	s_cbranch_execnz .LBB662_52
.LBB662_35:
	s_or_b64 exec, exec, s[30:31]
	s_and_saveexec_b64 s[0:1], s[2:3]
	s_cbranch_execnz .LBB662_53
.LBB662_36:
	s_or_b64 exec, exec, s[0:1]
	s_and_saveexec_b64 s[0:1], s[4:5]
	s_cbranch_execnz .LBB662_54
.LBB662_37:
	s_or_b64 exec, exec, s[0:1]
	s_and_saveexec_b64 s[0:1], s[6:7]
	s_cbranch_execnz .LBB662_55
.LBB662_38:
	s_or_b64 exec, exec, s[0:1]
	s_and_saveexec_b64 s[0:1], s[8:9]
	s_cbranch_execnz .LBB662_56
.LBB662_39:
	s_or_b64 exec, exec, s[0:1]
	s_and_saveexec_b64 s[0:1], s[10:11]
	s_cbranch_execnz .LBB662_57
.LBB662_40:
	s_or_b64 exec, exec, s[0:1]
	s_and_saveexec_b64 s[0:1], s[12:13]
	s_cbranch_execnz .LBB662_58
.LBB662_41:
	s_or_b64 exec, exec, s[0:1]
	s_and_saveexec_b64 s[0:1], s[14:15]
	s_cbranch_execnz .LBB662_59
.LBB662_42:
	s_or_b64 exec, exec, s[0:1]
	s_and_saveexec_b64 s[0:1], s[16:17]
	s_cbranch_execnz .LBB662_60
.LBB662_43:
	s_or_b64 exec, exec, s[0:1]
	s_and_saveexec_b64 s[0:1], s[18:19]
	s_cbranch_execnz .LBB662_61
.LBB662_44:
	s_or_b64 exec, exec, s[0:1]
	s_and_saveexec_b64 s[0:1], s[20:21]
	s_cbranch_execnz .LBB662_62
.LBB662_45:
	s_or_b64 exec, exec, s[0:1]
	s_and_saveexec_b64 s[0:1], s[22:23]
	s_cbranch_execnz .LBB662_63
.LBB662_46:
	s_or_b64 exec, exec, s[0:1]
	s_and_saveexec_b64 s[0:1], s[24:25]
	s_cbranch_execnz .LBB662_64
.LBB662_47:
	s_or_b64 exec, exec, s[0:1]
	s_and_saveexec_b64 s[0:1], s[26:27]
	s_cbranch_execnz .LBB662_65
.LBB662_48:
	s_or_b64 exec, exec, s[0:1]
	s_and_b64 exec, exec, s[28:29]
	s_cbranch_execz .LBB662_50
.LBB662_49:
	s_waitcnt vmcnt(0)
	v_fma_f32 v2, -v2, v38, v6
	v_bfe_u32 v3, v2, 16, 1
	s_movk_i32 s0, 0x7fff
	v_add3_u32 v3, v2, v3, s0
	v_lshrrev_b32_e32 v3, 16, v3
	v_mov_b32_e32 v4, 0x7fc0
	v_cmp_o_f32_e32 vcc, v2, v2
	v_cndmask_b32_e32 v2, v4, v3, vcc
	global_store_short v[0:1], v2, off offset:1920
.LBB662_50:
	s_endpgm
.LBB662_51:
	s_waitcnt vmcnt(0)
	v_fma_f32 v3, -v2, v16, v15
	v_bfe_u32 v4, v3, 16, 1
	s_movk_i32 s33, 0x7fff
	v_add3_u32 v4, v3, v4, s33
	v_lshrrev_b32_e32 v4, 16, v4
	v_mov_b32_e32 v5, 0x7fc0
	v_cmp_o_f32_e32 vcc, v3, v3
	v_cndmask_b32_e32 v3, v5, v4, vcc
	global_store_short v[0:1], v3, off
	s_or_b64 exec, exec, s[30:31]
	s_and_saveexec_b64 s[30:31], s[0:1]
	s_cbranch_execz .LBB662_35
.LBB662_52:
	s_waitcnt vmcnt(0)
	v_fma_f32 v3, -v2, v17, v7
	v_bfe_u32 v4, v3, 16, 1
	s_movk_i32 s0, 0x7fff
	v_add3_u32 v4, v3, v4, s0
	v_lshrrev_b32_e32 v4, 16, v4
	v_mov_b32_e32 v5, 0x7fc0
	v_cmp_o_f32_e32 vcc, v3, v3
	v_cndmask_b32_e32 v3, v5, v4, vcc
	global_store_short v[0:1], v3, off offset:128
	s_or_b64 exec, exec, s[30:31]
	s_and_saveexec_b64 s[0:1], s[2:3]
	s_cbranch_execz .LBB662_36
.LBB662_53:
	s_waitcnt vmcnt(0)
	v_fma_f32 v3, -v2, v19, v18
	v_bfe_u32 v4, v3, 16, 1
	s_movk_i32 s2, 0x7fff
	v_add3_u32 v4, v3, v4, s2
	v_lshrrev_b32_e32 v4, 16, v4
	v_mov_b32_e32 v5, 0x7fc0
	v_cmp_o_f32_e32 vcc, v3, v3
	v_cndmask_b32_e32 v3, v5, v4, vcc
	global_store_short v[0:1], v3, off offset:256
	s_or_b64 exec, exec, s[0:1]
	s_and_saveexec_b64 s[0:1], s[4:5]
	s_cbranch_execz .LBB662_37
.LBB662_54:
	s_waitcnt vmcnt(0)
	v_fma_f32 v3, -v2, v20, v8
	v_bfe_u32 v4, v3, 16, 1
	s_movk_i32 s2, 0x7fff
	v_add3_u32 v4, v3, v4, s2
	v_lshrrev_b32_e32 v4, 16, v4
	v_mov_b32_e32 v5, 0x7fc0
	v_cmp_o_f32_e32 vcc, v3, v3
	v_cndmask_b32_e32 v3, v5, v4, vcc
	global_store_short v[0:1], v3, off offset:384
	s_or_b64 exec, exec, s[0:1]
	s_and_saveexec_b64 s[0:1], s[6:7]
	s_cbranch_execz .LBB662_38
.LBB662_55:
	s_waitcnt vmcnt(0)
	v_fma_f32 v3, -v2, v22, v21
	v_bfe_u32 v4, v3, 16, 1
	s_movk_i32 s2, 0x7fff
	v_add3_u32 v4, v3, v4, s2
	v_lshrrev_b32_e32 v4, 16, v4
	v_mov_b32_e32 v5, 0x7fc0
	v_cmp_o_f32_e32 vcc, v3, v3
	v_cndmask_b32_e32 v3, v5, v4, vcc
	global_store_short v[0:1], v3, off offset:512
	s_or_b64 exec, exec, s[0:1]
	s_and_saveexec_b64 s[0:1], s[8:9]
	s_cbranch_execz .LBB662_39
.LBB662_56:
	s_waitcnt vmcnt(0)
	v_fma_f32 v3, -v2, v23, v9
	v_bfe_u32 v4, v3, 16, 1
	s_movk_i32 s2, 0x7fff
	v_add3_u32 v4, v3, v4, s2
	v_lshrrev_b32_e32 v4, 16, v4
	v_mov_b32_e32 v5, 0x7fc0
	v_cmp_o_f32_e32 vcc, v3, v3
	v_cndmask_b32_e32 v3, v5, v4, vcc
	global_store_short v[0:1], v3, off offset:640
	s_or_b64 exec, exec, s[0:1]
	s_and_saveexec_b64 s[0:1], s[10:11]
	s_cbranch_execz .LBB662_40
.LBB662_57:
	s_waitcnt vmcnt(0)
	v_fma_f32 v3, -v2, v25, v24
	v_bfe_u32 v4, v3, 16, 1
	s_movk_i32 s2, 0x7fff
	v_add3_u32 v4, v3, v4, s2
	v_lshrrev_b32_e32 v4, 16, v4
	v_mov_b32_e32 v5, 0x7fc0
	v_cmp_o_f32_e32 vcc, v3, v3
	v_cndmask_b32_e32 v3, v5, v4, vcc
	global_store_short v[0:1], v3, off offset:768
	s_or_b64 exec, exec, s[0:1]
	s_and_saveexec_b64 s[0:1], s[12:13]
	s_cbranch_execz .LBB662_41
.LBB662_58:
	s_waitcnt vmcnt(0)
	v_fma_f32 v3, -v2, v26, v10
	v_bfe_u32 v4, v3, 16, 1
	s_movk_i32 s2, 0x7fff
	v_add3_u32 v4, v3, v4, s2
	v_lshrrev_b32_e32 v4, 16, v4
	v_mov_b32_e32 v5, 0x7fc0
	v_cmp_o_f32_e32 vcc, v3, v3
	v_cndmask_b32_e32 v3, v5, v4, vcc
	global_store_short v[0:1], v3, off offset:896
	s_or_b64 exec, exec, s[0:1]
	s_and_saveexec_b64 s[0:1], s[14:15]
	s_cbranch_execz .LBB662_42
.LBB662_59:
	s_waitcnt vmcnt(0)
	v_fma_f32 v3, -v2, v28, v27
	v_bfe_u32 v4, v3, 16, 1
	s_movk_i32 s2, 0x7fff
	v_add3_u32 v4, v3, v4, s2
	v_lshrrev_b32_e32 v4, 16, v4
	v_mov_b32_e32 v5, 0x7fc0
	v_cmp_o_f32_e32 vcc, v3, v3
	v_cndmask_b32_e32 v3, v5, v4, vcc
	global_store_short v[0:1], v3, off offset:1024
	s_or_b64 exec, exec, s[0:1]
	s_and_saveexec_b64 s[0:1], s[16:17]
	s_cbranch_execz .LBB662_43
.LBB662_60:
	s_waitcnt vmcnt(0)
	v_fma_f32 v3, -v2, v29, v11
	v_bfe_u32 v4, v3, 16, 1
	s_movk_i32 s2, 0x7fff
	v_add3_u32 v4, v3, v4, s2
	v_lshrrev_b32_e32 v4, 16, v4
	v_mov_b32_e32 v5, 0x7fc0
	v_cmp_o_f32_e32 vcc, v3, v3
	v_cndmask_b32_e32 v3, v5, v4, vcc
	global_store_short v[0:1], v3, off offset:1152
	s_or_b64 exec, exec, s[0:1]
	s_and_saveexec_b64 s[0:1], s[18:19]
	s_cbranch_execz .LBB662_44
.LBB662_61:
	s_waitcnt vmcnt(0)
	v_fma_f32 v3, -v2, v31, v30
	v_bfe_u32 v4, v3, 16, 1
	s_movk_i32 s2, 0x7fff
	v_add3_u32 v4, v3, v4, s2
	v_lshrrev_b32_e32 v4, 16, v4
	v_mov_b32_e32 v5, 0x7fc0
	v_cmp_o_f32_e32 vcc, v3, v3
	v_cndmask_b32_e32 v3, v5, v4, vcc
	global_store_short v[0:1], v3, off offset:1280
	s_or_b64 exec, exec, s[0:1]
	s_and_saveexec_b64 s[0:1], s[20:21]
	s_cbranch_execz .LBB662_45
.LBB662_62:
	s_waitcnt vmcnt(0)
	v_fma_f32 v3, -v2, v32, v13
	v_bfe_u32 v4, v3, 16, 1
	s_movk_i32 s2, 0x7fff
	v_add3_u32 v4, v3, v4, s2
	v_lshrrev_b32_e32 v4, 16, v4
	v_mov_b32_e32 v5, 0x7fc0
	v_cmp_o_f32_e32 vcc, v3, v3
	v_cndmask_b32_e32 v3, v5, v4, vcc
	global_store_short v[0:1], v3, off offset:1408
	s_or_b64 exec, exec, s[0:1]
	s_and_saveexec_b64 s[0:1], s[22:23]
	s_cbranch_execz .LBB662_46
.LBB662_63:
	s_waitcnt vmcnt(0)
	v_fma_f32 v3, -v2, v34, v33
	v_bfe_u32 v4, v3, 16, 1
	s_movk_i32 s2, 0x7fff
	v_add3_u32 v4, v3, v4, s2
	v_lshrrev_b32_e32 v4, 16, v4
	v_mov_b32_e32 v5, 0x7fc0
	v_cmp_o_f32_e32 vcc, v3, v3
	v_cndmask_b32_e32 v3, v5, v4, vcc
	global_store_short v[0:1], v3, off offset:1536
	s_or_b64 exec, exec, s[0:1]
	s_and_saveexec_b64 s[0:1], s[24:25]
	s_cbranch_execz .LBB662_47
.LBB662_64:
	s_waitcnt vmcnt(0)
	v_fma_f32 v3, -v2, v35, v14
	v_bfe_u32 v4, v3, 16, 1
	s_movk_i32 s2, 0x7fff
	v_add3_u32 v4, v3, v4, s2
	v_lshrrev_b32_e32 v4, 16, v4
	v_mov_b32_e32 v5, 0x7fc0
	v_cmp_o_f32_e32 vcc, v3, v3
	v_cndmask_b32_e32 v3, v5, v4, vcc
	global_store_short v[0:1], v3, off offset:1664
	s_or_b64 exec, exec, s[0:1]
	s_and_saveexec_b64 s[0:1], s[26:27]
	s_cbranch_execz .LBB662_48
.LBB662_65:
	s_waitcnt vmcnt(0)
	v_fma_f32 v3, -v2, v37, v36
	v_bfe_u32 v4, v3, 16, 1
	s_movk_i32 s2, 0x7fff
	v_add3_u32 v4, v3, v4, s2
	v_lshrrev_b32_e32 v4, 16, v4
	v_mov_b32_e32 v5, 0x7fc0
	v_cmp_o_f32_e32 vcc, v3, v3
	v_cndmask_b32_e32 v3, v5, v4, vcc
	global_store_short v[0:1], v3, off offset:1792
	s_or_b64 exec, exec, s[0:1]
	s_and_b64 exec, exec, s[28:29]
	s_cbranch_execnz .LBB662_49
	s_branch .LBB662_50
	.section	.rodata,"a",@progbits
	.p2align	6, 0x0
	.amdhsa_kernel _ZN12_GLOBAL__N_121softmax_warp_backwardIfN3c108BFloat16EfLi10ELb0ELb0ELi64EEEvPT0_PKT_S7_iiiPKb
		.amdhsa_group_segment_fixed_size 0
		.amdhsa_private_segment_fixed_size 0
		.amdhsa_kernarg_size 304
		.amdhsa_user_sgpr_count 6
		.amdhsa_user_sgpr_private_segment_buffer 1
		.amdhsa_user_sgpr_dispatch_ptr 0
		.amdhsa_user_sgpr_queue_ptr 0
		.amdhsa_user_sgpr_kernarg_segment_ptr 1
		.amdhsa_user_sgpr_dispatch_id 0
		.amdhsa_user_sgpr_flat_scratch_init 0
		.amdhsa_user_sgpr_kernarg_preload_length 0
		.amdhsa_user_sgpr_kernarg_preload_offset 0
		.amdhsa_user_sgpr_private_segment_size 0
		.amdhsa_uses_dynamic_stack 0
		.amdhsa_system_sgpr_private_segment_wavefront_offset 0
		.amdhsa_system_sgpr_workgroup_id_x 1
		.amdhsa_system_sgpr_workgroup_id_y 0
		.amdhsa_system_sgpr_workgroup_id_z 0
		.amdhsa_system_sgpr_workgroup_info 0
		.amdhsa_system_vgpr_workitem_id 1
		.amdhsa_next_free_vgpr 39
		.amdhsa_next_free_sgpr 44
		.amdhsa_accum_offset 40
		.amdhsa_reserve_vcc 1
		.amdhsa_reserve_flat_scratch 0
		.amdhsa_float_round_mode_32 0
		.amdhsa_float_round_mode_16_64 0
		.amdhsa_float_denorm_mode_32 3
		.amdhsa_float_denorm_mode_16_64 3
		.amdhsa_dx10_clamp 1
		.amdhsa_ieee_mode 1
		.amdhsa_fp16_overflow 0
		.amdhsa_tg_split 0
		.amdhsa_exception_fp_ieee_invalid_op 0
		.amdhsa_exception_fp_denorm_src 0
		.amdhsa_exception_fp_ieee_div_zero 0
		.amdhsa_exception_fp_ieee_overflow 0
		.amdhsa_exception_fp_ieee_underflow 0
		.amdhsa_exception_fp_ieee_inexact 0
		.amdhsa_exception_int_div_zero 0
	.end_amdhsa_kernel
	.section	.text._ZN12_GLOBAL__N_121softmax_warp_backwardIfN3c108BFloat16EfLi10ELb0ELb0ELi64EEEvPT0_PKT_S7_iiiPKb,"axG",@progbits,_ZN12_GLOBAL__N_121softmax_warp_backwardIfN3c108BFloat16EfLi10ELb0ELb0ELi64EEEvPT0_PKT_S7_iiiPKb,comdat
.Lfunc_end662:
	.size	_ZN12_GLOBAL__N_121softmax_warp_backwardIfN3c108BFloat16EfLi10ELb0ELb0ELi64EEEvPT0_PKT_S7_iiiPKb, .Lfunc_end662-_ZN12_GLOBAL__N_121softmax_warp_backwardIfN3c108BFloat16EfLi10ELb0ELb0ELi64EEEvPT0_PKT_S7_iiiPKb
                                        ; -- End function
	.section	.AMDGPU.csdata,"",@progbits
; Kernel info:
; codeLenInByte = 2716
; NumSgprs: 48
; NumVgprs: 39
; NumAgprs: 0
; TotalNumVgprs: 39
; ScratchSize: 0
; MemoryBound: 0
; FloatMode: 240
; IeeeMode: 1
; LDSByteSize: 0 bytes/workgroup (compile time only)
; SGPRBlocks: 5
; VGPRBlocks: 4
; NumSGPRsForWavesPerEU: 48
; NumVGPRsForWavesPerEU: 39
; AccumOffset: 40
; Occupancy: 8
; WaveLimiterHint : 0
; COMPUTE_PGM_RSRC2:SCRATCH_EN: 0
; COMPUTE_PGM_RSRC2:USER_SGPR: 6
; COMPUTE_PGM_RSRC2:TRAP_HANDLER: 0
; COMPUTE_PGM_RSRC2:TGID_X_EN: 1
; COMPUTE_PGM_RSRC2:TGID_Y_EN: 0
; COMPUTE_PGM_RSRC2:TGID_Z_EN: 0
; COMPUTE_PGM_RSRC2:TIDIG_COMP_CNT: 1
; COMPUTE_PGM_RSRC3_GFX90A:ACCUM_OFFSET: 9
; COMPUTE_PGM_RSRC3_GFX90A:TG_SPLIT: 0
	.section	.text._ZN12_GLOBAL__N_121softmax_warp_backwardIfN3c108BFloat16EfLi10ELb0ELb0ELi32EEEvPT0_PKT_S7_iiiPKb,"axG",@progbits,_ZN12_GLOBAL__N_121softmax_warp_backwardIfN3c108BFloat16EfLi10ELb0ELb0ELi32EEEvPT0_PKT_S7_iiiPKb,comdat
	.globl	_ZN12_GLOBAL__N_121softmax_warp_backwardIfN3c108BFloat16EfLi10ELb0ELb0ELi32EEEvPT0_PKT_S7_iiiPKb ; -- Begin function _ZN12_GLOBAL__N_121softmax_warp_backwardIfN3c108BFloat16EfLi10ELb0ELb0ELi32EEEvPT0_PKT_S7_iiiPKb
	.p2align	8
	.type	_ZN12_GLOBAL__N_121softmax_warp_backwardIfN3c108BFloat16EfLi10ELb0ELb0ELi32EEEvPT0_PKT_S7_iiiPKb,@function
_ZN12_GLOBAL__N_121softmax_warp_backwardIfN3c108BFloat16EfLi10ELb0ELb0ELi32EEEvPT0_PKT_S7_iiiPKb: ; @_ZN12_GLOBAL__N_121softmax_warp_backwardIfN3c108BFloat16EfLi10ELb0ELb0ELi32EEEvPT0_PKT_S7_iiiPKb
; %bb.0:
	s_load_dword s2, s[4:5], 0x3c
	s_load_dwordx4 s[60:63], s[4:5], 0x18
	s_load_dwordx4 s[68:71], s[4:5], 0x0
	s_load_dwordx2 s[0:1], s[4:5], 0x10
	v_bfe_u32 v1, v0, 10, 10
	s_waitcnt lgkmcnt(0)
	s_lshr_b32 s2, s2, 16
	s_mul_i32 s6, s6, s2
	v_and_b32_e32 v70, 0x3ff, v0
	v_add_u32_e32 v1, s6, v1
	v_and_b32_e32 v6, 31, v70
	v_sub_u32_e32 v12, s60, v1
	v_mad_u64_u32 v[0:1], s[2:3], v1, s61, v[6:7]
	v_ashrrev_i32_e32 v1, 31, v0
	v_lshlrev_b64 v[4:5], 2, v[0:1]
	v_mov_b32_e32 v3, s71
	v_add_co_u32_e32 v2, vcc, s70, v4
	v_addc_co_u32_e32 v3, vcc, v3, v5, vcc
	v_mov_b32_e32 v7, s1
	v_add_co_u32_e32 v4, vcc, s0, v4
	v_addc_co_u32_e32 v5, vcc, v7, v5, vcc
	v_cmp_lt_i32_e64 s[64:65], 0, v12
	v_cmp_gt_i32_e32 vcc, s62, v6
	s_and_b64 s[2:3], s[64:65], vcc
	v_mov_b32_e32 v7, 0
	v_mov_b32_e32 v15, 0
	;; [unrolled: 1-line block ×3, first 2 shown]
	s_and_saveexec_b64 s[0:1], s[2:3]
	s_cbranch_execz .LBB663_2
; %bb.1:
	global_load_dword v15, v[2:3], off
	global_load_dword v17, v[4:5], off
.LBB663_2:
	s_or_b64 exec, exec, s[0:1]
	v_or_b32_e32 v8, 32, v6
	v_cmp_gt_i32_e64 s[0:1], s62, v8
	s_and_b64 s[4:5], s[64:65], s[0:1]
	v_mov_b32_e32 v18, 0
	s_and_saveexec_b64 s[2:3], s[4:5]
	s_cbranch_execz .LBB663_4
; %bb.3:
	global_load_dword v7, v[2:3], off offset:128
	global_load_dword v18, v[4:5], off offset:128
.LBB663_4:
	s_or_b64 exec, exec, s[2:3]
	v_or_b32_e32 v8, 64, v6
	v_cmp_gt_i32_e64 s[2:3], s62, v8
	s_and_b64 s[6:7], s[64:65], s[2:3]
	v_mov_b32_e32 v8, 0
	v_mov_b32_e32 v19, 0
	v_mov_b32_e32 v20, 0
	s_and_saveexec_b64 s[4:5], s[6:7]
	s_cbranch_execz .LBB663_6
; %bb.5:
	global_load_dword v19, v[2:3], off offset:256
	global_load_dword v20, v[4:5], off offset:256
.LBB663_6:
	s_or_b64 exec, exec, s[4:5]
	v_or_b32_e32 v9, 0x60, v6
	v_cmp_gt_i32_e64 s[4:5], s62, v9
	s_and_b64 s[8:9], s[64:65], s[4:5]
	v_mov_b32_e32 v22, 0
	s_and_saveexec_b64 s[6:7], s[8:9]
	s_cbranch_execz .LBB663_8
; %bb.7:
	global_load_dword v8, v[2:3], off offset:384
	global_load_dword v22, v[4:5], off offset:384
.LBB663_8:
	s_or_b64 exec, exec, s[6:7]
	v_or_b32_e32 v9, 0x80, v6
	v_cmp_gt_i32_e64 s[6:7], s62, v9
	s_and_b64 s[10:11], s[64:65], s[6:7]
	v_mov_b32_e32 v9, 0
	v_mov_b32_e32 v23, 0
	v_mov_b32_e32 v24, 0
	s_and_saveexec_b64 s[8:9], s[10:11]
	s_cbranch_execz .LBB663_10
; %bb.9:
	global_load_dword v23, v[2:3], off offset:512
	global_load_dword v24, v[4:5], off offset:512
.LBB663_10:
	;; [unrolled: 24-line block ×15, first 2 shown]
	s_or_b64 exec, exec, s[66:67]
	v_or_b32_e32 v70, 0x3e0, v70
	v_cmp_gt_i32_e64 s[62:63], s62, v70
	s_and_b64 s[66:67], s[64:65], s[62:63]
	v_mov_b32_e32 v70, 0
	s_and_saveexec_b64 s[64:65], s[66:67]
	s_cbranch_execz .LBB663_64
; %bb.63:
	global_load_dword v6, v[2:3], off offset:3968
	global_load_dword v70, v[4:5], off offset:3968
.LBB663_64:
	s_or_b64 exec, exec, s[64:65]
	s_waitcnt vmcnt(1)
	v_add_f32_e32 v2, 0, v15
	v_add_f32_e32 v2, v2, v7
	;; [unrolled: 1-line block ×26, first 2 shown]
	v_mbcnt_lo_u32_b32 v3, -1, 0
	v_add_f32_e32 v2, v2, v62
	v_mbcnt_hi_u32_b32 v3, -1, v3
	v_add_f32_e32 v2, v2, v41
	v_and_b32_e32 v4, 0x60, v3
	v_add_f32_e32 v2, v2, v65
	v_add_u32_e32 v4, 32, v4
	v_xor_b32_e32 v5, 16, v3
	v_add_f32_e32 v2, v2, v45
	v_cmp_lt_i32_e64 s[64:65], v5, v4
	v_add_f32_e32 v2, v2, v68
	v_cndmask_b32_e64 v5, v3, v5, s[64:65]
	v_add_f32_e32 v2, v2, v6
	v_lshlrev_b32_e32 v5, 2, v5
	ds_bpermute_b32 v5, v5, v2
	s_waitcnt lgkmcnt(0)
	v_add_f32_e32 v2, v2, v5
	v_xor_b32_e32 v5, 8, v3
	v_cmp_lt_i32_e64 s[64:65], v5, v4
	v_cndmask_b32_e64 v5, v3, v5, s[64:65]
	v_lshlrev_b32_e32 v5, 2, v5
	ds_bpermute_b32 v5, v5, v2
	s_waitcnt lgkmcnt(0)
	v_add_f32_e32 v2, v2, v5
	v_xor_b32_e32 v5, 4, v3
	v_cmp_lt_i32_e64 s[64:65], v5, v4
	v_cndmask_b32_e64 v5, v3, v5, s[64:65]
	;; [unrolled: 7-line block ×4, first 2 shown]
	v_lshlrev_b32_e32 v3, 2, v3
	ds_bpermute_b32 v3, v3, v2
	v_cmp_lt_i32_e64 s[64:65], 0, v12
	s_and_saveexec_b64 s[66:67], s[64:65]
	s_cbranch_execz .LBB663_98
; %bb.65:
	v_lshlrev_b64 v[0:1], 1, v[0:1]
	v_mov_b32_e32 v4, s69
	v_add_co_u32_e64 v0, s[64:65], s68, v0
	v_addc_co_u32_e64 v1, s[64:65], v4, v1, s[64:65]
	s_waitcnt lgkmcnt(0)
	v_add_f32_e32 v2, v2, v3
	s_and_saveexec_b64 s[64:65], vcc
	s_cbranch_execnz .LBB663_99
; %bb.66:
	s_or_b64 exec, exec, s[64:65]
	s_and_saveexec_b64 s[64:65], s[0:1]
	s_cbranch_execnz .LBB663_100
.LBB663_67:
	s_or_b64 exec, exec, s[64:65]
	s_and_saveexec_b64 s[0:1], s[2:3]
	s_cbranch_execnz .LBB663_101
.LBB663_68:
	s_or_b64 exec, exec, s[0:1]
	s_and_saveexec_b64 s[0:1], s[4:5]
	s_cbranch_execnz .LBB663_102
.LBB663_69:
	s_or_b64 exec, exec, s[0:1]
	s_and_saveexec_b64 s[0:1], s[6:7]
	s_cbranch_execnz .LBB663_103
.LBB663_70:
	s_or_b64 exec, exec, s[0:1]
	s_and_saveexec_b64 s[0:1], s[8:9]
	s_cbranch_execnz .LBB663_104
.LBB663_71:
	s_or_b64 exec, exec, s[0:1]
	s_and_saveexec_b64 s[0:1], s[10:11]
	s_cbranch_execnz .LBB663_105
.LBB663_72:
	s_or_b64 exec, exec, s[0:1]
	s_and_saveexec_b64 s[0:1], s[12:13]
	s_cbranch_execnz .LBB663_106
.LBB663_73:
	s_or_b64 exec, exec, s[0:1]
	s_and_saveexec_b64 s[0:1], s[14:15]
	s_cbranch_execnz .LBB663_107
.LBB663_74:
	s_or_b64 exec, exec, s[0:1]
	s_and_saveexec_b64 s[0:1], s[16:17]
	s_cbranch_execnz .LBB663_108
.LBB663_75:
	s_or_b64 exec, exec, s[0:1]
	s_and_saveexec_b64 s[0:1], s[18:19]
	s_cbranch_execnz .LBB663_109
.LBB663_76:
	s_or_b64 exec, exec, s[0:1]
	s_and_saveexec_b64 s[0:1], s[20:21]
	s_cbranch_execnz .LBB663_110
.LBB663_77:
	s_or_b64 exec, exec, s[0:1]
	s_and_saveexec_b64 s[0:1], s[22:23]
	s_cbranch_execnz .LBB663_111
.LBB663_78:
	s_or_b64 exec, exec, s[0:1]
	s_and_saveexec_b64 s[0:1], s[24:25]
	s_cbranch_execnz .LBB663_112
.LBB663_79:
	s_or_b64 exec, exec, s[0:1]
	s_and_saveexec_b64 s[0:1], s[26:27]
	s_cbranch_execnz .LBB663_113
.LBB663_80:
	s_or_b64 exec, exec, s[0:1]
	s_and_saveexec_b64 s[0:1], s[28:29]
	s_cbranch_execnz .LBB663_114
.LBB663_81:
	s_or_b64 exec, exec, s[0:1]
	s_and_saveexec_b64 s[0:1], s[30:31]
	s_cbranch_execnz .LBB663_115
.LBB663_82:
	s_or_b64 exec, exec, s[0:1]
	s_and_saveexec_b64 s[0:1], s[34:35]
	s_cbranch_execnz .LBB663_116
.LBB663_83:
	s_or_b64 exec, exec, s[0:1]
	s_and_saveexec_b64 s[0:1], s[36:37]
	s_cbranch_execnz .LBB663_117
.LBB663_84:
	s_or_b64 exec, exec, s[0:1]
	s_and_saveexec_b64 s[0:1], s[38:39]
	s_cbranch_execnz .LBB663_118
.LBB663_85:
	s_or_b64 exec, exec, s[0:1]
	s_and_saveexec_b64 s[0:1], s[40:41]
	s_cbranch_execnz .LBB663_119
.LBB663_86:
	s_or_b64 exec, exec, s[0:1]
	s_and_saveexec_b64 s[0:1], s[42:43]
	s_cbranch_execnz .LBB663_120
.LBB663_87:
	s_or_b64 exec, exec, s[0:1]
	s_and_saveexec_b64 s[0:1], s[44:45]
	s_cbranch_execnz .LBB663_121
.LBB663_88:
	s_or_b64 exec, exec, s[0:1]
	s_and_saveexec_b64 s[0:1], s[46:47]
	s_cbranch_execnz .LBB663_122
.LBB663_89:
	s_or_b64 exec, exec, s[0:1]
	s_and_saveexec_b64 s[0:1], s[48:49]
	s_cbranch_execnz .LBB663_123
.LBB663_90:
	s_or_b64 exec, exec, s[0:1]
	s_and_saveexec_b64 s[0:1], s[50:51]
	s_cbranch_execnz .LBB663_124
.LBB663_91:
	s_or_b64 exec, exec, s[0:1]
	s_and_saveexec_b64 s[0:1], s[52:53]
	s_cbranch_execnz .LBB663_125
.LBB663_92:
	s_or_b64 exec, exec, s[0:1]
	s_and_saveexec_b64 s[0:1], s[54:55]
	s_cbranch_execnz .LBB663_126
.LBB663_93:
	s_or_b64 exec, exec, s[0:1]
	s_and_saveexec_b64 s[0:1], s[56:57]
	s_cbranch_execnz .LBB663_127
.LBB663_94:
	s_or_b64 exec, exec, s[0:1]
	s_and_saveexec_b64 s[0:1], s[58:59]
	s_cbranch_execnz .LBB663_128
.LBB663_95:
	s_or_b64 exec, exec, s[0:1]
	s_and_saveexec_b64 s[0:1], s[60:61]
	s_cbranch_execnz .LBB663_129
.LBB663_96:
	s_or_b64 exec, exec, s[0:1]
	s_and_b64 exec, exec, s[62:63]
	s_cbranch_execz .LBB663_98
.LBB663_97:
	s_waitcnt vmcnt(0)
	v_fma_f32 v2, -v2, v70, v6
	v_bfe_u32 v3, v2, 16, 1
	s_movk_i32 s0, 0x7fff
	v_add3_u32 v3, v2, v3, s0
	v_lshrrev_b32_e32 v3, 16, v3
	v_mov_b32_e32 v4, 0x7fc0
	v_cmp_o_f32_e32 vcc, v2, v2
	v_cndmask_b32_e32 v2, v4, v3, vcc
	global_store_short v[0:1], v2, off offset:1984
.LBB663_98:
	s_endpgm
.LBB663_99:
	s_waitcnt vmcnt(0)
	v_fma_f32 v3, -v2, v17, v15
	v_bfe_u32 v4, v3, 16, 1
	s_movk_i32 s33, 0x7fff
	v_add3_u32 v4, v3, v4, s33
	v_lshrrev_b32_e32 v4, 16, v4
	v_mov_b32_e32 v5, 0x7fc0
	v_cmp_o_f32_e32 vcc, v3, v3
	v_cndmask_b32_e32 v3, v5, v4, vcc
	global_store_short v[0:1], v3, off
	s_or_b64 exec, exec, s[64:65]
	s_and_saveexec_b64 s[64:65], s[0:1]
	s_cbranch_execz .LBB663_67
.LBB663_100:
	s_waitcnt vmcnt(0)
	v_fma_f32 v3, -v2, v18, v7
	v_bfe_u32 v4, v3, 16, 1
	s_movk_i32 s0, 0x7fff
	v_add3_u32 v4, v3, v4, s0
	v_lshrrev_b32_e32 v4, 16, v4
	v_mov_b32_e32 v5, 0x7fc0
	v_cmp_o_f32_e32 vcc, v3, v3
	v_cndmask_b32_e32 v3, v5, v4, vcc
	global_store_short v[0:1], v3, off offset:64
	s_or_b64 exec, exec, s[64:65]
	s_and_saveexec_b64 s[0:1], s[2:3]
	s_cbranch_execz .LBB663_68
.LBB663_101:
	s_waitcnt vmcnt(0)
	v_fma_f32 v3, -v2, v20, v19
	v_bfe_u32 v4, v3, 16, 1
	s_movk_i32 s2, 0x7fff
	v_add3_u32 v4, v3, v4, s2
	v_lshrrev_b32_e32 v4, 16, v4
	v_mov_b32_e32 v5, 0x7fc0
	v_cmp_o_f32_e32 vcc, v3, v3
	v_cndmask_b32_e32 v3, v5, v4, vcc
	global_store_short v[0:1], v3, off offset:128
	s_or_b64 exec, exec, s[0:1]
	s_and_saveexec_b64 s[0:1], s[4:5]
	s_cbranch_execz .LBB663_69
.LBB663_102:
	s_waitcnt vmcnt(0)
	v_fma_f32 v3, -v2, v22, v8
	v_bfe_u32 v4, v3, 16, 1
	s_movk_i32 s2, 0x7fff
	v_add3_u32 v4, v3, v4, s2
	v_lshrrev_b32_e32 v4, 16, v4
	v_mov_b32_e32 v5, 0x7fc0
	v_cmp_o_f32_e32 vcc, v3, v3
	v_cndmask_b32_e32 v3, v5, v4, vcc
	global_store_short v[0:1], v3, off offset:192
	s_or_b64 exec, exec, s[0:1]
	s_and_saveexec_b64 s[0:1], s[6:7]
	s_cbranch_execz .LBB663_70
.LBB663_103:
	s_waitcnt vmcnt(0)
	v_fma_f32 v3, -v2, v24, v23
	v_bfe_u32 v4, v3, 16, 1
	s_movk_i32 s2, 0x7fff
	v_add3_u32 v4, v3, v4, s2
	v_lshrrev_b32_e32 v4, 16, v4
	v_mov_b32_e32 v5, 0x7fc0
	v_cmp_o_f32_e32 vcc, v3, v3
	v_cndmask_b32_e32 v3, v5, v4, vcc
	global_store_short v[0:1], v3, off offset:256
	s_or_b64 exec, exec, s[0:1]
	s_and_saveexec_b64 s[0:1], s[8:9]
	s_cbranch_execz .LBB663_71
.LBB663_104:
	s_waitcnt vmcnt(0)
	v_fma_f32 v3, -v2, v26, v9
	v_bfe_u32 v4, v3, 16, 1
	s_movk_i32 s2, 0x7fff
	v_add3_u32 v4, v3, v4, s2
	v_lshrrev_b32_e32 v4, 16, v4
	v_mov_b32_e32 v5, 0x7fc0
	v_cmp_o_f32_e32 vcc, v3, v3
	v_cndmask_b32_e32 v3, v5, v4, vcc
	global_store_short v[0:1], v3, off offset:320
	s_or_b64 exec, exec, s[0:1]
	s_and_saveexec_b64 s[0:1], s[10:11]
	s_cbranch_execz .LBB663_72
.LBB663_105:
	s_waitcnt vmcnt(0)
	v_fma_f32 v3, -v2, v28, v27
	v_bfe_u32 v4, v3, 16, 1
	s_movk_i32 s2, 0x7fff
	v_add3_u32 v4, v3, v4, s2
	v_lshrrev_b32_e32 v4, 16, v4
	v_mov_b32_e32 v5, 0x7fc0
	v_cmp_o_f32_e32 vcc, v3, v3
	v_cndmask_b32_e32 v3, v5, v4, vcc
	global_store_short v[0:1], v3, off offset:384
	s_or_b64 exec, exec, s[0:1]
	s_and_saveexec_b64 s[0:1], s[12:13]
	s_cbranch_execz .LBB663_73
.LBB663_106:
	s_waitcnt vmcnt(0)
	v_fma_f32 v3, -v2, v30, v10
	v_bfe_u32 v4, v3, 16, 1
	s_movk_i32 s2, 0x7fff
	v_add3_u32 v4, v3, v4, s2
	v_lshrrev_b32_e32 v4, 16, v4
	v_mov_b32_e32 v5, 0x7fc0
	v_cmp_o_f32_e32 vcc, v3, v3
	v_cndmask_b32_e32 v3, v5, v4, vcc
	global_store_short v[0:1], v3, off offset:448
	s_or_b64 exec, exec, s[0:1]
	s_and_saveexec_b64 s[0:1], s[14:15]
	s_cbranch_execz .LBB663_74
.LBB663_107:
	s_waitcnt vmcnt(0)
	v_fma_f32 v3, -v2, v32, v31
	v_bfe_u32 v4, v3, 16, 1
	s_movk_i32 s2, 0x7fff
	v_add3_u32 v4, v3, v4, s2
	v_lshrrev_b32_e32 v4, 16, v4
	v_mov_b32_e32 v5, 0x7fc0
	v_cmp_o_f32_e32 vcc, v3, v3
	v_cndmask_b32_e32 v3, v5, v4, vcc
	global_store_short v[0:1], v3, off offset:512
	s_or_b64 exec, exec, s[0:1]
	s_and_saveexec_b64 s[0:1], s[16:17]
	s_cbranch_execz .LBB663_75
.LBB663_108:
	s_waitcnt vmcnt(0)
	v_fma_f32 v3, -v2, v34, v11
	v_bfe_u32 v4, v3, 16, 1
	s_movk_i32 s2, 0x7fff
	v_add3_u32 v4, v3, v4, s2
	v_lshrrev_b32_e32 v4, 16, v4
	v_mov_b32_e32 v5, 0x7fc0
	v_cmp_o_f32_e32 vcc, v3, v3
	v_cndmask_b32_e32 v3, v5, v4, vcc
	global_store_short v[0:1], v3, off offset:576
	s_or_b64 exec, exec, s[0:1]
	s_and_saveexec_b64 s[0:1], s[18:19]
	s_cbranch_execz .LBB663_76
.LBB663_109:
	s_waitcnt vmcnt(0)
	v_fma_f32 v3, -v2, v36, v35
	v_bfe_u32 v4, v3, 16, 1
	s_movk_i32 s2, 0x7fff
	v_add3_u32 v4, v3, v4, s2
	v_lshrrev_b32_e32 v4, 16, v4
	v_mov_b32_e32 v5, 0x7fc0
	v_cmp_o_f32_e32 vcc, v3, v3
	v_cndmask_b32_e32 v3, v5, v4, vcc
	global_store_short v[0:1], v3, off offset:640
	s_or_b64 exec, exec, s[0:1]
	s_and_saveexec_b64 s[0:1], s[20:21]
	s_cbranch_execz .LBB663_77
.LBB663_110:
	s_waitcnt vmcnt(0)
	v_fma_f32 v3, -v2, v38, v13
	v_bfe_u32 v4, v3, 16, 1
	s_movk_i32 s2, 0x7fff
	v_add3_u32 v4, v3, v4, s2
	v_lshrrev_b32_e32 v4, 16, v4
	v_mov_b32_e32 v5, 0x7fc0
	v_cmp_o_f32_e32 vcc, v3, v3
	v_cndmask_b32_e32 v3, v5, v4, vcc
	global_store_short v[0:1], v3, off offset:704
	s_or_b64 exec, exec, s[0:1]
	s_and_saveexec_b64 s[0:1], s[22:23]
	s_cbranch_execz .LBB663_78
.LBB663_111:
	s_waitcnt vmcnt(0)
	v_fma_f32 v3, -v2, v40, v39
	v_bfe_u32 v4, v3, 16, 1
	s_movk_i32 s2, 0x7fff
	v_add3_u32 v4, v3, v4, s2
	v_lshrrev_b32_e32 v4, 16, v4
	v_mov_b32_e32 v5, 0x7fc0
	v_cmp_o_f32_e32 vcc, v3, v3
	v_cndmask_b32_e32 v3, v5, v4, vcc
	global_store_short v[0:1], v3, off offset:768
	s_or_b64 exec, exec, s[0:1]
	s_and_saveexec_b64 s[0:1], s[24:25]
	s_cbranch_execz .LBB663_79
.LBB663_112:
	s_waitcnt vmcnt(0)
	v_fma_f32 v3, -v2, v42, v14
	v_bfe_u32 v4, v3, 16, 1
	s_movk_i32 s2, 0x7fff
	v_add3_u32 v4, v3, v4, s2
	v_lshrrev_b32_e32 v4, 16, v4
	v_mov_b32_e32 v5, 0x7fc0
	v_cmp_o_f32_e32 vcc, v3, v3
	v_cndmask_b32_e32 v3, v5, v4, vcc
	global_store_short v[0:1], v3, off offset:832
	s_or_b64 exec, exec, s[0:1]
	s_and_saveexec_b64 s[0:1], s[26:27]
	s_cbranch_execz .LBB663_80
.LBB663_113:
	s_waitcnt vmcnt(0)
	v_fma_f32 v3, -v2, v44, v43
	v_bfe_u32 v4, v3, 16, 1
	s_movk_i32 s2, 0x7fff
	v_add3_u32 v4, v3, v4, s2
	v_lshrrev_b32_e32 v4, 16, v4
	v_mov_b32_e32 v5, 0x7fc0
	v_cmp_o_f32_e32 vcc, v3, v3
	v_cndmask_b32_e32 v3, v5, v4, vcc
	global_store_short v[0:1], v3, off offset:896
	s_or_b64 exec, exec, s[0:1]
	s_and_saveexec_b64 s[0:1], s[28:29]
	s_cbranch_execz .LBB663_81
.LBB663_114:
	s_waitcnt vmcnt(0)
	v_fma_f32 v3, -v2, v46, v16
	v_bfe_u32 v4, v3, 16, 1
	s_movk_i32 s2, 0x7fff
	v_add3_u32 v4, v3, v4, s2
	v_lshrrev_b32_e32 v4, 16, v4
	v_mov_b32_e32 v5, 0x7fc0
	v_cmp_o_f32_e32 vcc, v3, v3
	v_cndmask_b32_e32 v3, v5, v4, vcc
	global_store_short v[0:1], v3, off offset:960
	s_or_b64 exec, exec, s[0:1]
	s_and_saveexec_b64 s[0:1], s[30:31]
	s_cbranch_execz .LBB663_82
.LBB663_115:
	s_waitcnt vmcnt(0)
	v_fma_f32 v3, -v2, v48, v47
	v_bfe_u32 v4, v3, 16, 1
	s_movk_i32 s2, 0x7fff
	v_add3_u32 v4, v3, v4, s2
	v_lshrrev_b32_e32 v4, 16, v4
	v_mov_b32_e32 v5, 0x7fc0
	v_cmp_o_f32_e32 vcc, v3, v3
	v_cndmask_b32_e32 v3, v5, v4, vcc
	global_store_short v[0:1], v3, off offset:1024
	s_or_b64 exec, exec, s[0:1]
	s_and_saveexec_b64 s[0:1], s[34:35]
	s_cbranch_execz .LBB663_83
.LBB663_116:
	s_waitcnt vmcnt(0)
	v_fma_f32 v3, -v2, v49, v21
	v_bfe_u32 v4, v3, 16, 1
	s_movk_i32 s2, 0x7fff
	v_add3_u32 v4, v3, v4, s2
	v_lshrrev_b32_e32 v4, 16, v4
	v_mov_b32_e32 v5, 0x7fc0
	v_cmp_o_f32_e32 vcc, v3, v3
	v_cndmask_b32_e32 v3, v5, v4, vcc
	global_store_short v[0:1], v3, off offset:1088
	s_or_b64 exec, exec, s[0:1]
	s_and_saveexec_b64 s[0:1], s[36:37]
	s_cbranch_execz .LBB663_84
.LBB663_117:
	s_waitcnt vmcnt(0)
	v_fma_f32 v3, -v2, v51, v50
	v_bfe_u32 v4, v3, 16, 1
	s_movk_i32 s2, 0x7fff
	v_add3_u32 v4, v3, v4, s2
	v_lshrrev_b32_e32 v4, 16, v4
	v_mov_b32_e32 v5, 0x7fc0
	v_cmp_o_f32_e32 vcc, v3, v3
	v_cndmask_b32_e32 v3, v5, v4, vcc
	global_store_short v[0:1], v3, off offset:1152
	s_or_b64 exec, exec, s[0:1]
	s_and_saveexec_b64 s[0:1], s[38:39]
	s_cbranch_execz .LBB663_85
.LBB663_118:
	s_waitcnt vmcnt(0)
	v_fma_f32 v3, -v2, v52, v25
	v_bfe_u32 v4, v3, 16, 1
	s_movk_i32 s2, 0x7fff
	v_add3_u32 v4, v3, v4, s2
	v_lshrrev_b32_e32 v4, 16, v4
	v_mov_b32_e32 v5, 0x7fc0
	v_cmp_o_f32_e32 vcc, v3, v3
	v_cndmask_b32_e32 v3, v5, v4, vcc
	global_store_short v[0:1], v3, off offset:1216
	s_or_b64 exec, exec, s[0:1]
	s_and_saveexec_b64 s[0:1], s[40:41]
	s_cbranch_execz .LBB663_86
.LBB663_119:
	s_waitcnt vmcnt(0)
	v_fma_f32 v3, -v2, v54, v53
	v_bfe_u32 v4, v3, 16, 1
	s_movk_i32 s2, 0x7fff
	v_add3_u32 v4, v3, v4, s2
	v_lshrrev_b32_e32 v4, 16, v4
	v_mov_b32_e32 v5, 0x7fc0
	v_cmp_o_f32_e32 vcc, v3, v3
	v_cndmask_b32_e32 v3, v5, v4, vcc
	global_store_short v[0:1], v3, off offset:1280
	s_or_b64 exec, exec, s[0:1]
	s_and_saveexec_b64 s[0:1], s[42:43]
	s_cbranch_execz .LBB663_87
.LBB663_120:
	s_waitcnt vmcnt(0)
	v_fma_f32 v3, -v2, v55, v29
	v_bfe_u32 v4, v3, 16, 1
	s_movk_i32 s2, 0x7fff
	v_add3_u32 v4, v3, v4, s2
	v_lshrrev_b32_e32 v4, 16, v4
	v_mov_b32_e32 v5, 0x7fc0
	v_cmp_o_f32_e32 vcc, v3, v3
	v_cndmask_b32_e32 v3, v5, v4, vcc
	global_store_short v[0:1], v3, off offset:1344
	s_or_b64 exec, exec, s[0:1]
	s_and_saveexec_b64 s[0:1], s[44:45]
	s_cbranch_execz .LBB663_88
.LBB663_121:
	s_waitcnt vmcnt(0)
	v_fma_f32 v3, -v2, v57, v56
	v_bfe_u32 v4, v3, 16, 1
	s_movk_i32 s2, 0x7fff
	v_add3_u32 v4, v3, v4, s2
	v_lshrrev_b32_e32 v4, 16, v4
	v_mov_b32_e32 v5, 0x7fc0
	v_cmp_o_f32_e32 vcc, v3, v3
	v_cndmask_b32_e32 v3, v5, v4, vcc
	global_store_short v[0:1], v3, off offset:1408
	s_or_b64 exec, exec, s[0:1]
	s_and_saveexec_b64 s[0:1], s[46:47]
	s_cbranch_execz .LBB663_89
.LBB663_122:
	s_waitcnt vmcnt(0)
	v_fma_f32 v3, -v2, v58, v33
	v_bfe_u32 v4, v3, 16, 1
	s_movk_i32 s2, 0x7fff
	v_add3_u32 v4, v3, v4, s2
	v_lshrrev_b32_e32 v4, 16, v4
	v_mov_b32_e32 v5, 0x7fc0
	v_cmp_o_f32_e32 vcc, v3, v3
	v_cndmask_b32_e32 v3, v5, v4, vcc
	global_store_short v[0:1], v3, off offset:1472
	s_or_b64 exec, exec, s[0:1]
	s_and_saveexec_b64 s[0:1], s[48:49]
	s_cbranch_execz .LBB663_90
.LBB663_123:
	s_waitcnt vmcnt(0)
	v_fma_f32 v3, -v2, v60, v59
	v_bfe_u32 v4, v3, 16, 1
	s_movk_i32 s2, 0x7fff
	v_add3_u32 v4, v3, v4, s2
	v_lshrrev_b32_e32 v4, 16, v4
	v_mov_b32_e32 v5, 0x7fc0
	v_cmp_o_f32_e32 vcc, v3, v3
	v_cndmask_b32_e32 v3, v5, v4, vcc
	global_store_short v[0:1], v3, off offset:1536
	s_or_b64 exec, exec, s[0:1]
	s_and_saveexec_b64 s[0:1], s[50:51]
	s_cbranch_execz .LBB663_91
.LBB663_124:
	s_waitcnt vmcnt(0)
	v_fma_f32 v3, -v2, v61, v37
	v_bfe_u32 v4, v3, 16, 1
	s_movk_i32 s2, 0x7fff
	v_add3_u32 v4, v3, v4, s2
	v_lshrrev_b32_e32 v4, 16, v4
	v_mov_b32_e32 v5, 0x7fc0
	v_cmp_o_f32_e32 vcc, v3, v3
	v_cndmask_b32_e32 v3, v5, v4, vcc
	global_store_short v[0:1], v3, off offset:1600
	s_or_b64 exec, exec, s[0:1]
	s_and_saveexec_b64 s[0:1], s[52:53]
	s_cbranch_execz .LBB663_92
.LBB663_125:
	s_waitcnt vmcnt(0)
	v_fma_f32 v3, -v2, v63, v62
	v_bfe_u32 v4, v3, 16, 1
	s_movk_i32 s2, 0x7fff
	v_add3_u32 v4, v3, v4, s2
	v_lshrrev_b32_e32 v4, 16, v4
	v_mov_b32_e32 v5, 0x7fc0
	v_cmp_o_f32_e32 vcc, v3, v3
	v_cndmask_b32_e32 v3, v5, v4, vcc
	global_store_short v[0:1], v3, off offset:1664
	s_or_b64 exec, exec, s[0:1]
	s_and_saveexec_b64 s[0:1], s[54:55]
	s_cbranch_execz .LBB663_93
.LBB663_126:
	s_waitcnt vmcnt(0)
	v_fma_f32 v3, -v2, v64, v41
	v_bfe_u32 v4, v3, 16, 1
	s_movk_i32 s2, 0x7fff
	v_add3_u32 v4, v3, v4, s2
	v_lshrrev_b32_e32 v4, 16, v4
	v_mov_b32_e32 v5, 0x7fc0
	v_cmp_o_f32_e32 vcc, v3, v3
	v_cndmask_b32_e32 v3, v5, v4, vcc
	global_store_short v[0:1], v3, off offset:1728
	s_or_b64 exec, exec, s[0:1]
	s_and_saveexec_b64 s[0:1], s[56:57]
	s_cbranch_execz .LBB663_94
.LBB663_127:
	s_waitcnt vmcnt(0)
	v_fma_f32 v3, -v2, v66, v65
	v_bfe_u32 v4, v3, 16, 1
	s_movk_i32 s2, 0x7fff
	v_add3_u32 v4, v3, v4, s2
	v_lshrrev_b32_e32 v4, 16, v4
	v_mov_b32_e32 v5, 0x7fc0
	v_cmp_o_f32_e32 vcc, v3, v3
	v_cndmask_b32_e32 v3, v5, v4, vcc
	global_store_short v[0:1], v3, off offset:1792
	s_or_b64 exec, exec, s[0:1]
	s_and_saveexec_b64 s[0:1], s[58:59]
	s_cbranch_execz .LBB663_95
.LBB663_128:
	s_waitcnt vmcnt(0)
	v_fma_f32 v3, -v2, v67, v45
	v_bfe_u32 v4, v3, 16, 1
	s_movk_i32 s2, 0x7fff
	v_add3_u32 v4, v3, v4, s2
	v_lshrrev_b32_e32 v4, 16, v4
	v_mov_b32_e32 v5, 0x7fc0
	v_cmp_o_f32_e32 vcc, v3, v3
	v_cndmask_b32_e32 v3, v5, v4, vcc
	global_store_short v[0:1], v3, off offset:1856
	s_or_b64 exec, exec, s[0:1]
	s_and_saveexec_b64 s[0:1], s[60:61]
	s_cbranch_execz .LBB663_96
.LBB663_129:
	s_waitcnt vmcnt(0)
	v_fma_f32 v3, -v2, v69, v68
	v_bfe_u32 v4, v3, 16, 1
	s_movk_i32 s2, 0x7fff
	v_add3_u32 v4, v3, v4, s2
	v_lshrrev_b32_e32 v4, 16, v4
	v_mov_b32_e32 v5, 0x7fc0
	v_cmp_o_f32_e32 vcc, v3, v3
	v_cndmask_b32_e32 v3, v5, v4, vcc
	global_store_short v[0:1], v3, off offset:1920
	s_or_b64 exec, exec, s[0:1]
	s_and_b64 exec, exec, s[62:63]
	s_cbranch_execnz .LBB663_97
	s_branch .LBB663_98
	.section	.rodata,"a",@progbits
	.p2align	6, 0x0
	.amdhsa_kernel _ZN12_GLOBAL__N_121softmax_warp_backwardIfN3c108BFloat16EfLi10ELb0ELb0ELi32EEEvPT0_PKT_S7_iiiPKb
		.amdhsa_group_segment_fixed_size 0
		.amdhsa_private_segment_fixed_size 0
		.amdhsa_kernarg_size 304
		.amdhsa_user_sgpr_count 6
		.amdhsa_user_sgpr_private_segment_buffer 1
		.amdhsa_user_sgpr_dispatch_ptr 0
		.amdhsa_user_sgpr_queue_ptr 0
		.amdhsa_user_sgpr_kernarg_segment_ptr 1
		.amdhsa_user_sgpr_dispatch_id 0
		.amdhsa_user_sgpr_flat_scratch_init 0
		.amdhsa_user_sgpr_kernarg_preload_length 0
		.amdhsa_user_sgpr_kernarg_preload_offset 0
		.amdhsa_user_sgpr_private_segment_size 0
		.amdhsa_uses_dynamic_stack 0
		.amdhsa_system_sgpr_private_segment_wavefront_offset 0
		.amdhsa_system_sgpr_workgroup_id_x 1
		.amdhsa_system_sgpr_workgroup_id_y 0
		.amdhsa_system_sgpr_workgroup_id_z 0
		.amdhsa_system_sgpr_workgroup_info 0
		.amdhsa_system_vgpr_workitem_id 1
		.amdhsa_next_free_vgpr 71
		.amdhsa_next_free_sgpr 72
		.amdhsa_accum_offset 72
		.amdhsa_reserve_vcc 1
		.amdhsa_reserve_flat_scratch 0
		.amdhsa_float_round_mode_32 0
		.amdhsa_float_round_mode_16_64 0
		.amdhsa_float_denorm_mode_32 3
		.amdhsa_float_denorm_mode_16_64 3
		.amdhsa_dx10_clamp 1
		.amdhsa_ieee_mode 1
		.amdhsa_fp16_overflow 0
		.amdhsa_tg_split 0
		.amdhsa_exception_fp_ieee_invalid_op 0
		.amdhsa_exception_fp_denorm_src 0
		.amdhsa_exception_fp_ieee_div_zero 0
		.amdhsa_exception_fp_ieee_overflow 0
		.amdhsa_exception_fp_ieee_underflow 0
		.amdhsa_exception_fp_ieee_inexact 0
		.amdhsa_exception_int_div_zero 0
	.end_amdhsa_kernel
	.section	.text._ZN12_GLOBAL__N_121softmax_warp_backwardIfN3c108BFloat16EfLi10ELb0ELb0ELi32EEEvPT0_PKT_S7_iiiPKb,"axG",@progbits,_ZN12_GLOBAL__N_121softmax_warp_backwardIfN3c108BFloat16EfLi10ELb0ELb0ELi32EEEvPT0_PKT_S7_iiiPKb,comdat
.Lfunc_end663:
	.size	_ZN12_GLOBAL__N_121softmax_warp_backwardIfN3c108BFloat16EfLi10ELb0ELb0ELi32EEEvPT0_PKT_S7_iiiPKb, .Lfunc_end663-_ZN12_GLOBAL__N_121softmax_warp_backwardIfN3c108BFloat16EfLi10ELb0ELb0ELi32EEEvPT0_PKT_S7_iiiPKb
                                        ; -- End function
	.section	.AMDGPU.csdata,"",@progbits
; Kernel info:
; codeLenInByte = 4980
; NumSgprs: 76
; NumVgprs: 71
; NumAgprs: 0
; TotalNumVgprs: 71
; ScratchSize: 0
; MemoryBound: 0
; FloatMode: 240
; IeeeMode: 1
; LDSByteSize: 0 bytes/workgroup (compile time only)
; SGPRBlocks: 9
; VGPRBlocks: 8
; NumSGPRsForWavesPerEU: 76
; NumVGPRsForWavesPerEU: 71
; AccumOffset: 72
; Occupancy: 7
; WaveLimiterHint : 0
; COMPUTE_PGM_RSRC2:SCRATCH_EN: 0
; COMPUTE_PGM_RSRC2:USER_SGPR: 6
; COMPUTE_PGM_RSRC2:TRAP_HANDLER: 0
; COMPUTE_PGM_RSRC2:TGID_X_EN: 1
; COMPUTE_PGM_RSRC2:TGID_Y_EN: 0
; COMPUTE_PGM_RSRC2:TGID_Z_EN: 0
; COMPUTE_PGM_RSRC2:TIDIG_COMP_CNT: 1
; COMPUTE_PGM_RSRC3_GFX90A:ACCUM_OFFSET: 17
; COMPUTE_PGM_RSRC3_GFX90A:TG_SPLIT: 0
	.section	.text._ZN2at6native12_GLOBAL__N_124cunn_SoftMaxBackwardSmemILi4EN3c108BFloat16EffNS1_23SoftMaxBackwardEpilogueEEEvPT0_PKT2_SA_l,"axG",@progbits,_ZN2at6native12_GLOBAL__N_124cunn_SoftMaxBackwardSmemILi4EN3c108BFloat16EffNS1_23SoftMaxBackwardEpilogueEEEvPT0_PKT2_SA_l,comdat
	.globl	_ZN2at6native12_GLOBAL__N_124cunn_SoftMaxBackwardSmemILi4EN3c108BFloat16EffNS1_23SoftMaxBackwardEpilogueEEEvPT0_PKT2_SA_l ; -- Begin function _ZN2at6native12_GLOBAL__N_124cunn_SoftMaxBackwardSmemILi4EN3c108BFloat16EffNS1_23SoftMaxBackwardEpilogueEEEvPT0_PKT2_SA_l
	.p2align	8
	.type	_ZN2at6native12_GLOBAL__N_124cunn_SoftMaxBackwardSmemILi4EN3c108BFloat16EffNS1_23SoftMaxBackwardEpilogueEEEvPT0_PKT2_SA_l,@function
_ZN2at6native12_GLOBAL__N_124cunn_SoftMaxBackwardSmemILi4EN3c108BFloat16EffNS1_23SoftMaxBackwardEpilogueEEEvPT0_PKT2_SA_l: ; @_ZN2at6native12_GLOBAL__N_124cunn_SoftMaxBackwardSmemILi4EN3c108BFloat16EffNS1_23SoftMaxBackwardEpilogueEEEvPT0_PKT2_SA_l
; %bb.0:
	s_load_dwordx8 s[8:15], s[4:5], 0x0
	v_lshlrev_b32_e32 v2, 2, v0
	v_mov_b32_e32 v3, 0
	v_lshl_add_u32 v8, v0, 4, 0
	s_waitcnt lgkmcnt(0)
	s_mul_i32 s0, s6, s15
	s_mul_hi_u32 s1, s6, s14
	s_mul_i32 s2, s6, s14
	s_add_i32 s3, s1, s0
	v_cmp_gt_i64_e32 vcc, s[14:15], v[2:3]
	s_and_saveexec_b64 s[6:7], vcc
	s_cbranch_execz .LBB664_4
; %bb.1:
	s_load_dword s17, s[4:5], 0x2c
	s_lshl_b64 s[0:1], s[2:3], 2
	s_add_u32 s16, s12, s0
	s_addc_u32 s0, s13, s1
	v_lshl_add_u32 v1, v0, 4, 0
	s_waitcnt lgkmcnt(0)
	s_and_b32 s17, s17, 0xffff
	v_add_lshl_u32 v4, v0, s17, 2
	s_lshl_b32 s18, s17, 2
	s_lshl_b32 s19, s17, 4
	s_mov_b64 s[12:13], 0
	v_mov_b32_e32 v3, 0
	v_mov_b32_e32 v2, s0
	;; [unrolled: 1-line block ×3, first 2 shown]
.LBB664_2:                              ; =>This Inner Loop Header: Depth=1
	v_ashrrev_i32_e32 v7, 31, v6
	v_lshlrev_b64 v[10:11], 4, v[6:7]
	v_add_co_u32_e64 v10, s[0:1], s16, v10
	v_addc_co_u32_e64 v11, s[0:1], v2, v11, s[0:1]
	global_load_dwordx4 v[10:13], v[10:11], off
	v_ashrrev_i32_e32 v5, 31, v4
	v_cmp_le_i64_e64 s[0:1], s[14:15], v[4:5]
	v_add_u32_e32 v6, s17, v6
	v_add_u32_e32 v4, s18, v4
	s_or_b64 s[12:13], s[0:1], s[12:13]
	s_waitcnt vmcnt(0)
	v_add_f32_e32 v3, v3, v10
	v_add_f32_e32 v3, v3, v11
	;; [unrolled: 1-line block ×3, first 2 shown]
	ds_write_b128 v1, v[10:13]
	v_add_u32_e32 v1, s19, v1
	v_add_f32_e32 v3, v3, v13
	s_andn2_b64 exec, exec, s[12:13]
	s_cbranch_execnz .LBB664_2
; %bb.3:
	s_or_b64 exec, exec, s[12:13]
.LBB664_4:
	s_or_b64 exec, exec, s[6:7]
	v_mbcnt_lo_u32_b32 v1, -1, 0
	v_mbcnt_hi_u32_b32 v6, -1, v1
	v_and_b32_e32 v10, 63, v6
	v_cmp_gt_u32_e64 s[0:1], 32, v10
	v_cndmask_b32_e64 v1, 0, 1, s[0:1]
	v_lshlrev_b32_e32 v1, 5, v1
	v_add_lshl_u32 v1, v1, v6, 2
	ds_bpermute_b32 v2, v1, v3
	v_cmp_gt_u32_e64 s[0:1], 48, v10
	v_cndmask_b32_e64 v4, 0, 1, s[0:1]
	v_lshlrev_b32_e32 v4, 4, v4
	v_cmp_gt_u32_e64 s[0:1], 56, v10
	s_waitcnt lgkmcnt(0)
	v_add_f32_e32 v3, v3, v2
	v_add_lshl_u32 v2, v4, v6, 2
	ds_bpermute_b32 v4, v2, v3
	v_cndmask_b32_e64 v5, 0, 1, s[0:1]
	v_lshlrev_b32_e32 v5, 3, v5
	v_cmp_gt_u32_e64 s[0:1], 60, v10
	v_cndmask_b32_e64 v7, 0, 1, s[0:1]
	s_waitcnt lgkmcnt(0)
	v_add_f32_e32 v4, v3, v4
	v_add_lshl_u32 v3, v5, v6, 2
	ds_bpermute_b32 v5, v3, v4
	v_lshlrev_b32_e32 v7, 2, v7
	v_cmp_gt_u32_e64 s[0:1], 62, v10
	v_cndmask_b32_e64 v9, 0, 1, s[0:1]
	v_lshlrev_b32_e32 v9, 1, v9
	s_waitcnt lgkmcnt(0)
	v_add_f32_e32 v5, v4, v5
	v_add_lshl_u32 v4, v7, v6, 2
	ds_bpermute_b32 v7, v4, v5
	s_lshl_b32 s0, s14, 2
	s_add_i32 s13, s0, 0
	v_cmp_ne_u32_e64 s[0:1], 63, v10
	s_waitcnt lgkmcnt(0)
	v_add_f32_e32 v11, v5, v7
	v_add_lshl_u32 v5, v9, v6, 2
	ds_bpermute_b32 v9, v5, v11
	v_addc_co_u32_e64 v6, s[0:1], 0, v6, s[0:1]
	v_lshlrev_b32_e32 v6, 2, v6
	v_and_b32_e32 v7, 63, v0
	s_waitcnt lgkmcnt(0)
	v_add_f32_e32 v9, v11, v9
	ds_bpermute_b32 v10, v6, v9
	v_cmp_eq_u32_e64 s[0:1], 0, v7
	s_barrier
	s_waitcnt lgkmcnt(0)
	s_and_saveexec_b64 s[6:7], s[0:1]
	s_cbranch_execz .LBB664_6
; %bb.5:
	v_lshrrev_b32_e32 v11, 4, v0
	v_add_u32_e32 v11, s13, v11
	v_add_f32_e32 v9, v9, v10
	ds_write_b32 v11, v9
.LBB664_6:
	s_or_b64 exec, exec, s[6:7]
	s_waitcnt lgkmcnt(0)
	s_barrier
	s_load_dword s6, s[4:5], 0x2c
	v_mov_b32_e32 v9, 0
	s_waitcnt lgkmcnt(0)
	s_bfe_u32 s0, s6, 0xa0006
	v_cmp_gt_u32_e64 s[0:1], s0, v0
	s_and_saveexec_b64 s[4:5], s[0:1]
	s_cbranch_execnz .LBB664_14
; %bb.7:
	s_or_b64 exec, exec, s[4:5]
	v_cmp_gt_u32_e64 s[0:1], 64, v0
	s_and_saveexec_b64 s[4:5], s[0:1]
	s_cbranch_execnz .LBB664_15
.LBB664_8:
	s_or_b64 exec, exec, s[4:5]
	v_cmp_eq_u32_e64 s[0:1], 0, v0
	s_and_saveexec_b64 s[4:5], s[0:1]
	s_cbranch_execz .LBB664_10
.LBB664_9:
	v_mov_b32_e32 v1, s13
	s_waitcnt lgkmcnt(0)
	ds_write_b32 v1, v9
.LBB664_10:
	s_or_b64 exec, exec, s[4:5]
	s_waitcnt lgkmcnt(0)
	s_barrier
	s_and_saveexec_b64 s[0:1], vcc
	s_cbranch_execz .LBB664_13
; %bb.11:
	v_mov_b32_e32 v1, s13
	s_and_b32 s12, s6, 0xffff
	ds_read_b32 v2, v1
	s_lshl_b64 s[0:1], s[2:3], 1
	s_add_u32 s8, s8, s0
	s_addc_u32 s4, s9, s1
	s_lshl_b64 s[0:1], s[2:3], 2
	s_add_u32 s9, s10, s0
	s_addc_u32 s0, s11, s1
	s_waitcnt lgkmcnt(0)
	v_mov_b32_e32 v3, v2
	v_add_lshl_u32 v4, v0, s12, 2
	s_lshl_b32 s10, s12, 2
	s_lshl_b32 s11, s12, 4
	s_mov_b64 s[6:7], 0
	v_mov_b32_e32 v6, s0
	s_movk_i32 s13, 0x7fff
	v_mov_b32_e32 v7, s4
	v_mov_b32_e32 v9, 0x7fc00000
	v_mov_b32_e32 v10, 0x7fc0
.LBB664_12:                             ; =>This Inner Loop Header: Depth=1
	v_ashrrev_i32_e32 v1, 31, v0
	v_lshlrev_b64 v[12:13], 4, v[0:1]
	v_add_co_u32_e32 v12, vcc, s9, v12
	v_addc_co_u32_e32 v13, vcc, v6, v13, vcc
	global_load_dwordx4 v[12:15], v[12:13], off
	ds_read_b128 v[16:19], v8
	v_ashrrev_i32_e32 v5, 31, v4
	v_lshlrev_b64 v[20:21], 3, v[0:1]
	v_cmp_le_i64_e32 vcc, s[14:15], v[4:5]
	v_add_co_u32_e64 v20, s[0:1], s8, v20
	v_addc_co_u32_e64 v21, s[0:1], v7, v21, s[0:1]
	s_or_b64 s[6:7], vcc, s[6:7]
	v_add_u32_e32 v8, s11, v8
	v_add_u32_e32 v0, s12, v0
	v_add_u32_e32 v4, s10, v4
	s_waitcnt vmcnt(0) lgkmcnt(0)
	v_fma_f32 v1, -v2, v12, v16
	v_fma_f32 v5, -v2, v13, v17
	v_pk_fma_f32 v[12:13], v[2:3], v[14:15], v[18:19] neg_lo:[1,0,0] neg_hi:[1,0,0]
	v_bfe_u32 v15, v12, 16, 1
	v_bfe_u32 v16, v13, 16, 1
	;; [unrolled: 1-line block ×4, first 2 shown]
	v_add3_u32 v16, v13, v16, s13
	v_add3_u32 v15, v12, v15, s13
	v_add3_u32 v11, v1, v11, s13
	v_add3_u32 v14, v5, v14, s13
	v_lshrrev_b32_e32 v15, 16, v15
	v_and_b32_e32 v16, 0xffff0000, v16
	v_cmp_o_f32_e32 vcc, v12, v12
	v_cmp_o_f32_e64 s[4:5], v13, v13
	v_lshrrev_b32_e32 v11, 16, v11
	v_and_b32_e32 v14, 0xffff0000, v14
	v_cmp_o_f32_e64 s[0:1], v5, v5
	v_cmp_o_f32_e64 s[2:3], v1, v1
	v_cndmask_b32_e64 v1, v9, v16, s[4:5]
	v_cndmask_b32_e32 v5, v10, v15, vcc
	v_cndmask_b32_e64 v12, v9, v14, s[0:1]
	v_cndmask_b32_e64 v11, v10, v11, s[2:3]
	v_or_b32_e32 v1, v1, v5
	v_or3_b32 v12, 0, v12, v11
	v_or3_b32 v13, v1, 0, 0
	global_store_dwordx2 v[20:21], v[12:13], off
	s_andn2_b64 exec, exec, s[6:7]
	s_cbranch_execnz .LBB664_12
.LBB664_13:
	s_endpgm
.LBB664_14:
	v_lshl_add_u32 v7, v7, 2, s13
	ds_read_b32 v9, v7
	s_or_b64 exec, exec, s[4:5]
	v_cmp_gt_u32_e64 s[0:1], 64, v0
	s_and_saveexec_b64 s[4:5], s[0:1]
	s_cbranch_execz .LBB664_8
.LBB664_15:
	s_waitcnt lgkmcnt(0)
	ds_bpermute_b32 v1, v1, v9
	s_waitcnt lgkmcnt(0)
	v_add_f32_e32 v1, v9, v1
	ds_bpermute_b32 v2, v2, v1
	s_waitcnt lgkmcnt(0)
	v_add_f32_e32 v1, v1, v2
	;; [unrolled: 3-line block ×6, first 2 shown]
	s_or_b64 exec, exec, s[4:5]
	v_cmp_eq_u32_e64 s[0:1], 0, v0
	s_and_saveexec_b64 s[4:5], s[0:1]
	s_cbranch_execnz .LBB664_9
	s_branch .LBB664_10
	.section	.rodata,"a",@progbits
	.p2align	6, 0x0
	.amdhsa_kernel _ZN2at6native12_GLOBAL__N_124cunn_SoftMaxBackwardSmemILi4EN3c108BFloat16EffNS1_23SoftMaxBackwardEpilogueEEEvPT0_PKT2_SA_l
		.amdhsa_group_segment_fixed_size 0
		.amdhsa_private_segment_fixed_size 0
		.amdhsa_kernarg_size 288
		.amdhsa_user_sgpr_count 6
		.amdhsa_user_sgpr_private_segment_buffer 1
		.amdhsa_user_sgpr_dispatch_ptr 0
		.amdhsa_user_sgpr_queue_ptr 0
		.amdhsa_user_sgpr_kernarg_segment_ptr 1
		.amdhsa_user_sgpr_dispatch_id 0
		.amdhsa_user_sgpr_flat_scratch_init 0
		.amdhsa_user_sgpr_kernarg_preload_length 0
		.amdhsa_user_sgpr_kernarg_preload_offset 0
		.amdhsa_user_sgpr_private_segment_size 0
		.amdhsa_uses_dynamic_stack 0
		.amdhsa_system_sgpr_private_segment_wavefront_offset 0
		.amdhsa_system_sgpr_workgroup_id_x 1
		.amdhsa_system_sgpr_workgroup_id_y 0
		.amdhsa_system_sgpr_workgroup_id_z 0
		.amdhsa_system_sgpr_workgroup_info 0
		.amdhsa_system_vgpr_workitem_id 0
		.amdhsa_next_free_vgpr 22
		.amdhsa_next_free_sgpr 20
		.amdhsa_accum_offset 24
		.amdhsa_reserve_vcc 1
		.amdhsa_reserve_flat_scratch 0
		.amdhsa_float_round_mode_32 0
		.amdhsa_float_round_mode_16_64 0
		.amdhsa_float_denorm_mode_32 3
		.amdhsa_float_denorm_mode_16_64 3
		.amdhsa_dx10_clamp 1
		.amdhsa_ieee_mode 1
		.amdhsa_fp16_overflow 0
		.amdhsa_tg_split 0
		.amdhsa_exception_fp_ieee_invalid_op 0
		.amdhsa_exception_fp_denorm_src 0
		.amdhsa_exception_fp_ieee_div_zero 0
		.amdhsa_exception_fp_ieee_overflow 0
		.amdhsa_exception_fp_ieee_underflow 0
		.amdhsa_exception_fp_ieee_inexact 0
		.amdhsa_exception_int_div_zero 0
	.end_amdhsa_kernel
	.section	.text._ZN2at6native12_GLOBAL__N_124cunn_SoftMaxBackwardSmemILi4EN3c108BFloat16EffNS1_23SoftMaxBackwardEpilogueEEEvPT0_PKT2_SA_l,"axG",@progbits,_ZN2at6native12_GLOBAL__N_124cunn_SoftMaxBackwardSmemILi4EN3c108BFloat16EffNS1_23SoftMaxBackwardEpilogueEEEvPT0_PKT2_SA_l,comdat
.Lfunc_end664:
	.size	_ZN2at6native12_GLOBAL__N_124cunn_SoftMaxBackwardSmemILi4EN3c108BFloat16EffNS1_23SoftMaxBackwardEpilogueEEEvPT0_PKT2_SA_l, .Lfunc_end664-_ZN2at6native12_GLOBAL__N_124cunn_SoftMaxBackwardSmemILi4EN3c108BFloat16EffNS1_23SoftMaxBackwardEpilogueEEEvPT0_PKT2_SA_l
                                        ; -- End function
	.section	.AMDGPU.csdata,"",@progbits
; Kernel info:
; codeLenInByte = 1244
; NumSgprs: 24
; NumVgprs: 22
; NumAgprs: 0
; TotalNumVgprs: 22
; ScratchSize: 0
; MemoryBound: 0
; FloatMode: 240
; IeeeMode: 1
; LDSByteSize: 0 bytes/workgroup (compile time only)
; SGPRBlocks: 2
; VGPRBlocks: 2
; NumSGPRsForWavesPerEU: 24
; NumVGPRsForWavesPerEU: 22
; AccumOffset: 24
; Occupancy: 8
; WaveLimiterHint : 0
; COMPUTE_PGM_RSRC2:SCRATCH_EN: 0
; COMPUTE_PGM_RSRC2:USER_SGPR: 6
; COMPUTE_PGM_RSRC2:TRAP_HANDLER: 0
; COMPUTE_PGM_RSRC2:TGID_X_EN: 1
; COMPUTE_PGM_RSRC2:TGID_Y_EN: 0
; COMPUTE_PGM_RSRC2:TGID_Z_EN: 0
; COMPUTE_PGM_RSRC2:TIDIG_COMP_CNT: 0
; COMPUTE_PGM_RSRC3_GFX90A:ACCUM_OFFSET: 5
; COMPUTE_PGM_RSRC3_GFX90A:TG_SPLIT: 0
	.section	.text._ZN2at6native12_GLOBAL__N_120cunn_SoftMaxBackwardILi4EN3c108BFloat16EffNS1_23SoftMaxBackwardEpilogueEEEvPT0_PKT2_SA_l,"axG",@progbits,_ZN2at6native12_GLOBAL__N_120cunn_SoftMaxBackwardILi4EN3c108BFloat16EffNS1_23SoftMaxBackwardEpilogueEEEvPT0_PKT2_SA_l,comdat
	.globl	_ZN2at6native12_GLOBAL__N_120cunn_SoftMaxBackwardILi4EN3c108BFloat16EffNS1_23SoftMaxBackwardEpilogueEEEvPT0_PKT2_SA_l ; -- Begin function _ZN2at6native12_GLOBAL__N_120cunn_SoftMaxBackwardILi4EN3c108BFloat16EffNS1_23SoftMaxBackwardEpilogueEEEvPT0_PKT2_SA_l
	.p2align	8
	.type	_ZN2at6native12_GLOBAL__N_120cunn_SoftMaxBackwardILi4EN3c108BFloat16EffNS1_23SoftMaxBackwardEpilogueEEEvPT0_PKT2_SA_l,@function
_ZN2at6native12_GLOBAL__N_120cunn_SoftMaxBackwardILi4EN3c108BFloat16EffNS1_23SoftMaxBackwardEpilogueEEEvPT0_PKT2_SA_l: ; @_ZN2at6native12_GLOBAL__N_120cunn_SoftMaxBackwardILi4EN3c108BFloat16EffNS1_23SoftMaxBackwardEpilogueEEEvPT0_PKT2_SA_l
; %bb.0:
	s_load_dwordx8 s[20:27], s[4:5], 0x0
	v_mov_b32_e32 v2, 0x7ffffffe
	v_mov_b32_e32 v3, 0
	s_mov_b32 s11, 0
	s_waitcnt lgkmcnt(0)
	s_mul_i32 s0, s6, s27
	s_mul_hi_u32 s1, s6, s26
	s_mul_i32 s8, s6, s26
	s_add_i32 s9, s1, s0
	s_lshl_b64 s[40:41], s[8:9], 2
	s_add_u32 s18, s24, s40
	s_addc_u32 s19, s25, s41
	s_bfe_u32 s10, s18, 0x20002
	v_cmp_gt_i64_e64 s[0:1], s[26:27], v[2:3]
	s_cmp_lg_u32 s10, 0
	s_cselect_b64 s[2:3], -1, 0
	s_and_b64 vcc, exec, s[0:1]
	s_cbranch_vccz .LBB665_16
; %bb.1:
	v_mov_b32_e32 v1, 0
	s_and_b64 vcc, exec, s[2:3]
	s_cbranch_vccz .LBB665_39
; %bb.2:
	s_lshl_b32 s7, s10, 2
	s_sub_u32 s14, s18, s7
	s_subb_u32 s15, s19, 0
	v_cmp_le_u64_e32 vcc, s[10:11], v[0:1]
	v_mov_b32_e32 v8, v1
	s_and_saveexec_b64 s[12:13], vcc
	s_cbranch_execz .LBB665_4
; %bb.3:
	v_lshlrev_b32_e32 v2, 2, v0
	global_load_dword v2, v2, s[14:15]
	s_waitcnt vmcnt(0)
	v_add_f32_e32 v8, 0, v2
.LBB665_4:
	s_or_b64 exec, exec, s[12:13]
	s_load_dword s7, s[4:5], 0x2c
	s_add_u32 s12, s10, s26
	s_addc_u32 s13, 0, s27
	s_add_u32 s16, s4, 32
	s_addc_u32 s17, s5, 0
	s_waitcnt lgkmcnt(0)
	s_and_b32 s7, s7, 0xffff
	s_sub_u32 s12, s12, s7
	s_subb_u32 s13, s13, 0
	s_lshl_b32 s7, s7, 2
	s_add_u32 s14, s14, s7
	s_addc_u32 s15, s15, 0
	s_branch .LBB665_6
.LBB665_5:
	s_add_u32 s16, s4, 32
	s_addc_u32 s17, s5, 0
	v_mov_b32_e32 v8, 0
	s_mov_b64 s[12:13], s[26:27]
	s_mov_b64 s[14:15], s[18:19]
.LBB665_6:
	s_load_dword s7, s[16:17], 0x0
	v_mov_b32_e32 v2, 0
	s_waitcnt lgkmcnt(0)
	s_cmp_lt_u32 s6, s7
	s_cselect_b32 s7, 12, 18
	s_add_u32 s16, s16, s7
	s_addc_u32 s17, s17, 0
	global_load_ushort v2, v2, s[16:17]
	s_mov_b32 s16, 0
	s_mov_b32 s17, s13
	s_waitcnt vmcnt(0)
	v_readfirstlane_b32 s7, v2
	s_and_b32 s7, 0xffff, s7
	s_lshl_b32 s7, s7, 2
	s_cmp_lg_u64 s[16:17], 0
	v_and_b32_e32 v9, 0xffff, v2
	s_cbranch_scc0 .LBB665_40
; %bb.7:
	v_cvt_f32_u32_e32 v2, s7
	v_mov_b32_e32 v3, 0x4f800000
	s_sub_u32 s28, 0, s7
	s_subb_u32 s29, 0, 0
	v_mac_f32_e32 v2, 0, v3
	v_rcp_f32_e32 v2, v2
	v_mul_f32_e32 v2, 0x5f7ffffc, v2
	v_mul_f32_e32 v3, 0x2f800000, v2
	v_trunc_f32_e32 v3, v3
	v_madmk_f32 v2, v3, 0xcf800000, v2
	v_cvt_u32_f32_e32 v3, v3
	v_cvt_u32_f32_e32 v2, v2
	v_readfirstlane_b32 s30, v3
	v_readfirstlane_b32 s31, v2
	s_mul_i32 s33, s28, s30
	s_mul_hi_u32 s35, s28, s31
	s_mul_i32 s34, s29, s31
	s_add_i32 s33, s35, s33
	s_add_i32 s33, s33, s34
	s_mul_i32 s36, s28, s31
	s_mul_hi_u32 s34, s31, s33
	s_mul_i32 s35, s31, s33
	s_mul_hi_u32 s31, s31, s36
	s_add_u32 s31, s31, s35
	s_addc_u32 s34, 0, s34
	s_mul_hi_u32 s37, s30, s36
	s_mul_i32 s36, s30, s36
	s_add_u32 s31, s31, s36
	s_mul_hi_u32 s35, s30, s33
	s_addc_u32 s31, s34, s37
	s_addc_u32 s34, s35, 0
	s_mul_i32 s33, s30, s33
	s_add_u32 s31, s31, s33
	s_addc_u32 s33, 0, s34
	v_add_co_u32_e32 v2, vcc, s31, v2
	s_cmp_lg_u64 vcc, 0
	s_addc_u32 s30, s30, s33
	v_readfirstlane_b32 s33, v2
	s_mul_i32 s31, s28, s30
	s_mul_hi_u32 s34, s28, s33
	s_add_i32 s31, s34, s31
	s_mul_i32 s29, s29, s33
	s_add_i32 s31, s31, s29
	s_mul_i32 s28, s28, s33
	s_mul_hi_u32 s34, s30, s28
	s_mul_i32 s35, s30, s28
	s_mul_i32 s37, s33, s31
	s_mul_hi_u32 s28, s33, s28
	s_mul_hi_u32 s36, s33, s31
	s_add_u32 s28, s28, s37
	s_addc_u32 s33, 0, s36
	s_add_u32 s28, s28, s35
	s_mul_hi_u32 s29, s30, s31
	s_addc_u32 s28, s33, s34
	s_addc_u32 s29, s29, 0
	s_mul_i32 s31, s30, s31
	s_add_u32 s28, s28, s31
	s_addc_u32 s29, 0, s29
	v_add_co_u32_e32 v2, vcc, s28, v2
	s_cmp_lg_u64 vcc, 0
	s_addc_u32 s28, s30, s29
	v_readfirstlane_b32 s31, v2
	s_mul_i32 s30, s12, s28
	s_mul_hi_u32 s33, s12, s31
	s_mul_hi_u32 s29, s12, s28
	s_add_u32 s30, s33, s30
	s_addc_u32 s29, 0, s29
	s_mul_hi_u32 s34, s13, s31
	s_mul_i32 s31, s13, s31
	s_add_u32 s30, s30, s31
	s_mul_hi_u32 s33, s13, s28
	s_addc_u32 s29, s29, s34
	s_addc_u32 s30, s33, 0
	s_mul_i32 s28, s13, s28
	s_add_u32 s28, s29, s28
	s_addc_u32 s29, 0, s30
	s_mul_hi_u32 s30, s7, s28
	s_mul_i32 s28, s7, s28
	s_mul_i32 s29, s7, s29
	v_mov_b32_e32 v2, s28
	s_add_i32 s30, s30, s29
	v_sub_co_u32_e32 v2, vcc, s12, v2
	s_cmp_lg_u64 vcc, 0
	s_subb_u32 s28, s13, s30
	v_subrev_co_u32_e32 v3, vcc, s7, v2
	s_cmp_lg_u64 vcc, 0
	s_subb_u32 s29, s28, 0
	v_subrev_co_u32_e32 v4, vcc, s7, v3
	s_cmp_lg_u64 vcc, 0
	s_subb_u32 s30, s29, 0
	v_cmp_le_u32_e32 vcc, s7, v3
	s_cmp_eq_u32 s29, 0
	v_cndmask_b32_e64 v5, 0, -1, vcc
	s_cselect_b64 vcc, -1, 0
	v_cndmask_b32_e32 v5, -1, v5, vcc
	v_mov_b32_e32 v6, s29
	v_mov_b32_e32 v7, s30
	v_cmp_ne_u32_e32 vcc, 0, v5
	v_cndmask_b32_e32 v5, v6, v7, vcc
	v_cndmask_b32_e32 v4, v3, v4, vcc
	v_cmp_le_u32_e32 vcc, s7, v2
	s_cmp_eq_u32 s28, 0
	v_cndmask_b32_e64 v3, 0, -1, vcc
	s_cselect_b64 vcc, -1, 0
	v_cndmask_b32_e32 v3, -1, v3, vcc
	v_mov_b32_e32 v6, s28
	v_cmp_ne_u32_e32 vcc, 0, v3
	v_cndmask_b32_e32 v3, v6, v5, vcc
	v_cndmask_b32_e32 v2, v2, v4, vcc
	s_cbranch_execnz .LBB665_9
.LBB665_8:
	v_cvt_f32_u32_e32 v2, s7
	s_sub_i32 s16, 0, s7
	v_rcp_iflag_f32_e32 v2, v2
	v_mul_f32_e32 v2, 0x4f7ffffe, v2
	v_cvt_u32_f32_e32 v2, v2
	v_mul_lo_u32 v3, s16, v2
	v_mul_hi_u32 v3, v2, v3
	v_add_u32_e32 v2, v2, v3
	v_mul_hi_u32 v2, s12, v2
	v_mul_lo_u32 v2, v2, s7
	v_sub_u32_e32 v2, s12, v2
	v_subrev_u32_e32 v3, s7, v2
	v_cmp_le_u32_e32 vcc, s7, v2
	v_cndmask_b32_e32 v2, v2, v3, vcc
	v_subrev_u32_e32 v3, s7, v2
	v_cmp_le_u32_e32 vcc, s7, v2
	v_cndmask_b32_e32 v2, v2, v3, vcc
	v_mov_b32_e32 v3, 0
.LBB665_9:
	v_mov_b32_e32 v4, s13
	v_sub_co_u32_e32 v2, vcc, s12, v2
	v_subb_co_u32_e32 v3, vcc, v4, v3, vcc
	v_lshlrev_b32_e32 v4, 4, v0
	v_mov_b32_e32 v5, s15
	v_add_co_u32_e32 v4, vcc, s14, v4
	v_addc_co_u32_e32 v5, vcc, 0, v5, vcc
	v_add_co_u32_e32 v4, vcc, 8, v4
	v_addc_co_u32_e32 v5, vcc, 0, v5, vcc
	v_lshlrev_b32_e32 v10, 4, v9
	s_mov_b64 s[16:17], 0
	v_pk_mov_b32 v[6:7], v[0:1], v[0:1] op_sel:[0,1]
.LBB665_10:                             ; =>This Inner Loop Header: Depth=1
	global_load_dwordx4 v[12:15], v[4:5], off offset:-8
	v_add_co_u32_e32 v6, vcc, v6, v9
	v_addc_co_u32_e32 v7, vcc, 0, v7, vcc
	v_add_co_u32_e32 v4, vcc, v4, v10
	v_addc_co_u32_e32 v5, vcc, 0, v5, vcc
	v_lshlrev_b64 v[16:17], 2, v[6:7]
	v_cmp_ge_i64_e32 vcc, v[16:17], v[2:3]
	s_or_b64 s[16:17], vcc, s[16:17]
	s_waitcnt vmcnt(0)
	v_add_f32_e32 v1, v8, v12
	v_add_f32_e32 v1, v1, v13
	;; [unrolled: 1-line block ×4, first 2 shown]
	s_andn2_b64 exec, exec, s[16:17]
	s_cbranch_execnz .LBB665_10
; %bb.11:
	s_or_b64 exec, exec, s[16:17]
	v_add_co_u32_e32 v2, vcc, v2, v0
	v_addc_co_u32_e32 v3, vcc, 0, v3, vcc
	v_cmp_gt_i64_e32 vcc, s[12:13], v[2:3]
	s_and_saveexec_b64 s[16:17], vcc
	s_cbranch_execz .LBB665_15
; %bb.12:
	s_mov_b64 s[28:29], 0
	v_mov_b32_e32 v1, s15
.LBB665_13:                             ; =>This Inner Loop Header: Depth=1
	v_lshlrev_b64 v[4:5], 2, v[2:3]
	v_add_co_u32_e32 v4, vcc, s14, v4
	v_addc_co_u32_e32 v5, vcc, v1, v5, vcc
	global_load_dword v4, v[4:5], off
	v_add_co_u32_e32 v2, vcc, v2, v9
	v_addc_co_u32_e32 v3, vcc, 0, v3, vcc
	v_cmp_le_i64_e32 vcc, s[12:13], v[2:3]
	s_or_b64 s[28:29], vcc, s[28:29]
	s_waitcnt vmcnt(0)
	v_add_f32_e32 v8, v8, v4
	s_andn2_b64 exec, exec, s[28:29]
	s_cbranch_execnz .LBB665_13
; %bb.14:
	s_or_b64 exec, exec, s[28:29]
.LBB665_15:
	s_or_b64 exec, exec, s[16:17]
	s_branch .LBB665_31
.LBB665_16:
                                        ; kill: def $vgpr1 killed $sgpr0 killed $exec
                                        ; implicit-def: $vgpr8
	s_cbranch_execz .LBB665_31
; %bb.17:
	s_and_b64 vcc, exec, s[2:3]
	s_cbranch_vccz .LBB665_41
; %bb.18:
	s_lshl_b64 s[2:3], s[10:11], 2
	s_sub_u32 s14, s18, s2
	s_subb_u32 s15, s19, s3
	s_add_i32 s7, s10, s26
	v_cmp_le_u32_e32 vcc, s10, v0
	v_cmp_gt_i32_e64 s[2:3], s7, v0
	s_and_b64 s[12:13], vcc, s[2:3]
	v_mov_b32_e32 v8, 0
	s_and_saveexec_b64 s[2:3], s[12:13]
	s_cbranch_execz .LBB665_20
; %bb.19:
	v_lshlrev_b32_e32 v1, 2, v0
	global_load_dword v1, v1, s[14:15]
	s_waitcnt vmcnt(0)
	v_add_f32_e32 v8, 0, v1
.LBB665_20:
	s_or_b64 exec, exec, s[2:3]
	s_load_dword s2, s[4:5], 0x2c
	s_add_u32 s12, s4, 32
	s_addc_u32 s13, s5, 0
	s_waitcnt lgkmcnt(0)
	s_and_b32 s2, s2, 0xffff
	v_mov_b32_e32 v1, s2
	s_lshl_b32 s2, s2, 2
	v_sub_u32_e64 v1, s7, v1 clamp
	s_add_u32 s2, s14, s2
	v_readfirstlane_b32 s7, v1
	s_addc_u32 s3, s15, 0
	s_branch .LBB665_22
.LBB665_21:
	s_add_u32 s12, s4, 32
	s_addc_u32 s13, s5, 0
	v_mov_b32_e32 v8, 0
	s_mov_b32 s7, s26
	s_mov_b64 s[2:3], s[18:19]
.LBB665_22:
	s_load_dword s14, s[12:13], 0x0
	v_mov_b32_e32 v1, 0
	s_waitcnt lgkmcnt(0)
	s_cmp_lt_u32 s6, s14
	s_cselect_b32 s14, 12, 18
	s_add_u32 s12, s12, s14
	s_addc_u32 s13, s13, 0
	global_load_ushort v1, v1, s[12:13]
	s_waitcnt vmcnt(0)
	v_readfirstlane_b32 s12, v1
	s_lshl_b32 s12, s12, 2
	v_cvt_f32_u32_e32 v2, s12
	s_sub_i32 s13, 0, s12
	v_rcp_iflag_f32_e32 v2, v2
	v_mul_f32_e32 v2, 0x4f7ffffe, v2
	v_cvt_u32_f32_e32 v2, v2
	v_readfirstlane_b32 s14, v2
	s_mul_i32 s13, s13, s14
	s_mul_hi_u32 s13, s14, s13
	s_add_i32 s14, s14, s13
	s_mul_hi_u32 s13, s7, s14
	s_mul_i32 s13, s13, s12
	s_sub_i32 s13, s7, s13
	s_sub_i32 s14, s13, s12
	s_cmp_ge_u32 s13, s12
	s_cselect_b32 s13, s14, s13
	s_sub_i32 s14, s13, s12
	s_cmp_ge_u32 s13, s12
	s_cselect_b32 s12, s14, s13
	s_sub_i32 s16, s7, s12
	v_lshlrev_b32_e32 v2, 2, v0
	v_cmp_gt_i32_e32 vcc, s16, v2
	s_and_saveexec_b64 s[12:13], vcc
	s_cbranch_execz .LBB665_26
; %bb.23:
	s_mov_b64 s[14:15], 0
	v_mov_b32_e32 v4, s3
	v_mov_b32_e32 v2, v0
.LBB665_24:                             ; =>This Inner Loop Header: Depth=1
	v_ashrrev_i32_e32 v3, 31, v2
	v_lshlrev_b64 v[6:7], 4, v[2:3]
	v_add_co_u32_e32 v6, vcc, s2, v6
	v_addc_co_u32_e32 v7, vcc, v4, v7, vcc
	global_load_dwordx4 v[10:13], v[6:7], off
	v_add_u32_e32 v2, v2, v1
	v_lshlrev_b32_e32 v3, 2, v2
	v_cmp_le_i32_e32 vcc, s16, v3
	s_or_b64 s[14:15], vcc, s[14:15]
	s_waitcnt vmcnt(0)
	v_add_f32_e32 v3, v8, v10
	v_add_f32_e32 v3, v3, v11
	;; [unrolled: 1-line block ×4, first 2 shown]
	s_andn2_b64 exec, exec, s[14:15]
	s_cbranch_execnz .LBB665_24
; %bb.25:
	s_or_b64 exec, exec, s[14:15]
.LBB665_26:
	s_or_b64 exec, exec, s[12:13]
	v_add_u32_e32 v2, s16, v0
	v_cmp_gt_i32_e32 vcc, s7, v2
	s_and_saveexec_b64 s[12:13], vcc
	s_cbranch_execz .LBB665_30
; %bb.27:
	s_mov_b64 s[14:15], 0
	v_mov_b32_e32 v4, s3
.LBB665_28:                             ; =>This Inner Loop Header: Depth=1
	v_ashrrev_i32_e32 v3, 31, v2
	v_lshlrev_b64 v[6:7], 2, v[2:3]
	v_add_co_u32_e32 v6, vcc, s2, v6
	v_addc_co_u32_e32 v7, vcc, v4, v7, vcc
	global_load_dword v3, v[6:7], off
	v_add_u32_e32 v2, v2, v1
	v_cmp_le_i32_e32 vcc, s7, v2
	s_or_b64 s[14:15], vcc, s[14:15]
	s_waitcnt vmcnt(0)
	v_add_f32_e32 v8, v8, v3
	s_andn2_b64 exec, exec, s[14:15]
	s_cbranch_execnz .LBB665_28
; %bb.29:
	s_or_b64 exec, exec, s[14:15]
.LBB665_30:
	s_or_b64 exec, exec, s[12:13]
.LBB665_31:
	v_lshl_add_u32 v1, v0, 2, 0
	s_barrier
	ds_write_b32 v1, v8
	s_waitcnt lgkmcnt(0)
	s_barrier
	s_load_dword s7, s[4:5], 0x2c
	s_add_u32 s28, s4, 32
	s_addc_u32 s29, s5, 0
	s_waitcnt lgkmcnt(0)
	s_bfe_u32 s4, s7, 0xa0006
	s_min_u32 s2, s4, 64
	v_cmp_gt_u32_e32 vcc, s2, v0
	s_and_saveexec_b64 s[2:3], vcc
	s_cbranch_execz .LBB665_33
; %bb.32:
	s_movk_i32 s5, 0xfc
	v_mad_u32_u24 v10, v0, s5, v1
	ds_read2_b32 v[2:3], v10 offset1:1
	ds_read2_b32 v[4:5], v10 offset0:2 offset1:3
	ds_read2_b32 v[6:7], v10 offset0:4 offset1:5
	ds_read2_b32 v[8:9], v10 offset0:6 offset1:7
	s_waitcnt lgkmcnt(3)
	v_add_f32_e32 v2, 0, v2
	v_add_f32_e32 v2, v2, v3
	s_waitcnt lgkmcnt(2)
	v_add_f32_e32 v2, v2, v4
	v_add_f32_e32 v2, v2, v5
	s_waitcnt lgkmcnt(1)
	v_add_f32_e32 v2, v2, v6
	v_add_f32_e32 v2, v2, v7
	s_waitcnt lgkmcnt(0)
	v_add_f32_e32 v4, v2, v8
	ds_read2_b32 v[2:3], v10 offset0:8 offset1:9
	v_add_f32_e32 v11, v4, v9
	ds_read2_b32 v[4:5], v10 offset0:10 offset1:11
	ds_read2_b32 v[6:7], v10 offset0:12 offset1:13
	ds_read2_b32 v[8:9], v10 offset0:14 offset1:15
	s_waitcnt lgkmcnt(3)
	v_add_f32_e32 v2, v11, v2
	v_add_f32_e32 v2, v2, v3
	s_waitcnt lgkmcnt(2)
	v_add_f32_e32 v2, v2, v4
	v_add_f32_e32 v2, v2, v5
	s_waitcnt lgkmcnt(1)
	v_add_f32_e32 v2, v2, v6
	v_add_f32_e32 v2, v2, v7
	s_waitcnt lgkmcnt(0)
	v_add_f32_e32 v4, v2, v8
	ds_read2_b32 v[2:3], v10 offset0:16 offset1:17
	v_add_f32_e32 v11, v4, v9
	;; [unrolled: 16-line block ×7, first 2 shown]
	ds_read2_b32 v[4:5], v10 offset0:58 offset1:59
	ds_read2_b32 v[6:7], v10 offset0:60 offset1:61
	;; [unrolled: 1-line block ×3, first 2 shown]
	s_waitcnt lgkmcnt(3)
	v_add_f32_e32 v2, v11, v2
	v_add_f32_e32 v2, v2, v3
	s_waitcnt lgkmcnt(2)
	v_add_f32_e32 v2, v2, v4
	v_add_f32_e32 v2, v2, v5
	;; [unrolled: 3-line block ×4, first 2 shown]
	ds_write_b32 v1, v2
.LBB665_33:
	s_or_b64 exec, exec, s[2:3]
	s_and_b32 s36, s7, 0xffff
	v_cmp_eq_u32_e32 vcc, 0, v0
	s_waitcnt lgkmcnt(0)
	s_barrier
	s_and_saveexec_b64 s[2:3], vcc
	s_cbranch_execz .LBB665_46
; %bb.34:
	s_cmp_lt_u32 s36, 64
	v_mov_b32_e32 v1, 0
	s_cbranch_scc1 .LBB665_45
; %bb.35:
	s_add_i32 s5, s4, -1
	s_cmp_lt_u32 s5, 7
	s_cbranch_scc1 .LBB665_42
; %bb.36:
	s_and_b32 s5, s4, 0x3f8
	s_mov_b32 s7, 0
	s_mov_b32 s12, 0
	v_mov_b32_e32 v1, 0
.LBB665_37:                             ; =>This Inner Loop Header: Depth=1
	v_mov_b32_e32 v8, s12
	ds_read2_b32 v[2:3], v8 offset1:1
	ds_read2_b32 v[4:5], v8 offset0:2 offset1:3
	ds_read2_b32 v[6:7], v8 offset0:4 offset1:5
	ds_read2_b32 v[8:9], v8 offset0:6 offset1:7
	s_add_i32 s7, s7, 8
	s_waitcnt lgkmcnt(3)
	v_add_f32_e32 v1, v1, v2
	v_add_f32_e32 v1, v1, v3
	s_waitcnt lgkmcnt(2)
	v_add_f32_e32 v1, v1, v4
	v_add_f32_e32 v1, v1, v5
	;; [unrolled: 3-line block ×3, first 2 shown]
	s_add_i32 s12, s12, 32
	s_waitcnt lgkmcnt(0)
	v_add_f32_e32 v1, v1, v8
	s_cmp_eq_u32 s5, s7
	v_add_f32_e32 v1, v1, v9
	s_cbranch_scc0 .LBB665_37
; %bb.38:
	s_and_b32 s4, s4, 7
	s_cmp_eq_u32 s4, 0
	s_cbranch_scc0 .LBB665_43
	s_branch .LBB665_45
.LBB665_39:
                                        ; implicit-def: $sgpr14_sgpr15
                                        ; implicit-def: $sgpr12_sgpr13
                                        ; implicit-def: $vgpr8
                                        ; implicit-def: $sgpr16_sgpr17
	s_cbranch_execnz .LBB665_5
	s_branch .LBB665_6
.LBB665_40:
                                        ; implicit-def: $vgpr2_vgpr3
	s_branch .LBB665_8
.LBB665_41:
                                        ; kill: def $vgpr1 killed $sgpr0 killed $exec
                                        ; implicit-def: $sgpr2_sgpr3
                                        ; implicit-def: $sgpr7
                                        ; implicit-def: $vgpr8
                                        ; implicit-def: $sgpr12_sgpr13
	s_cbranch_execnz .LBB665_21
	s_branch .LBB665_22
.LBB665_42:
	s_mov_b32 s5, 0
	v_mov_b32_e32 v1, 0
	s_and_b32 s4, s4, 7
	s_cmp_eq_u32 s4, 0
	s_cbranch_scc1 .LBB665_45
.LBB665_43:
	s_lshl_b32 s5, s5, 2
	s_add_i32 s5, s5, 0
.LBB665_44:                             ; =>This Inner Loop Header: Depth=1
	v_mov_b32_e32 v2, s5
	ds_read_b32 v2, v2
	s_add_i32 s5, s5, 4
	s_add_i32 s4, s4, -1
	s_cmp_lg_u32 s4, 0
	s_waitcnt lgkmcnt(0)
	v_add_f32_e32 v1, v1, v2
	s_cbranch_scc1 .LBB665_44
.LBB665_45:
	v_mov_b32_e32 v2, 0
	ds_write_b32 v2, v1
.LBB665_46:
	s_or_b64 exec, exec, s[2:3]
	s_lshl_b64 s[44:45], s[8:9], 1
	s_add_u32 s30, s20, s44
	s_addc_u32 s31, s21, s45
	s_add_u32 s34, s22, s40
	s_mov_b32 s39, 0
	s_addc_u32 s35, s23, s41
	s_bfe_u32 s38, s30, 0x30001
	s_bfe_u32 s2, s34, 0x20002
	s_mov_b32 s3, s39
	v_mov_b32_e32 v1, 0
	s_waitcnt lgkmcnt(0)
	s_barrier
	ds_read_b32 v2, v1
	s_cmp_eq_u64 s[38:39], s[2:3]
	s_cselect_b64 s[2:3], -1, 0
	s_cmp_eq_u64 s[38:39], s[10:11]
	s_cselect_b64 s[4:5], -1, 0
	s_and_b64 s[2:3], s[2:3], s[4:5]
	s_andn2_b64 vcc, exec, s[2:3]
	s_mov_b64 s[2:3], -1
	s_cbranch_vccz .LBB665_76
; %bb.47:
	s_and_b64 vcc, exec, s[0:1]
	s_cbranch_vccz .LBB665_67
; %bb.48:
	s_lshl_b32 s7, s36, 2
	v_cvt_f32_u32_e32 v1, s7
	s_sub_i32 s3, 0, s7
	s_mov_b32 s2, 0
	v_rcp_iflag_f32_e32 v1, v1
	v_mul_f32_e32 v1, 0x4f7ffffe, v1
	v_cvt_u32_f32_e32 v3, v1
	v_mov_b32_e32 v1, 0
	v_pk_mov_b32 v[4:5], v[0:1], v[0:1] op_sel:[0,1]
	v_readfirstlane_b32 s4, v3
	s_mul_i32 s3, s3, s4
	s_mul_hi_u32 s3, s4, s3
	s_add_i32 s4, s4, s3
	s_mul_hi_u32 s3, s26, s4
	s_mul_i32 s3, s3, s7
	s_sub_i32 s3, s26, s3
	s_sub_i32 s4, s3, s7
	s_cmp_ge_u32 s3, s7
	s_cselect_b32 s3, s4, s3
	s_sub_i32 s4, s3, s7
	s_cmp_ge_u32 s3, s7
	s_cselect_b32 s3, s4, s3
	s_bfe_i64 s[42:43], s[26:27], 0x200000
	s_sub_u32 s46, s42, s3
	s_subb_u32 s47, s43, 0
	v_cmp_gt_i64_e32 vcc, s[46:47], v[0:1]
	s_and_saveexec_b64 s[48:49], vcc
	s_cbranch_execz .LBB665_52
; %bb.49:
	s_lshl_b32 s33, s36, 1
	s_lshl_b32 s37, s36, 4
	s_lshl_b64 s[4:5], s[8:9], 2
	s_add_u32 s10, s4, s7
	s_addc_u32 s11, s5, 0
	s_add_u32 s56, s22, s10
	s_addc_u32 s57, s23, s11
	s_lshl_b32 s58, s36, 3
	s_add_u32 s13, s4, s58
	s_addc_u32 s14, s5, 0
	s_add_u32 s59, s22, s13
	s_addc_u32 s60, s23, s14
	s_mul_i32 s15, s36, 12
	s_add_u32 s4, s4, s15
	s_addc_u32 s5, s5, 0
	s_add_u32 s61, s22, s4
	s_addc_u32 s62, s23, s5
	;; [unrolled: 2-line block ×5, first 2 shown]
	s_lshl_b64 s[4:5], s[8:9], 1
	s_add_u32 s4, s20, s4
	v_lshlrev_b64 v[4:5], 1, v[0:1]
	s_addc_u32 s5, s21, s5
	v_mov_b32_e32 v3, s5
	v_add_co_u32_e32 v8, vcc, s4, v4
	v_lshlrev_b64 v[6:7], 2, v[0:1]
	v_addc_co_u32_e32 v9, vcc, v3, v5, vcc
	s_mul_i32 s69, s36, 6
	s_mov_b64 s[50:51], 0
	s_movk_i32 s70, 0x7fff
	v_mov_b32_e32 v3, 0x7fc0
	v_mov_b32_e32 v10, s2
	;; [unrolled: 1-line block ×5, first 2 shown]
	s_mov_b64 s[52:53], s[18:19]
	s_mov_b64 s[54:55], s[34:35]
	v_pk_mov_b32 v[4:5], v[0:1], v[0:1] op_sel:[0,1]
.LBB665_50:                             ; =>This Inner Loop Header: Depth=1
	v_mov_b32_e32 v1, s55
	v_mov_b32_e32 v15, s53
	v_add_co_u32_e32 v14, vcc, s52, v6
	v_mov_b32_e32 v21, s60
	v_add_co_u32_e64 v20, s[8:9], s59, v6
	v_mov_b32_e32 v23, s66
	v_add_co_u32_e64 v22, s[10:11], s65, v6
	v_add_co_u32_e64 v28, s[16:17], s54, v6
	v_mov_b32_e32 v17, s57
	v_add_co_u32_e64 v16, s[2:3], s56, v6
	v_mov_b32_e32 v19, s64
	;; [unrolled: 2-line block ×4, first 2 shown]
	v_add_co_u32_e64 v26, s[14:15], s67, v6
	v_addc_co_u32_e64 v29, s[16:17], v1, v7, s[16:17]
	v_addc_co_u32_e32 v15, vcc, v15, v7, vcc
	v_addc_co_u32_e64 v21, vcc, v21, v7, s[8:9]
	v_addc_co_u32_e64 v23, vcc, v23, v7, s[10:11]
	;; [unrolled: 1-line block ×6, first 2 shown]
	global_load_dword v1, v[28:29], off
	s_nop 0
	global_load_dword v28, v[14:15], off
	global_load_dword v29, v[16:17], off
	;; [unrolled: 1-line block ×3, first 2 shown]
	s_nop 0
	global_load_dword v20, v[20:21], off
	s_nop 0
	global_load_dword v21, v[22:23], off
	s_nop 0
	global_load_dword v22, v[24:25], off
	global_load_dword v23, v[26:27], off
	s_add_u32 s54, s54, s37
	s_addc_u32 s55, s55, 0
	s_add_u32 s56, s56, s37
	s_addc_u32 s57, s57, 0
	;; [unrolled: 2-line block ×3, first 2 shown]
	s_add_u32 s61, s61, s37
	v_add_co_u32_e32 v14, vcc, s33, v8
	s_addc_u32 s62, s62, 0
	v_addc_co_u32_e32 v15, vcc, v9, v10, vcc
	s_add_u32 s52, s52, s37
	v_add_co_u32_e32 v16, vcc, s7, v8
	s_addc_u32 s53, s53, 0
	v_addc_co_u32_e32 v17, vcc, v9, v11, vcc
	s_add_u32 s63, s63, s37
	v_add_co_u32_e32 v18, vcc, s69, v8
	s_addc_u32 s64, s64, 0
	v_addc_co_u32_e32 v19, vcc, v9, v12, vcc
	s_add_u32 s65, s65, s37
	v_add_co_u32_e32 v4, vcc, s7, v4
	s_addc_u32 s66, s66, 0
	v_addc_co_u32_e32 v5, vcc, v5, v11, vcc
	s_add_u32 s67, s67, s37
	v_cmp_le_i64_e32 vcc, s[46:47], v[4:5]
	s_addc_u32 s68, s68, 0
	s_or_b64 s[50:51], vcc, s[50:51]
	s_waitcnt vmcnt(6) lgkmcnt(0)
	v_fma_f32 v1, -v2, v1, v28
	v_cmp_o_f32_e64 s[8:9], v1, v1
	s_waitcnt vmcnt(4)
	v_fma_f32 v24, -v2, v29, v30
	v_cmp_o_f32_e32 vcc, v24, v24
	s_waitcnt vmcnt(2)
	v_fma_f32 v20, -v2, v20, v21
	v_bfe_u32 v25, v20, 16, 1
	s_waitcnt vmcnt(0)
	v_fma_f32 v21, -v2, v22, v23
	v_bfe_u32 v22, v1, 16, 1
	v_bfe_u32 v23, v24, 16, 1
	;; [unrolled: 1-line block ×3, first 2 shown]
	v_add3_u32 v22, v1, v22, s70
	v_add3_u32 v23, v24, v23, s70
	;; [unrolled: 1-line block ×4, first 2 shown]
	v_lshrrev_b32_e32 v22, 16, v22
	v_lshrrev_b32_e32 v23, 16, v23
	;; [unrolled: 1-line block ×3, first 2 shown]
	v_cmp_o_f32_e64 s[2:3], v20, v20
	v_lshrrev_b32_e32 v20, 16, v26
	v_cmp_o_f32_e64 s[4:5], v21, v21
	v_cndmask_b32_e64 v1, v3, v22, s[8:9]
	v_cndmask_b32_e32 v21, v3, v23, vcc
	v_cndmask_b32_e64 v22, v3, v24, s[2:3]
	v_cndmask_b32_e64 v20, v3, v20, s[4:5]
	global_store_short v[8:9], v1, off
	global_store_short v[14:15], v21, off
	;; [unrolled: 1-line block ×4, first 2 shown]
	v_add_co_u32_e32 v8, vcc, s58, v8
	v_addc_co_u32_e32 v9, vcc, v9, v13, vcc
	s_andn2_b64 exec, exec, s[50:51]
	s_cbranch_execnz .LBB665_50
; %bb.51:
	s_or_b64 exec, exec, s[50:51]
.LBB665_52:
	s_or_b64 exec, exec, s[48:49]
	v_cmp_gt_i64_e32 vcc, s[42:43], v[4:5]
	s_and_saveexec_b64 s[4:5], vcc
	s_cbranch_execz .LBB665_66
; %bb.53:
	v_add_co_u32_e32 v8, vcc, s36, v4
	v_addc_co_u32_e32 v9, vcc, 0, v5, vcc
	v_mov_b32_e32 v1, s43
	v_cmp_lt_i64_e32 vcc, s[42:43], v[8:9]
	v_cndmask_b32_e32 v3, v1, v9, vcc
	v_mov_b32_e32 v1, s42
	v_cndmask_b32_e32 v1, v1, v8, vcc
	v_cmp_gt_i64_e32 vcc, s[42:43], v[8:9]
	v_cndmask_b32_e64 v6, 0, 1, vcc
	v_add_co_u32_e32 v7, vcc, v8, v6
	v_addc_co_u32_e32 v8, vcc, 0, v9, vcc
	v_sub_co_u32_e32 v1, vcc, v1, v7
	v_subb_co_u32_e32 v9, vcc, v3, v8, vcc
	v_mov_b32_e32 v8, 0
	s_mov_b32 s7, 0
	v_cmp_ne_u64_e32 vcc, 0, v[8:9]
                                        ; implicit-def: $vgpr10_vgpr11
	s_and_saveexec_b64 s[2:3], vcc
	s_xor_b64 s[8:9], exec, s[2:3]
	s_cbranch_execz .LBB665_55
; %bb.54:
	v_cvt_f32_u32_e32 v3, s36
	v_mov_b32_e32 v7, 0x4f800000
	s_sub_u32 s2, 0, s36
	s_subb_u32 s3, 0, 0
	v_mac_f32_e32 v3, 0, v7
	v_rcp_f32_e32 v3, v3
	v_mul_f32_e32 v3, 0x5f7ffffc, v3
	v_mul_f32_e32 v7, 0x2f800000, v3
	v_trunc_f32_e32 v7, v7
	v_madmk_f32 v3, v7, 0xcf800000, v3
	v_cvt_u32_f32_e32 v7, v7
	v_cvt_u32_f32_e32 v3, v3
	v_mul_lo_u32 v8, s2, v7
	v_mul_hi_u32 v11, s2, v3
	v_mul_lo_u32 v10, s3, v3
	v_add_u32_e32 v8, v11, v8
	v_mul_lo_u32 v12, s2, v3
	v_add_u32_e32 v8, v8, v10
	v_mul_hi_u32 v11, v3, v12
	v_mul_lo_u32 v13, v3, v8
	v_mul_hi_u32 v10, v3, v8
	v_add_co_u32_e32 v11, vcc, v11, v13
	v_addc_co_u32_e32 v10, vcc, 0, v10, vcc
	v_mul_hi_u32 v14, v7, v12
	v_mul_lo_u32 v12, v7, v12
	v_add_co_u32_e32 v11, vcc, v11, v12
	v_mul_hi_u32 v13, v7, v8
	v_addc_co_u32_e32 v10, vcc, v10, v14, vcc
	v_addc_co_u32_e32 v11, vcc, 0, v13, vcc
	v_mul_lo_u32 v8, v7, v8
	v_add_co_u32_e32 v8, vcc, v10, v8
	v_addc_co_u32_e32 v10, vcc, 0, v11, vcc
	v_add_co_u32_e32 v3, vcc, v3, v8
	v_addc_co_u32_e32 v7, vcc, v7, v10, vcc
	v_mul_lo_u32 v8, s2, v7
	v_mul_hi_u32 v10, s2, v3
	v_add_u32_e32 v8, v10, v8
	v_mul_lo_u32 v10, s3, v3
	v_add_u32_e32 v8, v8, v10
	v_mul_lo_u32 v11, s2, v3
	v_mul_hi_u32 v12, v7, v11
	v_mul_lo_u32 v13, v7, v11
	v_mul_lo_u32 v15, v3, v8
	v_mul_hi_u32 v11, v3, v11
	v_mul_hi_u32 v14, v3, v8
	v_add_co_u32_e32 v11, vcc, v11, v15
	v_addc_co_u32_e32 v14, vcc, 0, v14, vcc
	v_add_co_u32_e32 v11, vcc, v11, v13
	v_mul_hi_u32 v10, v7, v8
	v_addc_co_u32_e32 v11, vcc, v14, v12, vcc
	v_addc_co_u32_e32 v10, vcc, 0, v10, vcc
	v_mul_lo_u32 v8, v7, v8
	v_add_co_u32_e32 v8, vcc, v11, v8
	v_addc_co_u32_e32 v10, vcc, 0, v10, vcc
	v_add_co_u32_e32 v3, vcc, v3, v8
	v_addc_co_u32_e32 v7, vcc, v7, v10, vcc
	v_mad_u64_u32 v[10:11], s[2:3], v1, v7, 0
	v_mul_hi_u32 v8, v1, v3
	v_add_co_u32_e32 v8, vcc, v8, v10
	v_addc_co_u32_e32 v14, vcc, 0, v11, vcc
	v_mad_u64_u32 v[12:13], s[2:3], v9, v3, 0
	v_add_co_u32_e32 v3, vcc, v8, v12
	v_mad_u64_u32 v[10:11], s[2:3], v9, v7, 0
	v_addc_co_u32_e32 v3, vcc, v14, v13, vcc
	v_addc_co_u32_e32 v7, vcc, 0, v11, vcc
	v_add_co_u32_e32 v3, vcc, v3, v10
	v_mad_u64_u32 v[10:11], s[2:3], s36, v3, 0
	v_addc_co_u32_e32 v7, vcc, 0, v7, vcc
	v_mov_b32_e32 v8, v11
	v_mad_u64_u32 v[12:13], s[2:3], s36, v7, v[8:9]
	v_sub_co_u32_e32 v1, vcc, v1, v10
	v_subb_co_u32_e32 v8, vcc, v9, v12, vcc
	v_subrev_co_u32_e32 v9, vcc, s36, v1
	v_subbrev_co_u32_e32 v10, vcc, 0, v8, vcc
	v_cmp_le_u32_e32 vcc, s36, v9
	v_cndmask_b32_e64 v9, 0, -1, vcc
	v_cmp_eq_u32_e32 vcc, 0, v10
	v_cndmask_b32_e32 v9, -1, v9, vcc
	v_add_co_u32_e32 v10, vcc, 2, v3
	v_addc_co_u32_e32 v11, vcc, 0, v7, vcc
	v_add_co_u32_e32 v12, vcc, 1, v3
	v_cmp_le_u32_e64 s[2:3], s36, v1
	v_addc_co_u32_e32 v13, vcc, 0, v7, vcc
	v_cndmask_b32_e64 v1, 0, -1, s[2:3]
	v_cmp_eq_u32_e64 s[2:3], 0, v8
	v_cmp_ne_u32_e32 vcc, 0, v9
	v_cndmask_b32_e64 v1, -1, v1, s[2:3]
	v_cndmask_b32_e32 v9, v13, v11, vcc
	v_cmp_ne_u32_e64 s[2:3], 0, v1
	v_cndmask_b32_e32 v1, v12, v10, vcc
	v_cndmask_b32_e64 v11, v7, v9, s[2:3]
	v_cndmask_b32_e64 v10, v3, v1, s[2:3]
                                        ; implicit-def: $vgpr1
.LBB665_55:
	s_andn2_saveexec_b64 s[2:3], s[8:9]
	s_cbranch_execz .LBB665_57
; %bb.56:
	v_cvt_f32_u32_e32 v3, s36
	s_sub_i32 s8, 0, s36
	v_mov_b32_e32 v11, 0
	v_rcp_iflag_f32_e32 v3, v3
	v_mul_f32_e32 v3, 0x4f7ffffe, v3
	v_cvt_u32_f32_e32 v3, v3
	v_mul_lo_u32 v7, s8, v3
	v_mul_hi_u32 v7, v3, v7
	v_add_u32_e32 v3, v3, v7
	v_mul_hi_u32 v3, v1, v3
	v_mul_lo_u32 v7, v3, s36
	v_sub_u32_e32 v1, v1, v7
	v_add_u32_e32 v8, 1, v3
	v_subrev_u32_e32 v7, s36, v1
	v_cmp_le_u32_e32 vcc, s36, v1
	v_cndmask_b32_e32 v1, v1, v7, vcc
	v_cndmask_b32_e32 v3, v3, v8, vcc
	v_add_u32_e32 v7, 1, v3
	v_cmp_le_u32_e32 vcc, s36, v1
	v_cndmask_b32_e32 v10, v3, v7, vcc
.LBB665_57:
	s_or_b64 exec, exec, s[2:3]
	v_add_co_u32_e32 v1, vcc, v10, v6
	v_addc_co_u32_e32 v3, vcc, 0, v11, vcc
	v_add_co_u32_e32 v6, vcc, 1, v1
	v_addc_co_u32_e32 v7, vcc, 0, v3, vcc
	s_cmp_lg_u32 s36, 1
	v_cmp_gt_u64_e32 vcc, 2, v[6:7]
	s_cselect_b64 s[2:3], -1, 0
                                        ; kill: def $vgpr8_vgpr9 killed $sgpr0_sgpr1 killed $exec
	s_or_b64 s[10:11], vcc, s[2:3]
	s_mov_b64 s[8:9], 0
	v_mov_b32_e32 v9, v7
                                        ; implicit-def: $sgpr2_sgpr3
	s_and_saveexec_b64 s[12:13], s[10:11]
	s_xor_b64 s[10:11], exec, s[12:13]
; %bb.58:
	s_mov_b64 s[8:9], exec
	s_lshl_b32 s2, s36, 2
	s_mov_b32 s3, 0
                                        ; implicit-def: $vgpr6_vgpr7
                                        ; implicit-def: $vgpr9
; %bb.59:
	s_or_saveexec_b64 s[10:11], s[10:11]
	v_pk_mov_b32 v[12:13], s[40:41], s[40:41] op_sel:[0,1]
	v_pk_mov_b32 v[10:11], s[2:3], s[2:3] op_sel:[0,1]
	;; [unrolled: 1-line block ×3, first 2 shown]
	s_xor_b64 exec, exec, s[10:11]
	s_cbranch_execz .LBB665_63
; %bb.60:
	v_lshlrev_b64 v[10:11], 2, v[4:5]
	s_lshl_b32 s16, s36, 3
	v_mov_b32_e32 v1, s41
	v_add_co_u32_e32 v10, vcc, s40, v10
	s_add_u32 s3, s20, s44
	v_addc_co_u32_e32 v1, vcc, v1, v11, vcc
	v_lshlrev_b64 v[12:13], 1, v[4:5]
	s_addc_u32 s12, s21, s45
	v_and_b32_e32 v8, -2, v6
	s_mov_b32 s2, 0
	v_mov_b32_e32 v11, s12
	v_add_co_u32_e32 v12, vcc, s3, v12
	s_waitcnt lgkmcnt(0)
	v_mov_b32_e32 v3, v2
	v_addc_co_u32_e32 v13, vcc, v11, v13, vcc
	s_lshl_b32 s12, s36, 2
	s_mov_b32 s13, s2
	s_mov_b64 s[14:15], 0
	v_mov_b32_e32 v11, s25
	v_mov_b32_e32 v16, s23
	s_movk_i32 s17, 0x7fff
	v_mov_b32_e32 v17, 0x7fc0
	s_mov_b32 s33, 0x5040100
	v_mov_b32_e32 v18, s2
	v_mov_b32_e32 v19, s2
	v_pk_mov_b32 v[14:15], v[8:9], v[8:9] op_sel:[0,1]
.LBB665_61:                             ; =>This Inner Loop Header: Depth=1
	v_add_co_u32_e32 v20, vcc, s24, v10
	v_addc_co_u32_e32 v21, vcc, v11, v1, vcc
	v_add_co_u32_e32 v22, vcc, s22, v10
	v_addc_co_u32_e32 v23, vcc, v16, v1, vcc
	global_load_dwordx2 v[24:25], v[20:21], off
	global_load_dwordx2 v[26:27], v[22:23], off
	v_add_co_u32_e32 v14, vcc, -2, v14
	v_addc_co_u32_e32 v15, vcc, -1, v15, vcc
	v_add_co_u32_e32 v10, vcc, s16, v10
	v_addc_co_u32_e32 v1, vcc, v1, v18, vcc
	v_cmp_eq_u64_e32 vcc, 0, v[14:15]
	s_or_b64 s[14:15], vcc, s[14:15]
	s_waitcnt vmcnt(0)
	v_pk_fma_f32 v[20:21], v[2:3], v[26:27], v[24:25] neg_lo:[1,0,0] neg_hi:[1,0,0]
	v_bfe_u32 v22, v20, 16, 1
	v_bfe_u32 v23, v21, 16, 1
	v_add3_u32 v23, v21, v23, s17
	v_add3_u32 v22, v20, v22, s17
	v_lshrrev_b32_e32 v22, 16, v22
	v_lshrrev_b32_e32 v23, 16, v23
	v_cmp_o_f32_e32 vcc, v21, v21
	v_cmp_o_f32_e64 s[2:3], v20, v20
	v_cndmask_b32_e64 v20, v17, v22, s[2:3]
	v_cndmask_b32_e32 v21, v17, v23, vcc
	v_perm_b32 v20, v21, v20, s33
	global_store_dword v[12:13], v20, off
	v_add_co_u32_e32 v12, vcc, s12, v12
	v_addc_co_u32_e32 v13, vcc, v13, v19, vcc
	s_andn2_b64 exec, exec, s[14:15]
	s_cbranch_execnz .LBB665_61
; %bb.62:
	s_or_b64 exec, exec, s[14:15]
	v_mad_u64_u32 v[4:5], s[2:3], v8, s36, v[4:5]
	v_mov_b32_e32 v10, v5
	v_mad_u64_u32 v[10:11], s[2:3], v9, s36, v[10:11]
	v_cmp_ne_u64_e32 vcc, v[6:7], v[8:9]
	s_andn2_b64 s[2:3], s[8:9], exec
	s_and_b64 s[8:9], vcc, exec
	v_mov_b32_e32 v5, v10
	v_pk_mov_b32 v[12:13], s[40:41], s[40:41] op_sel:[0,1]
	v_pk_mov_b32 v[10:11], s[12:13], s[12:13] op_sel:[0,1]
	;; [unrolled: 1-line block ×3, first 2 shown]
	s_or_b64 s[8:9], s[2:3], s[8:9]
                                        ; kill: def $vgpr1 killed $sgpr0 killed $exec
.LBB665_63:
	s_or_b64 exec, exec, s[10:11]
	s_and_b64 exec, exec, s[8:9]
	s_cbranch_execz .LBB665_66
; %bb.64:
	v_lshlrev_b64 v[6:7], 2, v[4:5]
	v_add_co_u32_e32 v6, vcc, v12, v6
	v_addc_co_u32_e32 v1, vcc, v13, v7, vcc
	v_lshlrev_b64 v[8:9], 1, v[4:5]
	v_add_co_u32_e32 v3, vcc, v14, v8
	v_addc_co_u32_e32 v7, vcc, v15, v9, vcc
	v_mov_b32_e32 v9, s21
	v_add_co_u32_e32 v8, vcc, s20, v3
	s_mov_b32 s10, 0
	v_addc_co_u32_e32 v9, vcc, v9, v7, vcc
	s_lshl_b32 s8, s36, 1
	s_mov_b64 s[2:3], 0
	v_mov_b32_e32 v3, s25
	v_mov_b32_e32 v7, s23
	s_movk_i32 s9, 0x7fff
	v_mov_b32_e32 v12, 0x7fc0
	v_mov_b32_e32 v13, s7
	;; [unrolled: 1-line block ×3, first 2 shown]
.LBB665_65:                             ; =>This Inner Loop Header: Depth=1
	v_add_co_u32_e32 v16, vcc, s24, v6
	v_addc_co_u32_e32 v17, vcc, v3, v1, vcc
	v_add_co_u32_e32 v18, vcc, s22, v6
	v_addc_co_u32_e32 v19, vcc, v7, v1, vcc
	global_load_dword v15, v[16:17], off
	global_load_dword v20, v[18:19], off
	v_add_co_u32_e32 v4, vcc, s36, v4
	v_addc_co_u32_e32 v5, vcc, v5, v13, vcc
	v_add_co_u32_e32 v6, vcc, v6, v10
	v_addc_co_u32_e32 v1, vcc, v1, v11, vcc
	v_cmp_le_i64_e32 vcc, s[42:43], v[4:5]
	s_or_b64 s[2:3], vcc, s[2:3]
	s_waitcnt vmcnt(0) lgkmcnt(0)
	v_fma_f32 v15, -v2, v20, v15
	v_bfe_u32 v16, v15, 16, 1
	v_add3_u32 v16, v15, v16, s9
	v_lshrrev_b32_e32 v16, 16, v16
	v_cmp_o_f32_e32 vcc, v15, v15
	v_cndmask_b32_e32 v15, v12, v16, vcc
	global_store_short v[8:9], v15, off
	v_add_co_u32_e32 v8, vcc, s8, v8
	v_addc_co_u32_e32 v9, vcc, v9, v14, vcc
	s_andn2_b64 exec, exec, s[2:3]
	s_cbranch_execnz .LBB665_65
.LBB665_66:
	s_or_b64 exec, exec, s[4:5]
	s_mov_b64 s[2:3], 0
.LBB665_67:
	s_and_b64 vcc, exec, s[2:3]
	s_cbranch_vccz .LBB665_112
; %bb.68:
	s_lshl_b32 s2, s36, 2
	v_cvt_f32_u32_e32 v1, s2
	s_sub_i32 s3, 0, s2
	v_mov_b32_e32 v4, v0
	v_rcp_iflag_f32_e32 v1, v1
	v_mul_f32_e32 v1, 0x4f7ffffe, v1
	v_cvt_u32_f32_e32 v1, v1
	v_readfirstlane_b32 s4, v1
	s_mul_i32 s3, s3, s4
	s_mul_hi_u32 s3, s4, s3
	s_add_i32 s4, s4, s3
	s_mul_hi_u32 s3, s26, s4
	s_mul_i32 s3, s3, s2
	s_sub_i32 s3, s26, s3
	s_sub_i32 s4, s3, s2
	s_cmp_ge_u32 s3, s2
	s_cselect_b32 s3, s4, s3
	s_sub_i32 s4, s3, s2
	s_cmp_ge_u32 s3, s2
	s_cselect_b32 s2, s4, s3
	s_sub_i32 s7, s26, s2
	v_cmp_gt_i32_e32 vcc, s7, v0
	s_and_saveexec_b64 s[8:9], vcc
	s_cbranch_execz .LBB665_72
; %bb.69:
	s_add_i32 s15, s36, s36
	s_lshl_b32 s12, s36, 1
	s_mul_i32 s13, s36, 3
	s_mov_b64 s[10:11], 0
	v_mov_b32_e32 v1, s35
	v_mov_b32_e32 v3, s19
	s_movk_i32 s14, 0x7fff
	v_mov_b32_e32 v6, 0x7fc0
	v_mov_b32_e32 v7, s31
	s_add_i32 s15, s15, s36
	v_mov_b32_e32 v5, 0
	v_mov_b32_e32 v4, v0
.LBB665_70:                             ; =>This Inner Loop Header: Depth=1
	v_lshlrev_b64 v[8:9], 2, v[4:5]
	v_add_co_u32_e32 v16, vcc, s34, v8
	v_addc_co_u32_e32 v17, vcc, v1, v9, vcc
	v_add_u32_e32 v10, s36, v4
	v_mov_b32_e32 v11, v5
	v_add_co_u32_e32 v8, vcc, s18, v8
	v_addc_co_u32_e32 v9, vcc, v3, v9, vcc
	v_lshlrev_b64 v[18:19], 2, v[10:11]
	global_load_dword v26, v[16:17], off
	global_load_dword v27, v[8:9], off
	v_add_co_u32_e32 v8, vcc, s34, v18
	v_addc_co_u32_e32 v9, vcc, v1, v19, vcc
	v_add_u32_e32 v12, s12, v4
	v_mov_b32_e32 v13, v5
	v_add_co_u32_e32 v16, vcc, s18, v18
	v_lshlrev_b64 v[20:21], 2, v[12:13]
	v_addc_co_u32_e32 v17, vcc, v3, v19, vcc
	v_add_co_u32_e32 v18, vcc, s34, v20
	v_addc_co_u32_e32 v19, vcc, v1, v21, vcc
	v_add_u32_e32 v14, s13, v4
	v_mov_b32_e32 v15, v5
	v_add_co_u32_e32 v20, vcc, s18, v20
	v_lshlrev_b64 v[22:23], 2, v[14:15]
	v_addc_co_u32_e32 v21, vcc, v3, v21, vcc
	v_add_co_u32_e32 v24, vcc, s34, v22
	v_addc_co_u32_e32 v25, vcc, v1, v23, vcc
	v_add_co_u32_e32 v22, vcc, s18, v22
	v_addc_co_u32_e32 v23, vcc, v3, v23, vcc
	global_load_dword v28, v[8:9], off
	global_load_dword v29, v[16:17], off
	;; [unrolled: 1-line block ×6, first 2 shown]
	v_lshlrev_b64 v[8:9], 1, v[4:5]
	v_add_co_u32_e32 v8, vcc, s30, v8
	v_addc_co_u32_e32 v9, vcc, v7, v9, vcc
	v_lshlrev_b64 v[16:17], 1, v[10:11]
	v_add_u32_e32 v4, s15, v10
	v_add_co_u32_e32 v10, vcc, s30, v16
	v_lshlrev_b64 v[12:13], 1, v[12:13]
	v_addc_co_u32_e32 v11, vcc, v7, v17, vcc
	v_add_co_u32_e32 v12, vcc, s30, v12
	v_lshlrev_b64 v[14:15], 1, v[14:15]
	v_addc_co_u32_e32 v13, vcc, v7, v13, vcc
	v_add_co_u32_e32 v14, vcc, s30, v14
	v_addc_co_u32_e32 v15, vcc, v7, v15, vcc
	v_cmp_le_i32_e32 vcc, s7, v4
	s_or_b64 s[10:11], vcc, s[10:11]
	s_waitcnt vmcnt(6) lgkmcnt(0)
	v_fma_f32 v16, -v2, v26, v27
	v_bfe_u32 v17, v16, 16, 1
	v_add3_u32 v17, v16, v17, s14
	v_lshrrev_b32_e32 v17, 16, v17
	v_cmp_o_f32_e32 vcc, v16, v16
	v_cndmask_b32_e32 v16, v6, v17, vcc
	global_store_short v[8:9], v16, off
	s_waitcnt vmcnt(5)
	v_fma_f32 v18, -v2, v28, v29
	v_bfe_u32 v21, v18, 16, 1
	s_waitcnt vmcnt(3)
	v_fma_f32 v19, -v2, v30, v31
	v_bfe_u32 v22, v19, 16, 1
	;; [unrolled: 3-line block ×3, first 2 shown]
	v_add3_u32 v21, v18, v21, s14
	v_add3_u32 v22, v19, v22, s14
	;; [unrolled: 1-line block ×3, first 2 shown]
	v_lshrrev_b32_e32 v17, 16, v21
	v_cmp_o_f32_e64 s[4:5], v18, v18
	v_lshrrev_b32_e32 v21, 16, v22
	v_cmp_o_f32_e32 vcc, v19, v19
	v_lshrrev_b32_e32 v19, 16, v23
	v_cmp_o_f32_e64 s[2:3], v20, v20
	v_cndmask_b32_e64 v8, v6, v17, s[4:5]
	v_cndmask_b32_e32 v9, v6, v21, vcc
	v_cndmask_b32_e64 v16, v6, v19, s[2:3]
	global_store_short v[10:11], v8, off
	global_store_short v[12:13], v9, off
	;; [unrolled: 1-line block ×3, first 2 shown]
	s_andn2_b64 exec, exec, s[10:11]
	s_cbranch_execnz .LBB665_70
; %bb.71:
	s_or_b64 exec, exec, s[10:11]
.LBB665_72:
	s_or_b64 exec, exec, s[8:9]
	v_cmp_gt_i32_e32 vcc, s26, v4
	s_and_saveexec_b64 s[4:5], vcc
	s_cbranch_execz .LBB665_75
; %bb.73:
	s_mov_b64 s[8:9], 0
	v_mov_b32_e32 v1, s19
	v_mov_b32_e32 v3, s35
	s_movk_i32 s7, 0x7fff
	v_mov_b32_e32 v6, 0x7fc0
	v_mov_b32_e32 v7, s31
.LBB665_74:                             ; =>This Inner Loop Header: Depth=1
	v_ashrrev_i32_e32 v5, 31, v4
	v_lshlrev_b64 v[8:9], 2, v[4:5]
	v_add_co_u32_e32 v10, vcc, s18, v8
	v_addc_co_u32_e32 v11, vcc, v1, v9, vcc
	v_add_co_u32_e32 v8, vcc, s34, v8
	v_addc_co_u32_e32 v9, vcc, v3, v9, vcc
	global_load_dword v10, v[10:11], off
	s_nop 0
	global_load_dword v11, v[8:9], off
	v_lshlrev_b64 v[8:9], 1, v[4:5]
	v_add_co_u32_e32 v8, vcc, s30, v8
	v_add_u32_e32 v4, s36, v4
	v_addc_co_u32_e32 v9, vcc, v7, v9, vcc
	v_cmp_le_i32_e32 vcc, s26, v4
	s_or_b64 s[8:9], vcc, s[8:9]
	s_waitcnt vmcnt(0) lgkmcnt(0)
	v_fma_f32 v5, -v2, v11, v10
	v_bfe_u32 v10, v5, 16, 1
	v_add3_u32 v10, v5, v10, s7
	v_lshrrev_b32_e32 v10, 16, v10
	v_cmp_o_f32_e64 s[2:3], v5, v5
	v_cndmask_b32_e64 v5, v6, v10, s[2:3]
	global_store_short v[8:9], v5, off
	s_andn2_b64 exec, exec, s[8:9]
	s_cbranch_execnz .LBB665_74
.LBB665_75:
	s_or_b64 exec, exec, s[4:5]
	s_mov_b64 s[2:3], 0
.LBB665_76:
	s_andn2_b64 vcc, exec, s[2:3]
	s_cbranch_vccnz .LBB665_113
.LBB665_77:
	s_cmp_lg_u64 s[38:39], 0
	s_cselect_b64 s[4:5], -1, 0
	v_cndmask_b32_e64 v1, 0, 1, s[4:5]
	s_mov_b64 s[2:3], -1
	s_and_b64 vcc, exec, s[0:1]
	v_cmp_ne_u32_e64 s[0:1], 1, v1
	s_cbranch_vccz .LBB665_101
; %bb.78:
	v_mov_b32_e32 v1, 0
	s_and_b64 vcc, exec, s[0:1]
	s_mov_b64 s[10:11], s[26:27]
	s_mov_b64 s[16:17], s[30:31]
	;; [unrolled: 1-line block ×4, first 2 shown]
	s_cbranch_vccnz .LBB665_82
; %bb.79:
	s_lshl_b32 s2, s38, 1
	s_sub_u32 s9, s30, s2
	s_subb_u32 s12, s31, 0
	s_lshl_b32 s2, s38, 2
	s_sub_u32 s7, s34, s2
	s_subb_u32 s8, s35, 0
	s_sub_u32 s4, s18, s2
	s_mov_b32 s37, 0
	s_subb_u32 s5, s19, 0
	v_cmp_le_u64_e32 vcc, s[38:39], v[0:1]
	s_and_saveexec_b64 s[2:3], vcc
	s_cbranch_execz .LBB665_81
; %bb.80:
	v_lshlrev_b64 v[4:5], 2, v[0:1]
	v_mov_b32_e32 v3, s5
	v_add_co_u32_e32 v6, vcc, s4, v4
	v_addc_co_u32_e32 v7, vcc, v3, v5, vcc
	global_load_dword v3, v[6:7], off
	v_mov_b32_e32 v6, s8
	v_add_co_u32_e32 v4, vcc, s7, v4
	v_addc_co_u32_e32 v5, vcc, v6, v5, vcc
	global_load_dword v6, v[4:5], off
	s_movk_i32 s10, 0x7fff
	v_mov_b32_e32 v7, 0x7fc0
	v_lshlrev_b64 v[4:5], 1, v[0:1]
	v_mov_b32_e32 v8, s12
	s_waitcnt vmcnt(0) lgkmcnt(0)
	v_fma_f32 v3, -v2, v6, v3
	v_bfe_u32 v6, v3, 16, 1
	v_add3_u32 v6, v3, v6, s10
	v_lshrrev_b32_e32 v6, 16, v6
	v_cmp_o_f32_e32 vcc, v3, v3
	v_cndmask_b32_e32 v3, v7, v6, vcc
	v_add_co_u32_e32 v4, vcc, s9, v4
	v_addc_co_u32_e32 v5, vcc, v8, v5, vcc
	global_store_short v[4:5], v3, off
.LBB665_81:
	s_or_b64 exec, exec, s[2:3]
	s_add_u32 s2, s38, s26
	s_addc_u32 s3, 0, s27
	v_pk_mov_b32 v[4:5], s[36:37], s[36:37] op_sel:[0,1]
	v_cmp_lt_i64_e32 vcc, s[2:3], v[4:5]
	s_and_b64 s[10:11], vcc, exec
	s_cselect_b32 s10, s2, s36
	s_cselect_b32 s11, s3, 0
	s_sub_u32 s10, s2, s10
	s_subb_u32 s11, s3, s11
	s_lshl_b32 s2, s36, 1
	s_add_u32 s16, s9, s2
	s_addc_u32 s17, s12, 0
	s_lshl_b32 s2, s36, 2
	s_add_u32 s12, s7, s2
	s_addc_u32 s13, s8, 0
	s_add_u32 s14, s4, s2
	s_addc_u32 s15, s5, 0
.LBB665_82:
	s_load_dword s2, s[28:29], 0x0
	v_mov_b32_e32 v3, 0
	s_mov_b32 s33, 0
	s_waitcnt lgkmcnt(0)
	s_cmp_lt_u32 s6, s2
	s_cselect_b32 s2, 12, 18
	s_add_u32 s2, s28, s2
	s_addc_u32 s3, s29, 0
	global_load_ushort v3, v3, s[2:3]
	s_mov_b32 s2, s33
	s_waitcnt vmcnt(0)
	v_readfirstlane_b32 s3, v3
	s_and_b32 s7, s3, 0xffff
	s_lshl_b32 s27, s7, 2
	s_mov_b32 s3, s11
	s_cmp_lg_u64 s[2:3], 0
	s_cbranch_scc0 .LBB665_114
; %bb.83:
	v_cvt_f32_u32_e32 v3, s27
	v_cvt_f32_ubyte0_e32 v4, 0
	s_sub_u32 s4, 0, s27
	s_subb_u32 s5, 0, 0
	v_madmk_f32 v3, v4, 0x4f800000, v3
	v_rcp_f32_e32 v3, v3
	v_mul_f32_e32 v3, 0x5f7ffffc, v3
	v_mul_f32_e32 v4, 0x2f800000, v3
	v_trunc_f32_e32 v4, v4
	v_madmk_f32 v3, v4, 0xcf800000, v3
	v_cvt_u32_f32_e32 v4, v4
	v_cvt_u32_f32_e32 v3, v3
	v_readfirstlane_b32 s8, v4
	v_readfirstlane_b32 s9, v3
	s_mul_i32 s20, s4, s8
	s_mul_hi_u32 s22, s4, s9
	s_mul_i32 s21, s5, s9
	s_add_i32 s20, s22, s20
	s_add_i32 s20, s20, s21
	s_mul_i32 s23, s4, s9
	s_mul_hi_u32 s21, s9, s20
	s_mul_i32 s22, s9, s20
	s_mul_hi_u32 s9, s9, s23
	s_add_u32 s9, s9, s22
	s_addc_u32 s21, 0, s21
	s_mul_hi_u32 s24, s8, s23
	s_mul_i32 s23, s8, s23
	s_add_u32 s9, s9, s23
	s_mul_hi_u32 s22, s8, s20
	s_addc_u32 s9, s21, s24
	s_addc_u32 s21, s22, 0
	s_mul_i32 s20, s8, s20
	s_add_u32 s9, s9, s20
	s_addc_u32 s20, 0, s21
	v_add_co_u32_e32 v3, vcc, s9, v3
	s_cmp_lg_u64 vcc, 0
	s_addc_u32 s8, s8, s20
	v_readfirstlane_b32 s20, v3
	s_mul_i32 s9, s4, s8
	s_mul_hi_u32 s21, s4, s20
	s_add_i32 s9, s21, s9
	s_mul_i32 s5, s5, s20
	s_add_i32 s9, s9, s5
	s_mul_i32 s4, s4, s20
	s_mul_hi_u32 s21, s8, s4
	s_mul_i32 s22, s8, s4
	s_mul_i32 s24, s20, s9
	s_mul_hi_u32 s4, s20, s4
	s_mul_hi_u32 s23, s20, s9
	s_add_u32 s4, s4, s24
	s_addc_u32 s20, 0, s23
	s_add_u32 s4, s4, s22
	s_mul_hi_u32 s5, s8, s9
	s_addc_u32 s4, s20, s21
	s_addc_u32 s5, s5, 0
	s_mul_i32 s9, s8, s9
	s_add_u32 s4, s4, s9
	s_addc_u32 s5, 0, s5
	v_add_co_u32_e32 v3, vcc, s4, v3
	s_cmp_lg_u64 vcc, 0
	s_addc_u32 s20, s8, s5
	s_ashr_i32 s4, s11, 31
	s_add_u32 s8, s10, s4
	s_mov_b32 s5, s4
	s_addc_u32 s9, s11, s4
	s_xor_b64 s[8:9], s[8:9], s[4:5]
	v_readfirstlane_b32 s22, v3
	s_mul_i32 s21, s8, s20
	s_mul_hi_u32 s23, s8, s22
	s_mul_hi_u32 s5, s8, s20
	s_add_u32 s21, s23, s21
	s_addc_u32 s5, 0, s5
	s_mul_hi_u32 s24, s9, s22
	s_mul_i32 s22, s9, s22
	s_add_u32 s21, s21, s22
	s_mul_hi_u32 s23, s9, s20
	s_addc_u32 s5, s5, s24
	s_addc_u32 s21, s23, 0
	s_mul_i32 s20, s9, s20
	s_add_u32 s5, s5, s20
	s_addc_u32 s20, 0, s21
	s_mul_hi_u32 s21, s27, s5
	s_mul_i32 s5, s27, s5
	s_mul_i32 s20, s27, s20
	v_mov_b32_e32 v3, s5
	s_add_i32 s21, s21, s20
	v_sub_co_u32_e32 v3, vcc, s8, v3
	s_cmp_lg_u64 vcc, 0
	s_subb_u32 s5, s9, s21
	v_subrev_co_u32_e32 v4, vcc, s27, v3
	s_cmp_lg_u64 vcc, 0
	s_subb_u32 s8, s5, 0
	v_subrev_co_u32_e32 v5, vcc, s27, v4
	s_cmp_lg_u64 vcc, 0
	s_subb_u32 s9, s8, 0
	v_cmp_le_u32_e32 vcc, s27, v4
	s_cmp_eq_u32 s8, 0
	v_cndmask_b32_e64 v6, 0, -1, vcc
	s_cselect_b64 vcc, -1, 0
	v_cndmask_b32_e32 v6, -1, v6, vcc
	v_mov_b32_e32 v7, s8
	v_mov_b32_e32 v8, s9
	v_cmp_ne_u32_e32 vcc, 0, v6
	v_cndmask_b32_e32 v6, v7, v8, vcc
	v_cndmask_b32_e32 v4, v4, v5, vcc
	v_cmp_le_u32_e32 vcc, s27, v3
	s_cmp_eq_u32 s5, 0
	v_cndmask_b32_e64 v5, 0, -1, vcc
	s_cselect_b64 vcc, -1, 0
	v_cndmask_b32_e32 v5, -1, v5, vcc
	v_cmp_ne_u32_e32 vcc, 0, v5
	v_mov_b32_e32 v7, s5
	v_cndmask_b32_e32 v3, v3, v4, vcc
	v_cndmask_b32_e32 v5, v7, v6, vcc
	v_xor_b32_e32 v3, s4, v3
	v_xor_b32_e32 v4, s4, v5
	v_mov_b32_e32 v5, s4
	v_subrev_co_u32_e32 v6, vcc, s4, v3
	v_subb_co_u32_e32 v7, vcc, v4, v5, vcc
	s_cbranch_execnz .LBB665_85
.LBB665_84:
	v_cvt_f32_u32_e32 v3, s27
	s_sub_i32 s2, 0, s27
	v_mov_b32_e32 v7, 0
	v_rcp_iflag_f32_e32 v3, v3
	v_mul_f32_e32 v3, 0x4f7ffffe, v3
	v_cvt_u32_f32_e32 v3, v3
	v_mul_lo_u32 v4, s2, v3
	v_mul_hi_u32 v4, v3, v4
	v_add_u32_e32 v3, v3, v4
	v_mul_hi_u32 v3, s10, v3
	v_mul_lo_u32 v3, v3, s27
	v_sub_u32_e32 v3, s10, v3
	v_subrev_u32_e32 v4, s27, v3
	v_cmp_le_u32_e32 vcc, s27, v3
	v_cndmask_b32_e32 v3, v3, v4, vcc
	v_subrev_u32_e32 v4, s27, v3
	v_cmp_le_u32_e32 vcc, s27, v3
	v_cndmask_b32_e32 v6, v3, v4, vcc
.LBB665_85:
	v_mov_b32_e32 v3, s11
	v_sub_co_u32_e32 v4, vcc, s10, v6
	v_subb_co_u32_e32 v5, vcc, v3, v7, vcc
	v_lshlrev_b64 v[8:9], 2, v[0:1]
	v_cmp_lt_i64_e32 vcc, v[8:9], v[4:5]
	s_and_saveexec_b64 s[20:21], vcc
	s_cbranch_execz .LBB665_88
; %bb.86:
	v_lshlrev_b64 v[10:11], 3, v[0:1]
	s_mov_b32 s2, 0
	v_mov_b32_e32 v12, s17
	v_add_co_u32_e32 v10, vcc, s16, v10
	v_mov_b32_e32 v3, v2
	v_lshlrev_b64 v[8:9], 4, v[0:1]
	s_lshl_b32 s37, s7, 4
	v_addc_co_u32_e32 v11, vcc, v12, v11, vcc
	s_lshl_b32 s39, s7, 3
	s_mov_b64 s[22:23], 0
	s_movk_i32 s42, 0x7fff
	v_mov_b32_e32 v14, 0x7fc00000
	v_mov_b32_e32 v15, 0x7fc0
	v_mov_b32_e32 v16, s33
	v_mov_b32_e32 v17, s2
	s_mov_b64 s[24:25], s[14:15]
	s_mov_b64 s[40:41], s[12:13]
	v_pk_mov_b32 v[12:13], v[0:1], v[0:1] op_sel:[0,1]
.LBB665_87:                             ; =>This Inner Loop Header: Depth=1
	v_mov_b32_e32 v1, s41
	v_add_co_u32_e64 v28, s[2:3], s40, v8
	v_mov_b32_e32 v18, s25
	v_add_co_u32_e32 v26, vcc, s24, v8
	v_addc_co_u32_e64 v29, s[2:3], v1, v9, s[2:3]
	v_addc_co_u32_e32 v27, vcc, v18, v9, vcc
	global_load_dwordx4 v[18:21], v[28:29], off
	global_load_dwordx4 v[22:25], v[26:27], off
	v_add_co_u32_e32 v12, vcc, s7, v12
	s_add_u32 s40, s40, s37
	v_addc_co_u32_e32 v13, vcc, v13, v16, vcc
	s_addc_u32 s41, s41, 0
	v_lshlrev_b64 v[26:27], 2, v[12:13]
	s_add_u32 s24, s24, s37
	v_cmp_ge_i64_e32 vcc, v[26:27], v[4:5]
	s_addc_u32 s25, s25, 0
	s_or_b64 s[22:23], vcc, s[22:23]
	s_waitcnt vmcnt(0)
	v_pk_fma_f32 v[18:19], v[2:3], v[18:19], v[22:23] neg_lo:[1,0,0] neg_hi:[1,0,0]
	v_fma_f32 v1, -v2, v20, v24
	v_fma_f32 v20, -v2, v21, v25
	v_bfe_u32 v23, v19, 16, 1
	v_bfe_u32 v24, v18, 16, 1
	;; [unrolled: 1-line block ×4, first 2 shown]
	v_add3_u32 v24, v18, v24, s42
	v_add3_u32 v23, v19, v23, s42
	;; [unrolled: 1-line block ×4, first 2 shown]
	v_cmp_o_f32_e32 vcc, v1, v1
	v_and_b32_e32 v1, 0xffff0000, v23
	v_lshrrev_b32_e32 v23, 16, v24
	v_cmp_o_f32_e64 s[2:3], v19, v19
	v_cmp_o_f32_e64 s[4:5], v18, v18
	v_lshrrev_b32_e32 v21, 16, v21
	v_and_b32_e32 v22, 0xffff0000, v22
	v_cmp_o_f32_e64 s[8:9], v20, v20
	v_cndmask_b32_e64 v1, v14, v1, s[2:3]
	v_cndmask_b32_e64 v20, v15, v23, s[4:5]
	;; [unrolled: 1-line block ×3, first 2 shown]
	v_cndmask_b32_e32 v19, v15, v21, vcc
	v_or_b32_e32 v1, v1, v20
	v_or3_b32 v19, 0, v19, v18
	v_or3_b32 v18, v1, 0, 0
	global_store_dwordx2 v[10:11], v[18:19], off
	v_add_co_u32_e32 v10, vcc, s39, v10
	v_addc_co_u32_e32 v11, vcc, v11, v17, vcc
	s_andn2_b64 exec, exec, s[22:23]
	s_cbranch_execnz .LBB665_87
.LBB665_88:
	s_or_b64 exec, exec, s[20:21]
	v_add_co_u32_e32 v4, vcc, v4, v0
	v_addc_co_u32_e32 v5, vcc, 0, v5, vcc
	v_cmp_gt_i64_e32 vcc, s[10:11], v[4:5]
	s_and_saveexec_b64 s[4:5], vcc
	s_cbranch_execz .LBB665_100
; %bb.89:
	v_mov_b32_e32 v1, s33
	v_add_co_u32_e32 v8, vcc, s7, v0
	v_addc_co_u32_e32 v9, vcc, 0, v1, vcc
	v_mov_b32_e32 v1, s11
	v_add_co_u32_e32 v3, vcc, s10, v8
	v_addc_co_u32_e32 v11, vcc, v9, v1, vcc
	v_sub_co_u32_e32 v10, vcc, v3, v6
	v_subb_co_u32_e32 v11, vcc, v11, v7, vcc
	v_mov_b32_e32 v3, s11
	v_cmp_gt_i64_e32 vcc, s[10:11], v[10:11]
	v_cndmask_b32_e32 v3, v11, v3, vcc
	v_mov_b32_e32 v11, s10
	v_cndmask_b32_e32 v10, v10, v11, vcc
	v_add_co_u32_e32 v6, vcc, v6, v10
	v_addc_co_u32_e32 v3, vcc, v7, v3, vcc
	v_subrev_co_u32_e32 v10, vcc, s10, v6
	v_subb_co_u32_e32 v11, vcc, v3, v1, vcc
	v_cmp_ne_u64_e32 vcc, v[10:11], v[8:9]
	v_cndmask_b32_e64 v6, 0, 1, vcc
	v_add_co_u32_e32 v1, vcc, v8, v6
	v_addc_co_u32_e32 v3, vcc, 0, v9, vcc
	v_sub_co_u32_e32 v1, vcc, v10, v1
	v_subb_co_u32_e32 v9, vcc, v11, v3, vcc
	v_mov_b32_e32 v8, 0
	v_cmp_ne_u64_e32 vcc, 0, v[8:9]
                                        ; implicit-def: $vgpr10_vgpr11
	s_and_saveexec_b64 s[2:3], vcc
	s_xor_b64 s[8:9], exec, s[2:3]
	s_cbranch_execz .LBB665_91
; %bb.90:
	v_cvt_f32_u32_e32 v3, s7
	v_mov_b32_e32 v7, 0x4f800000
	s_sub_u32 s2, 0, s7
	s_subb_u32 s3, 0, 0
	v_mac_f32_e32 v3, 0, v7
	v_rcp_f32_e32 v3, v3
	v_mul_f32_e32 v3, 0x5f7ffffc, v3
	v_mul_f32_e32 v7, 0x2f800000, v3
	v_trunc_f32_e32 v7, v7
	v_madmk_f32 v3, v7, 0xcf800000, v3
	v_cvt_u32_f32_e32 v7, v7
	v_cvt_u32_f32_e32 v3, v3
	v_mul_lo_u32 v8, s2, v7
	v_mul_hi_u32 v11, s2, v3
	v_mul_lo_u32 v10, s3, v3
	v_add_u32_e32 v8, v11, v8
	v_mul_lo_u32 v12, s2, v3
	v_add_u32_e32 v8, v8, v10
	v_mul_hi_u32 v11, v3, v12
	v_mul_lo_u32 v13, v3, v8
	v_mul_hi_u32 v10, v3, v8
	v_add_co_u32_e32 v11, vcc, v11, v13
	v_addc_co_u32_e32 v10, vcc, 0, v10, vcc
	v_mul_hi_u32 v14, v7, v12
	v_mul_lo_u32 v12, v7, v12
	v_add_co_u32_e32 v11, vcc, v11, v12
	v_mul_hi_u32 v13, v7, v8
	v_addc_co_u32_e32 v10, vcc, v10, v14, vcc
	v_addc_co_u32_e32 v11, vcc, 0, v13, vcc
	v_mul_lo_u32 v8, v7, v8
	v_add_co_u32_e32 v8, vcc, v10, v8
	v_addc_co_u32_e32 v10, vcc, 0, v11, vcc
	v_add_co_u32_e32 v3, vcc, v3, v8
	v_addc_co_u32_e32 v7, vcc, v7, v10, vcc
	v_mul_lo_u32 v8, s2, v7
	v_mul_hi_u32 v10, s2, v3
	v_add_u32_e32 v8, v10, v8
	v_mul_lo_u32 v10, s3, v3
	v_add_u32_e32 v8, v8, v10
	v_mul_lo_u32 v11, s2, v3
	v_mul_hi_u32 v12, v7, v11
	v_mul_lo_u32 v13, v7, v11
	v_mul_lo_u32 v15, v3, v8
	v_mul_hi_u32 v11, v3, v11
	v_mul_hi_u32 v14, v3, v8
	v_add_co_u32_e32 v11, vcc, v11, v15
	v_addc_co_u32_e32 v14, vcc, 0, v14, vcc
	v_add_co_u32_e32 v11, vcc, v11, v13
	v_mul_hi_u32 v10, v7, v8
	v_addc_co_u32_e32 v11, vcc, v14, v12, vcc
	v_addc_co_u32_e32 v10, vcc, 0, v10, vcc
	v_mul_lo_u32 v8, v7, v8
	v_add_co_u32_e32 v8, vcc, v11, v8
	v_addc_co_u32_e32 v10, vcc, 0, v10, vcc
	v_add_co_u32_e32 v3, vcc, v3, v8
	v_addc_co_u32_e32 v7, vcc, v7, v10, vcc
	v_mad_u64_u32 v[10:11], s[2:3], v1, v7, 0
	v_mul_hi_u32 v8, v1, v3
	v_add_co_u32_e32 v8, vcc, v8, v10
	v_addc_co_u32_e32 v14, vcc, 0, v11, vcc
	v_mad_u64_u32 v[12:13], s[2:3], v9, v3, 0
	v_add_co_u32_e32 v3, vcc, v8, v12
	v_mad_u64_u32 v[10:11], s[2:3], v9, v7, 0
	v_addc_co_u32_e32 v3, vcc, v14, v13, vcc
	v_addc_co_u32_e32 v7, vcc, 0, v11, vcc
	v_add_co_u32_e32 v3, vcc, v3, v10
	v_mad_u64_u32 v[10:11], s[2:3], s7, v3, 0
	v_addc_co_u32_e32 v7, vcc, 0, v7, vcc
	v_mov_b32_e32 v8, v11
	v_mad_u64_u32 v[12:13], s[2:3], s7, v7, v[8:9]
	v_sub_co_u32_e32 v1, vcc, v1, v10
	v_subb_co_u32_e32 v8, vcc, v9, v12, vcc
	v_subrev_co_u32_e32 v9, vcc, s7, v1
	v_subbrev_co_u32_e32 v10, vcc, 0, v8, vcc
	v_cmp_le_u32_e32 vcc, s7, v9
	v_cndmask_b32_e64 v9, 0, -1, vcc
	v_cmp_eq_u32_e32 vcc, 0, v10
	v_cndmask_b32_e32 v9, -1, v9, vcc
	v_add_co_u32_e32 v10, vcc, 2, v3
	v_addc_co_u32_e32 v11, vcc, 0, v7, vcc
	v_add_co_u32_e32 v12, vcc, 1, v3
	v_cmp_le_u32_e64 s[2:3], s7, v1
	v_addc_co_u32_e32 v13, vcc, 0, v7, vcc
	v_cndmask_b32_e64 v1, 0, -1, s[2:3]
	v_cmp_eq_u32_e64 s[2:3], 0, v8
	v_cmp_ne_u32_e32 vcc, 0, v9
	v_cndmask_b32_e64 v1, -1, v1, s[2:3]
	v_cndmask_b32_e32 v9, v13, v11, vcc
	v_cmp_ne_u32_e64 s[2:3], 0, v1
	v_cndmask_b32_e32 v1, v12, v10, vcc
	v_cndmask_b32_e64 v11, v7, v9, s[2:3]
	v_cndmask_b32_e64 v10, v3, v1, s[2:3]
                                        ; implicit-def: $vgpr1
.LBB665_91:
	s_andn2_saveexec_b64 s[2:3], s[8:9]
	s_cbranch_execz .LBB665_93
; %bb.92:
	v_cvt_f32_u32_e32 v3, s7
	s_sub_i32 s8, 0, s7
	v_mov_b32_e32 v11, 0
	v_rcp_iflag_f32_e32 v3, v3
	v_mul_f32_e32 v3, 0x4f7ffffe, v3
	v_cvt_u32_f32_e32 v3, v3
	v_mul_lo_u32 v7, s8, v3
	v_mul_hi_u32 v7, v3, v7
	v_add_u32_e32 v3, v3, v7
	v_mul_hi_u32 v3, v1, v3
	v_mul_lo_u32 v7, v3, s7
	v_sub_u32_e32 v1, v1, v7
	v_add_u32_e32 v8, 1, v3
	v_subrev_u32_e32 v7, s7, v1
	v_cmp_le_u32_e32 vcc, s7, v1
	v_cndmask_b32_e32 v1, v1, v7, vcc
	v_cndmask_b32_e32 v3, v3, v8, vcc
	v_add_u32_e32 v7, 1, v3
	v_cmp_le_u32_e32 vcc, s7, v1
	v_cndmask_b32_e32 v10, v3, v7, vcc
.LBB665_93:
	s_or_b64 exec, exec, s[2:3]
	v_add_co_u32_e32 v1, vcc, v10, v6
	v_addc_co_u32_e32 v3, vcc, 0, v11, vcc
	v_add_co_u32_e32 v6, vcc, 1, v1
	v_addc_co_u32_e32 v7, vcc, 0, v3, vcc
	v_cmp_lt_u64_e32 vcc, 1, v[6:7]
	v_cmp_eq_u16_e64 s[2:3], s7, 1
	s_and_b64 s[20:21], vcc, s[2:3]
	s_mov_b64 s[2:3], -1
	s_and_saveexec_b64 s[8:9], s[20:21]
	s_cbranch_execz .LBB665_97
; %bb.94:
	v_lshlrev_b64 v[12:13], 1, v[4:5]
	v_and_b32_e32 v8, -2, v6
	v_mov_b32_e32 v9, v7
	s_mov_b32 s2, 0
	v_mov_b32_e32 v1, s17
	v_add_co_u32_e32 v12, vcc, s16, v12
	v_mov_b32_e32 v3, v2
	v_lshlrev_b64 v[10:11], 2, v[4:5]
	s_lshl_b32 s22, s7, 3
	v_addc_co_u32_e32 v13, vcc, v1, v13, vcc
	s_mov_b64 s[20:21], 0
	v_mov_b32_e32 v1, s15
	v_mov_b32_e32 v16, s13
	s_movk_i32 s23, 0x7fff
	v_mov_b32_e32 v17, 0x7fc0
	s_mov_b32 s24, 0x5040100
	v_mov_b32_e32 v18, s2
	v_pk_mov_b32 v[14:15], v[8:9], v[8:9] op_sel:[0,1]
.LBB665_95:                             ; =>This Inner Loop Header: Depth=1
	v_add_co_u32_e32 v20, vcc, s14, v10
	v_addc_co_u32_e32 v21, vcc, v1, v11, vcc
	v_add_co_u32_e32 v22, vcc, s12, v10
	v_addc_co_u32_e32 v23, vcc, v16, v11, vcc
	global_load_dwordx2 v[24:25], v[20:21], off
	global_load_dwordx2 v[26:27], v[22:23], off
	v_add_co_u32_e32 v14, vcc, -2, v14
	v_addc_co_u32_e32 v15, vcc, -1, v15, vcc
	v_add_co_u32_e32 v10, vcc, s22, v10
	v_addc_co_u32_e32 v11, vcc, v11, v18, vcc
	v_cmp_eq_u64_e32 vcc, 0, v[14:15]
	s_or_b64 s[20:21], vcc, s[20:21]
	s_waitcnt vmcnt(0)
	v_pk_fma_f32 v[20:21], v[2:3], v[26:27], v[24:25] neg_lo:[1,0,0] neg_hi:[1,0,0]
	v_bfe_u32 v19, v20, 16, 1
	v_bfe_u32 v22, v21, 16, 1
	v_add3_u32 v22, v21, v22, s23
	v_add3_u32 v19, v20, v19, s23
	v_lshrrev_b32_e32 v19, 16, v19
	v_lshrrev_b32_e32 v22, 16, v22
	v_cmp_o_f32_e32 vcc, v21, v21
	v_cmp_o_f32_e64 s[2:3], v20, v20
	v_cndmask_b32_e64 v19, v17, v19, s[2:3]
	v_cndmask_b32_e32 v20, v17, v22, vcc
	v_perm_b32 v19, v20, v19, s24
	global_store_dword v[12:13], v19, off
	v_add_co_u32_e32 v12, vcc, s27, v12
	v_addc_co_u32_e32 v13, vcc, 0, v13, vcc
	s_andn2_b64 exec, exec, s[20:21]
	s_cbranch_execnz .LBB665_95
; %bb.96:
	s_or_b64 exec, exec, s[20:21]
	v_mad_u64_u32 v[4:5], s[2:3], v8, s7, v[4:5]
	v_mov_b32_e32 v10, v5
	v_mad_u64_u32 v[10:11], s[2:3], v9, s7, v[10:11]
	v_cmp_ne_u64_e32 vcc, v[6:7], v[8:9]
	v_mov_b32_e32 v5, v10
	s_orn2_b64 s[2:3], vcc, exec
                                        ; kill: def $vgpr1 killed $sgpr0 killed $exec
.LBB665_97:
	s_or_b64 exec, exec, s[8:9]
	s_and_b64 exec, exec, s[2:3]
	s_cbranch_execz .LBB665_100
; %bb.98:
	v_lshlrev_b64 v[8:9], 1, v[4:5]
	v_mov_b32_e32 v1, s17
	v_add_co_u32_e32 v8, vcc, s16, v8
	s_mov_b32 s16, 0
	v_lshlrev_b64 v[6:7], 2, v[4:5]
	v_addc_co_u32_e32 v9, vcc, v1, v9, vcc
	s_lshl_b32 s8, s7, 1
	s_mov_b64 s[2:3], 0
	v_mov_b32_e32 v1, s15
	v_mov_b32_e32 v3, s13
	s_movk_i32 s9, 0x7fff
	v_mov_b32_e32 v10, 0x7fc0
	v_mov_b32_e32 v11, s33
	;; [unrolled: 1-line block ×3, first 2 shown]
.LBB665_99:                             ; =>This Inner Loop Header: Depth=1
	v_add_co_u32_e32 v14, vcc, s14, v6
	v_addc_co_u32_e32 v15, vcc, v1, v7, vcc
	v_add_co_u32_e32 v16, vcc, s12, v6
	v_addc_co_u32_e32 v17, vcc, v3, v7, vcc
	global_load_dword v13, v[14:15], off
	global_load_dword v18, v[16:17], off
	v_add_co_u32_e32 v4, vcc, s7, v4
	v_addc_co_u32_e32 v5, vcc, v5, v11, vcc
	v_add_co_u32_e32 v6, vcc, s27, v6
	v_addc_co_u32_e32 v7, vcc, 0, v7, vcc
	v_cmp_le_i64_e32 vcc, s[10:11], v[4:5]
	s_or_b64 s[2:3], vcc, s[2:3]
	s_waitcnt vmcnt(0)
	v_fma_f32 v13, -v2, v18, v13
	v_bfe_u32 v14, v13, 16, 1
	v_add3_u32 v14, v13, v14, s9
	v_lshrrev_b32_e32 v14, 16, v14
	v_cmp_o_f32_e32 vcc, v13, v13
	v_cndmask_b32_e32 v13, v10, v14, vcc
	global_store_short v[8:9], v13, off
	v_add_co_u32_e32 v8, vcc, s8, v8
	v_addc_co_u32_e32 v9, vcc, v9, v12, vcc
	s_andn2_b64 exec, exec, s[2:3]
	s_cbranch_execnz .LBB665_99
.LBB665_100:
	s_or_b64 exec, exec, s[4:5]
	s_mov_b64 s[2:3], 0
.LBB665_101:
	s_and_b64 vcc, exec, s[2:3]
	s_cbranch_vccz .LBB665_113
; %bb.102:
	s_and_b64 vcc, exec, s[0:1]
	s_cbranch_vccnz .LBB665_106
; %bb.103:
	s_lshl_b32 s0, s38, 1
	s_sub_u32 s7, s30, s0
	s_subb_u32 s8, s31, 0
	s_lshl_b32 s0, s38, 2
	s_sub_u32 s4, s34, s0
	s_subb_u32 s5, s35, 0
	s_sub_u32 s2, s18, s0
	s_subb_u32 s3, s19, 0
	v_cmp_le_u32_e32 vcc, s38, v0
	s_and_saveexec_b64 s[0:1], vcc
	s_cbranch_execz .LBB665_105
; %bb.104:
	v_mov_b32_e32 v1, 0
	v_lshlrev_b64 v[4:5], 2, v[0:1]
	v_mov_b32_e32 v3, s3
	v_add_co_u32_e32 v6, vcc, s2, v4
	v_addc_co_u32_e32 v7, vcc, v3, v5, vcc
	global_load_dword v3, v[6:7], off
	v_mov_b32_e32 v6, s5
	v_add_co_u32_e32 v4, vcc, s4, v4
	v_addc_co_u32_e32 v5, vcc, v6, v5, vcc
	global_load_dword v6, v[4:5], off
	v_lshlrev_b64 v[4:5], 1, v[0:1]
	s_movk_i32 s9, 0x7fff
	v_mov_b32_e32 v7, 0x7fc0
	v_mov_b32_e32 v8, s8
	s_waitcnt vmcnt(0) lgkmcnt(0)
	v_fma_f32 v1, -v2, v6, v3
	v_bfe_u32 v3, v1, 16, 1
	v_add3_u32 v3, v1, v3, s9
	v_lshrrev_b32_e32 v3, 16, v3
	v_cmp_o_f32_e32 vcc, v1, v1
	v_cndmask_b32_e32 v1, v7, v3, vcc
	v_add_co_u32_e32 v4, vcc, s7, v4
	v_addc_co_u32_e32 v5, vcc, v8, v5, vcc
	global_store_short v[4:5], v1, off
.LBB665_105:
	s_or_b64 exec, exec, s[0:1]
	s_add_i32 s0, s38, s26
	v_mov_b32_e32 v1, s36
	v_sub_u32_e64 v1, s0, v1 clamp
	s_lshl_b32 s0, s36, 1
	s_add_u32 s30, s7, s0
	s_addc_u32 s31, s8, 0
	s_lshl_b32 s0, s36, 2
	s_add_u32 s34, s4, s0
	s_addc_u32 s35, s5, 0
	s_add_u32 s18, s2, s0
	v_readfirstlane_b32 s26, v1
	s_addc_u32 s19, s3, 0
.LBB665_106:
	s_load_dword s0, s[28:29], 0x0
	v_mov_b32_e32 v1, 0
	s_waitcnt lgkmcnt(0)
	s_cmp_lt_u32 s6, s0
	s_cselect_b32 s0, 12, 18
	s_add_u32 s0, s28, s0
	s_addc_u32 s1, s29, 0
	global_load_ushort v6, v1, s[0:1]
	s_waitcnt vmcnt(0)
	v_readfirstlane_b32 s0, v6
	s_lshl_b32 s0, s0, 2
	v_cvt_f32_u32_e32 v1, s0
	s_sub_i32 s1, 0, s0
	v_rcp_iflag_f32_e32 v1, v1
	v_mul_f32_e32 v1, 0x4f7ffffe, v1
	v_cvt_u32_f32_e32 v1, v1
	v_readfirstlane_b32 s2, v1
	s_mul_i32 s1, s1, s2
	s_mul_hi_u32 s1, s2, s1
	s_add_i32 s2, s2, s1
	s_mul_hi_u32 s1, s26, s2
	s_mul_i32 s1, s1, s0
	s_sub_i32 s1, s26, s1
	s_sub_i32 s2, s1, s0
	s_cmp_ge_u32 s1, s0
	s_cselect_b32 s1, s2, s1
	s_sub_i32 s2, s1, s0
	s_cmp_ge_u32 s1, s0
	s_cselect_b32 s0, s2, s1
	s_sub_i32 s6, s26, s0
	v_lshlrev_b32_e32 v1, 2, v0
	v_cmp_gt_i32_e32 vcc, s6, v1
	s_and_saveexec_b64 s[2:3], vcc
	s_cbranch_execz .LBB665_109
; %bb.107:
	v_mov_b32_e32 v3, v2
	s_mov_b64 s[4:5], 0
	v_mov_b32_e32 v1, s35
	v_mov_b32_e32 v7, s19
	s_movk_i32 s7, 0x7fff
	v_mov_b32_e32 v8, s31
	v_mov_b32_e32 v9, 0x7fc00000
	v_mov_b32_e32 v10, 0x7fc0
	v_mov_b32_e32 v4, v0
.LBB665_108:                            ; =>This Inner Loop Header: Depth=1
	v_ashrrev_i32_e32 v5, 31, v4
	v_lshlrev_b64 v[16:17], 4, v[4:5]
	v_add_co_u32_e32 v12, vcc, s34, v16
	v_addc_co_u32_e32 v13, vcc, v1, v17, vcc
	v_add_co_u32_e32 v16, vcc, s18, v16
	v_addc_co_u32_e32 v17, vcc, v7, v17, vcc
	global_load_dwordx4 v[12:15], v[12:13], off
	v_lshlrev_b64 v[20:21], 3, v[4:5]
	global_load_dwordx4 v[16:19], v[16:17], off
	v_add_u32_e32 v4, v4, v6
	v_add_co_u32_e32 v20, vcc, s30, v20
	v_addc_co_u32_e32 v21, vcc, v8, v21, vcc
	v_lshlrev_b32_e32 v5, 2, v4
	v_cmp_le_i32_e32 vcc, s6, v5
	s_or_b64 s[4:5], vcc, s[4:5]
	s_waitcnt vmcnt(0)
	v_fma_f32 v11, -v2, v15, v19
	v_fma_f32 v5, -v2, v14, v18
	v_bfe_u32 v15, v11, 16, 1
	v_pk_fma_f32 v[12:13], v[2:3], v[12:13], v[16:17] neg_lo:[1,0,0] neg_hi:[1,0,0]
	v_bfe_u32 v14, v5, 16, 1
	v_add3_u32 v15, v11, v15, s7
	v_bfe_u32 v16, v13, 16, 1
	v_add3_u32 v14, v5, v14, s7
	v_and_b32_e32 v15, 0xffff0000, v15
	v_cmp_o_f32_e64 s[0:1], v11, v11
	v_bfe_u32 v17, v12, 16, 1
	v_add3_u32 v16, v13, v16, s7
	v_lshrrev_b32_e32 v14, 16, v14
	v_cndmask_b32_e64 v11, v9, v15, s[0:1]
	v_cmp_o_f32_e64 s[0:1], v5, v5
	v_add3_u32 v17, v12, v17, s7
	v_and_b32_e32 v16, 0xffff0000, v16
	v_cndmask_b32_e64 v5, v10, v14, s[0:1]
	v_cmp_o_f32_e64 s[0:1], v13, v13
	v_lshrrev_b32_e32 v17, 16, v17
	v_cndmask_b32_e64 v13, v9, v16, s[0:1]
	v_cmp_o_f32_e64 s[0:1], v12, v12
	v_cndmask_b32_e64 v12, v10, v17, s[0:1]
	v_or_b32_e32 v12, v13, v12
	v_or3_b32 v13, 0, v5, v11
	v_or3_b32 v12, v12, 0, 0
	global_store_dwordx2 v[20:21], v[12:13], off
	s_andn2_b64 exec, exec, s[4:5]
	s_cbranch_execnz .LBB665_108
.LBB665_109:
	s_or_b64 exec, exec, s[2:3]
	v_add_u32_e32 v0, s6, v0
	v_cmp_gt_i32_e32 vcc, s26, v0
	s_and_saveexec_b64 s[0:1], vcc
	s_cbranch_execz .LBB665_113
; %bb.110:
	s_mov_b64 s[2:3], 0
	v_mov_b32_e32 v3, s19
	v_mov_b32_e32 v4, s35
	s_movk_i32 s4, 0x7fff
	v_mov_b32_e32 v5, 0x7fc0
	v_mov_b32_e32 v7, s31
.LBB665_111:                            ; =>This Inner Loop Header: Depth=1
	v_ashrrev_i32_e32 v1, 31, v0
	v_lshlrev_b64 v[8:9], 2, v[0:1]
	v_add_co_u32_e32 v10, vcc, s18, v8
	v_addc_co_u32_e32 v11, vcc, v3, v9, vcc
	v_add_co_u32_e32 v8, vcc, s34, v8
	v_addc_co_u32_e32 v9, vcc, v4, v9, vcc
	global_load_dword v10, v[10:11], off
	s_nop 0
	global_load_dword v11, v[8:9], off
	v_lshlrev_b64 v[8:9], 1, v[0:1]
	v_add_co_u32_e32 v8, vcc, s30, v8
	v_add_u32_e32 v0, v0, v6
	v_addc_co_u32_e32 v9, vcc, v7, v9, vcc
	v_cmp_le_i32_e32 vcc, s26, v0
	s_or_b64 s[2:3], vcc, s[2:3]
	s_waitcnt vmcnt(0)
	v_fma_f32 v1, -v2, v11, v10
	v_bfe_u32 v10, v1, 16, 1
	v_add3_u32 v10, v1, v10, s4
	v_lshrrev_b32_e32 v10, 16, v10
	v_cmp_o_f32_e64 s[0:1], v1, v1
	v_cndmask_b32_e64 v1, v5, v10, s[0:1]
	global_store_short v[8:9], v1, off
	s_andn2_b64 exec, exec, s[2:3]
	s_cbranch_execnz .LBB665_111
	s_branch .LBB665_113
.LBB665_112:
	s_cbranch_execz .LBB665_77
.LBB665_113:
	s_endpgm
.LBB665_114:
                                        ; implicit-def: $vgpr6_vgpr7
	s_branch .LBB665_84
	.section	.rodata,"a",@progbits
	.p2align	6, 0x0
	.amdhsa_kernel _ZN2at6native12_GLOBAL__N_120cunn_SoftMaxBackwardILi4EN3c108BFloat16EffNS1_23SoftMaxBackwardEpilogueEEEvPT0_PKT2_SA_l
		.amdhsa_group_segment_fixed_size 0
		.amdhsa_private_segment_fixed_size 0
		.amdhsa_kernarg_size 288
		.amdhsa_user_sgpr_count 6
		.amdhsa_user_sgpr_private_segment_buffer 1
		.amdhsa_user_sgpr_dispatch_ptr 0
		.amdhsa_user_sgpr_queue_ptr 0
		.amdhsa_user_sgpr_kernarg_segment_ptr 1
		.amdhsa_user_sgpr_dispatch_id 0
		.amdhsa_user_sgpr_flat_scratch_init 0
		.amdhsa_user_sgpr_kernarg_preload_length 0
		.amdhsa_user_sgpr_kernarg_preload_offset 0
		.amdhsa_user_sgpr_private_segment_size 0
		.amdhsa_uses_dynamic_stack 0
		.amdhsa_system_sgpr_private_segment_wavefront_offset 0
		.amdhsa_system_sgpr_workgroup_id_x 1
		.amdhsa_system_sgpr_workgroup_id_y 0
		.amdhsa_system_sgpr_workgroup_id_z 0
		.amdhsa_system_sgpr_workgroup_info 0
		.amdhsa_system_vgpr_workitem_id 0
		.amdhsa_next_free_vgpr 34
		.amdhsa_next_free_sgpr 71
		.amdhsa_accum_offset 36
		.amdhsa_reserve_vcc 1
		.amdhsa_reserve_flat_scratch 0
		.amdhsa_float_round_mode_32 0
		.amdhsa_float_round_mode_16_64 0
		.amdhsa_float_denorm_mode_32 3
		.amdhsa_float_denorm_mode_16_64 3
		.amdhsa_dx10_clamp 1
		.amdhsa_ieee_mode 1
		.amdhsa_fp16_overflow 0
		.amdhsa_tg_split 0
		.amdhsa_exception_fp_ieee_invalid_op 0
		.amdhsa_exception_fp_denorm_src 0
		.amdhsa_exception_fp_ieee_div_zero 0
		.amdhsa_exception_fp_ieee_overflow 0
		.amdhsa_exception_fp_ieee_underflow 0
		.amdhsa_exception_fp_ieee_inexact 0
		.amdhsa_exception_int_div_zero 0
	.end_amdhsa_kernel
	.section	.text._ZN2at6native12_GLOBAL__N_120cunn_SoftMaxBackwardILi4EN3c108BFloat16EffNS1_23SoftMaxBackwardEpilogueEEEvPT0_PKT2_SA_l,"axG",@progbits,_ZN2at6native12_GLOBAL__N_120cunn_SoftMaxBackwardILi4EN3c108BFloat16EffNS1_23SoftMaxBackwardEpilogueEEEvPT0_PKT2_SA_l,comdat
.Lfunc_end665:
	.size	_ZN2at6native12_GLOBAL__N_120cunn_SoftMaxBackwardILi4EN3c108BFloat16EffNS1_23SoftMaxBackwardEpilogueEEEvPT0_PKT2_SA_l, .Lfunc_end665-_ZN2at6native12_GLOBAL__N_120cunn_SoftMaxBackwardILi4EN3c108BFloat16EffNS1_23SoftMaxBackwardEpilogueEEEvPT0_PKT2_SA_l
                                        ; -- End function
	.section	.AMDGPU.csdata,"",@progbits
; Kernel info:
; codeLenInByte = 9540
; NumSgprs: 75
; NumVgprs: 34
; NumAgprs: 0
; TotalNumVgprs: 34
; ScratchSize: 0
; MemoryBound: 0
; FloatMode: 240
; IeeeMode: 1
; LDSByteSize: 0 bytes/workgroup (compile time only)
; SGPRBlocks: 9
; VGPRBlocks: 4
; NumSGPRsForWavesPerEU: 75
; NumVGPRsForWavesPerEU: 34
; AccumOffset: 36
; Occupancy: 8
; WaveLimiterHint : 0
; COMPUTE_PGM_RSRC2:SCRATCH_EN: 0
; COMPUTE_PGM_RSRC2:USER_SGPR: 6
; COMPUTE_PGM_RSRC2:TRAP_HANDLER: 0
; COMPUTE_PGM_RSRC2:TGID_X_EN: 1
; COMPUTE_PGM_RSRC2:TGID_Y_EN: 0
; COMPUTE_PGM_RSRC2:TGID_Z_EN: 0
; COMPUTE_PGM_RSRC2:TIDIG_COMP_CNT: 0
; COMPUTE_PGM_RSRC3_GFX90A:ACCUM_OFFSET: 8
; COMPUTE_PGM_RSRC3_GFX90A:TG_SPLIT: 0
	.section	.text._ZN2at6native12_GLOBAL__N_127cunn_SpatialSoftMaxBackwardIdddNS1_23SoftMaxBackwardEpilogueEEEvPT_PKT1_S8_jjj,"axG",@progbits,_ZN2at6native12_GLOBAL__N_127cunn_SpatialSoftMaxBackwardIdddNS1_23SoftMaxBackwardEpilogueEEEvPT_PKT1_S8_jjj,comdat
	.globl	_ZN2at6native12_GLOBAL__N_127cunn_SpatialSoftMaxBackwardIdddNS1_23SoftMaxBackwardEpilogueEEEvPT_PKT1_S8_jjj ; -- Begin function _ZN2at6native12_GLOBAL__N_127cunn_SpatialSoftMaxBackwardIdddNS1_23SoftMaxBackwardEpilogueEEEvPT_PKT1_S8_jjj
	.p2align	8
	.type	_ZN2at6native12_GLOBAL__N_127cunn_SpatialSoftMaxBackwardIdddNS1_23SoftMaxBackwardEpilogueEEEvPT_PKT1_S8_jjj,@function
_ZN2at6native12_GLOBAL__N_127cunn_SpatialSoftMaxBackwardIdddNS1_23SoftMaxBackwardEpilogueEEEvPT_PKT1_S8_jjj: ; @_ZN2at6native12_GLOBAL__N_127cunn_SpatialSoftMaxBackwardIdddNS1_23SoftMaxBackwardEpilogueEEEvPT_PKT1_S8_jjj
; %bb.0:
	s_load_dwordx4 s[12:15], s[4:5], 0x18
	s_waitcnt lgkmcnt(0)
	s_cmp_ge_u32 s6, s12
	s_cbranch_scc1 .LBB666_26
; %bb.1:
	s_load_dwordx2 s[10:11], s[4:5], 0x28
	s_load_dword s0, s[4:5], 0x34
	s_load_dwordx4 s[16:19], s[4:5], 0x0
	s_load_dwordx2 s[20:21], s[4:5], 0x10
	s_add_u32 s22, s4, 40
	s_addc_u32 s23, s5, 0
	s_waitcnt lgkmcnt(0)
	s_lshr_b32 s4, s0, 16
	v_and_b32_e32 v6, 0x3ff, v0
	s_mul_i32 s9, s6, s13
	s_mul_i32 s8, s7, s4
	v_bfe_u32 v4, v0, 10, 10
	s_cmp_lg_u32 s13, 0
	s_mul_i32 s7, s11, s4
	s_mul_i32 s11, s9, s14
	v_add_u32_e32 v0, s9, v6
	s_cselect_b64 s[4:5], -1, 0
	s_add_i32 s11, s8, s11
	v_mul_lo_u32 v0, s14, v0
	v_add_u32_e32 v5, s8, v4
	v_add_u32_e32 v7, s11, v4
	s_mul_i32 s11, s10, s14
	v_add3_u32 v8, v4, v0, s8
	v_cndmask_b32_e64 v0, 0, 1, s[4:5]
	v_cmp_gt_u32_e64 s[0:1], s14, v5
	v_cmp_gt_u32_e64 s[2:3], s13, v6
	s_mul_i32 s11, s11, s13
	v_cmp_ne_u32_e64 s[4:5], 1, v0
	v_mov_b32_e32 v1, 0
	s_branch .LBB666_3
.LBB666_2:                              ;   in Loop: Header=BB666_3 Depth=1
	s_or_b64 exec, exec, s[24:25]
	s_add_i32 s6, s10, s6
	v_add_u32_e32 v7, s11, v7
	s_cmp_ge_u32 s6, s12
	v_add_u32_e32 v8, s11, v8
	s_cbranch_scc1 .LBB666_26
.LBB666_3:                              ; =>This Loop Header: Depth=1
                                        ;     Child Loop BB666_7 Depth 2
                                        ;       Child Loop BB666_10 Depth 3
                                        ;       Child Loop BB666_12 Depth 3
	;; [unrolled: 1-line block ×5, first 2 shown]
	s_and_saveexec_b64 s[24:25], s[0:1]
	s_cbranch_execz .LBB666_2
; %bb.4:                                ;   in Loop: Header=BB666_3 Depth=1
	s_load_dword s8, s[22:23], 0xc
	s_mov_b64 s[26:27], 0
	v_mov_b32_e32 v11, v8
	v_mov_b32_e32 v12, v7
	;; [unrolled: 1-line block ×3, first 2 shown]
	s_waitcnt lgkmcnt(0)
	s_and_b32 s15, s8, 0xffff
	s_cmp_lt_u32 s15, 2
	v_mul_u32_u24_e32 v0, s15, v4
	s_cselect_b64 s[8:9], -1, 0
	v_lshl_add_u32 v9, v0, 3, 0
	v_cndmask_b32_e64 v0, 0, 1, s[8:9]
	s_mul_i32 s33, s14, s15
	v_lshl_add_u32 v10, v6, 3, v9
	v_cmp_ne_u32_e64 s[8:9], 1, v0
	s_branch .LBB666_7
.LBB666_5:                              ;   in Loop: Header=BB666_7 Depth=2
	s_or_b64 exec, exec, s[28:29]
.LBB666_6:                              ;   in Loop: Header=BB666_7 Depth=2
	v_add_u32_e32 v13, s7, v13
	v_cmp_le_u32_e32 vcc, s14, v13
	v_add_u32_e32 v12, s7, v12
	s_or_b64 s[26:27], vcc, s[26:27]
	v_add_u32_e32 v11, s7, v11
	s_andn2_b64 exec, exec, s[26:27]
	s_cbranch_execz .LBB666_2
.LBB666_7:                              ;   Parent Loop BB666_3 Depth=1
                                        ; =>  This Loop Header: Depth=2
                                        ;       Child Loop BB666_10 Depth 3
                                        ;       Child Loop BB666_12 Depth 3
	;; [unrolled: 1-line block ×5, first 2 shown]
	s_and_b64 vcc, exec, s[8:9]
	s_mov_b64 s[28:29], -1
	s_cbranch_vccnz .LBB666_14
; %bb.8:                                ;   in Loop: Header=BB666_7 Depth=2
	v_pk_mov_b32 v[2:3], 0, 0
	s_and_b64 vcc, exec, s[4:5]
	s_cbranch_vccnz .LBB666_11
; %bb.9:                                ;   in Loop: Header=BB666_7 Depth=2
	v_mov_b32_e32 v0, v12
	s_mov_b32 s28, s13
.LBB666_10:                             ;   Parent Loop BB666_3 Depth=1
                                        ;     Parent Loop BB666_7 Depth=2
                                        ; =>    This Inner Loop Header: Depth=3
	v_lshlrev_b64 v[14:15], 3, v[0:1]
	v_mov_b32_e32 v16, s21
	v_add_co_u32_e32 v14, vcc, s20, v14
	v_addc_co_u32_e32 v15, vcc, v16, v15, vcc
	global_load_dwordx2 v[14:15], v[14:15], off
	s_add_i32 s28, s28, -1
	v_add_u32_e32 v0, s14, v0
	s_cmp_eq_u32 s28, 0
	s_waitcnt vmcnt(0)
	v_add_f64 v[2:3], v[2:3], v[14:15]
	s_cbranch_scc0 .LBB666_10
.LBB666_11:                             ;   in Loop: Header=BB666_7 Depth=2
	s_and_b64 vcc, exec, s[4:5]
	v_mov_b32_e32 v0, v12
	s_mov_b32 s28, s13
	s_cbranch_vccnz .LBB666_13
.LBB666_12:                             ;   Parent Loop BB666_3 Depth=1
                                        ;     Parent Loop BB666_7 Depth=2
                                        ; =>    This Inner Loop Header: Depth=3
	v_lshlrev_b64 v[14:15], 3, v[0:1]
	v_mov_b32_e32 v17, s21
	v_add_co_u32_e32 v16, vcc, s20, v14
	v_addc_co_u32_e32 v17, vcc, v17, v15, vcc
	v_mov_b32_e32 v19, s19
	v_add_co_u32_e32 v18, vcc, s18, v14
	v_addc_co_u32_e32 v19, vcc, v19, v15, vcc
	global_load_dwordx2 v[20:21], v[16:17], off
	global_load_dwordx2 v[22:23], v[18:19], off
	v_mov_b32_e32 v16, s17
	s_add_i32 s28, s28, -1
	v_add_co_u32_e32 v14, vcc, s16, v14
	v_add_u32_e32 v0, s14, v0
	v_addc_co_u32_e32 v15, vcc, v16, v15, vcc
	s_cmp_lg_u32 s28, 0
	s_waitcnt vmcnt(0)
	v_fma_f64 v[16:17], -v[2:3], v[22:23], v[20:21]
	global_store_dwordx2 v[14:15], v[16:17], off
	s_cbranch_scc1 .LBB666_12
.LBB666_13:                             ;   in Loop: Header=BB666_7 Depth=2
	s_mov_b64 s[28:29], 0
.LBB666_14:                             ;   in Loop: Header=BB666_7 Depth=2
	s_and_b64 vcc, exec, s[28:29]
	s_cbranch_vccz .LBB666_6
; %bb.15:                               ;   in Loop: Header=BB666_7 Depth=2
	v_pk_mov_b32 v[2:3], 0, 0
	s_and_saveexec_b64 s[28:29], s[2:3]
	s_cbranch_execz .LBB666_19
; %bb.16:                               ;   in Loop: Header=BB666_7 Depth=2
	s_mov_b64 s[30:31], 0
	v_pk_mov_b32 v[2:3], 0, 0
	v_mov_b32_e32 v0, v11
	v_mov_b32_e32 v14, v6
.LBB666_17:                             ;   Parent Loop BB666_3 Depth=1
                                        ;     Parent Loop BB666_7 Depth=2
                                        ; =>    This Inner Loop Header: Depth=3
	v_lshlrev_b64 v[16:17], 3, v[0:1]
	v_mov_b32_e32 v15, s21
	v_add_co_u32_e32 v16, vcc, s20, v16
	v_addc_co_u32_e32 v17, vcc, v15, v17, vcc
	global_load_dwordx2 v[16:17], v[16:17], off
	v_add_u32_e32 v14, s15, v14
	v_cmp_le_u32_e32 vcc, s13, v14
	v_add_u32_e32 v0, s33, v0
	s_or_b64 s[30:31], vcc, s[30:31]
	s_waitcnt vmcnt(0)
	v_add_f64 v[2:3], v[2:3], v[16:17]
	s_andn2_b64 exec, exec, s[30:31]
	s_cbranch_execnz .LBB666_17
; %bb.18:                               ;   in Loop: Header=BB666_7 Depth=2
	s_or_b64 exec, exec, s[30:31]
.LBB666_19:                             ;   in Loop: Header=BB666_7 Depth=2
	s_or_b64 exec, exec, s[28:29]
	s_mov_b32 s30, s15
	s_barrier
	ds_write_b64 v10, v[2:3]
	s_branch .LBB666_21
.LBB666_20:                             ;   in Loop: Header=BB666_21 Depth=3
	s_or_b64 exec, exec, s[28:29]
	s_cmp_gt_u32 s30, 3
	s_mov_b32 s30, s31
	s_cbranch_scc0 .LBB666_23
.LBB666_21:                             ;   Parent Loop BB666_3 Depth=1
                                        ;     Parent Loop BB666_7 Depth=2
                                        ; =>    This Inner Loop Header: Depth=3
	s_lshr_b32 s31, s30, 1
	v_cmp_gt_u32_e32 vcc, s31, v6
	s_waitcnt lgkmcnt(0)
	s_barrier
	s_and_saveexec_b64 s[28:29], vcc
	s_cbranch_execz .LBB666_20
; %bb.22:                               ;   in Loop: Header=BB666_21 Depth=3
	v_lshl_add_u32 v0, s31, 3, v10
	ds_read_b64 v[2:3], v10
	ds_read_b64 v[14:15], v0
	s_waitcnt lgkmcnt(0)
	v_add_f64 v[2:3], v[2:3], v[14:15]
	ds_write_b64 v10, v[2:3]
	s_branch .LBB666_20
.LBB666_23:                             ;   in Loop: Header=BB666_7 Depth=2
	s_waitcnt lgkmcnt(0)
	s_barrier
	s_and_saveexec_b64 s[28:29], s[2:3]
	s_cbranch_execz .LBB666_5
; %bb.24:                               ;   in Loop: Header=BB666_7 Depth=2
	ds_read_b64 v[2:3], v9
	s_mov_b64 s[30:31], 0
	v_mov_b32_e32 v0, v11
	v_mov_b32_e32 v14, v6
.LBB666_25:                             ;   Parent Loop BB666_3 Depth=1
                                        ;     Parent Loop BB666_7 Depth=2
                                        ; =>    This Inner Loop Header: Depth=3
	v_lshlrev_b64 v[16:17], 3, v[0:1]
	v_mov_b32_e32 v15, s21
	v_add_co_u32_e32 v18, vcc, s20, v16
	v_addc_co_u32_e32 v19, vcc, v15, v17, vcc
	v_mov_b32_e32 v21, s19
	v_add_co_u32_e32 v20, vcc, s18, v16
	v_addc_co_u32_e32 v21, vcc, v21, v17, vcc
	global_load_dwordx2 v[22:23], v[18:19], off
	global_load_dwordx2 v[24:25], v[20:21], off
	v_mov_b32_e32 v15, s17
	v_add_co_u32_e32 v16, vcc, s16, v16
	v_add_u32_e32 v14, s15, v14
	v_addc_co_u32_e32 v17, vcc, v15, v17, vcc
	v_cmp_le_u32_e32 vcc, s13, v14
	v_add_u32_e32 v0, s33, v0
	s_or_b64 s[30:31], vcc, s[30:31]
	s_waitcnt vmcnt(0) lgkmcnt(0)
	v_fma_f64 v[18:19], -v[2:3], v[24:25], v[22:23]
	global_store_dwordx2 v[16:17], v[18:19], off
	s_andn2_b64 exec, exec, s[30:31]
	s_cbranch_execnz .LBB666_25
	s_branch .LBB666_5
.LBB666_26:
	s_endpgm
	.section	.rodata,"a",@progbits
	.p2align	6, 0x0
	.amdhsa_kernel _ZN2at6native12_GLOBAL__N_127cunn_SpatialSoftMaxBackwardIdddNS1_23SoftMaxBackwardEpilogueEEEvPT_PKT1_S8_jjj
		.amdhsa_group_segment_fixed_size 0
		.amdhsa_private_segment_fixed_size 0
		.amdhsa_kernarg_size 296
		.amdhsa_user_sgpr_count 6
		.amdhsa_user_sgpr_private_segment_buffer 1
		.amdhsa_user_sgpr_dispatch_ptr 0
		.amdhsa_user_sgpr_queue_ptr 0
		.amdhsa_user_sgpr_kernarg_segment_ptr 1
		.amdhsa_user_sgpr_dispatch_id 0
		.amdhsa_user_sgpr_flat_scratch_init 0
		.amdhsa_user_sgpr_kernarg_preload_length 0
		.amdhsa_user_sgpr_kernarg_preload_offset 0
		.amdhsa_user_sgpr_private_segment_size 0
		.amdhsa_uses_dynamic_stack 0
		.amdhsa_system_sgpr_private_segment_wavefront_offset 0
		.amdhsa_system_sgpr_workgroup_id_x 1
		.amdhsa_system_sgpr_workgroup_id_y 1
		.amdhsa_system_sgpr_workgroup_id_z 0
		.amdhsa_system_sgpr_workgroup_info 0
		.amdhsa_system_vgpr_workitem_id 1
		.amdhsa_next_free_vgpr 26
		.amdhsa_next_free_sgpr 34
		.amdhsa_accum_offset 28
		.amdhsa_reserve_vcc 1
		.amdhsa_reserve_flat_scratch 0
		.amdhsa_float_round_mode_32 0
		.amdhsa_float_round_mode_16_64 0
		.amdhsa_float_denorm_mode_32 3
		.amdhsa_float_denorm_mode_16_64 3
		.amdhsa_dx10_clamp 1
		.amdhsa_ieee_mode 1
		.amdhsa_fp16_overflow 0
		.amdhsa_tg_split 0
		.amdhsa_exception_fp_ieee_invalid_op 0
		.amdhsa_exception_fp_denorm_src 0
		.amdhsa_exception_fp_ieee_div_zero 0
		.amdhsa_exception_fp_ieee_overflow 0
		.amdhsa_exception_fp_ieee_underflow 0
		.amdhsa_exception_fp_ieee_inexact 0
		.amdhsa_exception_int_div_zero 0
	.end_amdhsa_kernel
	.section	.text._ZN2at6native12_GLOBAL__N_127cunn_SpatialSoftMaxBackwardIdddNS1_23SoftMaxBackwardEpilogueEEEvPT_PKT1_S8_jjj,"axG",@progbits,_ZN2at6native12_GLOBAL__N_127cunn_SpatialSoftMaxBackwardIdddNS1_23SoftMaxBackwardEpilogueEEEvPT_PKT1_S8_jjj,comdat
.Lfunc_end666:
	.size	_ZN2at6native12_GLOBAL__N_127cunn_SpatialSoftMaxBackwardIdddNS1_23SoftMaxBackwardEpilogueEEEvPT_PKT1_S8_jjj, .Lfunc_end666-_ZN2at6native12_GLOBAL__N_127cunn_SpatialSoftMaxBackwardIdddNS1_23SoftMaxBackwardEpilogueEEEvPT_PKT1_S8_jjj
                                        ; -- End function
	.section	.AMDGPU.csdata,"",@progbits
; Kernel info:
; codeLenInByte = 920
; NumSgprs: 38
; NumVgprs: 26
; NumAgprs: 0
; TotalNumVgprs: 26
; ScratchSize: 0
; MemoryBound: 0
; FloatMode: 240
; IeeeMode: 1
; LDSByteSize: 0 bytes/workgroup (compile time only)
; SGPRBlocks: 4
; VGPRBlocks: 3
; NumSGPRsForWavesPerEU: 38
; NumVGPRsForWavesPerEU: 26
; AccumOffset: 28
; Occupancy: 8
; WaveLimiterHint : 0
; COMPUTE_PGM_RSRC2:SCRATCH_EN: 0
; COMPUTE_PGM_RSRC2:USER_SGPR: 6
; COMPUTE_PGM_RSRC2:TRAP_HANDLER: 0
; COMPUTE_PGM_RSRC2:TGID_X_EN: 1
; COMPUTE_PGM_RSRC2:TGID_Y_EN: 1
; COMPUTE_PGM_RSRC2:TGID_Z_EN: 0
; COMPUTE_PGM_RSRC2:TIDIG_COMP_CNT: 1
; COMPUTE_PGM_RSRC3_GFX90A:ACCUM_OFFSET: 6
; COMPUTE_PGM_RSRC3_GFX90A:TG_SPLIT: 0
	.section	.text._ZN2at6native12_GLOBAL__N_127cunn_SpatialSoftMaxBackwardIfffNS1_23SoftMaxBackwardEpilogueEEEvPT_PKT1_S8_jjj,"axG",@progbits,_ZN2at6native12_GLOBAL__N_127cunn_SpatialSoftMaxBackwardIfffNS1_23SoftMaxBackwardEpilogueEEEvPT_PKT1_S8_jjj,comdat
	.globl	_ZN2at6native12_GLOBAL__N_127cunn_SpatialSoftMaxBackwardIfffNS1_23SoftMaxBackwardEpilogueEEEvPT_PKT1_S8_jjj ; -- Begin function _ZN2at6native12_GLOBAL__N_127cunn_SpatialSoftMaxBackwardIfffNS1_23SoftMaxBackwardEpilogueEEEvPT_PKT1_S8_jjj
	.p2align	8
	.type	_ZN2at6native12_GLOBAL__N_127cunn_SpatialSoftMaxBackwardIfffNS1_23SoftMaxBackwardEpilogueEEEvPT_PKT1_S8_jjj,@function
_ZN2at6native12_GLOBAL__N_127cunn_SpatialSoftMaxBackwardIfffNS1_23SoftMaxBackwardEpilogueEEEvPT_PKT1_S8_jjj: ; @_ZN2at6native12_GLOBAL__N_127cunn_SpatialSoftMaxBackwardIfffNS1_23SoftMaxBackwardEpilogueEEEvPT_PKT1_S8_jjj
; %bb.0:
	s_load_dwordx4 s[12:15], s[4:5], 0x18
	s_waitcnt lgkmcnt(0)
	s_cmp_ge_u32 s6, s12
	s_cbranch_scc1 .LBB667_26
; %bb.1:
	s_load_dwordx2 s[10:11], s[4:5], 0x28
	s_load_dword s0, s[4:5], 0x34
	s_load_dwordx4 s[16:19], s[4:5], 0x0
	s_load_dwordx2 s[20:21], s[4:5], 0x10
	s_add_u32 s22, s4, 40
	s_addc_u32 s23, s5, 0
	s_waitcnt lgkmcnt(0)
	s_lshr_b32 s4, s0, 16
	v_and_b32_e32 v4, 0x3ff, v0
	s_mul_i32 s9, s6, s13
	s_mul_i32 s8, s7, s4
	v_bfe_u32 v2, v0, 10, 10
	s_cmp_lg_u32 s13, 0
	s_mul_i32 s7, s11, s4
	s_mul_i32 s11, s9, s14
	v_add_u32_e32 v0, s9, v4
	s_cselect_b64 s[4:5], -1, 0
	s_add_i32 s11, s8, s11
	v_mul_lo_u32 v0, s14, v0
	v_add_u32_e32 v3, s8, v2
	v_add_u32_e32 v5, s11, v2
	s_mul_i32 s11, s10, s14
	v_add3_u32 v6, v2, v0, s8
	v_cndmask_b32_e64 v0, 0, 1, s[4:5]
	v_cmp_gt_u32_e64 s[0:1], s14, v3
	v_cmp_gt_u32_e64 s[2:3], s13, v4
	s_mul_i32 s11, s11, s13
	v_cmp_ne_u32_e64 s[4:5], 1, v0
	v_mov_b32_e32 v1, 0
	s_branch .LBB667_3
.LBB667_2:                              ;   in Loop: Header=BB667_3 Depth=1
	s_or_b64 exec, exec, s[24:25]
	s_add_i32 s6, s10, s6
	v_add_u32_e32 v5, s11, v5
	s_cmp_ge_u32 s6, s12
	v_add_u32_e32 v6, s11, v6
	s_cbranch_scc1 .LBB667_26
.LBB667_3:                              ; =>This Loop Header: Depth=1
                                        ;     Child Loop BB667_7 Depth 2
                                        ;       Child Loop BB667_10 Depth 3
                                        ;       Child Loop BB667_12 Depth 3
	;; [unrolled: 1-line block ×5, first 2 shown]
	s_and_saveexec_b64 s[24:25], s[0:1]
	s_cbranch_execz .LBB667_2
; %bb.4:                                ;   in Loop: Header=BB667_3 Depth=1
	s_load_dword s8, s[22:23], 0xc
	s_mov_b64 s[26:27], 0
	v_mov_b32_e32 v9, v6
	v_mov_b32_e32 v10, v5
	v_mov_b32_e32 v11, v3
	s_waitcnt lgkmcnt(0)
	s_and_b32 s15, s8, 0xffff
	s_cmp_lt_u32 s15, 2
	v_mul_u32_u24_e32 v0, s15, v2
	s_cselect_b64 s[8:9], -1, 0
	v_lshl_add_u32 v7, v0, 2, 0
	v_cndmask_b32_e64 v0, 0, 1, s[8:9]
	s_mul_i32 s33, s14, s15
	v_lshl_add_u32 v8, v4, 2, v7
	v_cmp_ne_u32_e64 s[8:9], 1, v0
	s_branch .LBB667_7
.LBB667_5:                              ;   in Loop: Header=BB667_7 Depth=2
	s_or_b64 exec, exec, s[28:29]
.LBB667_6:                              ;   in Loop: Header=BB667_7 Depth=2
	v_add_u32_e32 v11, s7, v11
	v_cmp_le_u32_e32 vcc, s14, v11
	v_add_u32_e32 v10, s7, v10
	s_or_b64 s[26:27], vcc, s[26:27]
	v_add_u32_e32 v9, s7, v9
	s_andn2_b64 exec, exec, s[26:27]
	s_cbranch_execz .LBB667_2
.LBB667_7:                              ;   Parent Loop BB667_3 Depth=1
                                        ; =>  This Loop Header: Depth=2
                                        ;       Child Loop BB667_10 Depth 3
                                        ;       Child Loop BB667_12 Depth 3
	;; [unrolled: 1-line block ×5, first 2 shown]
	s_and_b64 vcc, exec, s[8:9]
	s_mov_b64 s[28:29], -1
	s_cbranch_vccnz .LBB667_14
; %bb.8:                                ;   in Loop: Header=BB667_7 Depth=2
	v_mov_b32_e32 v12, 0
	s_and_b64 vcc, exec, s[4:5]
	s_cbranch_vccnz .LBB667_11
; %bb.9:                                ;   in Loop: Header=BB667_7 Depth=2
	v_mov_b32_e32 v0, v10
	s_mov_b32 s28, s13
.LBB667_10:                             ;   Parent Loop BB667_3 Depth=1
                                        ;     Parent Loop BB667_7 Depth=2
                                        ; =>    This Inner Loop Header: Depth=3
	v_lshlrev_b64 v[14:15], 2, v[0:1]
	v_mov_b32_e32 v13, s21
	v_add_co_u32_e32 v14, vcc, s20, v14
	v_addc_co_u32_e32 v15, vcc, v13, v15, vcc
	global_load_dword v13, v[14:15], off
	s_add_i32 s28, s28, -1
	v_add_u32_e32 v0, s14, v0
	s_cmp_eq_u32 s28, 0
	s_waitcnt vmcnt(0)
	v_add_f32_e32 v12, v12, v13
	s_cbranch_scc0 .LBB667_10
.LBB667_11:                             ;   in Loop: Header=BB667_7 Depth=2
	s_and_b64 vcc, exec, s[4:5]
	v_mov_b32_e32 v0, v10
	s_mov_b32 s28, s13
	s_cbranch_vccnz .LBB667_13
.LBB667_12:                             ;   Parent Loop BB667_3 Depth=1
                                        ;     Parent Loop BB667_7 Depth=2
                                        ; =>    This Inner Loop Header: Depth=3
	v_lshlrev_b64 v[14:15], 2, v[0:1]
	v_mov_b32_e32 v13, s21
	v_add_co_u32_e32 v16, vcc, s20, v14
	v_addc_co_u32_e32 v17, vcc, v13, v15, vcc
	v_mov_b32_e32 v19, s19
	v_add_co_u32_e32 v18, vcc, s18, v14
	v_addc_co_u32_e32 v19, vcc, v19, v15, vcc
	global_load_dword v13, v[16:17], off
	global_load_dword v20, v[18:19], off
	v_mov_b32_e32 v16, s17
	s_add_i32 s28, s28, -1
	v_add_co_u32_e32 v14, vcc, s16, v14
	v_add_u32_e32 v0, s14, v0
	v_addc_co_u32_e32 v15, vcc, v16, v15, vcc
	s_cmp_lg_u32 s28, 0
	s_waitcnt vmcnt(0)
	v_fma_f32 v13, -v12, v20, v13
	global_store_dword v[14:15], v13, off
	s_cbranch_scc1 .LBB667_12
.LBB667_13:                             ;   in Loop: Header=BB667_7 Depth=2
	s_mov_b64 s[28:29], 0
.LBB667_14:                             ;   in Loop: Header=BB667_7 Depth=2
	s_and_b64 vcc, exec, s[28:29]
	s_cbranch_vccz .LBB667_6
; %bb.15:                               ;   in Loop: Header=BB667_7 Depth=2
	v_mov_b32_e32 v12, 0
	s_and_saveexec_b64 s[28:29], s[2:3]
	s_cbranch_execz .LBB667_19
; %bb.16:                               ;   in Loop: Header=BB667_7 Depth=2
	s_mov_b64 s[30:31], 0
	v_mov_b32_e32 v12, 0
	v_mov_b32_e32 v0, v9
	v_mov_b32_e32 v13, v4
.LBB667_17:                             ;   Parent Loop BB667_3 Depth=1
                                        ;     Parent Loop BB667_7 Depth=2
                                        ; =>    This Inner Loop Header: Depth=3
	v_lshlrev_b64 v[14:15], 2, v[0:1]
	v_mov_b32_e32 v16, s21
	v_add_co_u32_e32 v14, vcc, s20, v14
	v_addc_co_u32_e32 v15, vcc, v16, v15, vcc
	global_load_dword v14, v[14:15], off
	v_add_u32_e32 v13, s15, v13
	v_cmp_le_u32_e32 vcc, s13, v13
	v_add_u32_e32 v0, s33, v0
	s_or_b64 s[30:31], vcc, s[30:31]
	s_waitcnt vmcnt(0)
	v_add_f32_e32 v12, v12, v14
	s_andn2_b64 exec, exec, s[30:31]
	s_cbranch_execnz .LBB667_17
; %bb.18:                               ;   in Loop: Header=BB667_7 Depth=2
	s_or_b64 exec, exec, s[30:31]
.LBB667_19:                             ;   in Loop: Header=BB667_7 Depth=2
	s_or_b64 exec, exec, s[28:29]
	s_mov_b32 s30, s15
	s_barrier
	ds_write_b32 v8, v12
	s_branch .LBB667_21
.LBB667_20:                             ;   in Loop: Header=BB667_21 Depth=3
	s_or_b64 exec, exec, s[28:29]
	s_cmp_gt_u32 s30, 3
	s_mov_b32 s30, s31
	s_cbranch_scc0 .LBB667_23
.LBB667_21:                             ;   Parent Loop BB667_3 Depth=1
                                        ;     Parent Loop BB667_7 Depth=2
                                        ; =>    This Inner Loop Header: Depth=3
	s_lshr_b32 s31, s30, 1
	v_cmp_gt_u32_e32 vcc, s31, v4
	s_waitcnt lgkmcnt(0)
	s_barrier
	s_and_saveexec_b64 s[28:29], vcc
	s_cbranch_execz .LBB667_20
; %bb.22:                               ;   in Loop: Header=BB667_21 Depth=3
	v_lshl_add_u32 v0, s31, 2, v8
	ds_read_b32 v12, v8
	ds_read_b32 v0, v0
	s_waitcnt lgkmcnt(0)
	v_add_f32_e32 v0, v12, v0
	ds_write_b32 v8, v0
	s_branch .LBB667_20
.LBB667_23:                             ;   in Loop: Header=BB667_7 Depth=2
	s_waitcnt lgkmcnt(0)
	s_barrier
	s_and_saveexec_b64 s[28:29], s[2:3]
	s_cbranch_execz .LBB667_5
; %bb.24:                               ;   in Loop: Header=BB667_7 Depth=2
	ds_read_b32 v12, v7
	s_mov_b64 s[30:31], 0
	v_mov_b32_e32 v0, v9
	v_mov_b32_e32 v13, v4
.LBB667_25:                             ;   Parent Loop BB667_3 Depth=1
                                        ;     Parent Loop BB667_7 Depth=2
                                        ; =>    This Inner Loop Header: Depth=3
	v_lshlrev_b64 v[14:15], 2, v[0:1]
	v_mov_b32_e32 v17, s21
	v_add_co_u32_e32 v16, vcc, s20, v14
	v_addc_co_u32_e32 v17, vcc, v17, v15, vcc
	v_mov_b32_e32 v19, s19
	v_add_co_u32_e32 v18, vcc, s18, v14
	v_addc_co_u32_e32 v19, vcc, v19, v15, vcc
	global_load_dword v20, v[16:17], off
	global_load_dword v21, v[18:19], off
	v_mov_b32_e32 v16, s17
	v_add_co_u32_e32 v14, vcc, s16, v14
	v_add_u32_e32 v13, s15, v13
	v_addc_co_u32_e32 v15, vcc, v16, v15, vcc
	v_cmp_le_u32_e32 vcc, s13, v13
	v_add_u32_e32 v0, s33, v0
	s_or_b64 s[30:31], vcc, s[30:31]
	s_waitcnt vmcnt(0) lgkmcnt(0)
	v_fma_f32 v16, -v12, v21, v20
	global_store_dword v[14:15], v16, off
	s_andn2_b64 exec, exec, s[30:31]
	s_cbranch_execnz .LBB667_25
	s_branch .LBB667_5
.LBB667_26:
	s_endpgm
	.section	.rodata,"a",@progbits
	.p2align	6, 0x0
	.amdhsa_kernel _ZN2at6native12_GLOBAL__N_127cunn_SpatialSoftMaxBackwardIfffNS1_23SoftMaxBackwardEpilogueEEEvPT_PKT1_S8_jjj
		.amdhsa_group_segment_fixed_size 0
		.amdhsa_private_segment_fixed_size 0
		.amdhsa_kernarg_size 296
		.amdhsa_user_sgpr_count 6
		.amdhsa_user_sgpr_private_segment_buffer 1
		.amdhsa_user_sgpr_dispatch_ptr 0
		.amdhsa_user_sgpr_queue_ptr 0
		.amdhsa_user_sgpr_kernarg_segment_ptr 1
		.amdhsa_user_sgpr_dispatch_id 0
		.amdhsa_user_sgpr_flat_scratch_init 0
		.amdhsa_user_sgpr_kernarg_preload_length 0
		.amdhsa_user_sgpr_kernarg_preload_offset 0
		.amdhsa_user_sgpr_private_segment_size 0
		.amdhsa_uses_dynamic_stack 0
		.amdhsa_system_sgpr_private_segment_wavefront_offset 0
		.amdhsa_system_sgpr_workgroup_id_x 1
		.amdhsa_system_sgpr_workgroup_id_y 1
		.amdhsa_system_sgpr_workgroup_id_z 0
		.amdhsa_system_sgpr_workgroup_info 0
		.amdhsa_system_vgpr_workitem_id 1
		.amdhsa_next_free_vgpr 22
		.amdhsa_next_free_sgpr 34
		.amdhsa_accum_offset 24
		.amdhsa_reserve_vcc 1
		.amdhsa_reserve_flat_scratch 0
		.amdhsa_float_round_mode_32 0
		.amdhsa_float_round_mode_16_64 0
		.amdhsa_float_denorm_mode_32 3
		.amdhsa_float_denorm_mode_16_64 3
		.amdhsa_dx10_clamp 1
		.amdhsa_ieee_mode 1
		.amdhsa_fp16_overflow 0
		.amdhsa_tg_split 0
		.amdhsa_exception_fp_ieee_invalid_op 0
		.amdhsa_exception_fp_denorm_src 0
		.amdhsa_exception_fp_ieee_div_zero 0
		.amdhsa_exception_fp_ieee_overflow 0
		.amdhsa_exception_fp_ieee_underflow 0
		.amdhsa_exception_fp_ieee_inexact 0
		.amdhsa_exception_int_div_zero 0
	.end_amdhsa_kernel
	.section	.text._ZN2at6native12_GLOBAL__N_127cunn_SpatialSoftMaxBackwardIfffNS1_23SoftMaxBackwardEpilogueEEEvPT_PKT1_S8_jjj,"axG",@progbits,_ZN2at6native12_GLOBAL__N_127cunn_SpatialSoftMaxBackwardIfffNS1_23SoftMaxBackwardEpilogueEEEvPT_PKT1_S8_jjj,comdat
.Lfunc_end667:
	.size	_ZN2at6native12_GLOBAL__N_127cunn_SpatialSoftMaxBackwardIfffNS1_23SoftMaxBackwardEpilogueEEEvPT_PKT1_S8_jjj, .Lfunc_end667-_ZN2at6native12_GLOBAL__N_127cunn_SpatialSoftMaxBackwardIfffNS1_23SoftMaxBackwardEpilogueEEEvPT_PKT1_S8_jjj
                                        ; -- End function
	.section	.AMDGPU.csdata,"",@progbits
; Kernel info:
; codeLenInByte = 896
; NumSgprs: 38
; NumVgprs: 22
; NumAgprs: 0
; TotalNumVgprs: 22
; ScratchSize: 0
; MemoryBound: 0
; FloatMode: 240
; IeeeMode: 1
; LDSByteSize: 0 bytes/workgroup (compile time only)
; SGPRBlocks: 4
; VGPRBlocks: 2
; NumSGPRsForWavesPerEU: 38
; NumVGPRsForWavesPerEU: 22
; AccumOffset: 24
; Occupancy: 8
; WaveLimiterHint : 0
; COMPUTE_PGM_RSRC2:SCRATCH_EN: 0
; COMPUTE_PGM_RSRC2:USER_SGPR: 6
; COMPUTE_PGM_RSRC2:TRAP_HANDLER: 0
; COMPUTE_PGM_RSRC2:TGID_X_EN: 1
; COMPUTE_PGM_RSRC2:TGID_Y_EN: 1
; COMPUTE_PGM_RSRC2:TGID_Z_EN: 0
; COMPUTE_PGM_RSRC2:TIDIG_COMP_CNT: 1
; COMPUTE_PGM_RSRC3_GFX90A:ACCUM_OFFSET: 5
; COMPUTE_PGM_RSRC3_GFX90A:TG_SPLIT: 0
	.section	.text._ZN2at6native12_GLOBAL__N_127cunn_SpatialSoftMaxBackwardIN3c104HalfEfS4_NS1_23SoftMaxBackwardEpilogueEEEvPT_PKT1_SA_jjj,"axG",@progbits,_ZN2at6native12_GLOBAL__N_127cunn_SpatialSoftMaxBackwardIN3c104HalfEfS4_NS1_23SoftMaxBackwardEpilogueEEEvPT_PKT1_SA_jjj,comdat
	.globl	_ZN2at6native12_GLOBAL__N_127cunn_SpatialSoftMaxBackwardIN3c104HalfEfS4_NS1_23SoftMaxBackwardEpilogueEEEvPT_PKT1_SA_jjj ; -- Begin function _ZN2at6native12_GLOBAL__N_127cunn_SpatialSoftMaxBackwardIN3c104HalfEfS4_NS1_23SoftMaxBackwardEpilogueEEEvPT_PKT1_SA_jjj
	.p2align	8
	.type	_ZN2at6native12_GLOBAL__N_127cunn_SpatialSoftMaxBackwardIN3c104HalfEfS4_NS1_23SoftMaxBackwardEpilogueEEEvPT_PKT1_SA_jjj,@function
_ZN2at6native12_GLOBAL__N_127cunn_SpatialSoftMaxBackwardIN3c104HalfEfS4_NS1_23SoftMaxBackwardEpilogueEEEvPT_PKT1_SA_jjj: ; @_ZN2at6native12_GLOBAL__N_127cunn_SpatialSoftMaxBackwardIN3c104HalfEfS4_NS1_23SoftMaxBackwardEpilogueEEEvPT_PKT1_SA_jjj
; %bb.0:
	s_load_dwordx4 s[12:15], s[4:5], 0x18
	s_waitcnt lgkmcnt(0)
	s_cmp_ge_u32 s6, s12
	s_cbranch_scc1 .LBB668_26
; %bb.1:
	s_load_dwordx2 s[10:11], s[4:5], 0x28
	s_load_dword s0, s[4:5], 0x34
	s_load_dwordx4 s[16:19], s[4:5], 0x0
	s_load_dwordx2 s[20:21], s[4:5], 0x10
	s_add_u32 s22, s4, 40
	s_addc_u32 s23, s5, 0
	s_waitcnt lgkmcnt(0)
	s_lshr_b32 s4, s0, 16
	v_and_b32_e32 v4, 0x3ff, v0
	s_mul_i32 s9, s6, s13
	s_mul_i32 s8, s7, s4
	v_bfe_u32 v2, v0, 10, 10
	s_cmp_lg_u32 s13, 0
	s_mul_i32 s7, s11, s4
	s_mul_i32 s11, s9, s14
	v_add_u32_e32 v0, s9, v4
	s_cselect_b64 s[4:5], -1, 0
	s_add_i32 s11, s8, s11
	v_mul_lo_u32 v0, s14, v0
	v_add_u32_e32 v3, s8, v2
	v_add_u32_e32 v5, s11, v2
	s_mul_i32 s11, s10, s14
	v_add3_u32 v6, v2, v0, s8
	v_cndmask_b32_e64 v0, 0, 1, s[4:5]
	v_cmp_gt_u32_e64 s[0:1], s14, v3
	v_cmp_gt_u32_e64 s[2:3], s13, v4
	s_mul_i32 s11, s11, s13
	v_cmp_ne_u32_e64 s[4:5], 1, v0
	v_mov_b32_e32 v1, 0
	s_branch .LBB668_3
.LBB668_2:                              ;   in Loop: Header=BB668_3 Depth=1
	s_or_b64 exec, exec, s[24:25]
	s_add_i32 s6, s10, s6
	v_add_u32_e32 v5, s11, v5
	s_cmp_ge_u32 s6, s12
	v_add_u32_e32 v6, s11, v6
	s_cbranch_scc1 .LBB668_26
.LBB668_3:                              ; =>This Loop Header: Depth=1
                                        ;     Child Loop BB668_7 Depth 2
                                        ;       Child Loop BB668_10 Depth 3
                                        ;       Child Loop BB668_12 Depth 3
	;; [unrolled: 1-line block ×5, first 2 shown]
	s_and_saveexec_b64 s[24:25], s[0:1]
	s_cbranch_execz .LBB668_2
; %bb.4:                                ;   in Loop: Header=BB668_3 Depth=1
	s_load_dword s8, s[22:23], 0xc
	s_mov_b64 s[26:27], 0
	v_mov_b32_e32 v9, v6
	v_mov_b32_e32 v10, v5
	;; [unrolled: 1-line block ×3, first 2 shown]
	s_waitcnt lgkmcnt(0)
	s_and_b32 s15, s8, 0xffff
	s_cmp_lt_u32 s15, 2
	v_mul_u32_u24_e32 v0, s15, v2
	s_cselect_b64 s[8:9], -1, 0
	v_lshl_add_u32 v7, v0, 2, 0
	v_cndmask_b32_e64 v0, 0, 1, s[8:9]
	s_mul_i32 s33, s14, s15
	v_lshl_add_u32 v8, v4, 2, v7
	v_cmp_ne_u32_e64 s[8:9], 1, v0
	s_branch .LBB668_7
.LBB668_5:                              ;   in Loop: Header=BB668_7 Depth=2
	s_or_b64 exec, exec, s[28:29]
.LBB668_6:                              ;   in Loop: Header=BB668_7 Depth=2
	v_add_u32_e32 v11, s7, v11
	v_cmp_le_u32_e32 vcc, s14, v11
	v_add_u32_e32 v10, s7, v10
	s_or_b64 s[26:27], vcc, s[26:27]
	v_add_u32_e32 v9, s7, v9
	s_andn2_b64 exec, exec, s[26:27]
	s_cbranch_execz .LBB668_2
.LBB668_7:                              ;   Parent Loop BB668_3 Depth=1
                                        ; =>  This Loop Header: Depth=2
                                        ;       Child Loop BB668_10 Depth 3
                                        ;       Child Loop BB668_12 Depth 3
	;; [unrolled: 1-line block ×5, first 2 shown]
	s_and_b64 vcc, exec, s[8:9]
	s_mov_b64 s[28:29], -1
	s_cbranch_vccnz .LBB668_14
; %bb.8:                                ;   in Loop: Header=BB668_7 Depth=2
	v_mov_b32_e32 v12, 0
	s_and_b64 vcc, exec, s[4:5]
	s_cbranch_vccnz .LBB668_11
; %bb.9:                                ;   in Loop: Header=BB668_7 Depth=2
	v_mov_b32_e32 v0, v10
	s_mov_b32 s28, s13
.LBB668_10:                             ;   Parent Loop BB668_3 Depth=1
                                        ;     Parent Loop BB668_7 Depth=2
                                        ; =>    This Inner Loop Header: Depth=3
	v_lshlrev_b64 v[14:15], 1, v[0:1]
	v_mov_b32_e32 v13, s21
	v_add_co_u32_e32 v14, vcc, s20, v14
	v_addc_co_u32_e32 v15, vcc, v13, v15, vcc
	global_load_ushort v13, v[14:15], off
	s_add_i32 s28, s28, -1
	v_add_u32_e32 v0, s14, v0
	s_cmp_eq_u32 s28, 0
	s_waitcnt vmcnt(0)
	v_cvt_f32_f16_e32 v13, v13
	v_add_f32_e32 v12, v12, v13
	s_cbranch_scc0 .LBB668_10
.LBB668_11:                             ;   in Loop: Header=BB668_7 Depth=2
	s_and_b64 vcc, exec, s[4:5]
	v_mov_b32_e32 v0, v10
	s_mov_b32 s28, s13
	s_cbranch_vccnz .LBB668_13
.LBB668_12:                             ;   Parent Loop BB668_3 Depth=1
                                        ;     Parent Loop BB668_7 Depth=2
                                        ; =>    This Inner Loop Header: Depth=3
	v_lshlrev_b64 v[14:15], 1, v[0:1]
	v_mov_b32_e32 v13, s21
	v_add_co_u32_e32 v16, vcc, s20, v14
	v_addc_co_u32_e32 v17, vcc, v13, v15, vcc
	v_mov_b32_e32 v19, s19
	v_add_co_u32_e32 v18, vcc, s18, v14
	v_addc_co_u32_e32 v19, vcc, v19, v15, vcc
	global_load_ushort v13, v[16:17], off
	global_load_ushort v20, v[18:19], off
	v_mov_b32_e32 v16, s17
	s_add_i32 s28, s28, -1
	v_add_co_u32_e32 v14, vcc, s16, v14
	v_add_u32_e32 v0, s14, v0
	v_addc_co_u32_e32 v15, vcc, v16, v15, vcc
	s_cmp_lg_u32 s28, 0
	s_waitcnt vmcnt(0)
	v_fma_mixlo_f16 v13, -v12, v20, v13 op_sel_hi:[0,1,1]
	global_store_short v[14:15], v13, off
	s_cbranch_scc1 .LBB668_12
.LBB668_13:                             ;   in Loop: Header=BB668_7 Depth=2
	s_mov_b64 s[28:29], 0
.LBB668_14:                             ;   in Loop: Header=BB668_7 Depth=2
	s_and_b64 vcc, exec, s[28:29]
	s_cbranch_vccz .LBB668_6
; %bb.15:                               ;   in Loop: Header=BB668_7 Depth=2
	v_mov_b32_e32 v12, 0
	s_and_saveexec_b64 s[28:29], s[2:3]
	s_cbranch_execz .LBB668_19
; %bb.16:                               ;   in Loop: Header=BB668_7 Depth=2
	s_mov_b64 s[30:31], 0
	v_mov_b32_e32 v12, 0
	v_mov_b32_e32 v0, v9
	;; [unrolled: 1-line block ×3, first 2 shown]
.LBB668_17:                             ;   Parent Loop BB668_3 Depth=1
                                        ;     Parent Loop BB668_7 Depth=2
                                        ; =>    This Inner Loop Header: Depth=3
	v_lshlrev_b64 v[14:15], 1, v[0:1]
	v_mov_b32_e32 v16, s21
	v_add_co_u32_e32 v14, vcc, s20, v14
	v_addc_co_u32_e32 v15, vcc, v16, v15, vcc
	global_load_ushort v14, v[14:15], off
	v_add_u32_e32 v13, s15, v13
	v_cmp_le_u32_e32 vcc, s13, v13
	v_add_u32_e32 v0, s33, v0
	s_or_b64 s[30:31], vcc, s[30:31]
	s_waitcnt vmcnt(0)
	v_cvt_f32_f16_e32 v14, v14
	v_add_f32_e32 v12, v12, v14
	s_andn2_b64 exec, exec, s[30:31]
	s_cbranch_execnz .LBB668_17
; %bb.18:                               ;   in Loop: Header=BB668_7 Depth=2
	s_or_b64 exec, exec, s[30:31]
.LBB668_19:                             ;   in Loop: Header=BB668_7 Depth=2
	s_or_b64 exec, exec, s[28:29]
	s_mov_b32 s30, s15
	s_barrier
	ds_write_b32 v8, v12
	s_branch .LBB668_21
.LBB668_20:                             ;   in Loop: Header=BB668_21 Depth=3
	s_or_b64 exec, exec, s[28:29]
	s_cmp_gt_u32 s30, 3
	s_mov_b32 s30, s31
	s_cbranch_scc0 .LBB668_23
.LBB668_21:                             ;   Parent Loop BB668_3 Depth=1
                                        ;     Parent Loop BB668_7 Depth=2
                                        ; =>    This Inner Loop Header: Depth=3
	s_lshr_b32 s31, s30, 1
	v_cmp_gt_u32_e32 vcc, s31, v4
	s_waitcnt lgkmcnt(0)
	s_barrier
	s_and_saveexec_b64 s[28:29], vcc
	s_cbranch_execz .LBB668_20
; %bb.22:                               ;   in Loop: Header=BB668_21 Depth=3
	v_lshl_add_u32 v0, s31, 2, v8
	ds_read_b32 v12, v8
	ds_read_b32 v0, v0
	s_waitcnt lgkmcnt(0)
	v_add_f32_e32 v0, v12, v0
	ds_write_b32 v8, v0
	s_branch .LBB668_20
.LBB668_23:                             ;   in Loop: Header=BB668_7 Depth=2
	s_waitcnt lgkmcnt(0)
	s_barrier
	s_and_saveexec_b64 s[28:29], s[2:3]
	s_cbranch_execz .LBB668_5
; %bb.24:                               ;   in Loop: Header=BB668_7 Depth=2
	ds_read_b32 v12, v7
	s_mov_b64 s[30:31], 0
	v_mov_b32_e32 v0, v9
	v_mov_b32_e32 v13, v4
.LBB668_25:                             ;   Parent Loop BB668_3 Depth=1
                                        ;     Parent Loop BB668_7 Depth=2
                                        ; =>    This Inner Loop Header: Depth=3
	v_lshlrev_b64 v[14:15], 1, v[0:1]
	v_mov_b32_e32 v17, s21
	v_add_co_u32_e32 v16, vcc, s20, v14
	v_addc_co_u32_e32 v17, vcc, v17, v15, vcc
	v_mov_b32_e32 v19, s19
	v_add_co_u32_e32 v18, vcc, s18, v14
	v_addc_co_u32_e32 v19, vcc, v19, v15, vcc
	global_load_ushort v20, v[16:17], off
	global_load_ushort v21, v[18:19], off
	v_mov_b32_e32 v16, s17
	v_add_co_u32_e32 v14, vcc, s16, v14
	v_add_u32_e32 v13, s15, v13
	v_addc_co_u32_e32 v15, vcc, v16, v15, vcc
	v_cmp_le_u32_e32 vcc, s13, v13
	v_add_u32_e32 v0, s33, v0
	s_or_b64 s[30:31], vcc, s[30:31]
	s_waitcnt vmcnt(0) lgkmcnt(0)
	v_fma_mixlo_f16 v16, -v12, v21, v20 op_sel_hi:[0,1,1]
	global_store_short v[14:15], v16, off
	s_andn2_b64 exec, exec, s[30:31]
	s_cbranch_execnz .LBB668_25
	s_branch .LBB668_5
.LBB668_26:
	s_endpgm
	.section	.rodata,"a",@progbits
	.p2align	6, 0x0
	.amdhsa_kernel _ZN2at6native12_GLOBAL__N_127cunn_SpatialSoftMaxBackwardIN3c104HalfEfS4_NS1_23SoftMaxBackwardEpilogueEEEvPT_PKT1_SA_jjj
		.amdhsa_group_segment_fixed_size 0
		.amdhsa_private_segment_fixed_size 0
		.amdhsa_kernarg_size 296
		.amdhsa_user_sgpr_count 6
		.amdhsa_user_sgpr_private_segment_buffer 1
		.amdhsa_user_sgpr_dispatch_ptr 0
		.amdhsa_user_sgpr_queue_ptr 0
		.amdhsa_user_sgpr_kernarg_segment_ptr 1
		.amdhsa_user_sgpr_dispatch_id 0
		.amdhsa_user_sgpr_flat_scratch_init 0
		.amdhsa_user_sgpr_kernarg_preload_length 0
		.amdhsa_user_sgpr_kernarg_preload_offset 0
		.amdhsa_user_sgpr_private_segment_size 0
		.amdhsa_uses_dynamic_stack 0
		.amdhsa_system_sgpr_private_segment_wavefront_offset 0
		.amdhsa_system_sgpr_workgroup_id_x 1
		.amdhsa_system_sgpr_workgroup_id_y 1
		.amdhsa_system_sgpr_workgroup_id_z 0
		.amdhsa_system_sgpr_workgroup_info 0
		.amdhsa_system_vgpr_workitem_id 1
		.amdhsa_next_free_vgpr 22
		.amdhsa_next_free_sgpr 34
		.amdhsa_accum_offset 24
		.amdhsa_reserve_vcc 1
		.amdhsa_reserve_flat_scratch 0
		.amdhsa_float_round_mode_32 0
		.amdhsa_float_round_mode_16_64 0
		.amdhsa_float_denorm_mode_32 3
		.amdhsa_float_denorm_mode_16_64 3
		.amdhsa_dx10_clamp 1
		.amdhsa_ieee_mode 1
		.amdhsa_fp16_overflow 0
		.amdhsa_tg_split 0
		.amdhsa_exception_fp_ieee_invalid_op 0
		.amdhsa_exception_fp_denorm_src 0
		.amdhsa_exception_fp_ieee_div_zero 0
		.amdhsa_exception_fp_ieee_overflow 0
		.amdhsa_exception_fp_ieee_underflow 0
		.amdhsa_exception_fp_ieee_inexact 0
		.amdhsa_exception_int_div_zero 0
	.end_amdhsa_kernel
	.section	.text._ZN2at6native12_GLOBAL__N_127cunn_SpatialSoftMaxBackwardIN3c104HalfEfS4_NS1_23SoftMaxBackwardEpilogueEEEvPT_PKT1_SA_jjj,"axG",@progbits,_ZN2at6native12_GLOBAL__N_127cunn_SpatialSoftMaxBackwardIN3c104HalfEfS4_NS1_23SoftMaxBackwardEpilogueEEEvPT_PKT1_SA_jjj,comdat
.Lfunc_end668:
	.size	_ZN2at6native12_GLOBAL__N_127cunn_SpatialSoftMaxBackwardIN3c104HalfEfS4_NS1_23SoftMaxBackwardEpilogueEEEvPT_PKT1_SA_jjj, .Lfunc_end668-_ZN2at6native12_GLOBAL__N_127cunn_SpatialSoftMaxBackwardIN3c104HalfEfS4_NS1_23SoftMaxBackwardEpilogueEEEvPT_PKT1_SA_jjj
                                        ; -- End function
	.section	.AMDGPU.csdata,"",@progbits
; Kernel info:
; codeLenInByte = 904
; NumSgprs: 38
; NumVgprs: 22
; NumAgprs: 0
; TotalNumVgprs: 22
; ScratchSize: 0
; MemoryBound: 0
; FloatMode: 240
; IeeeMode: 1
; LDSByteSize: 0 bytes/workgroup (compile time only)
; SGPRBlocks: 4
; VGPRBlocks: 2
; NumSGPRsForWavesPerEU: 38
; NumVGPRsForWavesPerEU: 22
; AccumOffset: 24
; Occupancy: 8
; WaveLimiterHint : 0
; COMPUTE_PGM_RSRC2:SCRATCH_EN: 0
; COMPUTE_PGM_RSRC2:USER_SGPR: 6
; COMPUTE_PGM_RSRC2:TRAP_HANDLER: 0
; COMPUTE_PGM_RSRC2:TGID_X_EN: 1
; COMPUTE_PGM_RSRC2:TGID_Y_EN: 1
; COMPUTE_PGM_RSRC2:TGID_Z_EN: 0
; COMPUTE_PGM_RSRC2:TIDIG_COMP_CNT: 1
; COMPUTE_PGM_RSRC3_GFX90A:ACCUM_OFFSET: 5
; COMPUTE_PGM_RSRC3_GFX90A:TG_SPLIT: 0
	.section	.text._ZN2at6native12_GLOBAL__N_127cunn_SpatialSoftMaxBackwardIN3c104HalfEffNS1_23SoftMaxBackwardEpilogueEEEvPT_PKT1_SA_jjj,"axG",@progbits,_ZN2at6native12_GLOBAL__N_127cunn_SpatialSoftMaxBackwardIN3c104HalfEffNS1_23SoftMaxBackwardEpilogueEEEvPT_PKT1_SA_jjj,comdat
	.globl	_ZN2at6native12_GLOBAL__N_127cunn_SpatialSoftMaxBackwardIN3c104HalfEffNS1_23SoftMaxBackwardEpilogueEEEvPT_PKT1_SA_jjj ; -- Begin function _ZN2at6native12_GLOBAL__N_127cunn_SpatialSoftMaxBackwardIN3c104HalfEffNS1_23SoftMaxBackwardEpilogueEEEvPT_PKT1_SA_jjj
	.p2align	8
	.type	_ZN2at6native12_GLOBAL__N_127cunn_SpatialSoftMaxBackwardIN3c104HalfEffNS1_23SoftMaxBackwardEpilogueEEEvPT_PKT1_SA_jjj,@function
_ZN2at6native12_GLOBAL__N_127cunn_SpatialSoftMaxBackwardIN3c104HalfEffNS1_23SoftMaxBackwardEpilogueEEEvPT_PKT1_SA_jjj: ; @_ZN2at6native12_GLOBAL__N_127cunn_SpatialSoftMaxBackwardIN3c104HalfEffNS1_23SoftMaxBackwardEpilogueEEEvPT_PKT1_SA_jjj
; %bb.0:
	s_load_dwordx4 s[12:15], s[4:5], 0x18
	s_waitcnt lgkmcnt(0)
	s_cmp_ge_u32 s6, s12
	s_cbranch_scc1 .LBB669_33
; %bb.1:
	s_load_dwordx2 s[10:11], s[4:5], 0x28
	s_load_dword s0, s[4:5], 0x34
	s_load_dwordx4 s[16:19], s[4:5], 0x0
	s_load_dwordx2 s[20:21], s[4:5], 0x10
	s_add_u32 s22, s4, 40
	s_addc_u32 s23, s5, 0
	s_waitcnt lgkmcnt(0)
	s_lshr_b32 s4, s0, 16
	s_cmp_lg_u32 s13, 0
	s_mul_i32 s8, s7, s4
	s_mul_i32 s11, s11, s4
	s_cselect_b64 s[4:5], -1, 0
	s_cmp_lt_u32 s13, 4
	v_and_b32_e32 v7, 0x3ff, v0
	s_mul_i32 s9, s6, s13
	s_cselect_b64 s[24:25], -1, 0
	s_cmp_lg_u32 s14, 1
	v_bfe_u32 v3, v0, 10, 10
	s_cselect_b64 s[26:27], -1, 0
	s_sub_i32 s33, 0, s13
	s_and_b32 s40, s13, -2
	v_add_u32_e32 v0, s9, v7
	s_cmp_lg_u32 s40, s13
	s_mul_i32 s30, s9, s14
	v_mul_lo_u32 v0, s14, v0
	v_add_u32_e32 v6, s8, v3
	s_mul_i32 s15, s10, s13
	s_cselect_b64 s[28:29], -1, 0
	s_add_i32 s30, s8, s30
	v_add3_u32 v10, v3, v0, s8
	v_cndmask_b32_e64 v0, 0, 1, s[4:5]
	v_cmp_gt_u32_e64 s[0:1], s14, v6
	s_mov_b32 s7, 0
	v_cmp_gt_u32_e64 s[2:3], s13, v7
	v_add_u32_e32 v8, s9, v6
	v_add_u32_e32 v9, s30, v3
	s_mul_i32 s41, s15, s14
	v_cmp_ne_u32_e64 s[4:5], 1, v0
	v_mov_b32_e32 v1, 0
	s_branch .LBB669_3
.LBB669_2:                              ;   in Loop: Header=BB669_3 Depth=1
	s_or_b64 exec, exec, s[30:31]
	s_add_i32 s6, s10, s6
	s_add_i32 s7, s7, 1
	v_add_u32_e32 v9, s41, v9
	s_cmp_ge_u32 s6, s12
	v_add_u32_e32 v10, s41, v10
	s_cbranch_scc1 .LBB669_33
.LBB669_3:                              ; =>This Loop Header: Depth=1
                                        ;     Child Loop BB669_7 Depth 2
                                        ;       Child Loop BB669_10 Depth 3
                                        ;       Child Loop BB669_14 Depth 3
	;; [unrolled: 1-line block ×6, first 2 shown]
	s_and_saveexec_b64 s[30:31], s[0:1]
	s_cbranch_execz .LBB669_2
; %bb.4:                                ;   in Loop: Header=BB669_3 Depth=1
	s_load_dword s8, s[22:23], 0xc
	s_mul_i32 s9, s15, s7
	v_add_u32_e32 v11, s9, v8
	s_mov_b32 s44, 0
	s_mov_b64 s[34:35], 0
	s_waitcnt lgkmcnt(0)
	s_and_b32 s42, s8, 0xffff
	s_cmp_lt_u32 s42, 2
	v_mul_u32_u24_e32 v0, s42, v3
	s_cselect_b64 s[8:9], -1, 0
	v_lshl_add_u32 v12, v0, 2, 0
	v_cndmask_b32_e64 v0, 0, 1, s[8:9]
	s_mul_i32 s43, s14, s42
	v_lshl_add_u32 v13, v7, 2, v12
	v_cmp_ne_u32_e64 s[8:9], 1, v0
	v_mov_b32_e32 v14, v10
	v_mov_b32_e32 v2, v9
	;; [unrolled: 1-line block ×3, first 2 shown]
	s_branch .LBB669_7
.LBB669_5:                              ;   in Loop: Header=BB669_7 Depth=2
	s_or_b64 exec, exec, s[36:37]
.LBB669_6:                              ;   in Loop: Header=BB669_7 Depth=2
	v_add_u32_e32 v15, s11, v15
	s_add_i32 s44, s44, 1
	v_cmp_le_u32_e32 vcc, s14, v15
	v_add_u32_e32 v2, s11, v2
	s_or_b64 s[34:35], vcc, s[34:35]
	v_add_u32_e32 v14, s11, v14
	s_andn2_b64 exec, exec, s[34:35]
	s_cbranch_execz .LBB669_2
.LBB669_7:                              ;   Parent Loop BB669_3 Depth=1
                                        ; =>  This Loop Header: Depth=2
                                        ;       Child Loop BB669_10 Depth 3
                                        ;       Child Loop BB669_14 Depth 3
	;; [unrolled: 1-line block ×6, first 2 shown]
	s_and_b64 vcc, exec, s[8:9]
	s_mov_b64 s[36:37], -1
	s_cbranch_vccnz .LBB669_21
; %bb.8:                                ;   in Loop: Header=BB669_7 Depth=2
	v_mov_b32_e32 v4, 0
	s_and_b64 vcc, exec, s[4:5]
	s_cbranch_vccnz .LBB669_11
; %bb.9:                                ;   in Loop: Header=BB669_7 Depth=2
	v_mov_b32_e32 v0, v2
	s_mov_b32 s36, s13
.LBB669_10:                             ;   Parent Loop BB669_3 Depth=1
                                        ;     Parent Loop BB669_7 Depth=2
                                        ; =>    This Inner Loop Header: Depth=3
	v_lshlrev_b64 v[16:17], 2, v[0:1]
	v_mov_b32_e32 v5, s21
	v_add_co_u32_e32 v16, vcc, s20, v16
	v_addc_co_u32_e32 v17, vcc, v5, v17, vcc
	global_load_dword v5, v[16:17], off
	s_add_i32 s36, s36, -1
	v_add_u32_e32 v0, s14, v0
	s_cmp_eq_u32 s36, 0
	s_waitcnt vmcnt(0)
	v_add_f32_e32 v4, v4, v5
	s_cbranch_scc0 .LBB669_10
.LBB669_11:                             ;   in Loop: Header=BB669_7 Depth=2
	s_and_b64 vcc, exec, s[4:5]
	s_cbranch_vccnz .LBB669_20
; %bb.12:                               ;   in Loop: Header=BB669_7 Depth=2
	s_mul_i32 s36, s11, s44
	v_add_u32_e32 v0, s36, v11
	v_cmp_lt_u32_e32 vcc, s33, v0
	s_or_b64 s[36:37], s[26:27], vcc
	s_or_b64 s[36:37], s[24:25], s[36:37]
	s_mov_b64 s[38:39], -1
	s_xor_b64 s[46:47], s[36:37], -1
	v_mov_b32_e32 v0, 0
	s_and_saveexec_b64 s[36:37], s[46:47]
	s_cbranch_execz .LBB669_16
; %bb.13:                               ;   in Loop: Header=BB669_7 Depth=2
	v_mov_b32_e32 v5, v4
	s_mov_b32 s38, 0
.LBB669_14:                             ;   Parent Loop BB669_3 Depth=1
                                        ;     Parent Loop BB669_7 Depth=2
                                        ; =>    This Inner Loop Header: Depth=3
	v_add_u32_e32 v0, s38, v2
	v_lshlrev_b64 v[16:17], 2, v[0:1]
	v_mov_b32_e32 v19, s21
	v_add_co_u32_e32 v18, vcc, s20, v16
	v_addc_co_u32_e32 v19, vcc, v19, v17, vcc
	v_mov_b32_e32 v20, s19
	v_add_co_u32_e32 v16, vcc, s18, v16
	v_addc_co_u32_e32 v17, vcc, v20, v17, vcc
	global_load_dwordx2 v[20:21], v[18:19], off
	global_load_dwordx2 v[22:23], v[16:17], off
	v_lshlrev_b64 v[16:17], 1, v[0:1]
	v_mov_b32_e32 v24, s17
	s_add_i32 s38, s38, 2
	v_add_co_u32_e32 v16, vcc, s16, v16
	s_cmp_lg_u32 s40, s38
	v_addc_co_u32_e32 v17, vcc, v24, v17, vcc
	s_waitcnt vmcnt(0)
	v_pk_fma_f32 v[18:19], v[4:5], v[22:23], v[20:21] neg_lo:[1,0,0] neg_hi:[1,0,0]
	v_cvt_f16_f32_e32 v0, v19
	v_cvt_f16_f32_e32 v18, v18
	v_pack_b32_f16 v0, v18, v0
	global_store_dword v[16:17], v0, off
	s_cbranch_scc1 .LBB669_14
; %bb.15:                               ;   in Loop: Header=BB669_7 Depth=2
	v_mov_b32_e32 v0, s40
	s_orn2_b64 s[38:39], s[28:29], exec
.LBB669_16:                             ;   in Loop: Header=BB669_7 Depth=2
	s_or_b64 exec, exec, s[36:37]
	s_and_saveexec_b64 s[36:37], s[38:39]
	s_cbranch_execz .LBB669_19
; %bb.17:                               ;   in Loop: Header=BB669_7 Depth=2
	v_mad_u64_u32 v[16:17], s[38:39], s14, v0, v[2:3]
	v_sub_u32_e32 v5, s13, v0
	s_mov_b64 s[38:39], 0
	v_mov_b32_e32 v0, v16
.LBB669_18:                             ;   Parent Loop BB669_3 Depth=1
                                        ;     Parent Loop BB669_7 Depth=2
                                        ; =>    This Inner Loop Header: Depth=3
	v_lshlrev_b64 v[16:17], 2, v[0:1]
	v_mov_b32_e32 v19, s21
	v_add_co_u32_e32 v18, vcc, s20, v16
	v_addc_co_u32_e32 v19, vcc, v19, v17, vcc
	v_mov_b32_e32 v20, s19
	v_add_co_u32_e32 v16, vcc, s18, v16
	v_addc_co_u32_e32 v17, vcc, v20, v17, vcc
	global_load_dword v20, v[18:19], off
	global_load_dword v21, v[16:17], off
	v_lshlrev_b64 v[16:17], 1, v[0:1]
	v_mov_b32_e32 v18, s17
	v_add_co_u32_e32 v16, vcc, s16, v16
	v_add_u32_e32 v5, -1, v5
	v_addc_co_u32_e32 v17, vcc, v18, v17, vcc
	v_cmp_eq_u32_e32 vcc, 0, v5
	v_add_u32_e32 v0, s14, v0
	s_or_b64 s[38:39], vcc, s[38:39]
	s_waitcnt vmcnt(0)
	v_fma_mixlo_f16 v18, -v4, v21, v20
	global_store_short v[16:17], v18, off
	s_andn2_b64 exec, exec, s[38:39]
	s_cbranch_execnz .LBB669_18
.LBB669_19:                             ;   in Loop: Header=BB669_7 Depth=2
	s_or_b64 exec, exec, s[36:37]
.LBB669_20:                             ;   in Loop: Header=BB669_7 Depth=2
	s_mov_b64 s[36:37], 0
.LBB669_21:                             ;   in Loop: Header=BB669_7 Depth=2
	s_and_b64 vcc, exec, s[36:37]
	s_cbranch_vccz .LBB669_6
; %bb.22:                               ;   in Loop: Header=BB669_7 Depth=2
	v_mov_b32_e32 v4, 0
	s_and_saveexec_b64 s[36:37], s[2:3]
	s_cbranch_execz .LBB669_26
; %bb.23:                               ;   in Loop: Header=BB669_7 Depth=2
	s_mov_b64 s[38:39], 0
	v_mov_b32_e32 v4, 0
	v_mov_b32_e32 v0, v14
	;; [unrolled: 1-line block ×3, first 2 shown]
.LBB669_24:                             ;   Parent Loop BB669_3 Depth=1
                                        ;     Parent Loop BB669_7 Depth=2
                                        ; =>    This Inner Loop Header: Depth=3
	v_lshlrev_b64 v[16:17], 2, v[0:1]
	v_mov_b32_e32 v18, s21
	v_add_co_u32_e32 v16, vcc, s20, v16
	v_addc_co_u32_e32 v17, vcc, v18, v17, vcc
	global_load_dword v16, v[16:17], off
	v_add_u32_e32 v5, s42, v5
	v_cmp_le_u32_e32 vcc, s13, v5
	v_add_u32_e32 v0, s43, v0
	s_or_b64 s[38:39], vcc, s[38:39]
	s_waitcnt vmcnt(0)
	v_add_f32_e32 v4, v4, v16
	s_andn2_b64 exec, exec, s[38:39]
	s_cbranch_execnz .LBB669_24
; %bb.25:                               ;   in Loop: Header=BB669_7 Depth=2
	s_or_b64 exec, exec, s[38:39]
.LBB669_26:                             ;   in Loop: Header=BB669_7 Depth=2
	s_or_b64 exec, exec, s[36:37]
	s_mov_b32 s38, s42
	s_barrier
	ds_write_b32 v13, v4
	s_branch .LBB669_28
.LBB669_27:                             ;   in Loop: Header=BB669_28 Depth=3
	s_or_b64 exec, exec, s[36:37]
	s_cmp_gt_u32 s38, 3
	s_mov_b32 s38, s39
	s_cbranch_scc0 .LBB669_30
.LBB669_28:                             ;   Parent Loop BB669_3 Depth=1
                                        ;     Parent Loop BB669_7 Depth=2
                                        ; =>    This Inner Loop Header: Depth=3
	s_lshr_b32 s39, s38, 1
	v_cmp_gt_u32_e32 vcc, s39, v7
	s_waitcnt lgkmcnt(0)
	s_barrier
	s_and_saveexec_b64 s[36:37], vcc
	s_cbranch_execz .LBB669_27
; %bb.29:                               ;   in Loop: Header=BB669_28 Depth=3
	v_lshl_add_u32 v0, s39, 2, v13
	ds_read_b32 v4, v13
	ds_read_b32 v0, v0
	s_waitcnt lgkmcnt(0)
	v_add_f32_e32 v0, v4, v0
	ds_write_b32 v13, v0
	s_branch .LBB669_27
.LBB669_30:                             ;   in Loop: Header=BB669_7 Depth=2
	s_waitcnt lgkmcnt(0)
	s_barrier
	s_and_saveexec_b64 s[36:37], s[2:3]
	s_cbranch_execz .LBB669_5
; %bb.31:                               ;   in Loop: Header=BB669_7 Depth=2
	ds_read_b32 v4, v12
	s_mov_b64 s[38:39], 0
	v_mov_b32_e32 v0, v14
	v_mov_b32_e32 v5, v7
.LBB669_32:                             ;   Parent Loop BB669_3 Depth=1
                                        ;     Parent Loop BB669_7 Depth=2
                                        ; =>    This Inner Loop Header: Depth=3
	v_lshlrev_b64 v[16:17], 2, v[0:1]
	v_mov_b32_e32 v19, s21
	v_add_co_u32_e32 v18, vcc, s20, v16
	v_addc_co_u32_e32 v19, vcc, v19, v17, vcc
	v_mov_b32_e32 v20, s19
	v_add_co_u32_e32 v16, vcc, s18, v16
	v_addc_co_u32_e32 v17, vcc, v20, v17, vcc
	global_load_dword v20, v[18:19], off
	global_load_dword v21, v[16:17], off
	v_lshlrev_b64 v[16:17], 1, v[0:1]
	v_mov_b32_e32 v18, s17
	v_add_co_u32_e32 v16, vcc, s16, v16
	v_add_u32_e32 v5, s42, v5
	v_addc_co_u32_e32 v17, vcc, v18, v17, vcc
	v_cmp_le_u32_e32 vcc, s13, v5
	v_add_u32_e32 v0, s43, v0
	s_or_b64 s[38:39], vcc, s[38:39]
	s_waitcnt vmcnt(0) lgkmcnt(0)
	v_fma_mixlo_f16 v18, -v4, v21, v20
	global_store_short v[16:17], v18, off
	s_andn2_b64 exec, exec, s[38:39]
	s_cbranch_execnz .LBB669_32
	s_branch .LBB669_5
.LBB669_33:
	s_endpgm
	.section	.rodata,"a",@progbits
	.p2align	6, 0x0
	.amdhsa_kernel _ZN2at6native12_GLOBAL__N_127cunn_SpatialSoftMaxBackwardIN3c104HalfEffNS1_23SoftMaxBackwardEpilogueEEEvPT_PKT1_SA_jjj
		.amdhsa_group_segment_fixed_size 0
		.amdhsa_private_segment_fixed_size 0
		.amdhsa_kernarg_size 296
		.amdhsa_user_sgpr_count 6
		.amdhsa_user_sgpr_private_segment_buffer 1
		.amdhsa_user_sgpr_dispatch_ptr 0
		.amdhsa_user_sgpr_queue_ptr 0
		.amdhsa_user_sgpr_kernarg_segment_ptr 1
		.amdhsa_user_sgpr_dispatch_id 0
		.amdhsa_user_sgpr_flat_scratch_init 0
		.amdhsa_user_sgpr_kernarg_preload_length 0
		.amdhsa_user_sgpr_kernarg_preload_offset 0
		.amdhsa_user_sgpr_private_segment_size 0
		.amdhsa_uses_dynamic_stack 0
		.amdhsa_system_sgpr_private_segment_wavefront_offset 0
		.amdhsa_system_sgpr_workgroup_id_x 1
		.amdhsa_system_sgpr_workgroup_id_y 1
		.amdhsa_system_sgpr_workgroup_id_z 0
		.amdhsa_system_sgpr_workgroup_info 0
		.amdhsa_system_vgpr_workitem_id 1
		.amdhsa_next_free_vgpr 25
		.amdhsa_next_free_sgpr 48
		.amdhsa_accum_offset 28
		.amdhsa_reserve_vcc 1
		.amdhsa_reserve_flat_scratch 0
		.amdhsa_float_round_mode_32 0
		.amdhsa_float_round_mode_16_64 0
		.amdhsa_float_denorm_mode_32 3
		.amdhsa_float_denorm_mode_16_64 3
		.amdhsa_dx10_clamp 1
		.amdhsa_ieee_mode 1
		.amdhsa_fp16_overflow 0
		.amdhsa_tg_split 0
		.amdhsa_exception_fp_ieee_invalid_op 0
		.amdhsa_exception_fp_denorm_src 0
		.amdhsa_exception_fp_ieee_div_zero 0
		.amdhsa_exception_fp_ieee_overflow 0
		.amdhsa_exception_fp_ieee_underflow 0
		.amdhsa_exception_fp_ieee_inexact 0
		.amdhsa_exception_int_div_zero 0
	.end_amdhsa_kernel
	.section	.text._ZN2at6native12_GLOBAL__N_127cunn_SpatialSoftMaxBackwardIN3c104HalfEffNS1_23SoftMaxBackwardEpilogueEEEvPT_PKT1_SA_jjj,"axG",@progbits,_ZN2at6native12_GLOBAL__N_127cunn_SpatialSoftMaxBackwardIN3c104HalfEffNS1_23SoftMaxBackwardEpilogueEEEvPT_PKT1_SA_jjj,comdat
.Lfunc_end669:
	.size	_ZN2at6native12_GLOBAL__N_127cunn_SpatialSoftMaxBackwardIN3c104HalfEffNS1_23SoftMaxBackwardEpilogueEEEvPT_PKT1_SA_jjj, .Lfunc_end669-_ZN2at6native12_GLOBAL__N_127cunn_SpatialSoftMaxBackwardIN3c104HalfEffNS1_23SoftMaxBackwardEpilogueEEEvPT_PKT1_SA_jjj
                                        ; -- End function
	.section	.AMDGPU.csdata,"",@progbits
; Kernel info:
; codeLenInByte = 1184
; NumSgprs: 52
; NumVgprs: 25
; NumAgprs: 0
; TotalNumVgprs: 25
; ScratchSize: 0
; MemoryBound: 0
; FloatMode: 240
; IeeeMode: 1
; LDSByteSize: 0 bytes/workgroup (compile time only)
; SGPRBlocks: 6
; VGPRBlocks: 3
; NumSGPRsForWavesPerEU: 52
; NumVGPRsForWavesPerEU: 25
; AccumOffset: 28
; Occupancy: 8
; WaveLimiterHint : 0
; COMPUTE_PGM_RSRC2:SCRATCH_EN: 0
; COMPUTE_PGM_RSRC2:USER_SGPR: 6
; COMPUTE_PGM_RSRC2:TRAP_HANDLER: 0
; COMPUTE_PGM_RSRC2:TGID_X_EN: 1
; COMPUTE_PGM_RSRC2:TGID_Y_EN: 1
; COMPUTE_PGM_RSRC2:TGID_Z_EN: 0
; COMPUTE_PGM_RSRC2:TIDIG_COMP_CNT: 1
; COMPUTE_PGM_RSRC3_GFX90A:ACCUM_OFFSET: 6
; COMPUTE_PGM_RSRC3_GFX90A:TG_SPLIT: 0
	.section	.text._ZN2at6native12_GLOBAL__N_127cunn_SpatialSoftMaxBackwardIN3c108BFloat16EfS4_NS1_23SoftMaxBackwardEpilogueEEEvPT_PKT1_SA_jjj,"axG",@progbits,_ZN2at6native12_GLOBAL__N_127cunn_SpatialSoftMaxBackwardIN3c108BFloat16EfS4_NS1_23SoftMaxBackwardEpilogueEEEvPT_PKT1_SA_jjj,comdat
	.globl	_ZN2at6native12_GLOBAL__N_127cunn_SpatialSoftMaxBackwardIN3c108BFloat16EfS4_NS1_23SoftMaxBackwardEpilogueEEEvPT_PKT1_SA_jjj ; -- Begin function _ZN2at6native12_GLOBAL__N_127cunn_SpatialSoftMaxBackwardIN3c108BFloat16EfS4_NS1_23SoftMaxBackwardEpilogueEEEvPT_PKT1_SA_jjj
	.p2align	8
	.type	_ZN2at6native12_GLOBAL__N_127cunn_SpatialSoftMaxBackwardIN3c108BFloat16EfS4_NS1_23SoftMaxBackwardEpilogueEEEvPT_PKT1_SA_jjj,@function
_ZN2at6native12_GLOBAL__N_127cunn_SpatialSoftMaxBackwardIN3c108BFloat16EfS4_NS1_23SoftMaxBackwardEpilogueEEEvPT_PKT1_SA_jjj: ; @_ZN2at6native12_GLOBAL__N_127cunn_SpatialSoftMaxBackwardIN3c108BFloat16EfS4_NS1_23SoftMaxBackwardEpilogueEEEvPT_PKT1_SA_jjj
; %bb.0:
	s_load_dwordx4 s[12:15], s[4:5], 0x18
	s_waitcnt lgkmcnt(0)
	s_cmp_ge_u32 s6, s12
	s_cbranch_scc1 .LBB670_26
; %bb.1:
	s_load_dwordx2 s[10:11], s[4:5], 0x28
	s_load_dword s0, s[4:5], 0x34
	s_load_dwordx4 s[16:19], s[4:5], 0x0
	s_load_dwordx2 s[20:21], s[4:5], 0x10
	s_add_u32 s22, s4, 40
	s_addc_u32 s23, s5, 0
	s_waitcnt lgkmcnt(0)
	s_lshr_b32 s4, s0, 16
	v_and_b32_e32 v4, 0x3ff, v0
	s_mul_i32 s9, s6, s13
	s_mul_i32 s8, s7, s4
	v_bfe_u32 v2, v0, 10, 10
	s_cmp_lg_u32 s13, 0
	s_mul_i32 s7, s11, s4
	s_mul_i32 s11, s9, s14
	v_add_u32_e32 v0, s9, v4
	s_cselect_b64 s[4:5], -1, 0
	s_add_i32 s11, s8, s11
	v_mul_lo_u32 v0, s14, v0
	v_add_u32_e32 v3, s8, v2
	v_add_u32_e32 v5, s11, v2
	s_mul_i32 s11, s10, s14
	v_add3_u32 v6, v2, v0, s8
	v_cndmask_b32_e64 v0, 0, 1, s[4:5]
	v_cmp_gt_u32_e64 s[0:1], s14, v3
	v_cmp_gt_u32_e64 s[2:3], s13, v4
	s_mul_i32 s11, s11, s13
	v_cmp_ne_u32_e64 s[4:5], 1, v0
	v_mov_b32_e32 v1, 0
	s_movk_i32 s15, 0x7fff
	v_mov_b32_e32 v7, 0x7fc0
	s_branch .LBB670_3
.LBB670_2:                              ;   in Loop: Header=BB670_3 Depth=1
	s_or_b64 exec, exec, s[24:25]
	s_add_i32 s6, s10, s6
	v_add_u32_e32 v5, s11, v5
	s_cmp_ge_u32 s6, s12
	v_add_u32_e32 v6, s11, v6
	s_cbranch_scc1 .LBB670_26
.LBB670_3:                              ; =>This Loop Header: Depth=1
                                        ;     Child Loop BB670_7 Depth 2
                                        ;       Child Loop BB670_10 Depth 3
                                        ;       Child Loop BB670_12 Depth 3
	;; [unrolled: 1-line block ×5, first 2 shown]
	s_and_saveexec_b64 s[24:25], s[0:1]
	s_cbranch_execz .LBB670_2
; %bb.4:                                ;   in Loop: Header=BB670_3 Depth=1
	s_load_dword s8, s[22:23], 0xc
	s_mov_b64 s[26:27], 0
	v_mov_b32_e32 v10, v6
	v_mov_b32_e32 v11, v5
	;; [unrolled: 1-line block ×3, first 2 shown]
	s_waitcnt lgkmcnt(0)
	s_and_b32 s33, s8, 0xffff
	s_cmp_lt_u32 s33, 2
	v_mul_u32_u24_e32 v0, s33, v2
	s_cselect_b64 s[8:9], -1, 0
	v_lshl_add_u32 v8, v0, 2, 0
	v_cndmask_b32_e64 v0, 0, 1, s[8:9]
	s_mul_i32 s34, s14, s33
	v_lshl_add_u32 v9, v4, 2, v8
	v_cmp_ne_u32_e64 s[8:9], 1, v0
	s_branch .LBB670_7
.LBB670_5:                              ;   in Loop: Header=BB670_7 Depth=2
	s_or_b64 exec, exec, s[28:29]
.LBB670_6:                              ;   in Loop: Header=BB670_7 Depth=2
	v_add_u32_e32 v12, s7, v12
	v_cmp_le_u32_e32 vcc, s14, v12
	v_add_u32_e32 v11, s7, v11
	s_or_b64 s[26:27], vcc, s[26:27]
	v_add_u32_e32 v10, s7, v10
	s_andn2_b64 exec, exec, s[26:27]
	s_cbranch_execz .LBB670_2
.LBB670_7:                              ;   Parent Loop BB670_3 Depth=1
                                        ; =>  This Loop Header: Depth=2
                                        ;       Child Loop BB670_10 Depth 3
                                        ;       Child Loop BB670_12 Depth 3
	;; [unrolled: 1-line block ×5, first 2 shown]
	s_and_b64 vcc, exec, s[8:9]
	s_mov_b64 s[28:29], -1
	s_cbranch_vccnz .LBB670_14
; %bb.8:                                ;   in Loop: Header=BB670_7 Depth=2
	v_mov_b32_e32 v13, 0
	s_and_b64 vcc, exec, s[4:5]
	s_cbranch_vccnz .LBB670_11
; %bb.9:                                ;   in Loop: Header=BB670_7 Depth=2
	v_mov_b32_e32 v0, v11
	s_mov_b32 s28, s13
.LBB670_10:                             ;   Parent Loop BB670_3 Depth=1
                                        ;     Parent Loop BB670_7 Depth=2
                                        ; =>    This Inner Loop Header: Depth=3
	v_lshlrev_b64 v[14:15], 1, v[0:1]
	v_mov_b32_e32 v16, s21
	v_add_co_u32_e32 v14, vcc, s20, v14
	v_addc_co_u32_e32 v15, vcc, v16, v15, vcc
	global_load_ushort v14, v[14:15], off
	s_add_i32 s28, s28, -1
	v_add_u32_e32 v0, s14, v0
	s_cmp_eq_u32 s28, 0
	s_waitcnt vmcnt(0)
	v_lshlrev_b32_e32 v14, 16, v14
	v_add_f32_e32 v13, v13, v14
	s_cbranch_scc0 .LBB670_10
.LBB670_11:                             ;   in Loop: Header=BB670_7 Depth=2
	s_and_b64 vcc, exec, s[4:5]
	v_mov_b32_e32 v0, v11
	s_mov_b32 s28, s13
	s_cbranch_vccnz .LBB670_13
.LBB670_12:                             ;   Parent Loop BB670_3 Depth=1
                                        ;     Parent Loop BB670_7 Depth=2
                                        ; =>    This Inner Loop Header: Depth=3
	v_lshlrev_b64 v[14:15], 1, v[0:1]
	v_mov_b32_e32 v17, s21
	v_add_co_u32_e32 v16, vcc, s20, v14
	v_addc_co_u32_e32 v17, vcc, v17, v15, vcc
	v_mov_b32_e32 v19, s19
	v_add_co_u32_e32 v18, vcc, s18, v14
	v_addc_co_u32_e32 v19, vcc, v19, v15, vcc
	global_load_ushort v20, v[18:19], off
	global_load_ushort v21, v[16:17], off
	v_mov_b32_e32 v16, s17
	v_add_co_u32_e32 v14, vcc, s16, v14
	v_addc_co_u32_e32 v15, vcc, v16, v15, vcc
	s_add_i32 s28, s28, -1
	v_add_u32_e32 v0, s14, v0
	s_cmp_lg_u32 s28, 0
	s_waitcnt vmcnt(1)
	v_lshlrev_b32_e32 v16, 16, v20
	s_waitcnt vmcnt(0)
	v_lshlrev_b32_e32 v17, 16, v21
	v_fma_f32 v16, -v13, v16, v17
	v_bfe_u32 v17, v16, 16, 1
	v_add3_u32 v17, v16, v17, s15
	v_lshrrev_b32_e32 v17, 16, v17
	v_cmp_o_f32_e32 vcc, v16, v16
	v_cndmask_b32_e32 v16, v7, v17, vcc
	global_store_short v[14:15], v16, off
	s_cbranch_scc1 .LBB670_12
.LBB670_13:                             ;   in Loop: Header=BB670_7 Depth=2
	s_mov_b64 s[28:29], 0
.LBB670_14:                             ;   in Loop: Header=BB670_7 Depth=2
	s_and_b64 vcc, exec, s[28:29]
	s_cbranch_vccz .LBB670_6
; %bb.15:                               ;   in Loop: Header=BB670_7 Depth=2
	v_mov_b32_e32 v13, 0
	s_and_saveexec_b64 s[28:29], s[2:3]
	s_cbranch_execz .LBB670_19
; %bb.16:                               ;   in Loop: Header=BB670_7 Depth=2
	s_mov_b64 s[30:31], 0
	v_mov_b32_e32 v13, 0
	v_mov_b32_e32 v0, v10
	;; [unrolled: 1-line block ×3, first 2 shown]
.LBB670_17:                             ;   Parent Loop BB670_3 Depth=1
                                        ;     Parent Loop BB670_7 Depth=2
                                        ; =>    This Inner Loop Header: Depth=3
	v_lshlrev_b64 v[16:17], 1, v[0:1]
	v_mov_b32_e32 v15, s21
	v_add_co_u32_e32 v16, vcc, s20, v16
	v_addc_co_u32_e32 v17, vcc, v15, v17, vcc
	global_load_ushort v15, v[16:17], off
	v_add_u32_e32 v14, s33, v14
	v_cmp_le_u32_e32 vcc, s13, v14
	v_add_u32_e32 v0, s34, v0
	s_or_b64 s[30:31], vcc, s[30:31]
	s_waitcnt vmcnt(0)
	v_lshlrev_b32_e32 v15, 16, v15
	v_add_f32_e32 v13, v13, v15
	s_andn2_b64 exec, exec, s[30:31]
	s_cbranch_execnz .LBB670_17
; %bb.18:                               ;   in Loop: Header=BB670_7 Depth=2
	s_or_b64 exec, exec, s[30:31]
.LBB670_19:                             ;   in Loop: Header=BB670_7 Depth=2
	s_or_b64 exec, exec, s[28:29]
	s_mov_b32 s30, s33
	s_barrier
	ds_write_b32 v9, v13
	s_branch .LBB670_21
.LBB670_20:                             ;   in Loop: Header=BB670_21 Depth=3
	s_or_b64 exec, exec, s[28:29]
	s_cmp_gt_u32 s30, 3
	s_mov_b32 s30, s31
	s_cbranch_scc0 .LBB670_23
.LBB670_21:                             ;   Parent Loop BB670_3 Depth=1
                                        ;     Parent Loop BB670_7 Depth=2
                                        ; =>    This Inner Loop Header: Depth=3
	s_lshr_b32 s31, s30, 1
	v_cmp_gt_u32_e32 vcc, s31, v4
	s_waitcnt lgkmcnt(0)
	s_barrier
	s_and_saveexec_b64 s[28:29], vcc
	s_cbranch_execz .LBB670_20
; %bb.22:                               ;   in Loop: Header=BB670_21 Depth=3
	v_lshl_add_u32 v0, s31, 2, v9
	ds_read_b32 v13, v9
	ds_read_b32 v0, v0
	s_waitcnt lgkmcnt(0)
	v_add_f32_e32 v0, v13, v0
	ds_write_b32 v9, v0
	s_branch .LBB670_20
.LBB670_23:                             ;   in Loop: Header=BB670_7 Depth=2
	s_waitcnt lgkmcnt(0)
	s_barrier
	s_and_saveexec_b64 s[28:29], s[2:3]
	s_cbranch_execz .LBB670_5
; %bb.24:                               ;   in Loop: Header=BB670_7 Depth=2
	ds_read_b32 v13, v8
	s_mov_b64 s[30:31], 0
	v_mov_b32_e32 v0, v10
	v_mov_b32_e32 v14, v4
.LBB670_25:                             ;   Parent Loop BB670_3 Depth=1
                                        ;     Parent Loop BB670_7 Depth=2
                                        ; =>    This Inner Loop Header: Depth=3
	v_lshlrev_b64 v[16:17], 1, v[0:1]
	v_mov_b32_e32 v15, s21
	v_add_co_u32_e32 v18, vcc, s20, v16
	v_addc_co_u32_e32 v19, vcc, v15, v17, vcc
	v_mov_b32_e32 v21, s19
	v_add_co_u32_e32 v20, vcc, s18, v16
	v_addc_co_u32_e32 v21, vcc, v21, v17, vcc
	global_load_ushort v15, v[20:21], off
	global_load_ushort v22, v[18:19], off
	v_mov_b32_e32 v18, s17
	v_add_co_u32_e32 v16, vcc, s16, v16
	v_addc_co_u32_e32 v17, vcc, v18, v17, vcc
	v_add_u32_e32 v14, s33, v14
	v_cmp_le_u32_e32 vcc, s13, v14
	s_or_b64 s[30:31], vcc, s[30:31]
	v_add_u32_e32 v0, s34, v0
	s_waitcnt vmcnt(1)
	v_lshlrev_b32_e32 v15, 16, v15
	s_waitcnt vmcnt(0)
	v_lshlrev_b32_e32 v18, 16, v22
	s_waitcnt lgkmcnt(0)
	v_fma_f32 v15, -v13, v15, v18
	v_bfe_u32 v18, v15, 16, 1
	v_add3_u32 v18, v15, v18, s15
	v_lshrrev_b32_e32 v18, 16, v18
	v_cmp_o_f32_e32 vcc, v15, v15
	v_cndmask_b32_e32 v15, v7, v18, vcc
	global_store_short v[16:17], v15, off
	s_andn2_b64 exec, exec, s[30:31]
	s_cbranch_execnz .LBB670_25
	s_branch .LBB670_5
.LBB670_26:
	s_endpgm
	.section	.rodata,"a",@progbits
	.p2align	6, 0x0
	.amdhsa_kernel _ZN2at6native12_GLOBAL__N_127cunn_SpatialSoftMaxBackwardIN3c108BFloat16EfS4_NS1_23SoftMaxBackwardEpilogueEEEvPT_PKT1_SA_jjj
		.amdhsa_group_segment_fixed_size 0
		.amdhsa_private_segment_fixed_size 0
		.amdhsa_kernarg_size 296
		.amdhsa_user_sgpr_count 6
		.amdhsa_user_sgpr_private_segment_buffer 1
		.amdhsa_user_sgpr_dispatch_ptr 0
		.amdhsa_user_sgpr_queue_ptr 0
		.amdhsa_user_sgpr_kernarg_segment_ptr 1
		.amdhsa_user_sgpr_dispatch_id 0
		.amdhsa_user_sgpr_flat_scratch_init 0
		.amdhsa_user_sgpr_kernarg_preload_length 0
		.amdhsa_user_sgpr_kernarg_preload_offset 0
		.amdhsa_user_sgpr_private_segment_size 0
		.amdhsa_uses_dynamic_stack 0
		.amdhsa_system_sgpr_private_segment_wavefront_offset 0
		.amdhsa_system_sgpr_workgroup_id_x 1
		.amdhsa_system_sgpr_workgroup_id_y 1
		.amdhsa_system_sgpr_workgroup_id_z 0
		.amdhsa_system_sgpr_workgroup_info 0
		.amdhsa_system_vgpr_workitem_id 1
		.amdhsa_next_free_vgpr 23
		.amdhsa_next_free_sgpr 35
		.amdhsa_accum_offset 24
		.amdhsa_reserve_vcc 1
		.amdhsa_reserve_flat_scratch 0
		.amdhsa_float_round_mode_32 0
		.amdhsa_float_round_mode_16_64 0
		.amdhsa_float_denorm_mode_32 3
		.amdhsa_float_denorm_mode_16_64 3
		.amdhsa_dx10_clamp 1
		.amdhsa_ieee_mode 1
		.amdhsa_fp16_overflow 0
		.amdhsa_tg_split 0
		.amdhsa_exception_fp_ieee_invalid_op 0
		.amdhsa_exception_fp_denorm_src 0
		.amdhsa_exception_fp_ieee_div_zero 0
		.amdhsa_exception_fp_ieee_overflow 0
		.amdhsa_exception_fp_ieee_underflow 0
		.amdhsa_exception_fp_ieee_inexact 0
		.amdhsa_exception_int_div_zero 0
	.end_amdhsa_kernel
	.section	.text._ZN2at6native12_GLOBAL__N_127cunn_SpatialSoftMaxBackwardIN3c108BFloat16EfS4_NS1_23SoftMaxBackwardEpilogueEEEvPT_PKT1_SA_jjj,"axG",@progbits,_ZN2at6native12_GLOBAL__N_127cunn_SpatialSoftMaxBackwardIN3c108BFloat16EfS4_NS1_23SoftMaxBackwardEpilogueEEEvPT_PKT1_SA_jjj,comdat
.Lfunc_end670:
	.size	_ZN2at6native12_GLOBAL__N_127cunn_SpatialSoftMaxBackwardIN3c108BFloat16EfS4_NS1_23SoftMaxBackwardEpilogueEEEvPT_PKT1_SA_jjj, .Lfunc_end670-_ZN2at6native12_GLOBAL__N_127cunn_SpatialSoftMaxBackwardIN3c108BFloat16EfS4_NS1_23SoftMaxBackwardEpilogueEEEvPT_PKT1_SA_jjj
                                        ; -- End function
	.section	.AMDGPU.csdata,"",@progbits
; Kernel info:
; codeLenInByte = 1000
; NumSgprs: 39
; NumVgprs: 23
; NumAgprs: 0
; TotalNumVgprs: 23
; ScratchSize: 0
; MemoryBound: 0
; FloatMode: 240
; IeeeMode: 1
; LDSByteSize: 0 bytes/workgroup (compile time only)
; SGPRBlocks: 4
; VGPRBlocks: 2
; NumSGPRsForWavesPerEU: 39
; NumVGPRsForWavesPerEU: 23
; AccumOffset: 24
; Occupancy: 8
; WaveLimiterHint : 0
; COMPUTE_PGM_RSRC2:SCRATCH_EN: 0
; COMPUTE_PGM_RSRC2:USER_SGPR: 6
; COMPUTE_PGM_RSRC2:TRAP_HANDLER: 0
; COMPUTE_PGM_RSRC2:TGID_X_EN: 1
; COMPUTE_PGM_RSRC2:TGID_Y_EN: 1
; COMPUTE_PGM_RSRC2:TGID_Z_EN: 0
; COMPUTE_PGM_RSRC2:TIDIG_COMP_CNT: 1
; COMPUTE_PGM_RSRC3_GFX90A:ACCUM_OFFSET: 5
; COMPUTE_PGM_RSRC3_GFX90A:TG_SPLIT: 0
	.section	.text._ZN2at6native12_GLOBAL__N_127cunn_SpatialSoftMaxBackwardIN3c108BFloat16EffNS1_23SoftMaxBackwardEpilogueEEEvPT_PKT1_SA_jjj,"axG",@progbits,_ZN2at6native12_GLOBAL__N_127cunn_SpatialSoftMaxBackwardIN3c108BFloat16EffNS1_23SoftMaxBackwardEpilogueEEEvPT_PKT1_SA_jjj,comdat
	.globl	_ZN2at6native12_GLOBAL__N_127cunn_SpatialSoftMaxBackwardIN3c108BFloat16EffNS1_23SoftMaxBackwardEpilogueEEEvPT_PKT1_SA_jjj ; -- Begin function _ZN2at6native12_GLOBAL__N_127cunn_SpatialSoftMaxBackwardIN3c108BFloat16EffNS1_23SoftMaxBackwardEpilogueEEEvPT_PKT1_SA_jjj
	.p2align	8
	.type	_ZN2at6native12_GLOBAL__N_127cunn_SpatialSoftMaxBackwardIN3c108BFloat16EffNS1_23SoftMaxBackwardEpilogueEEEvPT_PKT1_SA_jjj,@function
_ZN2at6native12_GLOBAL__N_127cunn_SpatialSoftMaxBackwardIN3c108BFloat16EffNS1_23SoftMaxBackwardEpilogueEEEvPT_PKT1_SA_jjj: ; @_ZN2at6native12_GLOBAL__N_127cunn_SpatialSoftMaxBackwardIN3c108BFloat16EffNS1_23SoftMaxBackwardEpilogueEEEvPT_PKT1_SA_jjj
; %bb.0:
	s_load_dwordx4 s[12:15], s[4:5], 0x18
	s_waitcnt lgkmcnt(0)
	s_cmp_ge_u32 s6, s12
	s_cbranch_scc1 .LBB671_33
; %bb.1:
	s_load_dwordx2 s[20:21], s[4:5], 0x28
	s_load_dword s0, s[4:5], 0x34
	s_load_dwordx4 s[16:19], s[4:5], 0x0
	s_load_dwordx2 s[22:23], s[4:5], 0x10
	s_add_u32 s24, s4, 40
	s_addc_u32 s25, s5, 0
	s_waitcnt lgkmcnt(0)
	s_lshr_b32 s4, s0, 16
	s_cmp_lg_u32 s13, 0
	s_mul_i32 s8, s7, s4
	s_mul_i32 s15, s21, s4
	s_cselect_b64 s[4:5], -1, 0
	s_cmp_eq_u32 s13, 1
	v_and_b32_e32 v7, 0x3ff, v0
	s_mul_i32 s9, s6, s13
	s_cselect_b64 s[26:27], -1, 0
	s_cmp_lg_u32 s14, 1
	v_bfe_u32 v3, v0, 10, 10
	s_cselect_b64 s[28:29], -1, 0
	s_sub_i32 s33, 0, s13
	s_and_b32 s42, s13, -2
	v_add_u32_e32 v0, s9, v7
	s_cmp_lg_u32 s42, s13
	s_mul_i32 s10, s9, s14
	v_mul_lo_u32 v0, s14, v0
	v_add_u32_e32 v6, s8, v3
	s_mul_i32 s21, s20, s13
	s_cselect_b64 s[30:31], -1, 0
	s_add_i32 s10, s8, s10
	v_add3_u32 v10, v3, v0, s8
	v_cndmask_b32_e64 v0, 0, 1, s[4:5]
	v_cmp_gt_u32_e64 s[0:1], s14, v6
	s_mov_b32 s7, 0
	v_cmp_gt_u32_e64 s[2:3], s13, v7
	v_add_u32_e32 v8, s9, v6
	v_add_u32_e32 v9, s10, v3
	s_mul_i32 s43, s21, s14
	v_cmp_ne_u32_e64 s[4:5], 1, v0
	v_mov_b32_e32 v1, 0
	s_movk_i32 s44, 0x7fff
	s_mov_b32 s45, 0x5040100
	v_mov_b32_e32 v11, 0x7fc0
	s_branch .LBB671_3
.LBB671_2:                              ;   in Loop: Header=BB671_3 Depth=1
	s_or_b64 exec, exec, s[34:35]
	s_add_i32 s6, s20, s6
	s_add_i32 s7, s7, 1
	v_add_u32_e32 v9, s43, v9
	s_cmp_ge_u32 s6, s12
	v_add_u32_e32 v10, s43, v10
	s_cbranch_scc1 .LBB671_33
.LBB671_3:                              ; =>This Loop Header: Depth=1
                                        ;     Child Loop BB671_7 Depth 2
                                        ;       Child Loop BB671_10 Depth 3
                                        ;       Child Loop BB671_14 Depth 3
                                        ;       Child Loop BB671_18 Depth 3
                                        ;       Child Loop BB671_24 Depth 3
                                        ;       Child Loop BB671_28 Depth 3
                                        ;       Child Loop BB671_32 Depth 3
	s_and_saveexec_b64 s[34:35], s[0:1]
	s_cbranch_execz .LBB671_2
; %bb.4:                                ;   in Loop: Header=BB671_3 Depth=1
	s_load_dword s8, s[24:25], 0xc
	s_mul_i32 s9, s21, s7
	v_add_u32_e32 v12, s9, v8
	s_mov_b32 s48, 0
	s_mov_b64 s[36:37], 0
	s_waitcnt lgkmcnt(0)
	s_and_b32 s46, s8, 0xffff
	s_cmp_lt_u32 s46, 2
	v_mul_u32_u24_e32 v0, s46, v3
	s_cselect_b64 s[8:9], -1, 0
	v_lshl_add_u32 v13, v0, 2, 0
	v_cndmask_b32_e64 v0, 0, 1, s[8:9]
	s_mul_i32 s47, s14, s46
	v_lshl_add_u32 v14, v7, 2, v13
	v_cmp_ne_u32_e64 s[8:9], 1, v0
	v_mov_b32_e32 v15, v10
	v_mov_b32_e32 v2, v9
	;; [unrolled: 1-line block ×3, first 2 shown]
	s_branch .LBB671_7
.LBB671_5:                              ;   in Loop: Header=BB671_7 Depth=2
	s_or_b64 exec, exec, s[10:11]
.LBB671_6:                              ;   in Loop: Header=BB671_7 Depth=2
	v_add_u32_e32 v16, s15, v16
	s_add_i32 s48, s48, 1
	v_cmp_le_u32_e32 vcc, s14, v16
	v_add_u32_e32 v2, s15, v2
	s_or_b64 s[36:37], vcc, s[36:37]
	v_add_u32_e32 v15, s15, v15
	s_andn2_b64 exec, exec, s[36:37]
	s_cbranch_execz .LBB671_2
.LBB671_7:                              ;   Parent Loop BB671_3 Depth=1
                                        ; =>  This Loop Header: Depth=2
                                        ;       Child Loop BB671_10 Depth 3
                                        ;       Child Loop BB671_14 Depth 3
	;; [unrolled: 1-line block ×6, first 2 shown]
	s_and_b64 vcc, exec, s[8:9]
	s_mov_b64 s[10:11], -1
	s_cbranch_vccnz .LBB671_21
; %bb.8:                                ;   in Loop: Header=BB671_7 Depth=2
	v_mov_b32_e32 v4, 0
	s_and_b64 vcc, exec, s[4:5]
	s_cbranch_vccnz .LBB671_11
; %bb.9:                                ;   in Loop: Header=BB671_7 Depth=2
	v_mov_b32_e32 v0, v2
	s_mov_b32 s10, s13
.LBB671_10:                             ;   Parent Loop BB671_3 Depth=1
                                        ;     Parent Loop BB671_7 Depth=2
                                        ; =>    This Inner Loop Header: Depth=3
	v_lshlrev_b64 v[18:19], 2, v[0:1]
	v_mov_b32_e32 v5, s23
	v_add_co_u32_e32 v18, vcc, s22, v18
	v_addc_co_u32_e32 v19, vcc, v5, v19, vcc
	global_load_dword v5, v[18:19], off
	s_add_i32 s10, s10, -1
	v_add_u32_e32 v0, s14, v0
	s_cmp_eq_u32 s10, 0
	s_waitcnt vmcnt(0)
	v_add_f32_e32 v4, v4, v5
	s_cbranch_scc0 .LBB671_10
.LBB671_11:                             ;   in Loop: Header=BB671_7 Depth=2
	s_and_b64 vcc, exec, s[4:5]
	s_cbranch_vccnz .LBB671_20
; %bb.12:                               ;   in Loop: Header=BB671_7 Depth=2
	s_mul_i32 s10, s15, s48
	v_add_u32_e32 v0, s10, v12
	v_cmp_lt_u32_e32 vcc, s33, v0
	s_or_b64 s[10:11], s[28:29], vcc
	s_or_b64 s[10:11], s[26:27], s[10:11]
	s_mov_b64 s[40:41], -1
	s_xor_b64 s[10:11], s[10:11], -1
	v_mov_b32_e32 v0, 0
	s_and_saveexec_b64 s[38:39], s[10:11]
	s_cbranch_execz .LBB671_16
; %bb.13:                               ;   in Loop: Header=BB671_7 Depth=2
	v_mov_b32_e32 v5, v4
	s_mov_b32 s40, 0
.LBB671_14:                             ;   Parent Loop BB671_3 Depth=1
                                        ;     Parent Loop BB671_7 Depth=2
                                        ; =>    This Inner Loop Header: Depth=3
	v_add_u32_e32 v0, s40, v2
	v_lshlrev_b64 v[18:19], 2, v[0:1]
	v_mov_b32_e32 v17, s23
	v_add_co_u32_e32 v20, vcc, s22, v18
	v_addc_co_u32_e32 v21, vcc, v17, v19, vcc
	v_mov_b32_e32 v22, s19
	v_add_co_u32_e32 v18, vcc, s18, v18
	v_addc_co_u32_e32 v19, vcc, v22, v19, vcc
	global_load_dwordx2 v[22:23], v[20:21], off
	global_load_dwordx2 v[24:25], v[18:19], off
	v_lshlrev_b64 v[18:19], 1, v[0:1]
	v_mov_b32_e32 v17, s17
	v_add_co_u32_e32 v18, vcc, s16, v18
	v_addc_co_u32_e32 v19, vcc, v17, v19, vcc
	s_add_i32 s40, s40, 2
	s_cmp_lg_u32 s42, s40
	s_waitcnt vmcnt(0)
	v_pk_fma_f32 v[20:21], v[4:5], v[24:25], v[22:23] neg_lo:[1,0,0] neg_hi:[1,0,0]
	v_bfe_u32 v0, v20, 16, 1
	v_bfe_u32 v17, v21, 16, 1
	v_add3_u32 v17, v21, v17, s44
	v_add3_u32 v0, v20, v0, s44
	v_lshrrev_b32_e32 v0, 16, v0
	v_lshrrev_b32_e32 v17, 16, v17
	v_cmp_o_f32_e32 vcc, v21, v21
	v_cmp_o_f32_e64 s[10:11], v20, v20
	v_cndmask_b32_e64 v0, v11, v0, s[10:11]
	v_cndmask_b32_e32 v17, v11, v17, vcc
	v_perm_b32 v0, v17, v0, s45
	global_store_dword v[18:19], v0, off
	s_cbranch_scc1 .LBB671_14
; %bb.15:                               ;   in Loop: Header=BB671_7 Depth=2
	v_mov_b32_e32 v0, s42
	s_orn2_b64 s[40:41], s[30:31], exec
.LBB671_16:                             ;   in Loop: Header=BB671_7 Depth=2
	s_or_b64 exec, exec, s[38:39]
	s_and_saveexec_b64 s[10:11], s[40:41]
	s_cbranch_execz .LBB671_19
; %bb.17:                               ;   in Loop: Header=BB671_7 Depth=2
	v_mad_u64_u32 v[18:19], s[38:39], s14, v0, v[2:3]
	v_sub_u32_e32 v5, s13, v0
	s_mov_b64 s[38:39], 0
	v_mov_b32_e32 v0, v18
.LBB671_18:                             ;   Parent Loop BB671_3 Depth=1
                                        ;     Parent Loop BB671_7 Depth=2
                                        ; =>    This Inner Loop Header: Depth=3
	v_lshlrev_b64 v[18:19], 2, v[0:1]
	v_mov_b32_e32 v17, s23
	v_add_co_u32_e32 v20, vcc, s22, v18
	v_addc_co_u32_e32 v21, vcc, v17, v19, vcc
	v_mov_b32_e32 v22, s19
	v_add_co_u32_e32 v18, vcc, s18, v18
	v_addc_co_u32_e32 v19, vcc, v22, v19, vcc
	global_load_dword v17, v[20:21], off
	global_load_dword v22, v[18:19], off
	v_lshlrev_b64 v[18:19], 1, v[0:1]
	v_mov_b32_e32 v20, s17
	v_add_co_u32_e32 v18, vcc, s16, v18
	v_add_u32_e32 v5, -1, v5
	v_addc_co_u32_e32 v19, vcc, v20, v19, vcc
	v_cmp_eq_u32_e32 vcc, 0, v5
	s_or_b64 s[38:39], vcc, s[38:39]
	v_add_u32_e32 v0, s14, v0
	s_waitcnt vmcnt(0)
	v_fma_f32 v17, -v4, v22, v17
	v_bfe_u32 v20, v17, 16, 1
	v_add3_u32 v20, v17, v20, s44
	v_lshrrev_b32_e32 v20, 16, v20
	v_cmp_o_f32_e32 vcc, v17, v17
	v_cndmask_b32_e32 v17, v11, v20, vcc
	global_store_short v[18:19], v17, off
	s_andn2_b64 exec, exec, s[38:39]
	s_cbranch_execnz .LBB671_18
.LBB671_19:                             ;   in Loop: Header=BB671_7 Depth=2
	s_or_b64 exec, exec, s[10:11]
.LBB671_20:                             ;   in Loop: Header=BB671_7 Depth=2
	s_mov_b64 s[10:11], 0
.LBB671_21:                             ;   in Loop: Header=BB671_7 Depth=2
	s_and_b64 vcc, exec, s[10:11]
	s_cbranch_vccz .LBB671_6
; %bb.22:                               ;   in Loop: Header=BB671_7 Depth=2
	v_mov_b32_e32 v4, 0
	s_and_saveexec_b64 s[10:11], s[2:3]
	s_cbranch_execz .LBB671_26
; %bb.23:                               ;   in Loop: Header=BB671_7 Depth=2
	s_mov_b64 s[38:39], 0
	v_mov_b32_e32 v4, 0
	v_mov_b32_e32 v0, v15
	;; [unrolled: 1-line block ×3, first 2 shown]
.LBB671_24:                             ;   Parent Loop BB671_3 Depth=1
                                        ;     Parent Loop BB671_7 Depth=2
                                        ; =>    This Inner Loop Header: Depth=3
	v_lshlrev_b64 v[18:19], 2, v[0:1]
	v_mov_b32_e32 v17, s23
	v_add_co_u32_e32 v18, vcc, s22, v18
	v_addc_co_u32_e32 v19, vcc, v17, v19, vcc
	global_load_dword v17, v[18:19], off
	v_add_u32_e32 v5, s46, v5
	v_cmp_le_u32_e32 vcc, s13, v5
	v_add_u32_e32 v0, s47, v0
	s_or_b64 s[38:39], vcc, s[38:39]
	s_waitcnt vmcnt(0)
	v_add_f32_e32 v4, v4, v17
	s_andn2_b64 exec, exec, s[38:39]
	s_cbranch_execnz .LBB671_24
; %bb.25:                               ;   in Loop: Header=BB671_7 Depth=2
	s_or_b64 exec, exec, s[38:39]
.LBB671_26:                             ;   in Loop: Header=BB671_7 Depth=2
	s_or_b64 exec, exec, s[10:11]
	s_mov_b32 s38, s46
	s_barrier
	ds_write_b32 v14, v4
	s_branch .LBB671_28
.LBB671_27:                             ;   in Loop: Header=BB671_28 Depth=3
	s_or_b64 exec, exec, s[10:11]
	s_cmp_gt_u32 s38, 3
	s_mov_b32 s38, s39
	s_cbranch_scc0 .LBB671_30
.LBB671_28:                             ;   Parent Loop BB671_3 Depth=1
                                        ;     Parent Loop BB671_7 Depth=2
                                        ; =>    This Inner Loop Header: Depth=3
	s_lshr_b32 s39, s38, 1
	v_cmp_gt_u32_e32 vcc, s39, v7
	s_waitcnt lgkmcnt(0)
	s_barrier
	s_and_saveexec_b64 s[10:11], vcc
	s_cbranch_execz .LBB671_27
; %bb.29:                               ;   in Loop: Header=BB671_28 Depth=3
	v_lshl_add_u32 v0, s39, 2, v14
	ds_read_b32 v4, v14
	ds_read_b32 v0, v0
	s_waitcnt lgkmcnt(0)
	v_add_f32_e32 v0, v4, v0
	ds_write_b32 v14, v0
	s_branch .LBB671_27
.LBB671_30:                             ;   in Loop: Header=BB671_7 Depth=2
	s_waitcnt lgkmcnt(0)
	s_barrier
	s_and_saveexec_b64 s[10:11], s[2:3]
	s_cbranch_execz .LBB671_5
; %bb.31:                               ;   in Loop: Header=BB671_7 Depth=2
	ds_read_b32 v4, v13
	s_mov_b64 s[38:39], 0
	v_mov_b32_e32 v0, v15
	v_mov_b32_e32 v5, v7
.LBB671_32:                             ;   Parent Loop BB671_3 Depth=1
                                        ;     Parent Loop BB671_7 Depth=2
                                        ; =>    This Inner Loop Header: Depth=3
	v_lshlrev_b64 v[18:19], 2, v[0:1]
	v_mov_b32_e32 v17, s23
	v_add_co_u32_e32 v20, vcc, s22, v18
	v_addc_co_u32_e32 v21, vcc, v17, v19, vcc
	v_mov_b32_e32 v22, s19
	v_add_co_u32_e32 v18, vcc, s18, v18
	v_addc_co_u32_e32 v19, vcc, v22, v19, vcc
	global_load_dword v17, v[20:21], off
	global_load_dword v22, v[18:19], off
	v_lshlrev_b64 v[18:19], 1, v[0:1]
	v_mov_b32_e32 v20, s17
	v_add_co_u32_e32 v18, vcc, s16, v18
	v_add_u32_e32 v5, s46, v5
	v_addc_co_u32_e32 v19, vcc, v20, v19, vcc
	v_cmp_le_u32_e32 vcc, s13, v5
	s_or_b64 s[38:39], vcc, s[38:39]
	v_add_u32_e32 v0, s47, v0
	s_waitcnt vmcnt(0) lgkmcnt(0)
	v_fma_f32 v17, -v4, v22, v17
	v_bfe_u32 v20, v17, 16, 1
	v_add3_u32 v20, v17, v20, s44
	v_lshrrev_b32_e32 v20, 16, v20
	v_cmp_o_f32_e32 vcc, v17, v17
	v_cndmask_b32_e32 v17, v11, v20, vcc
	global_store_short v[18:19], v17, off
	s_andn2_b64 exec, exec, s[38:39]
	s_cbranch_execnz .LBB671_32
	s_branch .LBB671_5
.LBB671_33:
	s_endpgm
	.section	.rodata,"a",@progbits
	.p2align	6, 0x0
	.amdhsa_kernel _ZN2at6native12_GLOBAL__N_127cunn_SpatialSoftMaxBackwardIN3c108BFloat16EffNS1_23SoftMaxBackwardEpilogueEEEvPT_PKT1_SA_jjj
		.amdhsa_group_segment_fixed_size 0
		.amdhsa_private_segment_fixed_size 0
		.amdhsa_kernarg_size 296
		.amdhsa_user_sgpr_count 6
		.amdhsa_user_sgpr_private_segment_buffer 1
		.amdhsa_user_sgpr_dispatch_ptr 0
		.amdhsa_user_sgpr_queue_ptr 0
		.amdhsa_user_sgpr_kernarg_segment_ptr 1
		.amdhsa_user_sgpr_dispatch_id 0
		.amdhsa_user_sgpr_flat_scratch_init 0
		.amdhsa_user_sgpr_kernarg_preload_length 0
		.amdhsa_user_sgpr_kernarg_preload_offset 0
		.amdhsa_user_sgpr_private_segment_size 0
		.amdhsa_uses_dynamic_stack 0
		.amdhsa_system_sgpr_private_segment_wavefront_offset 0
		.amdhsa_system_sgpr_workgroup_id_x 1
		.amdhsa_system_sgpr_workgroup_id_y 1
		.amdhsa_system_sgpr_workgroup_id_z 0
		.amdhsa_system_sgpr_workgroup_info 0
		.amdhsa_system_vgpr_workitem_id 1
		.amdhsa_next_free_vgpr 26
		.amdhsa_next_free_sgpr 49
		.amdhsa_accum_offset 28
		.amdhsa_reserve_vcc 1
		.amdhsa_reserve_flat_scratch 0
		.amdhsa_float_round_mode_32 0
		.amdhsa_float_round_mode_16_64 0
		.amdhsa_float_denorm_mode_32 3
		.amdhsa_float_denorm_mode_16_64 3
		.amdhsa_dx10_clamp 1
		.amdhsa_ieee_mode 1
		.amdhsa_fp16_overflow 0
		.amdhsa_tg_split 0
		.amdhsa_exception_fp_ieee_invalid_op 0
		.amdhsa_exception_fp_denorm_src 0
		.amdhsa_exception_fp_ieee_div_zero 0
		.amdhsa_exception_fp_ieee_overflow 0
		.amdhsa_exception_fp_ieee_underflow 0
		.amdhsa_exception_fp_ieee_inexact 0
		.amdhsa_exception_int_div_zero 0
	.end_amdhsa_kernel
	.section	.text._ZN2at6native12_GLOBAL__N_127cunn_SpatialSoftMaxBackwardIN3c108BFloat16EffNS1_23SoftMaxBackwardEpilogueEEEvPT_PKT1_SA_jjj,"axG",@progbits,_ZN2at6native12_GLOBAL__N_127cunn_SpatialSoftMaxBackwardIN3c108BFloat16EffNS1_23SoftMaxBackwardEpilogueEEEvPT_PKT1_SA_jjj,comdat
.Lfunc_end671:
	.size	_ZN2at6native12_GLOBAL__N_127cunn_SpatialSoftMaxBackwardIN3c108BFloat16EffNS1_23SoftMaxBackwardEpilogueEEEvPT_PKT1_SA_jjj, .Lfunc_end671-_ZN2at6native12_GLOBAL__N_127cunn_SpatialSoftMaxBackwardIN3c108BFloat16EffNS1_23SoftMaxBackwardEpilogueEEEvPT_PKT1_SA_jjj
                                        ; -- End function
	.section	.AMDGPU.csdata,"",@progbits
; Kernel info:
; codeLenInByte = 1316
; NumSgprs: 53
; NumVgprs: 26
; NumAgprs: 0
; TotalNumVgprs: 26
; ScratchSize: 0
; MemoryBound: 0
; FloatMode: 240
; IeeeMode: 1
; LDSByteSize: 0 bytes/workgroup (compile time only)
; SGPRBlocks: 6
; VGPRBlocks: 3
; NumSGPRsForWavesPerEU: 53
; NumVGPRsForWavesPerEU: 26
; AccumOffset: 28
; Occupancy: 8
; WaveLimiterHint : 0
; COMPUTE_PGM_RSRC2:SCRATCH_EN: 0
; COMPUTE_PGM_RSRC2:USER_SGPR: 6
; COMPUTE_PGM_RSRC2:TRAP_HANDLER: 0
; COMPUTE_PGM_RSRC2:TGID_X_EN: 1
; COMPUTE_PGM_RSRC2:TGID_Y_EN: 1
; COMPUTE_PGM_RSRC2:TGID_Z_EN: 0
; COMPUTE_PGM_RSRC2:TIDIG_COMP_CNT: 1
; COMPUTE_PGM_RSRC3_GFX90A:ACCUM_OFFSET: 6
; COMPUTE_PGM_RSRC3_GFX90A:TG_SPLIT: 0
	.section	.text._ZN12_GLOBAL__N_120softmax_warp_forwardIdddLi0ELb0ELb1ELi64EEEvPT0_PKT_iiiPKbib,"axG",@progbits,_ZN12_GLOBAL__N_120softmax_warp_forwardIdddLi0ELb0ELb1ELi64EEEvPT0_PKT_iiiPKbib,comdat
	.globl	_ZN12_GLOBAL__N_120softmax_warp_forwardIdddLi0ELb0ELb1ELi64EEEvPT0_PKT_iiiPKbib ; -- Begin function _ZN12_GLOBAL__N_120softmax_warp_forwardIdddLi0ELb0ELb1ELi64EEEvPT0_PKT_iiiPKbib
	.p2align	8
	.type	_ZN12_GLOBAL__N_120softmax_warp_forwardIdddLi0ELb0ELb1ELi64EEEvPT0_PKT_iiiPKbib,@function
_ZN12_GLOBAL__N_120softmax_warp_forwardIdddLi0ELb0ELb1ELi64EEEvPT0_PKT_iiiPKbib: ; @_ZN12_GLOBAL__N_120softmax_warp_forwardIdddLi0ELb0ELb1ELi64EEEvPT0_PKT_iiiPKbib
; %bb.0:
	s_load_dwordx2 s[0:1], s[4:5], 0x28
	s_load_dword s2, s[4:5], 0x3c
	s_load_dwordx4 s[8:11], s[4:5], 0x10
	v_bfe_u32 v1, v0, 10, 10
	v_and_b32_e32 v2, 0x3ff, v0
	s_waitcnt lgkmcnt(0)
	s_bitcmp1_b32 s1, 0
	s_cselect_b64 s[16:17], -1, 0
	s_lshr_b32 s2, s2, 16
	s_mul_i32 s6, s6, s2
	v_add_lshl_u32 v3, s6, v1, 1
	v_mul_lo_u32 v6, v3, s9
	v_add_u32_e32 v4, v6, v2
	v_ashrrev_i32_e32 v5, 31, v4
	s_bitcmp0_b32 s1, 0
	v_pk_mov_b32 v[0:1], v[4:5], v[4:5] op_sel:[0,1]
	s_cbranch_scc1 .LBB672_2
; %bb.1:
	s_abs_i32 s1, s0
	v_cvt_f32_u32_e32 v0, s1
	v_xor_b32_e32 v1, s0, v6
	v_sub_u32_e32 v7, 0, v6
	s_sub_i32 s0, 0, s1
	v_rcp_iflag_f32_e32 v0, v0
	v_max_i32_e32 v6, v6, v7
	v_ashrrev_i32_e32 v1, 31, v1
	v_mul_f32_e32 v0, 0x4f7ffffe, v0
	v_cvt_u32_f32_e32 v0, v0
	v_mul_lo_u32 v7, s0, v0
	v_mul_hi_u32 v7, v0, v7
	v_add_u32_e32 v0, v0, v7
	v_mul_hi_u32 v0, v6, v0
	v_mul_lo_u32 v7, v0, s1
	v_sub_u32_e32 v6, v6, v7
	v_add_u32_e32 v8, 1, v0
	v_cmp_le_u32_e32 vcc, s1, v6
	v_subrev_u32_e32 v7, s1, v6
	v_cndmask_b32_e32 v0, v0, v8, vcc
	v_cndmask_b32_e32 v6, v6, v7, vcc
	v_add_u32_e32 v7, 1, v0
	v_cmp_le_u32_e32 vcc, s1, v6
	v_cndmask_b32_e32 v0, v0, v7, vcc
	v_xor_b32_e32 v0, v0, v1
	v_sub_u32_e32 v0, v0, v1
	v_mad_u64_u32 v[0:1], s[0:1], v0, s9, v[2:3]
	v_ashrrev_i32_e32 v1, 31, v0
.LBB672_2:
	s_load_dwordx4 s[12:15], s[4:5], 0x0
	v_lshlrev_b64 v[4:5], 3, v[4:5]
	v_sub_u32_e32 v20, s8, v3
	v_mov_b32_e32 v6, 0
	v_cmp_gt_i32_e64 s[0:1], s10, v2
	s_waitcnt lgkmcnt(0)
	v_mov_b32_e32 v3, s15
	v_add_co_u32_e32 v8, vcc, s14, v4
	v_addc_co_u32_e32 v9, vcc, v3, v5, vcc
	v_cmp_lt_i32_e32 vcc, 0, v20
	v_mov_b32_e32 v7, 0xfff00000
	s_and_b64 s[18:19], s[0:1], vcc
	v_pk_mov_b32 v[16:17], v[6:7], v[6:7] op_sel:[0,1]
	s_and_saveexec_b64 s[2:3], s[18:19]
	s_cbranch_execz .LBB672_4
; %bb.3:
	global_load_dwordx2 v[16:17], v[8:9], off
.LBB672_4:
	s_or_b64 exec, exec, s[2:3]
	v_cmp_lt_i32_e64 s[2:3], 1, v20
	s_and_b64 s[8:9], s[0:1], s[2:3]
	s_and_saveexec_b64 s[6:7], s[8:9]
	s_cbranch_execz .LBB672_6
; %bb.5:
	s_mov_b32 s11, 0
	s_lshl_b64 s[2:3], s[10:11], 3
	v_mov_b32_e32 v3, s3
	v_add_co_u32_e64 v2, s[2:3], s2, v8
	v_addc_co_u32_e64 v3, s[2:3], v9, v3, s[2:3]
	global_load_dwordx2 v[6:7], v[2:3], off
.LBB672_6:
	s_or_b64 exec, exec, s[6:7]
	s_load_dwordx2 s[2:3], s[4:5], 0x20
	v_mov_b32_e32 v18, 0
	v_mov_b32_e32 v19, 0xfff00000
	s_waitcnt lgkmcnt(0)
	v_mov_b32_e32 v2, s3
	v_add_co_u32_e64 v10, s[2:3], s2, v0
	v_addc_co_u32_e64 v11, s[2:3], v2, v1, s[2:3]
	s_and_saveexec_b64 s[4:5], s[18:19]
	s_cbranch_execz .LBB672_8
; %bb.7:
	global_load_ubyte v0, v[10:11], off
	v_mov_b32_e32 v1, 0xfff00000
	s_waitcnt vmcnt(0)
	v_and_b32_e32 v0, 1, v0
	v_cmp_eq_u32_e64 s[2:3], 1, v0
	v_cndmask_b32_e64 v19, v17, v1, s[2:3]
	v_cndmask_b32_e64 v18, v16, 0, s[2:3]
.LBB672_8:
	s_or_b64 exec, exec, s[4:5]
	s_mov_b64 s[2:3], 0
	s_and_saveexec_b64 s[4:5], s[8:9]
	s_cbranch_execz .LBB672_10
; %bb.9:
	s_and_b64 s[2:3], s[16:17], exec
	s_cselect_b32 s2, 0, 0
	s_cselect_b32 s3, 0, s10
	v_mov_b32_e32 v1, s2
	v_add_co_u32_e64 v0, s[2:3], s3, v10
	v_addc_co_u32_e64 v1, s[2:3], v11, v1, s[2:3]
	global_load_ubyte v0, v[0:1], off
	s_waitcnt vmcnt(0)
	v_and_b32_e32 v0, 1, v0
	v_cmp_eq_u32_e64 s[2:3], 1, v0
	s_xor_b64 s[2:3], s[2:3], -1
	s_and_b64 s[2:3], s[2:3], exec
.LBB672_10:
	s_or_b64 exec, exec, s[4:5]
	s_mov_b32 s4, 0
	v_mov_b32_e32 v0, 0xfff00000
	s_mov_b32 s5, s4
	s_waitcnt vmcnt(0)
	v_cndmask_b32_e64 v15, v0, v7, s[2:3]
	s_mov_b32 s6, s4
	s_mov_b32 s7, s4
	v_pk_mov_b32 v[8:9], 0, 0
	v_pk_mov_b32 v[0:1], s[4:5], s[4:5] op_sel:[0,1]
	v_cndmask_b32_e64 v14, 0, v6, s[2:3]
	v_pk_mov_b32 v[2:3], s[6:7], s[6:7] op_sel:[0,1]
	v_pk_mov_b32 v[12:13], v[8:9], v[8:9] op_sel:[0,1]
	s_and_saveexec_b64 s[14:15], s[18:19]
	s_cbranch_execnz .LBB672_14
; %bb.11:
	s_or_b64 exec, exec, s[14:15]
	s_and_saveexec_b64 s[6:7], s[8:9]
	s_cbranch_execnz .LBB672_17
.LBB672_12:
	s_or_b64 exec, exec, s[6:7]
	s_and_saveexec_b64 s[2:3], vcc
	s_cbranch_execnz .LBB672_20
.LBB672_13:
	s_endpgm
.LBB672_14:
	global_load_ubyte v12, v[10:11], off
	v_pk_mov_b32 v[0:1], s[4:5], s[4:5] op_sel:[0,1]
	v_pk_mov_b32 v[2:3], s[6:7], s[6:7] op_sel:[0,1]
	s_waitcnt vmcnt(0)
	v_and_b32_e32 v12, 1, v12
	v_cmp_eq_u32_e64 s[2:3], 1, v12
	s_xor_b64 s[2:3], s[2:3], -1
	v_pk_mov_b32 v[12:13], 0, 0
	s_and_saveexec_b64 s[6:7], s[2:3]
	s_cbranch_execz .LBB672_16
; %bb.15:
	s_mov_b32 s2, 0x652b82fe
	v_add_f64 v[0:1], v[16:17], -v[18:19]
	s_mov_b32 s3, 0x3ff71547
	v_mul_f64 v[2:3], v[0:1], s[2:3]
	s_mov_b32 s2, 0xfefa39ef
	v_rndne_f64_e32 v[2:3], v[2:3]
	s_mov_b32 s3, 0xbfe62e42
	v_fma_f64 v[12:13], s[2:3], v[2:3], v[0:1]
	s_mov_b32 s2, 0x3b39803f
	s_mov_b32 s3, 0xbc7abc9e
	v_fmac_f64_e32 v[12:13], s[2:3], v[2:3]
	s_mov_b32 s2, 0x6a5dcb37
	v_mov_b32_e32 v16, 0xfca7ab0c
	v_mov_b32_e32 v17, 0x3e928af3
	s_mov_b32 s3, 0x3e5ade15
	v_fmac_f64_e32 v[16:17], s[2:3], v[12:13]
	v_mov_b32_e32 v18, 0x623fde64
	v_mov_b32_e32 v19, 0x3ec71dee
	v_fmac_f64_e32 v[18:19], v[12:13], v[16:17]
	v_mov_b32_e32 v16, 0x7c89e6b0
	v_mov_b32_e32 v17, 0x3efa0199
	v_fmac_f64_e32 v[16:17], v[12:13], v[18:19]
	v_mov_b32_e32 v18, 0x14761f6e
	v_mov_b32_e32 v19, 0x3f2a01a0
	v_fmac_f64_e32 v[18:19], v[12:13], v[16:17]
	v_mov_b32_e32 v16, 0x1852b7b0
	v_mov_b32_e32 v17, 0x3f56c16c
	v_fmac_f64_e32 v[16:17], v[12:13], v[18:19]
	v_mov_b32_e32 v18, 0x11122322
	v_mov_b32_e32 v19, 0x3f811111
	v_fmac_f64_e32 v[18:19], v[12:13], v[16:17]
	v_mov_b32_e32 v16, 0x555502a1
	v_mov_b32_e32 v17, 0x3fa55555
	v_fmac_f64_e32 v[16:17], v[12:13], v[18:19]
	v_mov_b32_e32 v18, 0x55555511
	v_mov_b32_e32 v19, 0x3fc55555
	v_fmac_f64_e32 v[18:19], v[12:13], v[16:17]
	v_mov_b32_e32 v16, 11
	v_mov_b32_e32 v17, 0x3fe00000
	v_fmac_f64_e32 v[16:17], v[12:13], v[18:19]
	v_fma_f64 v[16:17], v[12:13], v[16:17], 1.0
	s_mov_b32 s2, 0
	s_mov_b32 s4, 0
	v_fma_f64 v[12:13], v[12:13], v[16:17], 1.0
	v_cvt_i32_f64_e32 v2, v[2:3]
	s_mov_b32 s3, 0x40900000
	s_mov_b32 s5, 0xc090cc00
	v_ldexp_f64 v[12:13], v[12:13], v2
	v_mov_b32_e32 v2, 0x7ff00000
	v_cmp_nlt_f64_e64 s[2:3], s[2:3], v[0:1]
	v_cmp_ngt_f64_e64 s[4:5], s[4:5], v[0:1]
	v_cndmask_b32_e64 v3, v2, v13, s[2:3]
	s_and_b64 s[2:3], s[4:5], s[2:3]
	v_mov_b32_e32 v2, 0
	v_cndmask_b32_e64 v13, 0, v3, s[4:5]
	v_cndmask_b32_e64 v12, 0, v12, s[2:3]
	v_add_f64 v[0:1], v[12:13], 0
	v_mov_b32_e32 v3, v2
.LBB672_16:
	s_or_b64 exec, exec, s[6:7]
	s_or_b64 exec, exec, s[14:15]
	s_and_saveexec_b64 s[6:7], s[8:9]
	s_cbranch_execz .LBB672_12
.LBB672_17:
	s_and_b64 s[2:3], s[16:17], exec
	s_cselect_b32 s2, 0, 0
	s_cselect_b32 s3, 0, s10
	v_mov_b32_e32 v9, s2
	v_add_co_u32_e64 v8, s[2:3], s3, v10
	v_addc_co_u32_e64 v9, s[2:3], v11, v9, s[2:3]
	global_load_ubyte v8, v[8:9], off
	s_waitcnt vmcnt(0)
	v_and_b32_e32 v8, 1, v8
	v_cmp_eq_u32_e64 s[2:3], 1, v8
	s_xor_b64 s[2:3], s[2:3], -1
	v_pk_mov_b32 v[8:9], 0, 0
	s_and_saveexec_b64 s[8:9], s[2:3]
	s_cbranch_execz .LBB672_19
; %bb.18:
	s_mov_b32 s2, 0x652b82fe
	v_add_f64 v[6:7], v[6:7], -v[14:15]
	s_mov_b32 s3, 0x3ff71547
	v_mul_f64 v[8:9], v[6:7], s[2:3]
	s_mov_b32 s2, 0xfefa39ef
	v_rndne_f64_e32 v[8:9], v[8:9]
	s_mov_b32 s3, 0xbfe62e42
	v_fma_f64 v[10:11], s[2:3], v[8:9], v[6:7]
	s_mov_b32 s2, 0x3b39803f
	s_mov_b32 s3, 0xbc7abc9e
	v_fmac_f64_e32 v[10:11], s[2:3], v[8:9]
	s_mov_b32 s2, 0x6a5dcb37
	v_mov_b32_e32 v14, 0xfca7ab0c
	v_mov_b32_e32 v15, 0x3e928af3
	s_mov_b32 s3, 0x3e5ade15
	v_fmac_f64_e32 v[14:15], s[2:3], v[10:11]
	v_mov_b32_e32 v16, 0x623fde64
	v_mov_b32_e32 v17, 0x3ec71dee
	v_fmac_f64_e32 v[16:17], v[10:11], v[14:15]
	v_mov_b32_e32 v14, 0x7c89e6b0
	v_mov_b32_e32 v15, 0x3efa0199
	;; [unrolled: 3-line block ×8, first 2 shown]
	v_fmac_f64_e32 v[14:15], v[10:11], v[16:17]
	v_fma_f64 v[14:15], v[10:11], v[14:15], 1.0
	s_mov_b32 s2, 0
	s_mov_b32 s4, 0
	v_fma_f64 v[10:11], v[10:11], v[14:15], 1.0
	v_cvt_i32_f64_e32 v8, v[8:9]
	s_mov_b32 s3, 0x40900000
	s_mov_b32 s5, 0xc090cc00
	v_ldexp_f64 v[8:9], v[10:11], v8
	v_mov_b32_e32 v10, 0x7ff00000
	v_cmp_nlt_f64_e64 s[2:3], s[2:3], v[6:7]
	v_cmp_ngt_f64_e64 s[4:5], s[4:5], v[6:7]
	v_cndmask_b32_e64 v9, v10, v9, s[2:3]
	s_and_b64 s[2:3], s[4:5], s[2:3]
	v_cndmask_b32_e64 v9, 0, v9, s[4:5]
	v_cndmask_b32_e64 v8, 0, v8, s[2:3]
	v_add_f64 v[2:3], v[2:3], v[8:9]
.LBB672_19:
	s_or_b64 exec, exec, s[8:9]
	s_or_b64 exec, exec, s[6:7]
	s_and_saveexec_b64 s[2:3], vcc
	s_cbranch_execz .LBB672_13
.LBB672_20:
	v_mov_b32_e32 v6, s13
	v_add_co_u32_e32 v4, vcc, s12, v4
	v_addc_co_u32_e32 v5, vcc, v6, v5, vcc
	s_and_saveexec_b64 s[2:3], s[0:1]
	s_cbranch_execz .LBB672_22
; %bb.21:
	v_div_scale_f64 v[6:7], s[4:5], v[0:1], v[0:1], v[12:13]
	v_rcp_f64_e32 v[10:11], v[6:7]
	v_div_scale_f64 v[14:15], vcc, v[12:13], v[0:1], v[12:13]
	v_fma_f64 v[16:17], -v[6:7], v[10:11], 1.0
	v_fmac_f64_e32 v[10:11], v[10:11], v[16:17]
	v_fma_f64 v[16:17], -v[6:7], v[10:11], 1.0
	v_fmac_f64_e32 v[10:11], v[10:11], v[16:17]
	v_mul_f64 v[16:17], v[14:15], v[10:11]
	v_fma_f64 v[6:7], -v[6:7], v[16:17], v[14:15]
	v_div_fmas_f64 v[6:7], v[6:7], v[10:11], v[16:17]
	v_div_fixup_f64 v[6:7], v[6:7], v[0:1], v[12:13]
	v_mov_b32_e32 v10, 0x7ff80000
	v_cmp_neq_f64_e32 vcc, 0, v[0:1]
	v_cndmask_b32_e32 v1, v10, v7, vcc
	v_cndmask_b32_e32 v0, 0, v6, vcc
	global_store_dwordx2 v[4:5], v[0:1], off
.LBB672_22:
	s_or_b64 exec, exec, s[2:3]
	v_cmp_ne_u32_e32 vcc, 1, v20
	s_and_b64 exec, exec, vcc
	s_cbranch_execz .LBB672_13
; %bb.23:
	s_and_b64 exec, exec, s[0:1]
	s_cbranch_execz .LBB672_13
; %bb.24:
	v_div_scale_f64 v[0:1], s[0:1], v[2:3], v[2:3], v[8:9]
	v_rcp_f64_e32 v[6:7], v[0:1]
	v_div_scale_f64 v[10:11], vcc, v[8:9], v[2:3], v[8:9]
	s_mov_b32 s11, 0
	v_fma_f64 v[12:13], -v[0:1], v[6:7], 1.0
	v_fmac_f64_e32 v[6:7], v[6:7], v[12:13]
	v_fma_f64 v[12:13], -v[0:1], v[6:7], 1.0
	v_fmac_f64_e32 v[6:7], v[6:7], v[12:13]
	v_mul_f64 v[12:13], v[10:11], v[6:7]
	v_fma_f64 v[0:1], -v[0:1], v[12:13], v[10:11]
	s_lshl_b64 s[0:1], s[10:11], 3
	v_div_fmas_f64 v[0:1], v[0:1], v[6:7], v[12:13]
	v_mov_b32_e32 v6, s1
	v_add_co_u32_e32 v4, vcc, s0, v4
	v_addc_co_u32_e32 v5, vcc, v5, v6, vcc
	v_div_fixup_f64 v[0:1], v[0:1], v[2:3], v[8:9]
	v_mov_b32_e32 v6, 0x7ff80000
	v_cmp_neq_f64_e32 vcc, 0, v[2:3]
	v_cndmask_b32_e32 v1, v6, v1, vcc
	v_cndmask_b32_e32 v0, 0, v0, vcc
	global_store_dwordx2 v[4:5], v[0:1], off
	s_endpgm
	.section	.rodata,"a",@progbits
	.p2align	6, 0x0
	.amdhsa_kernel _ZN12_GLOBAL__N_120softmax_warp_forwardIdddLi0ELb0ELb1ELi64EEEvPT0_PKT_iiiPKbib
		.amdhsa_group_segment_fixed_size 0
		.amdhsa_private_segment_fixed_size 0
		.amdhsa_kernarg_size 304
		.amdhsa_user_sgpr_count 6
		.amdhsa_user_sgpr_private_segment_buffer 1
		.amdhsa_user_sgpr_dispatch_ptr 0
		.amdhsa_user_sgpr_queue_ptr 0
		.amdhsa_user_sgpr_kernarg_segment_ptr 1
		.amdhsa_user_sgpr_dispatch_id 0
		.amdhsa_user_sgpr_flat_scratch_init 0
		.amdhsa_user_sgpr_kernarg_preload_length 0
		.amdhsa_user_sgpr_kernarg_preload_offset 0
		.amdhsa_user_sgpr_private_segment_size 0
		.amdhsa_uses_dynamic_stack 0
		.amdhsa_system_sgpr_private_segment_wavefront_offset 0
		.amdhsa_system_sgpr_workgroup_id_x 1
		.amdhsa_system_sgpr_workgroup_id_y 0
		.amdhsa_system_sgpr_workgroup_id_z 0
		.amdhsa_system_sgpr_workgroup_info 0
		.amdhsa_system_vgpr_workitem_id 1
		.amdhsa_next_free_vgpr 21
		.amdhsa_next_free_sgpr 20
		.amdhsa_accum_offset 24
		.amdhsa_reserve_vcc 1
		.amdhsa_reserve_flat_scratch 0
		.amdhsa_float_round_mode_32 0
		.amdhsa_float_round_mode_16_64 0
		.amdhsa_float_denorm_mode_32 3
		.amdhsa_float_denorm_mode_16_64 3
		.amdhsa_dx10_clamp 1
		.amdhsa_ieee_mode 1
		.amdhsa_fp16_overflow 0
		.amdhsa_tg_split 0
		.amdhsa_exception_fp_ieee_invalid_op 0
		.amdhsa_exception_fp_denorm_src 0
		.amdhsa_exception_fp_ieee_div_zero 0
		.amdhsa_exception_fp_ieee_overflow 0
		.amdhsa_exception_fp_ieee_underflow 0
		.amdhsa_exception_fp_ieee_inexact 0
		.amdhsa_exception_int_div_zero 0
	.end_amdhsa_kernel
	.section	.text._ZN12_GLOBAL__N_120softmax_warp_forwardIdddLi0ELb0ELb1ELi64EEEvPT0_PKT_iiiPKbib,"axG",@progbits,_ZN12_GLOBAL__N_120softmax_warp_forwardIdddLi0ELb0ELb1ELi64EEEvPT0_PKT_iiiPKbib,comdat
.Lfunc_end672:
	.size	_ZN12_GLOBAL__N_120softmax_warp_forwardIdddLi0ELb0ELb1ELi64EEEvPT0_PKT_iiiPKbib, .Lfunc_end672-_ZN12_GLOBAL__N_120softmax_warp_forwardIdddLi0ELb0ELb1ELi64EEEvPT0_PKT_iiiPKbib
                                        ; -- End function
	.section	.AMDGPU.csdata,"",@progbits
; Kernel info:
; codeLenInByte = 1904
; NumSgprs: 24
; NumVgprs: 21
; NumAgprs: 0
; TotalNumVgprs: 21
; ScratchSize: 0
; MemoryBound: 0
; FloatMode: 240
; IeeeMode: 1
; LDSByteSize: 0 bytes/workgroup (compile time only)
; SGPRBlocks: 2
; VGPRBlocks: 2
; NumSGPRsForWavesPerEU: 24
; NumVGPRsForWavesPerEU: 21
; AccumOffset: 24
; Occupancy: 8
; WaveLimiterHint : 0
; COMPUTE_PGM_RSRC2:SCRATCH_EN: 0
; COMPUTE_PGM_RSRC2:USER_SGPR: 6
; COMPUTE_PGM_RSRC2:TRAP_HANDLER: 0
; COMPUTE_PGM_RSRC2:TGID_X_EN: 1
; COMPUTE_PGM_RSRC2:TGID_Y_EN: 0
; COMPUTE_PGM_RSRC2:TGID_Z_EN: 0
; COMPUTE_PGM_RSRC2:TIDIG_COMP_CNT: 1
; COMPUTE_PGM_RSRC3_GFX90A:ACCUM_OFFSET: 5
; COMPUTE_PGM_RSRC3_GFX90A:TG_SPLIT: 0
	.section	.text._ZN12_GLOBAL__N_120softmax_warp_forwardIdddLi0ELb0ELb1ELi32EEEvPT0_PKT_iiiPKbib,"axG",@progbits,_ZN12_GLOBAL__N_120softmax_warp_forwardIdddLi0ELb0ELb1ELi32EEEvPT0_PKT_iiiPKbib,comdat
	.globl	_ZN12_GLOBAL__N_120softmax_warp_forwardIdddLi0ELb0ELb1ELi32EEEvPT0_PKT_iiiPKbib ; -- Begin function _ZN12_GLOBAL__N_120softmax_warp_forwardIdddLi0ELb0ELb1ELi32EEEvPT0_PKT_iiiPKbib
	.p2align	8
	.type	_ZN12_GLOBAL__N_120softmax_warp_forwardIdddLi0ELb0ELb1ELi32EEEvPT0_PKT_iiiPKbib,@function
_ZN12_GLOBAL__N_120softmax_warp_forwardIdddLi0ELb0ELb1ELi32EEEvPT0_PKT_iiiPKbib: ; @_ZN12_GLOBAL__N_120softmax_warp_forwardIdddLi0ELb0ELb1ELi32EEEvPT0_PKT_iiiPKbib
; %bb.0:
	s_load_dwordx2 s[0:1], s[4:5], 0x28
	s_load_dword s2, s[4:5], 0x3c
	s_load_dwordx4 s[8:11], s[4:5], 0x10
	v_bfe_u32 v1, v0, 10, 10
	v_and_b32_e32 v2, 0x3ff, v0
	s_waitcnt lgkmcnt(0)
	s_bitcmp1_b32 s1, 0
	s_cselect_b64 s[16:17], -1, 0
	s_lshr_b32 s2, s2, 16
	s_mul_i32 s6, s6, s2
	v_add_lshl_u32 v3, s6, v1, 1
	v_mul_lo_u32 v6, v3, s9
	v_add_u32_e32 v4, v6, v2
	v_ashrrev_i32_e32 v5, 31, v4
	s_bitcmp0_b32 s1, 0
	v_pk_mov_b32 v[0:1], v[4:5], v[4:5] op_sel:[0,1]
	s_cbranch_scc1 .LBB673_2
; %bb.1:
	s_abs_i32 s1, s0
	v_cvt_f32_u32_e32 v0, s1
	v_xor_b32_e32 v1, s0, v6
	v_sub_u32_e32 v7, 0, v6
	s_sub_i32 s0, 0, s1
	v_rcp_iflag_f32_e32 v0, v0
	v_max_i32_e32 v6, v6, v7
	v_ashrrev_i32_e32 v1, 31, v1
	v_mul_f32_e32 v0, 0x4f7ffffe, v0
	v_cvt_u32_f32_e32 v0, v0
	v_mul_lo_u32 v7, s0, v0
	v_mul_hi_u32 v7, v0, v7
	v_add_u32_e32 v0, v0, v7
	v_mul_hi_u32 v0, v6, v0
	v_mul_lo_u32 v7, v0, s1
	v_sub_u32_e32 v6, v6, v7
	v_add_u32_e32 v8, 1, v0
	v_cmp_le_u32_e32 vcc, s1, v6
	v_subrev_u32_e32 v7, s1, v6
	v_cndmask_b32_e32 v0, v0, v8, vcc
	v_cndmask_b32_e32 v6, v6, v7, vcc
	v_add_u32_e32 v7, 1, v0
	v_cmp_le_u32_e32 vcc, s1, v6
	v_cndmask_b32_e32 v0, v0, v7, vcc
	v_xor_b32_e32 v0, v0, v1
	v_sub_u32_e32 v0, v0, v1
	v_mad_u64_u32 v[0:1], s[0:1], v0, s9, v[2:3]
	v_ashrrev_i32_e32 v1, 31, v0
.LBB673_2:
	s_load_dwordx4 s[12:15], s[4:5], 0x0
	v_lshlrev_b64 v[4:5], 3, v[4:5]
	v_sub_u32_e32 v20, s8, v3
	v_mov_b32_e32 v6, 0
	v_cmp_gt_i32_e64 s[0:1], s10, v2
	s_waitcnt lgkmcnt(0)
	v_mov_b32_e32 v3, s15
	v_add_co_u32_e32 v8, vcc, s14, v4
	v_addc_co_u32_e32 v9, vcc, v3, v5, vcc
	v_cmp_lt_i32_e32 vcc, 0, v20
	v_mov_b32_e32 v7, 0xfff00000
	s_and_b64 s[18:19], s[0:1], vcc
	v_pk_mov_b32 v[16:17], v[6:7], v[6:7] op_sel:[0,1]
	s_and_saveexec_b64 s[2:3], s[18:19]
	s_cbranch_execz .LBB673_4
; %bb.3:
	global_load_dwordx2 v[16:17], v[8:9], off
.LBB673_4:
	s_or_b64 exec, exec, s[2:3]
	v_cmp_lt_i32_e64 s[2:3], 1, v20
	s_and_b64 s[8:9], s[0:1], s[2:3]
	s_and_saveexec_b64 s[6:7], s[8:9]
	s_cbranch_execz .LBB673_6
; %bb.5:
	s_mov_b32 s11, 0
	s_lshl_b64 s[2:3], s[10:11], 3
	v_mov_b32_e32 v3, s3
	v_add_co_u32_e64 v2, s[2:3], s2, v8
	v_addc_co_u32_e64 v3, s[2:3], v9, v3, s[2:3]
	global_load_dwordx2 v[6:7], v[2:3], off
.LBB673_6:
	s_or_b64 exec, exec, s[6:7]
	s_load_dwordx2 s[2:3], s[4:5], 0x20
	v_mov_b32_e32 v18, 0
	v_mov_b32_e32 v19, 0xfff00000
	s_waitcnt lgkmcnt(0)
	v_mov_b32_e32 v2, s3
	v_add_co_u32_e64 v10, s[2:3], s2, v0
	v_addc_co_u32_e64 v11, s[2:3], v2, v1, s[2:3]
	s_and_saveexec_b64 s[4:5], s[18:19]
	s_cbranch_execz .LBB673_8
; %bb.7:
	global_load_ubyte v0, v[10:11], off
	v_mov_b32_e32 v1, 0xfff00000
	s_waitcnt vmcnt(0)
	v_and_b32_e32 v0, 1, v0
	v_cmp_eq_u32_e64 s[2:3], 1, v0
	v_cndmask_b32_e64 v19, v17, v1, s[2:3]
	v_cndmask_b32_e64 v18, v16, 0, s[2:3]
.LBB673_8:
	s_or_b64 exec, exec, s[4:5]
	s_mov_b64 s[2:3], 0
	s_and_saveexec_b64 s[4:5], s[8:9]
	s_cbranch_execz .LBB673_10
; %bb.9:
	s_and_b64 s[2:3], s[16:17], exec
	s_cselect_b32 s2, 0, 0
	s_cselect_b32 s3, 0, s10
	v_mov_b32_e32 v1, s2
	v_add_co_u32_e64 v0, s[2:3], s3, v10
	v_addc_co_u32_e64 v1, s[2:3], v11, v1, s[2:3]
	global_load_ubyte v0, v[0:1], off
	s_waitcnt vmcnt(0)
	v_and_b32_e32 v0, 1, v0
	v_cmp_eq_u32_e64 s[2:3], 1, v0
	s_xor_b64 s[2:3], s[2:3], -1
	s_and_b64 s[2:3], s[2:3], exec
.LBB673_10:
	s_or_b64 exec, exec, s[4:5]
	s_mov_b32 s4, 0
	v_mov_b32_e32 v0, 0xfff00000
	s_mov_b32 s5, s4
	s_waitcnt vmcnt(0)
	v_cndmask_b32_e64 v15, v0, v7, s[2:3]
	s_mov_b32 s6, s4
	s_mov_b32 s7, s4
	v_pk_mov_b32 v[8:9], 0, 0
	v_pk_mov_b32 v[0:1], s[4:5], s[4:5] op_sel:[0,1]
	v_cndmask_b32_e64 v14, 0, v6, s[2:3]
	v_pk_mov_b32 v[2:3], s[6:7], s[6:7] op_sel:[0,1]
	v_pk_mov_b32 v[12:13], v[8:9], v[8:9] op_sel:[0,1]
	s_and_saveexec_b64 s[14:15], s[18:19]
	s_cbranch_execnz .LBB673_14
; %bb.11:
	s_or_b64 exec, exec, s[14:15]
	s_and_saveexec_b64 s[6:7], s[8:9]
	s_cbranch_execnz .LBB673_17
.LBB673_12:
	s_or_b64 exec, exec, s[6:7]
	s_and_saveexec_b64 s[2:3], vcc
	s_cbranch_execnz .LBB673_20
.LBB673_13:
	s_endpgm
.LBB673_14:
	global_load_ubyte v12, v[10:11], off
	v_pk_mov_b32 v[0:1], s[4:5], s[4:5] op_sel:[0,1]
	v_pk_mov_b32 v[2:3], s[6:7], s[6:7] op_sel:[0,1]
	s_waitcnt vmcnt(0)
	v_and_b32_e32 v12, 1, v12
	v_cmp_eq_u32_e64 s[2:3], 1, v12
	s_xor_b64 s[2:3], s[2:3], -1
	v_pk_mov_b32 v[12:13], 0, 0
	s_and_saveexec_b64 s[6:7], s[2:3]
	s_cbranch_execz .LBB673_16
; %bb.15:
	s_mov_b32 s2, 0x652b82fe
	v_add_f64 v[0:1], v[16:17], -v[18:19]
	s_mov_b32 s3, 0x3ff71547
	v_mul_f64 v[2:3], v[0:1], s[2:3]
	s_mov_b32 s2, 0xfefa39ef
	v_rndne_f64_e32 v[2:3], v[2:3]
	s_mov_b32 s3, 0xbfe62e42
	v_fma_f64 v[12:13], s[2:3], v[2:3], v[0:1]
	s_mov_b32 s2, 0x3b39803f
	s_mov_b32 s3, 0xbc7abc9e
	v_fmac_f64_e32 v[12:13], s[2:3], v[2:3]
	s_mov_b32 s2, 0x6a5dcb37
	v_mov_b32_e32 v16, 0xfca7ab0c
	v_mov_b32_e32 v17, 0x3e928af3
	s_mov_b32 s3, 0x3e5ade15
	v_fmac_f64_e32 v[16:17], s[2:3], v[12:13]
	v_mov_b32_e32 v18, 0x623fde64
	v_mov_b32_e32 v19, 0x3ec71dee
	v_fmac_f64_e32 v[18:19], v[12:13], v[16:17]
	v_mov_b32_e32 v16, 0x7c89e6b0
	v_mov_b32_e32 v17, 0x3efa0199
	;; [unrolled: 3-line block ×8, first 2 shown]
	v_fmac_f64_e32 v[16:17], v[12:13], v[18:19]
	v_fma_f64 v[16:17], v[12:13], v[16:17], 1.0
	s_mov_b32 s2, 0
	s_mov_b32 s4, 0
	v_fma_f64 v[12:13], v[12:13], v[16:17], 1.0
	v_cvt_i32_f64_e32 v2, v[2:3]
	s_mov_b32 s3, 0x40900000
	s_mov_b32 s5, 0xc090cc00
	v_ldexp_f64 v[12:13], v[12:13], v2
	v_mov_b32_e32 v2, 0x7ff00000
	v_cmp_nlt_f64_e64 s[2:3], s[2:3], v[0:1]
	v_cmp_ngt_f64_e64 s[4:5], s[4:5], v[0:1]
	v_cndmask_b32_e64 v3, v2, v13, s[2:3]
	s_and_b64 s[2:3], s[4:5], s[2:3]
	v_mov_b32_e32 v2, 0
	v_cndmask_b32_e64 v13, 0, v3, s[4:5]
	v_cndmask_b32_e64 v12, 0, v12, s[2:3]
	v_add_f64 v[0:1], v[12:13], 0
	v_mov_b32_e32 v3, v2
.LBB673_16:
	s_or_b64 exec, exec, s[6:7]
	s_or_b64 exec, exec, s[14:15]
	s_and_saveexec_b64 s[6:7], s[8:9]
	s_cbranch_execz .LBB673_12
.LBB673_17:
	s_and_b64 s[2:3], s[16:17], exec
	s_cselect_b32 s2, 0, 0
	s_cselect_b32 s3, 0, s10
	v_mov_b32_e32 v9, s2
	v_add_co_u32_e64 v8, s[2:3], s3, v10
	v_addc_co_u32_e64 v9, s[2:3], v11, v9, s[2:3]
	global_load_ubyte v8, v[8:9], off
	s_waitcnt vmcnt(0)
	v_and_b32_e32 v8, 1, v8
	v_cmp_eq_u32_e64 s[2:3], 1, v8
	s_xor_b64 s[2:3], s[2:3], -1
	v_pk_mov_b32 v[8:9], 0, 0
	s_and_saveexec_b64 s[8:9], s[2:3]
	s_cbranch_execz .LBB673_19
; %bb.18:
	s_mov_b32 s2, 0x652b82fe
	v_add_f64 v[6:7], v[6:7], -v[14:15]
	s_mov_b32 s3, 0x3ff71547
	v_mul_f64 v[8:9], v[6:7], s[2:3]
	s_mov_b32 s2, 0xfefa39ef
	v_rndne_f64_e32 v[8:9], v[8:9]
	s_mov_b32 s3, 0xbfe62e42
	v_fma_f64 v[10:11], s[2:3], v[8:9], v[6:7]
	s_mov_b32 s2, 0x3b39803f
	s_mov_b32 s3, 0xbc7abc9e
	v_fmac_f64_e32 v[10:11], s[2:3], v[8:9]
	s_mov_b32 s2, 0x6a5dcb37
	v_mov_b32_e32 v14, 0xfca7ab0c
	v_mov_b32_e32 v15, 0x3e928af3
	s_mov_b32 s3, 0x3e5ade15
	v_fmac_f64_e32 v[14:15], s[2:3], v[10:11]
	v_mov_b32_e32 v16, 0x623fde64
	v_mov_b32_e32 v17, 0x3ec71dee
	v_fmac_f64_e32 v[16:17], v[10:11], v[14:15]
	v_mov_b32_e32 v14, 0x7c89e6b0
	v_mov_b32_e32 v15, 0x3efa0199
	;; [unrolled: 3-line block ×8, first 2 shown]
	v_fmac_f64_e32 v[14:15], v[10:11], v[16:17]
	v_fma_f64 v[14:15], v[10:11], v[14:15], 1.0
	s_mov_b32 s2, 0
	s_mov_b32 s4, 0
	v_fma_f64 v[10:11], v[10:11], v[14:15], 1.0
	v_cvt_i32_f64_e32 v8, v[8:9]
	s_mov_b32 s3, 0x40900000
	s_mov_b32 s5, 0xc090cc00
	v_ldexp_f64 v[8:9], v[10:11], v8
	v_mov_b32_e32 v10, 0x7ff00000
	v_cmp_nlt_f64_e64 s[2:3], s[2:3], v[6:7]
	v_cmp_ngt_f64_e64 s[4:5], s[4:5], v[6:7]
	v_cndmask_b32_e64 v9, v10, v9, s[2:3]
	s_and_b64 s[2:3], s[4:5], s[2:3]
	v_cndmask_b32_e64 v9, 0, v9, s[4:5]
	v_cndmask_b32_e64 v8, 0, v8, s[2:3]
	v_add_f64 v[2:3], v[2:3], v[8:9]
.LBB673_19:
	s_or_b64 exec, exec, s[8:9]
	s_or_b64 exec, exec, s[6:7]
	s_and_saveexec_b64 s[2:3], vcc
	s_cbranch_execz .LBB673_13
.LBB673_20:
	v_mov_b32_e32 v6, s13
	v_add_co_u32_e32 v4, vcc, s12, v4
	v_addc_co_u32_e32 v5, vcc, v6, v5, vcc
	s_and_saveexec_b64 s[2:3], s[0:1]
	s_cbranch_execz .LBB673_22
; %bb.21:
	v_div_scale_f64 v[6:7], s[4:5], v[0:1], v[0:1], v[12:13]
	v_rcp_f64_e32 v[10:11], v[6:7]
	v_div_scale_f64 v[14:15], vcc, v[12:13], v[0:1], v[12:13]
	v_fma_f64 v[16:17], -v[6:7], v[10:11], 1.0
	v_fmac_f64_e32 v[10:11], v[10:11], v[16:17]
	v_fma_f64 v[16:17], -v[6:7], v[10:11], 1.0
	v_fmac_f64_e32 v[10:11], v[10:11], v[16:17]
	v_mul_f64 v[16:17], v[14:15], v[10:11]
	v_fma_f64 v[6:7], -v[6:7], v[16:17], v[14:15]
	v_div_fmas_f64 v[6:7], v[6:7], v[10:11], v[16:17]
	v_div_fixup_f64 v[6:7], v[6:7], v[0:1], v[12:13]
	v_mov_b32_e32 v10, 0x7ff80000
	v_cmp_neq_f64_e32 vcc, 0, v[0:1]
	v_cndmask_b32_e32 v1, v10, v7, vcc
	v_cndmask_b32_e32 v0, 0, v6, vcc
	global_store_dwordx2 v[4:5], v[0:1], off
.LBB673_22:
	s_or_b64 exec, exec, s[2:3]
	v_cmp_ne_u32_e32 vcc, 1, v20
	s_and_b64 exec, exec, vcc
	s_cbranch_execz .LBB673_13
; %bb.23:
	s_and_b64 exec, exec, s[0:1]
	s_cbranch_execz .LBB673_13
; %bb.24:
	v_div_scale_f64 v[0:1], s[0:1], v[2:3], v[2:3], v[8:9]
	v_rcp_f64_e32 v[6:7], v[0:1]
	v_div_scale_f64 v[10:11], vcc, v[8:9], v[2:3], v[8:9]
	s_mov_b32 s11, 0
	v_fma_f64 v[12:13], -v[0:1], v[6:7], 1.0
	v_fmac_f64_e32 v[6:7], v[6:7], v[12:13]
	v_fma_f64 v[12:13], -v[0:1], v[6:7], 1.0
	v_fmac_f64_e32 v[6:7], v[6:7], v[12:13]
	v_mul_f64 v[12:13], v[10:11], v[6:7]
	v_fma_f64 v[0:1], -v[0:1], v[12:13], v[10:11]
	s_lshl_b64 s[0:1], s[10:11], 3
	v_div_fmas_f64 v[0:1], v[0:1], v[6:7], v[12:13]
	v_mov_b32_e32 v6, s1
	v_add_co_u32_e32 v4, vcc, s0, v4
	v_addc_co_u32_e32 v5, vcc, v5, v6, vcc
	v_div_fixup_f64 v[0:1], v[0:1], v[2:3], v[8:9]
	v_mov_b32_e32 v6, 0x7ff80000
	v_cmp_neq_f64_e32 vcc, 0, v[2:3]
	v_cndmask_b32_e32 v1, v6, v1, vcc
	v_cndmask_b32_e32 v0, 0, v0, vcc
	global_store_dwordx2 v[4:5], v[0:1], off
	s_endpgm
	.section	.rodata,"a",@progbits
	.p2align	6, 0x0
	.amdhsa_kernel _ZN12_GLOBAL__N_120softmax_warp_forwardIdddLi0ELb0ELb1ELi32EEEvPT0_PKT_iiiPKbib
		.amdhsa_group_segment_fixed_size 0
		.amdhsa_private_segment_fixed_size 0
		.amdhsa_kernarg_size 304
		.amdhsa_user_sgpr_count 6
		.amdhsa_user_sgpr_private_segment_buffer 1
		.amdhsa_user_sgpr_dispatch_ptr 0
		.amdhsa_user_sgpr_queue_ptr 0
		.amdhsa_user_sgpr_kernarg_segment_ptr 1
		.amdhsa_user_sgpr_dispatch_id 0
		.amdhsa_user_sgpr_flat_scratch_init 0
		.amdhsa_user_sgpr_kernarg_preload_length 0
		.amdhsa_user_sgpr_kernarg_preload_offset 0
		.amdhsa_user_sgpr_private_segment_size 0
		.amdhsa_uses_dynamic_stack 0
		.amdhsa_system_sgpr_private_segment_wavefront_offset 0
		.amdhsa_system_sgpr_workgroup_id_x 1
		.amdhsa_system_sgpr_workgroup_id_y 0
		.amdhsa_system_sgpr_workgroup_id_z 0
		.amdhsa_system_sgpr_workgroup_info 0
		.amdhsa_system_vgpr_workitem_id 1
		.amdhsa_next_free_vgpr 21
		.amdhsa_next_free_sgpr 20
		.amdhsa_accum_offset 24
		.amdhsa_reserve_vcc 1
		.amdhsa_reserve_flat_scratch 0
		.amdhsa_float_round_mode_32 0
		.amdhsa_float_round_mode_16_64 0
		.amdhsa_float_denorm_mode_32 3
		.amdhsa_float_denorm_mode_16_64 3
		.amdhsa_dx10_clamp 1
		.amdhsa_ieee_mode 1
		.amdhsa_fp16_overflow 0
		.amdhsa_tg_split 0
		.amdhsa_exception_fp_ieee_invalid_op 0
		.amdhsa_exception_fp_denorm_src 0
		.amdhsa_exception_fp_ieee_div_zero 0
		.amdhsa_exception_fp_ieee_overflow 0
		.amdhsa_exception_fp_ieee_underflow 0
		.amdhsa_exception_fp_ieee_inexact 0
		.amdhsa_exception_int_div_zero 0
	.end_amdhsa_kernel
	.section	.text._ZN12_GLOBAL__N_120softmax_warp_forwardIdddLi0ELb0ELb1ELi32EEEvPT0_PKT_iiiPKbib,"axG",@progbits,_ZN12_GLOBAL__N_120softmax_warp_forwardIdddLi0ELb0ELb1ELi32EEEvPT0_PKT_iiiPKbib,comdat
.Lfunc_end673:
	.size	_ZN12_GLOBAL__N_120softmax_warp_forwardIdddLi0ELb0ELb1ELi32EEEvPT0_PKT_iiiPKbib, .Lfunc_end673-_ZN12_GLOBAL__N_120softmax_warp_forwardIdddLi0ELb0ELb1ELi32EEEvPT0_PKT_iiiPKbib
                                        ; -- End function
	.section	.AMDGPU.csdata,"",@progbits
; Kernel info:
; codeLenInByte = 1904
; NumSgprs: 24
; NumVgprs: 21
; NumAgprs: 0
; TotalNumVgprs: 21
; ScratchSize: 0
; MemoryBound: 0
; FloatMode: 240
; IeeeMode: 1
; LDSByteSize: 0 bytes/workgroup (compile time only)
; SGPRBlocks: 2
; VGPRBlocks: 2
; NumSGPRsForWavesPerEU: 24
; NumVGPRsForWavesPerEU: 21
; AccumOffset: 24
; Occupancy: 8
; WaveLimiterHint : 0
; COMPUTE_PGM_RSRC2:SCRATCH_EN: 0
; COMPUTE_PGM_RSRC2:USER_SGPR: 6
; COMPUTE_PGM_RSRC2:TRAP_HANDLER: 0
; COMPUTE_PGM_RSRC2:TGID_X_EN: 1
; COMPUTE_PGM_RSRC2:TGID_Y_EN: 0
; COMPUTE_PGM_RSRC2:TGID_Z_EN: 0
; COMPUTE_PGM_RSRC2:TIDIG_COMP_CNT: 1
; COMPUTE_PGM_RSRC3_GFX90A:ACCUM_OFFSET: 5
; COMPUTE_PGM_RSRC3_GFX90A:TG_SPLIT: 0
	.section	.text._ZN12_GLOBAL__N_120softmax_warp_forwardIdddLi1ELb0ELb1ELi64EEEvPT0_PKT_iiiPKbib,"axG",@progbits,_ZN12_GLOBAL__N_120softmax_warp_forwardIdddLi1ELb0ELb1ELi64EEEvPT0_PKT_iiiPKbib,comdat
	.globl	_ZN12_GLOBAL__N_120softmax_warp_forwardIdddLi1ELb0ELb1ELi64EEEvPT0_PKT_iiiPKbib ; -- Begin function _ZN12_GLOBAL__N_120softmax_warp_forwardIdddLi1ELb0ELb1ELi64EEEvPT0_PKT_iiiPKbib
	.p2align	8
	.type	_ZN12_GLOBAL__N_120softmax_warp_forwardIdddLi1ELb0ELb1ELi64EEEvPT0_PKT_iiiPKbib,@function
_ZN12_GLOBAL__N_120softmax_warp_forwardIdddLi1ELb0ELb1ELi64EEEvPT0_PKT_iiiPKbib: ; @_ZN12_GLOBAL__N_120softmax_warp_forwardIdddLi1ELb0ELb1ELi64EEEvPT0_PKT_iiiPKbib
; %bb.0:
	s_load_dwordx2 s[0:1], s[4:5], 0x28
	s_load_dword s2, s[4:5], 0x3c
	s_load_dwordx4 s[8:11], s[4:5], 0x10
	v_bfe_u32 v1, v0, 10, 10
	v_and_b32_e32 v2, 0x3ff, v0
	s_waitcnt lgkmcnt(0)
	s_bitcmp1_b32 s1, 0
	s_cselect_b64 s[16:17], -1, 0
	s_lshr_b32 s2, s2, 16
	s_mul_i32 s6, s6, s2
	v_add_lshl_u32 v3, s6, v1, 1
	v_mul_lo_u32 v6, v3, s9
	v_add_u32_e32 v4, v6, v2
	v_ashrrev_i32_e32 v5, 31, v4
	s_bitcmp0_b32 s1, 0
	v_pk_mov_b32 v[0:1], v[4:5], v[4:5] op_sel:[0,1]
	s_cbranch_scc1 .LBB674_2
; %bb.1:
	s_abs_i32 s1, s0
	v_cvt_f32_u32_e32 v0, s1
	v_xor_b32_e32 v1, s0, v6
	v_sub_u32_e32 v7, 0, v6
	s_sub_i32 s0, 0, s1
	v_rcp_iflag_f32_e32 v0, v0
	v_max_i32_e32 v6, v6, v7
	v_ashrrev_i32_e32 v1, 31, v1
	v_mul_f32_e32 v0, 0x4f7ffffe, v0
	v_cvt_u32_f32_e32 v0, v0
	v_mul_lo_u32 v7, s0, v0
	v_mul_hi_u32 v7, v0, v7
	v_add_u32_e32 v0, v0, v7
	v_mul_hi_u32 v0, v6, v0
	v_mul_lo_u32 v7, v0, s1
	v_sub_u32_e32 v6, v6, v7
	v_add_u32_e32 v8, 1, v0
	v_cmp_le_u32_e32 vcc, s1, v6
	v_subrev_u32_e32 v7, s1, v6
	v_cndmask_b32_e32 v0, v0, v8, vcc
	v_cndmask_b32_e32 v6, v6, v7, vcc
	v_add_u32_e32 v7, 1, v0
	v_cmp_le_u32_e32 vcc, s1, v6
	v_cndmask_b32_e32 v0, v0, v7, vcc
	v_xor_b32_e32 v0, v0, v1
	v_sub_u32_e32 v0, v0, v1
	v_mad_u64_u32 v[0:1], s[0:1], v0, s9, v[2:3]
	v_ashrrev_i32_e32 v1, 31, v0
.LBB674_2:
	s_load_dwordx4 s[12:15], s[4:5], 0x0
	v_lshlrev_b64 v[4:5], 3, v[4:5]
	v_sub_u32_e32 v24, s8, v3
	v_mov_b32_e32 v6, 0
	v_cmp_gt_i32_e64 s[0:1], s10, v2
	s_waitcnt lgkmcnt(0)
	v_mov_b32_e32 v3, s15
	v_add_co_u32_e32 v8, vcc, s14, v4
	v_addc_co_u32_e32 v9, vcc, v3, v5, vcc
	v_cmp_lt_i32_e32 vcc, 0, v24
	v_mov_b32_e32 v7, 0xfff00000
	s_and_b64 s[18:19], s[0:1], vcc
	v_pk_mov_b32 v[18:19], v[6:7], v[6:7] op_sel:[0,1]
	s_and_saveexec_b64 s[2:3], s[18:19]
	s_cbranch_execz .LBB674_4
; %bb.3:
	global_load_dwordx2 v[18:19], v[8:9], off
.LBB674_4:
	s_or_b64 exec, exec, s[2:3]
	v_cmp_lt_i32_e64 s[2:3], 1, v24
	s_and_b64 s[8:9], s[0:1], s[2:3]
	s_and_saveexec_b64 s[6:7], s[8:9]
	s_cbranch_execz .LBB674_6
; %bb.5:
	s_mov_b32 s11, 0
	s_lshl_b64 s[2:3], s[10:11], 3
	v_mov_b32_e32 v3, s3
	v_add_co_u32_e64 v2, s[2:3], s2, v8
	v_addc_co_u32_e64 v3, s[2:3], v9, v3, s[2:3]
	global_load_dwordx2 v[6:7], v[2:3], off
.LBB674_6:
	s_or_b64 exec, exec, s[6:7]
	s_load_dwordx2 s[2:3], s[4:5], 0x20
	v_mov_b32_e32 v20, 0
	v_mov_b32_e32 v21, 0xfff00000
	s_waitcnt lgkmcnt(0)
	v_mov_b32_e32 v2, s3
	v_add_co_u32_e64 v10, s[2:3], s2, v0
	v_addc_co_u32_e64 v11, s[2:3], v2, v1, s[2:3]
	s_and_saveexec_b64 s[4:5], s[18:19]
	s_cbranch_execz .LBB674_8
; %bb.7:
	global_load_ubyte v0, v[10:11], off
	v_mov_b32_e32 v1, 0xfff00000
	s_waitcnt vmcnt(0)
	v_and_b32_e32 v0, 1, v0
	v_cmp_eq_u32_e64 s[2:3], 1, v0
	v_cndmask_b32_e64 v21, v19, v1, s[2:3]
	v_cndmask_b32_e64 v20, v18, 0, s[2:3]
.LBB674_8:
	s_or_b64 exec, exec, s[4:5]
	s_mov_b64 s[2:3], 0
	s_and_saveexec_b64 s[4:5], s[8:9]
	s_cbranch_execz .LBB674_10
; %bb.9:
	s_and_b64 s[2:3], s[16:17], exec
	s_cselect_b32 s2, 0, 0
	s_cselect_b32 s3, 0, s10
	v_mov_b32_e32 v1, s2
	v_add_co_u32_e64 v0, s[2:3], s3, v10
	v_addc_co_u32_e64 v1, s[2:3], v11, v1, s[2:3]
	global_load_ubyte v0, v[0:1], off
	s_waitcnt vmcnt(0)
	v_and_b32_e32 v0, 1, v0
	v_cmp_eq_u32_e64 s[2:3], 1, v0
	s_xor_b64 s[2:3], s[2:3], -1
	s_and_b64 s[2:3], s[2:3], exec
.LBB674_10:
	s_or_b64 exec, exec, s[4:5]
	v_mov_b32_e32 v0, 0xfff00000
	s_waitcnt vmcnt(0)
	v_cndmask_b32_e64 v15, v0, v7, s[2:3]
	v_mbcnt_lo_u32_b32 v0, -1, 0
	v_mbcnt_hi_u32_b32 v0, -1, v0
	v_and_b32_e32 v2, 0x7e, v0
	v_xor_b32_e32 v1, 1, v0
	v_add_u32_e32 v2, 2, v2
	v_cndmask_b32_e64 v14, 0, v6, s[2:3]
	v_cmp_lt_i32_e64 s[2:3], v1, v2
	v_cndmask_b32_e64 v0, v0, v1, s[2:3]
	v_lshlrev_b32_e32 v25, 2, v0
	ds_bpermute_b32 v22, v25, v20
	ds_bpermute_b32 v23, v25, v21
	;; [unrolled: 1-line block ×4, first 2 shown]
	s_mov_b32 s4, 0
	s_mov_b32 s5, s4
	;; [unrolled: 1-line block ×4, first 2 shown]
	v_pk_mov_b32 v[8:9], 0, 0
	v_pk_mov_b32 v[0:1], s[4:5], s[4:5] op_sel:[0,1]
	v_pk_mov_b32 v[2:3], s[6:7], s[6:7] op_sel:[0,1]
	;; [unrolled: 1-line block ×3, first 2 shown]
	s_and_saveexec_b64 s[14:15], s[18:19]
	s_cbranch_execz .LBB674_14
; %bb.11:
	global_load_ubyte v12, v[10:11], off
	v_pk_mov_b32 v[0:1], s[4:5], s[4:5] op_sel:[0,1]
	v_pk_mov_b32 v[2:3], s[6:7], s[6:7] op_sel:[0,1]
	s_waitcnt vmcnt(0)
	v_and_b32_e32 v12, 1, v12
	v_cmp_eq_u32_e64 s[2:3], 1, v12
	s_xor_b64 s[2:3], s[2:3], -1
	v_pk_mov_b32 v[12:13], 0, 0
	s_and_saveexec_b64 s[6:7], s[2:3]
	s_cbranch_execz .LBB674_13
; %bb.12:
	s_waitcnt lgkmcnt(2)
	v_cmp_lt_f64_e64 s[2:3], v[20:21], v[22:23]
	v_cndmask_b32_e64 v1, v21, v23, s[2:3]
	v_cndmask_b32_e64 v0, v20, v22, s[2:3]
	s_mov_b32 s2, 0x652b82fe
	v_add_f64 v[0:1], v[18:19], -v[0:1]
	s_mov_b32 s3, 0x3ff71547
	v_mul_f64 v[2:3], v[0:1], s[2:3]
	s_mov_b32 s2, 0xfefa39ef
	v_rndne_f64_e32 v[2:3], v[2:3]
	s_mov_b32 s3, 0xbfe62e42
	v_fma_f64 v[12:13], s[2:3], v[2:3], v[0:1]
	s_mov_b32 s2, 0x3b39803f
	s_mov_b32 s3, 0xbc7abc9e
	v_fmac_f64_e32 v[12:13], s[2:3], v[2:3]
	s_mov_b32 s2, 0x6a5dcb37
	v_mov_b32_e32 v18, 0xfca7ab0c
	v_mov_b32_e32 v19, 0x3e928af3
	s_mov_b32 s3, 0x3e5ade15
	v_fmac_f64_e32 v[18:19], s[2:3], v[12:13]
	v_mov_b32_e32 v20, 0x623fde64
	v_mov_b32_e32 v21, 0x3ec71dee
	v_fmac_f64_e32 v[20:21], v[12:13], v[18:19]
	v_mov_b32_e32 v18, 0x7c89e6b0
	v_mov_b32_e32 v19, 0x3efa0199
	v_fmac_f64_e32 v[18:19], v[12:13], v[20:21]
	v_mov_b32_e32 v20, 0x14761f6e
	v_mov_b32_e32 v21, 0x3f2a01a0
	v_fmac_f64_e32 v[20:21], v[12:13], v[18:19]
	v_mov_b32_e32 v18, 0x1852b7b0
	v_mov_b32_e32 v19, 0x3f56c16c
	v_fmac_f64_e32 v[18:19], v[12:13], v[20:21]
	v_mov_b32_e32 v20, 0x11122322
	v_mov_b32_e32 v21, 0x3f811111
	v_fmac_f64_e32 v[20:21], v[12:13], v[18:19]
	v_mov_b32_e32 v18, 0x555502a1
	v_mov_b32_e32 v19, 0x3fa55555
	v_fmac_f64_e32 v[18:19], v[12:13], v[20:21]
	v_mov_b32_e32 v20, 0x55555511
	v_mov_b32_e32 v21, 0x3fc55555
	v_fmac_f64_e32 v[20:21], v[12:13], v[18:19]
	v_mov_b32_e32 v18, 11
	v_mov_b32_e32 v19, 0x3fe00000
	v_fmac_f64_e32 v[18:19], v[12:13], v[20:21]
	v_fma_f64 v[18:19], v[12:13], v[18:19], 1.0
	s_mov_b32 s2, 0
	s_mov_b32 s4, 0
	v_fma_f64 v[12:13], v[12:13], v[18:19], 1.0
	v_cvt_i32_f64_e32 v2, v[2:3]
	s_mov_b32 s3, 0x40900000
	s_mov_b32 s5, 0xc090cc00
	v_ldexp_f64 v[12:13], v[12:13], v2
	v_mov_b32_e32 v2, 0x7ff00000
	v_cmp_nlt_f64_e64 s[2:3], s[2:3], v[0:1]
	v_cmp_ngt_f64_e64 s[4:5], s[4:5], v[0:1]
	v_cndmask_b32_e64 v3, v2, v13, s[2:3]
	s_and_b64 s[2:3], s[4:5], s[2:3]
	v_mov_b32_e32 v2, 0
	v_cndmask_b32_e64 v13, 0, v3, s[4:5]
	v_cndmask_b32_e64 v12, 0, v12, s[2:3]
	v_add_f64 v[0:1], v[12:13], 0
	v_mov_b32_e32 v3, v2
.LBB674_13:
	s_or_b64 exec, exec, s[6:7]
.LBB674_14:
	s_or_b64 exec, exec, s[14:15]
	s_and_saveexec_b64 s[6:7], s[8:9]
	s_cbranch_execz .LBB674_18
; %bb.15:
	s_and_b64 s[2:3], s[16:17], exec
	s_cselect_b32 s2, 0, 0
	s_cselect_b32 s3, 0, s10
	v_mov_b32_e32 v9, s2
	v_add_co_u32_e64 v8, s[2:3], s3, v10
	v_addc_co_u32_e64 v9, s[2:3], v11, v9, s[2:3]
	global_load_ubyte v8, v[8:9], off
	s_waitcnt vmcnt(0)
	v_and_b32_e32 v8, 1, v8
	v_cmp_eq_u32_e64 s[2:3], 1, v8
	s_xor_b64 s[2:3], s[2:3], -1
	v_pk_mov_b32 v[8:9], 0, 0
	s_and_saveexec_b64 s[8:9], s[2:3]
	s_cbranch_execz .LBB674_17
; %bb.16:
	s_waitcnt lgkmcnt(0)
	v_cmp_lt_f64_e64 s[2:3], v[14:15], v[16:17]
	v_cndmask_b32_e64 v9, v15, v17, s[2:3]
	v_cndmask_b32_e64 v8, v14, v16, s[2:3]
	s_mov_b32 s2, 0x652b82fe
	v_add_f64 v[6:7], v[6:7], -v[8:9]
	s_mov_b32 s3, 0x3ff71547
	v_mul_f64 v[8:9], v[6:7], s[2:3]
	s_mov_b32 s2, 0xfefa39ef
	v_rndne_f64_e32 v[8:9], v[8:9]
	s_mov_b32 s3, 0xbfe62e42
	v_fma_f64 v[10:11], s[2:3], v[8:9], v[6:7]
	s_mov_b32 s2, 0x3b39803f
	s_mov_b32 s3, 0xbc7abc9e
	v_fmac_f64_e32 v[10:11], s[2:3], v[8:9]
	s_mov_b32 s2, 0x6a5dcb37
	v_mov_b32_e32 v14, 0xfca7ab0c
	v_mov_b32_e32 v15, 0x3e928af3
	s_mov_b32 s3, 0x3e5ade15
	v_fmac_f64_e32 v[14:15], s[2:3], v[10:11]
	v_mov_b32_e32 v16, 0x623fde64
	v_mov_b32_e32 v17, 0x3ec71dee
	v_fmac_f64_e32 v[16:17], v[10:11], v[14:15]
	v_mov_b32_e32 v14, 0x7c89e6b0
	v_mov_b32_e32 v15, 0x3efa0199
	;; [unrolled: 3-line block ×8, first 2 shown]
	v_fmac_f64_e32 v[14:15], v[10:11], v[16:17]
	v_fma_f64 v[14:15], v[10:11], v[14:15], 1.0
	s_mov_b32 s2, 0
	s_mov_b32 s4, 0
	v_fma_f64 v[10:11], v[10:11], v[14:15], 1.0
	v_cvt_i32_f64_e32 v8, v[8:9]
	s_mov_b32 s3, 0x40900000
	s_mov_b32 s5, 0xc090cc00
	v_ldexp_f64 v[8:9], v[10:11], v8
	v_mov_b32_e32 v10, 0x7ff00000
	v_cmp_nlt_f64_e64 s[2:3], s[2:3], v[6:7]
	v_cmp_ngt_f64_e64 s[4:5], s[4:5], v[6:7]
	v_cndmask_b32_e64 v9, v10, v9, s[2:3]
	s_and_b64 s[2:3], s[4:5], s[2:3]
	v_cndmask_b32_e64 v9, 0, v9, s[4:5]
	v_cndmask_b32_e64 v8, 0, v8, s[2:3]
	v_add_f64 v[2:3], v[2:3], v[8:9]
.LBB674_17:
	s_or_b64 exec, exec, s[8:9]
.LBB674_18:
	s_or_b64 exec, exec, s[6:7]
	ds_bpermute_b32 v10, v25, v0
	ds_bpermute_b32 v11, v25, v1
	;; [unrolled: 1-line block ×4, first 2 shown]
	s_and_saveexec_b64 s[2:3], vcc
	s_cbranch_execz .LBB674_24
; %bb.19:
	v_mov_b32_e32 v14, s13
	v_add_co_u32_e32 v4, vcc, s12, v4
	v_addc_co_u32_e32 v5, vcc, v14, v5, vcc
	s_and_saveexec_b64 s[2:3], s[0:1]
	s_cbranch_execz .LBB674_21
; %bb.20:
	s_waitcnt lgkmcnt(2)
	v_add_f64 v[0:1], v[0:1], v[10:11]
	v_div_scale_f64 v[10:11], s[4:5], v[0:1], v[0:1], v[12:13]
	v_rcp_f64_e32 v[14:15], v[10:11]
	v_div_scale_f64 v[16:17], vcc, v[12:13], v[0:1], v[12:13]
	v_fma_f64 v[18:19], -v[10:11], v[14:15], 1.0
	v_fmac_f64_e32 v[14:15], v[14:15], v[18:19]
	v_fma_f64 v[18:19], -v[10:11], v[14:15], 1.0
	v_fmac_f64_e32 v[14:15], v[14:15], v[18:19]
	v_mul_f64 v[18:19], v[16:17], v[14:15]
	v_fma_f64 v[10:11], -v[10:11], v[18:19], v[16:17]
	v_div_fmas_f64 v[10:11], v[10:11], v[14:15], v[18:19]
	v_div_fixup_f64 v[10:11], v[10:11], v[0:1], v[12:13]
	v_mov_b32_e32 v12, 0x7ff80000
	v_cmp_neq_f64_e32 vcc, 0, v[0:1]
	v_cndmask_b32_e32 v1, v12, v11, vcc
	v_cndmask_b32_e32 v0, 0, v10, vcc
	global_store_dwordx2 v[4:5], v[0:1], off
.LBB674_21:
	s_or_b64 exec, exec, s[2:3]
	v_cmp_ne_u32_e32 vcc, 1, v24
	s_and_b64 exec, exec, vcc
	s_cbranch_execz .LBB674_24
; %bb.22:
	s_and_b64 exec, exec, s[0:1]
	s_cbranch_execz .LBB674_24
; %bb.23:
	s_waitcnt lgkmcnt(0)
	v_add_f64 v[0:1], v[2:3], v[6:7]
	v_div_scale_f64 v[2:3], s[0:1], v[0:1], v[0:1], v[8:9]
	v_rcp_f64_e32 v[6:7], v[2:3]
	v_div_scale_f64 v[10:11], vcc, v[8:9], v[0:1], v[8:9]
	s_mov_b32 s11, 0
	v_fma_f64 v[12:13], -v[2:3], v[6:7], 1.0
	v_fmac_f64_e32 v[6:7], v[6:7], v[12:13]
	v_fma_f64 v[12:13], -v[2:3], v[6:7], 1.0
	v_fmac_f64_e32 v[6:7], v[6:7], v[12:13]
	v_mul_f64 v[12:13], v[10:11], v[6:7]
	v_fma_f64 v[2:3], -v[2:3], v[12:13], v[10:11]
	s_lshl_b64 s[0:1], s[10:11], 3
	v_div_fmas_f64 v[2:3], v[2:3], v[6:7], v[12:13]
	v_mov_b32_e32 v6, s1
	v_add_co_u32_e32 v4, vcc, s0, v4
	v_addc_co_u32_e32 v5, vcc, v5, v6, vcc
	v_div_fixup_f64 v[2:3], v[2:3], v[0:1], v[8:9]
	v_mov_b32_e32 v6, 0x7ff80000
	v_cmp_neq_f64_e32 vcc, 0, v[0:1]
	v_cndmask_b32_e32 v1, v6, v3, vcc
	v_cndmask_b32_e32 v0, 0, v2, vcc
	global_store_dwordx2 v[4:5], v[0:1], off
.LBB674_24:
	s_endpgm
	.section	.rodata,"a",@progbits
	.p2align	6, 0x0
	.amdhsa_kernel _ZN12_GLOBAL__N_120softmax_warp_forwardIdddLi1ELb0ELb1ELi64EEEvPT0_PKT_iiiPKbib
		.amdhsa_group_segment_fixed_size 0
		.amdhsa_private_segment_fixed_size 0
		.amdhsa_kernarg_size 304
		.amdhsa_user_sgpr_count 6
		.amdhsa_user_sgpr_private_segment_buffer 1
		.amdhsa_user_sgpr_dispatch_ptr 0
		.amdhsa_user_sgpr_queue_ptr 0
		.amdhsa_user_sgpr_kernarg_segment_ptr 1
		.amdhsa_user_sgpr_dispatch_id 0
		.amdhsa_user_sgpr_flat_scratch_init 0
		.amdhsa_user_sgpr_kernarg_preload_length 0
		.amdhsa_user_sgpr_kernarg_preload_offset 0
		.amdhsa_user_sgpr_private_segment_size 0
		.amdhsa_uses_dynamic_stack 0
		.amdhsa_system_sgpr_private_segment_wavefront_offset 0
		.amdhsa_system_sgpr_workgroup_id_x 1
		.amdhsa_system_sgpr_workgroup_id_y 0
		.amdhsa_system_sgpr_workgroup_id_z 0
		.amdhsa_system_sgpr_workgroup_info 0
		.amdhsa_system_vgpr_workitem_id 1
		.amdhsa_next_free_vgpr 26
		.amdhsa_next_free_sgpr 20
		.amdhsa_accum_offset 28
		.amdhsa_reserve_vcc 1
		.amdhsa_reserve_flat_scratch 0
		.amdhsa_float_round_mode_32 0
		.amdhsa_float_round_mode_16_64 0
		.amdhsa_float_denorm_mode_32 3
		.amdhsa_float_denorm_mode_16_64 3
		.amdhsa_dx10_clamp 1
		.amdhsa_ieee_mode 1
		.amdhsa_fp16_overflow 0
		.amdhsa_tg_split 0
		.amdhsa_exception_fp_ieee_invalid_op 0
		.amdhsa_exception_fp_denorm_src 0
		.amdhsa_exception_fp_ieee_div_zero 0
		.amdhsa_exception_fp_ieee_overflow 0
		.amdhsa_exception_fp_ieee_underflow 0
		.amdhsa_exception_fp_ieee_inexact 0
		.amdhsa_exception_int_div_zero 0
	.end_amdhsa_kernel
	.section	.text._ZN12_GLOBAL__N_120softmax_warp_forwardIdddLi1ELb0ELb1ELi64EEEvPT0_PKT_iiiPKbib,"axG",@progbits,_ZN12_GLOBAL__N_120softmax_warp_forwardIdddLi1ELb0ELb1ELi64EEEvPT0_PKT_iiiPKbib,comdat
.Lfunc_end674:
	.size	_ZN12_GLOBAL__N_120softmax_warp_forwardIdddLi1ELb0ELb1ELi64EEEvPT0_PKT_iiiPKbib, .Lfunc_end674-_ZN12_GLOBAL__N_120softmax_warp_forwardIdddLi1ELb0ELb1ELi64EEEvPT0_PKT_iiiPKbib
                                        ; -- End function
	.section	.AMDGPU.csdata,"",@progbits
; Kernel info:
; codeLenInByte = 2072
; NumSgprs: 24
; NumVgprs: 26
; NumAgprs: 0
; TotalNumVgprs: 26
; ScratchSize: 0
; MemoryBound: 0
; FloatMode: 240
; IeeeMode: 1
; LDSByteSize: 0 bytes/workgroup (compile time only)
; SGPRBlocks: 2
; VGPRBlocks: 3
; NumSGPRsForWavesPerEU: 24
; NumVGPRsForWavesPerEU: 26
; AccumOffset: 28
; Occupancy: 8
; WaveLimiterHint : 0
; COMPUTE_PGM_RSRC2:SCRATCH_EN: 0
; COMPUTE_PGM_RSRC2:USER_SGPR: 6
; COMPUTE_PGM_RSRC2:TRAP_HANDLER: 0
; COMPUTE_PGM_RSRC2:TGID_X_EN: 1
; COMPUTE_PGM_RSRC2:TGID_Y_EN: 0
; COMPUTE_PGM_RSRC2:TGID_Z_EN: 0
; COMPUTE_PGM_RSRC2:TIDIG_COMP_CNT: 1
; COMPUTE_PGM_RSRC3_GFX90A:ACCUM_OFFSET: 6
; COMPUTE_PGM_RSRC3_GFX90A:TG_SPLIT: 0
	.section	.text._ZN12_GLOBAL__N_120softmax_warp_forwardIdddLi1ELb0ELb1ELi32EEEvPT0_PKT_iiiPKbib,"axG",@progbits,_ZN12_GLOBAL__N_120softmax_warp_forwardIdddLi1ELb0ELb1ELi32EEEvPT0_PKT_iiiPKbib,comdat
	.globl	_ZN12_GLOBAL__N_120softmax_warp_forwardIdddLi1ELb0ELb1ELi32EEEvPT0_PKT_iiiPKbib ; -- Begin function _ZN12_GLOBAL__N_120softmax_warp_forwardIdddLi1ELb0ELb1ELi32EEEvPT0_PKT_iiiPKbib
	.p2align	8
	.type	_ZN12_GLOBAL__N_120softmax_warp_forwardIdddLi1ELb0ELb1ELi32EEEvPT0_PKT_iiiPKbib,@function
_ZN12_GLOBAL__N_120softmax_warp_forwardIdddLi1ELb0ELb1ELi32EEEvPT0_PKT_iiiPKbib: ; @_ZN12_GLOBAL__N_120softmax_warp_forwardIdddLi1ELb0ELb1ELi32EEEvPT0_PKT_iiiPKbib
; %bb.0:
	s_load_dwordx2 s[0:1], s[4:5], 0x28
	s_load_dword s2, s[4:5], 0x3c
	s_load_dwordx4 s[8:11], s[4:5], 0x10
	v_bfe_u32 v1, v0, 10, 10
	v_and_b32_e32 v2, 0x3ff, v0
	s_waitcnt lgkmcnt(0)
	s_bitcmp1_b32 s1, 0
	s_cselect_b64 s[16:17], -1, 0
	s_lshr_b32 s2, s2, 16
	s_mul_i32 s6, s6, s2
	v_add_lshl_u32 v3, s6, v1, 1
	v_mul_lo_u32 v6, v3, s9
	v_add_u32_e32 v4, v6, v2
	v_ashrrev_i32_e32 v5, 31, v4
	s_bitcmp0_b32 s1, 0
	v_pk_mov_b32 v[0:1], v[4:5], v[4:5] op_sel:[0,1]
	s_cbranch_scc1 .LBB675_2
; %bb.1:
	s_abs_i32 s1, s0
	v_cvt_f32_u32_e32 v0, s1
	v_xor_b32_e32 v1, s0, v6
	v_sub_u32_e32 v7, 0, v6
	s_sub_i32 s0, 0, s1
	v_rcp_iflag_f32_e32 v0, v0
	v_max_i32_e32 v6, v6, v7
	v_ashrrev_i32_e32 v1, 31, v1
	v_mul_f32_e32 v0, 0x4f7ffffe, v0
	v_cvt_u32_f32_e32 v0, v0
	v_mul_lo_u32 v7, s0, v0
	v_mul_hi_u32 v7, v0, v7
	v_add_u32_e32 v0, v0, v7
	v_mul_hi_u32 v0, v6, v0
	v_mul_lo_u32 v7, v0, s1
	v_sub_u32_e32 v6, v6, v7
	v_add_u32_e32 v8, 1, v0
	v_cmp_le_u32_e32 vcc, s1, v6
	v_subrev_u32_e32 v7, s1, v6
	v_cndmask_b32_e32 v0, v0, v8, vcc
	v_cndmask_b32_e32 v6, v6, v7, vcc
	v_add_u32_e32 v7, 1, v0
	v_cmp_le_u32_e32 vcc, s1, v6
	v_cndmask_b32_e32 v0, v0, v7, vcc
	v_xor_b32_e32 v0, v0, v1
	v_sub_u32_e32 v0, v0, v1
	v_mad_u64_u32 v[0:1], s[0:1], v0, s9, v[2:3]
	v_ashrrev_i32_e32 v1, 31, v0
.LBB675_2:
	s_load_dwordx4 s[12:15], s[4:5], 0x0
	v_lshlrev_b64 v[4:5], 3, v[4:5]
	v_sub_u32_e32 v24, s8, v3
	v_mov_b32_e32 v6, 0
	v_cmp_gt_i32_e64 s[0:1], s10, v2
	s_waitcnt lgkmcnt(0)
	v_mov_b32_e32 v3, s15
	v_add_co_u32_e32 v8, vcc, s14, v4
	v_addc_co_u32_e32 v9, vcc, v3, v5, vcc
	v_cmp_lt_i32_e32 vcc, 0, v24
	v_mov_b32_e32 v7, 0xfff00000
	s_and_b64 s[18:19], s[0:1], vcc
	v_pk_mov_b32 v[18:19], v[6:7], v[6:7] op_sel:[0,1]
	s_and_saveexec_b64 s[2:3], s[18:19]
	s_cbranch_execz .LBB675_4
; %bb.3:
	global_load_dwordx2 v[18:19], v[8:9], off
.LBB675_4:
	s_or_b64 exec, exec, s[2:3]
	v_cmp_lt_i32_e64 s[2:3], 1, v24
	s_and_b64 s[8:9], s[0:1], s[2:3]
	s_and_saveexec_b64 s[6:7], s[8:9]
	s_cbranch_execz .LBB675_6
; %bb.5:
	s_mov_b32 s11, 0
	s_lshl_b64 s[2:3], s[10:11], 3
	v_mov_b32_e32 v3, s3
	v_add_co_u32_e64 v2, s[2:3], s2, v8
	v_addc_co_u32_e64 v3, s[2:3], v9, v3, s[2:3]
	global_load_dwordx2 v[6:7], v[2:3], off
.LBB675_6:
	s_or_b64 exec, exec, s[6:7]
	s_load_dwordx2 s[2:3], s[4:5], 0x20
	v_mov_b32_e32 v20, 0
	v_mov_b32_e32 v21, 0xfff00000
	s_waitcnt lgkmcnt(0)
	v_mov_b32_e32 v2, s3
	v_add_co_u32_e64 v10, s[2:3], s2, v0
	v_addc_co_u32_e64 v11, s[2:3], v2, v1, s[2:3]
	s_and_saveexec_b64 s[4:5], s[18:19]
	s_cbranch_execz .LBB675_8
; %bb.7:
	global_load_ubyte v0, v[10:11], off
	v_mov_b32_e32 v1, 0xfff00000
	s_waitcnt vmcnt(0)
	v_and_b32_e32 v0, 1, v0
	v_cmp_eq_u32_e64 s[2:3], 1, v0
	v_cndmask_b32_e64 v21, v19, v1, s[2:3]
	v_cndmask_b32_e64 v20, v18, 0, s[2:3]
.LBB675_8:
	s_or_b64 exec, exec, s[4:5]
	s_mov_b64 s[2:3], 0
	s_and_saveexec_b64 s[4:5], s[8:9]
	s_cbranch_execz .LBB675_10
; %bb.9:
	s_and_b64 s[2:3], s[16:17], exec
	s_cselect_b32 s2, 0, 0
	s_cselect_b32 s3, 0, s10
	v_mov_b32_e32 v1, s2
	v_add_co_u32_e64 v0, s[2:3], s3, v10
	v_addc_co_u32_e64 v1, s[2:3], v11, v1, s[2:3]
	global_load_ubyte v0, v[0:1], off
	s_waitcnt vmcnt(0)
	v_and_b32_e32 v0, 1, v0
	v_cmp_eq_u32_e64 s[2:3], 1, v0
	s_xor_b64 s[2:3], s[2:3], -1
	s_and_b64 s[2:3], s[2:3], exec
.LBB675_10:
	s_or_b64 exec, exec, s[4:5]
	v_mov_b32_e32 v0, 0xfff00000
	s_waitcnt vmcnt(0)
	v_cndmask_b32_e64 v15, v0, v7, s[2:3]
	v_mbcnt_lo_u32_b32 v0, -1, 0
	v_mbcnt_hi_u32_b32 v0, -1, v0
	v_and_b32_e32 v2, 0x7e, v0
	v_xor_b32_e32 v1, 1, v0
	v_add_u32_e32 v2, 2, v2
	v_cndmask_b32_e64 v14, 0, v6, s[2:3]
	v_cmp_lt_i32_e64 s[2:3], v1, v2
	v_cndmask_b32_e64 v0, v0, v1, s[2:3]
	v_lshlrev_b32_e32 v25, 2, v0
	ds_bpermute_b32 v22, v25, v20
	ds_bpermute_b32 v23, v25, v21
	;; [unrolled: 1-line block ×4, first 2 shown]
	s_mov_b32 s4, 0
	s_mov_b32 s5, s4
	;; [unrolled: 1-line block ×4, first 2 shown]
	v_pk_mov_b32 v[8:9], 0, 0
	v_pk_mov_b32 v[0:1], s[4:5], s[4:5] op_sel:[0,1]
	v_pk_mov_b32 v[2:3], s[6:7], s[6:7] op_sel:[0,1]
	;; [unrolled: 1-line block ×3, first 2 shown]
	s_and_saveexec_b64 s[14:15], s[18:19]
	s_cbranch_execz .LBB675_14
; %bb.11:
	global_load_ubyte v12, v[10:11], off
	v_pk_mov_b32 v[0:1], s[4:5], s[4:5] op_sel:[0,1]
	v_pk_mov_b32 v[2:3], s[6:7], s[6:7] op_sel:[0,1]
	s_waitcnt vmcnt(0)
	v_and_b32_e32 v12, 1, v12
	v_cmp_eq_u32_e64 s[2:3], 1, v12
	s_xor_b64 s[2:3], s[2:3], -1
	v_pk_mov_b32 v[12:13], 0, 0
	s_and_saveexec_b64 s[6:7], s[2:3]
	s_cbranch_execz .LBB675_13
; %bb.12:
	s_waitcnt lgkmcnt(2)
	v_cmp_lt_f64_e64 s[2:3], v[20:21], v[22:23]
	v_cndmask_b32_e64 v1, v21, v23, s[2:3]
	v_cndmask_b32_e64 v0, v20, v22, s[2:3]
	s_mov_b32 s2, 0x652b82fe
	v_add_f64 v[0:1], v[18:19], -v[0:1]
	s_mov_b32 s3, 0x3ff71547
	v_mul_f64 v[2:3], v[0:1], s[2:3]
	s_mov_b32 s2, 0xfefa39ef
	v_rndne_f64_e32 v[2:3], v[2:3]
	s_mov_b32 s3, 0xbfe62e42
	v_fma_f64 v[12:13], s[2:3], v[2:3], v[0:1]
	s_mov_b32 s2, 0x3b39803f
	s_mov_b32 s3, 0xbc7abc9e
	v_fmac_f64_e32 v[12:13], s[2:3], v[2:3]
	s_mov_b32 s2, 0x6a5dcb37
	v_mov_b32_e32 v18, 0xfca7ab0c
	v_mov_b32_e32 v19, 0x3e928af3
	s_mov_b32 s3, 0x3e5ade15
	v_fmac_f64_e32 v[18:19], s[2:3], v[12:13]
	v_mov_b32_e32 v20, 0x623fde64
	v_mov_b32_e32 v21, 0x3ec71dee
	v_fmac_f64_e32 v[20:21], v[12:13], v[18:19]
	v_mov_b32_e32 v18, 0x7c89e6b0
	v_mov_b32_e32 v19, 0x3efa0199
	;; [unrolled: 3-line block ×8, first 2 shown]
	v_fmac_f64_e32 v[18:19], v[12:13], v[20:21]
	v_fma_f64 v[18:19], v[12:13], v[18:19], 1.0
	s_mov_b32 s2, 0
	s_mov_b32 s4, 0
	v_fma_f64 v[12:13], v[12:13], v[18:19], 1.0
	v_cvt_i32_f64_e32 v2, v[2:3]
	s_mov_b32 s3, 0x40900000
	s_mov_b32 s5, 0xc090cc00
	v_ldexp_f64 v[12:13], v[12:13], v2
	v_mov_b32_e32 v2, 0x7ff00000
	v_cmp_nlt_f64_e64 s[2:3], s[2:3], v[0:1]
	v_cmp_ngt_f64_e64 s[4:5], s[4:5], v[0:1]
	v_cndmask_b32_e64 v3, v2, v13, s[2:3]
	s_and_b64 s[2:3], s[4:5], s[2:3]
	v_mov_b32_e32 v2, 0
	v_cndmask_b32_e64 v13, 0, v3, s[4:5]
	v_cndmask_b32_e64 v12, 0, v12, s[2:3]
	v_add_f64 v[0:1], v[12:13], 0
	v_mov_b32_e32 v3, v2
.LBB675_13:
	s_or_b64 exec, exec, s[6:7]
.LBB675_14:
	s_or_b64 exec, exec, s[14:15]
	s_and_saveexec_b64 s[6:7], s[8:9]
	s_cbranch_execz .LBB675_18
; %bb.15:
	s_and_b64 s[2:3], s[16:17], exec
	s_cselect_b32 s2, 0, 0
	s_cselect_b32 s3, 0, s10
	v_mov_b32_e32 v9, s2
	v_add_co_u32_e64 v8, s[2:3], s3, v10
	v_addc_co_u32_e64 v9, s[2:3], v11, v9, s[2:3]
	global_load_ubyte v8, v[8:9], off
	s_waitcnt vmcnt(0)
	v_and_b32_e32 v8, 1, v8
	v_cmp_eq_u32_e64 s[2:3], 1, v8
	s_xor_b64 s[2:3], s[2:3], -1
	v_pk_mov_b32 v[8:9], 0, 0
	s_and_saveexec_b64 s[8:9], s[2:3]
	s_cbranch_execz .LBB675_17
; %bb.16:
	s_waitcnt lgkmcnt(0)
	v_cmp_lt_f64_e64 s[2:3], v[14:15], v[16:17]
	v_cndmask_b32_e64 v9, v15, v17, s[2:3]
	v_cndmask_b32_e64 v8, v14, v16, s[2:3]
	s_mov_b32 s2, 0x652b82fe
	v_add_f64 v[6:7], v[6:7], -v[8:9]
	s_mov_b32 s3, 0x3ff71547
	v_mul_f64 v[8:9], v[6:7], s[2:3]
	s_mov_b32 s2, 0xfefa39ef
	v_rndne_f64_e32 v[8:9], v[8:9]
	s_mov_b32 s3, 0xbfe62e42
	v_fma_f64 v[10:11], s[2:3], v[8:9], v[6:7]
	s_mov_b32 s2, 0x3b39803f
	s_mov_b32 s3, 0xbc7abc9e
	v_fmac_f64_e32 v[10:11], s[2:3], v[8:9]
	s_mov_b32 s2, 0x6a5dcb37
	v_mov_b32_e32 v14, 0xfca7ab0c
	v_mov_b32_e32 v15, 0x3e928af3
	s_mov_b32 s3, 0x3e5ade15
	v_fmac_f64_e32 v[14:15], s[2:3], v[10:11]
	v_mov_b32_e32 v16, 0x623fde64
	v_mov_b32_e32 v17, 0x3ec71dee
	v_fmac_f64_e32 v[16:17], v[10:11], v[14:15]
	v_mov_b32_e32 v14, 0x7c89e6b0
	v_mov_b32_e32 v15, 0x3efa0199
	v_fmac_f64_e32 v[14:15], v[10:11], v[16:17]
	v_mov_b32_e32 v16, 0x14761f6e
	v_mov_b32_e32 v17, 0x3f2a01a0
	v_fmac_f64_e32 v[16:17], v[10:11], v[14:15]
	v_mov_b32_e32 v14, 0x1852b7b0
	v_mov_b32_e32 v15, 0x3f56c16c
	v_fmac_f64_e32 v[14:15], v[10:11], v[16:17]
	v_mov_b32_e32 v16, 0x11122322
	v_mov_b32_e32 v17, 0x3f811111
	v_fmac_f64_e32 v[16:17], v[10:11], v[14:15]
	v_mov_b32_e32 v14, 0x555502a1
	v_mov_b32_e32 v15, 0x3fa55555
	v_fmac_f64_e32 v[14:15], v[10:11], v[16:17]
	v_mov_b32_e32 v16, 0x55555511
	v_mov_b32_e32 v17, 0x3fc55555
	v_fmac_f64_e32 v[16:17], v[10:11], v[14:15]
	v_mov_b32_e32 v14, 11
	v_mov_b32_e32 v15, 0x3fe00000
	v_fmac_f64_e32 v[14:15], v[10:11], v[16:17]
	v_fma_f64 v[14:15], v[10:11], v[14:15], 1.0
	s_mov_b32 s2, 0
	s_mov_b32 s4, 0
	v_fma_f64 v[10:11], v[10:11], v[14:15], 1.0
	v_cvt_i32_f64_e32 v8, v[8:9]
	s_mov_b32 s3, 0x40900000
	s_mov_b32 s5, 0xc090cc00
	v_ldexp_f64 v[8:9], v[10:11], v8
	v_mov_b32_e32 v10, 0x7ff00000
	v_cmp_nlt_f64_e64 s[2:3], s[2:3], v[6:7]
	v_cmp_ngt_f64_e64 s[4:5], s[4:5], v[6:7]
	v_cndmask_b32_e64 v9, v10, v9, s[2:3]
	s_and_b64 s[2:3], s[4:5], s[2:3]
	v_cndmask_b32_e64 v9, 0, v9, s[4:5]
	v_cndmask_b32_e64 v8, 0, v8, s[2:3]
	v_add_f64 v[2:3], v[2:3], v[8:9]
.LBB675_17:
	s_or_b64 exec, exec, s[8:9]
.LBB675_18:
	s_or_b64 exec, exec, s[6:7]
	ds_bpermute_b32 v10, v25, v0
	ds_bpermute_b32 v11, v25, v1
	;; [unrolled: 1-line block ×4, first 2 shown]
	s_and_saveexec_b64 s[2:3], vcc
	s_cbranch_execz .LBB675_24
; %bb.19:
	v_mov_b32_e32 v14, s13
	v_add_co_u32_e32 v4, vcc, s12, v4
	v_addc_co_u32_e32 v5, vcc, v14, v5, vcc
	s_and_saveexec_b64 s[2:3], s[0:1]
	s_cbranch_execz .LBB675_21
; %bb.20:
	s_waitcnt lgkmcnt(2)
	v_add_f64 v[0:1], v[0:1], v[10:11]
	v_div_scale_f64 v[10:11], s[4:5], v[0:1], v[0:1], v[12:13]
	v_rcp_f64_e32 v[14:15], v[10:11]
	v_div_scale_f64 v[16:17], vcc, v[12:13], v[0:1], v[12:13]
	v_fma_f64 v[18:19], -v[10:11], v[14:15], 1.0
	v_fmac_f64_e32 v[14:15], v[14:15], v[18:19]
	v_fma_f64 v[18:19], -v[10:11], v[14:15], 1.0
	v_fmac_f64_e32 v[14:15], v[14:15], v[18:19]
	v_mul_f64 v[18:19], v[16:17], v[14:15]
	v_fma_f64 v[10:11], -v[10:11], v[18:19], v[16:17]
	v_div_fmas_f64 v[10:11], v[10:11], v[14:15], v[18:19]
	v_div_fixup_f64 v[10:11], v[10:11], v[0:1], v[12:13]
	v_mov_b32_e32 v12, 0x7ff80000
	v_cmp_neq_f64_e32 vcc, 0, v[0:1]
	v_cndmask_b32_e32 v1, v12, v11, vcc
	v_cndmask_b32_e32 v0, 0, v10, vcc
	global_store_dwordx2 v[4:5], v[0:1], off
.LBB675_21:
	s_or_b64 exec, exec, s[2:3]
	v_cmp_ne_u32_e32 vcc, 1, v24
	s_and_b64 exec, exec, vcc
	s_cbranch_execz .LBB675_24
; %bb.22:
	s_and_b64 exec, exec, s[0:1]
	s_cbranch_execz .LBB675_24
; %bb.23:
	s_waitcnt lgkmcnt(0)
	v_add_f64 v[0:1], v[2:3], v[6:7]
	v_div_scale_f64 v[2:3], s[0:1], v[0:1], v[0:1], v[8:9]
	v_rcp_f64_e32 v[6:7], v[2:3]
	v_div_scale_f64 v[10:11], vcc, v[8:9], v[0:1], v[8:9]
	s_mov_b32 s11, 0
	v_fma_f64 v[12:13], -v[2:3], v[6:7], 1.0
	v_fmac_f64_e32 v[6:7], v[6:7], v[12:13]
	v_fma_f64 v[12:13], -v[2:3], v[6:7], 1.0
	v_fmac_f64_e32 v[6:7], v[6:7], v[12:13]
	v_mul_f64 v[12:13], v[10:11], v[6:7]
	v_fma_f64 v[2:3], -v[2:3], v[12:13], v[10:11]
	s_lshl_b64 s[0:1], s[10:11], 3
	v_div_fmas_f64 v[2:3], v[2:3], v[6:7], v[12:13]
	v_mov_b32_e32 v6, s1
	v_add_co_u32_e32 v4, vcc, s0, v4
	v_addc_co_u32_e32 v5, vcc, v5, v6, vcc
	v_div_fixup_f64 v[2:3], v[2:3], v[0:1], v[8:9]
	v_mov_b32_e32 v6, 0x7ff80000
	v_cmp_neq_f64_e32 vcc, 0, v[0:1]
	v_cndmask_b32_e32 v1, v6, v3, vcc
	v_cndmask_b32_e32 v0, 0, v2, vcc
	global_store_dwordx2 v[4:5], v[0:1], off
.LBB675_24:
	s_endpgm
	.section	.rodata,"a",@progbits
	.p2align	6, 0x0
	.amdhsa_kernel _ZN12_GLOBAL__N_120softmax_warp_forwardIdddLi1ELb0ELb1ELi32EEEvPT0_PKT_iiiPKbib
		.amdhsa_group_segment_fixed_size 0
		.amdhsa_private_segment_fixed_size 0
		.amdhsa_kernarg_size 304
		.amdhsa_user_sgpr_count 6
		.amdhsa_user_sgpr_private_segment_buffer 1
		.amdhsa_user_sgpr_dispatch_ptr 0
		.amdhsa_user_sgpr_queue_ptr 0
		.amdhsa_user_sgpr_kernarg_segment_ptr 1
		.amdhsa_user_sgpr_dispatch_id 0
		.amdhsa_user_sgpr_flat_scratch_init 0
		.amdhsa_user_sgpr_kernarg_preload_length 0
		.amdhsa_user_sgpr_kernarg_preload_offset 0
		.amdhsa_user_sgpr_private_segment_size 0
		.amdhsa_uses_dynamic_stack 0
		.amdhsa_system_sgpr_private_segment_wavefront_offset 0
		.amdhsa_system_sgpr_workgroup_id_x 1
		.amdhsa_system_sgpr_workgroup_id_y 0
		.amdhsa_system_sgpr_workgroup_id_z 0
		.amdhsa_system_sgpr_workgroup_info 0
		.amdhsa_system_vgpr_workitem_id 1
		.amdhsa_next_free_vgpr 26
		.amdhsa_next_free_sgpr 20
		.amdhsa_accum_offset 28
		.amdhsa_reserve_vcc 1
		.amdhsa_reserve_flat_scratch 0
		.amdhsa_float_round_mode_32 0
		.amdhsa_float_round_mode_16_64 0
		.amdhsa_float_denorm_mode_32 3
		.amdhsa_float_denorm_mode_16_64 3
		.amdhsa_dx10_clamp 1
		.amdhsa_ieee_mode 1
		.amdhsa_fp16_overflow 0
		.amdhsa_tg_split 0
		.amdhsa_exception_fp_ieee_invalid_op 0
		.amdhsa_exception_fp_denorm_src 0
		.amdhsa_exception_fp_ieee_div_zero 0
		.amdhsa_exception_fp_ieee_overflow 0
		.amdhsa_exception_fp_ieee_underflow 0
		.amdhsa_exception_fp_ieee_inexact 0
		.amdhsa_exception_int_div_zero 0
	.end_amdhsa_kernel
	.section	.text._ZN12_GLOBAL__N_120softmax_warp_forwardIdddLi1ELb0ELb1ELi32EEEvPT0_PKT_iiiPKbib,"axG",@progbits,_ZN12_GLOBAL__N_120softmax_warp_forwardIdddLi1ELb0ELb1ELi32EEEvPT0_PKT_iiiPKbib,comdat
.Lfunc_end675:
	.size	_ZN12_GLOBAL__N_120softmax_warp_forwardIdddLi1ELb0ELb1ELi32EEEvPT0_PKT_iiiPKbib, .Lfunc_end675-_ZN12_GLOBAL__N_120softmax_warp_forwardIdddLi1ELb0ELb1ELi32EEEvPT0_PKT_iiiPKbib
                                        ; -- End function
	.section	.AMDGPU.csdata,"",@progbits
; Kernel info:
; codeLenInByte = 2072
; NumSgprs: 24
; NumVgprs: 26
; NumAgprs: 0
; TotalNumVgprs: 26
; ScratchSize: 0
; MemoryBound: 0
; FloatMode: 240
; IeeeMode: 1
; LDSByteSize: 0 bytes/workgroup (compile time only)
; SGPRBlocks: 2
; VGPRBlocks: 3
; NumSGPRsForWavesPerEU: 24
; NumVGPRsForWavesPerEU: 26
; AccumOffset: 28
; Occupancy: 8
; WaveLimiterHint : 0
; COMPUTE_PGM_RSRC2:SCRATCH_EN: 0
; COMPUTE_PGM_RSRC2:USER_SGPR: 6
; COMPUTE_PGM_RSRC2:TRAP_HANDLER: 0
; COMPUTE_PGM_RSRC2:TGID_X_EN: 1
; COMPUTE_PGM_RSRC2:TGID_Y_EN: 0
; COMPUTE_PGM_RSRC2:TGID_Z_EN: 0
; COMPUTE_PGM_RSRC2:TIDIG_COMP_CNT: 1
; COMPUTE_PGM_RSRC3_GFX90A:ACCUM_OFFSET: 6
; COMPUTE_PGM_RSRC3_GFX90A:TG_SPLIT: 0
	.section	.text._ZN12_GLOBAL__N_120softmax_warp_forwardIdddLi2ELb0ELb1ELi64EEEvPT0_PKT_iiiPKbib,"axG",@progbits,_ZN12_GLOBAL__N_120softmax_warp_forwardIdddLi2ELb0ELb1ELi64EEEvPT0_PKT_iiiPKbib,comdat
	.globl	_ZN12_GLOBAL__N_120softmax_warp_forwardIdddLi2ELb0ELb1ELi64EEEvPT0_PKT_iiiPKbib ; -- Begin function _ZN12_GLOBAL__N_120softmax_warp_forwardIdddLi2ELb0ELb1ELi64EEEvPT0_PKT_iiiPKbib
	.p2align	8
	.type	_ZN12_GLOBAL__N_120softmax_warp_forwardIdddLi2ELb0ELb1ELi64EEEvPT0_PKT_iiiPKbib,@function
_ZN12_GLOBAL__N_120softmax_warp_forwardIdddLi2ELb0ELb1ELi64EEEvPT0_PKT_iiiPKbib: ; @_ZN12_GLOBAL__N_120softmax_warp_forwardIdddLi2ELb0ELb1ELi64EEEvPT0_PKT_iiiPKbib
; %bb.0:
	s_load_dwordx2 s[0:1], s[4:5], 0x28
	s_load_dword s2, s[4:5], 0x3c
	s_load_dwordx4 s[8:11], s[4:5], 0x10
	v_bfe_u32 v1, v0, 10, 10
	v_and_b32_e32 v2, 0x3ff, v0
	s_waitcnt lgkmcnt(0)
	s_bitcmp1_b32 s1, 0
	s_cselect_b64 s[16:17], -1, 0
	s_lshr_b32 s2, s2, 16
	s_mul_i32 s6, s6, s2
	v_add_lshl_u32 v3, s6, v1, 1
	v_mul_lo_u32 v6, v3, s9
	v_add_u32_e32 v4, v6, v2
	v_ashrrev_i32_e32 v5, 31, v4
	s_bitcmp0_b32 s1, 0
	v_pk_mov_b32 v[0:1], v[4:5], v[4:5] op_sel:[0,1]
	s_cbranch_scc1 .LBB676_2
; %bb.1:
	s_abs_i32 s1, s0
	v_cvt_f32_u32_e32 v0, s1
	v_xor_b32_e32 v1, s0, v6
	v_sub_u32_e32 v7, 0, v6
	s_sub_i32 s0, 0, s1
	v_rcp_iflag_f32_e32 v0, v0
	v_max_i32_e32 v6, v6, v7
	v_ashrrev_i32_e32 v1, 31, v1
	v_mul_f32_e32 v0, 0x4f7ffffe, v0
	v_cvt_u32_f32_e32 v0, v0
	v_mul_lo_u32 v7, s0, v0
	v_mul_hi_u32 v7, v0, v7
	v_add_u32_e32 v0, v0, v7
	v_mul_hi_u32 v0, v6, v0
	v_mul_lo_u32 v7, v0, s1
	v_sub_u32_e32 v6, v6, v7
	v_add_u32_e32 v8, 1, v0
	v_cmp_le_u32_e32 vcc, s1, v6
	v_subrev_u32_e32 v7, s1, v6
	v_cndmask_b32_e32 v0, v0, v8, vcc
	v_cndmask_b32_e32 v6, v6, v7, vcc
	v_add_u32_e32 v7, 1, v0
	v_cmp_le_u32_e32 vcc, s1, v6
	v_cndmask_b32_e32 v0, v0, v7, vcc
	v_xor_b32_e32 v0, v0, v1
	v_sub_u32_e32 v0, v0, v1
	v_mad_u64_u32 v[0:1], s[0:1], v0, s9, v[2:3]
	v_ashrrev_i32_e32 v1, 31, v0
.LBB676_2:
	s_load_dwordx4 s[12:15], s[4:5], 0x0
	v_lshlrev_b64 v[4:5], 3, v[4:5]
	v_sub_u32_e32 v24, s8, v3
	v_mov_b32_e32 v6, 0
	v_cmp_gt_i32_e64 s[0:1], s10, v2
	s_waitcnt lgkmcnt(0)
	v_mov_b32_e32 v3, s15
	v_add_co_u32_e32 v8, vcc, s14, v4
	v_addc_co_u32_e32 v9, vcc, v3, v5, vcc
	v_cmp_lt_i32_e32 vcc, 0, v24
	v_mov_b32_e32 v7, 0xfff00000
	s_and_b64 s[14:15], s[0:1], vcc
	v_pk_mov_b32 v[18:19], v[6:7], v[6:7] op_sel:[0,1]
	s_and_saveexec_b64 s[2:3], s[14:15]
	s_cbranch_execz .LBB676_4
; %bb.3:
	global_load_dwordx2 v[18:19], v[8:9], off
.LBB676_4:
	s_or_b64 exec, exec, s[2:3]
	v_cmp_lt_i32_e64 s[2:3], 1, v24
	s_and_b64 s[8:9], s[0:1], s[2:3]
	s_and_saveexec_b64 s[6:7], s[8:9]
	s_cbranch_execz .LBB676_6
; %bb.5:
	s_mov_b32 s11, 0
	s_lshl_b64 s[2:3], s[10:11], 3
	v_mov_b32_e32 v3, s3
	v_add_co_u32_e64 v2, s[2:3], s2, v8
	v_addc_co_u32_e64 v3, s[2:3], v9, v3, s[2:3]
	global_load_dwordx2 v[6:7], v[2:3], off
.LBB676_6:
	s_or_b64 exec, exec, s[6:7]
	s_load_dwordx2 s[2:3], s[4:5], 0x20
	s_waitcnt lgkmcnt(0)
	v_mov_b32_e32 v2, s3
	v_add_co_u32_e64 v10, s[2:3], s2, v0
	v_addc_co_u32_e64 v11, s[2:3], v2, v1, s[2:3]
	v_mov_b32_e32 v0, 0
	v_mov_b32_e32 v1, 0xfff00000
	s_and_saveexec_b64 s[4:5], s[14:15]
	s_cbranch_execz .LBB676_8
; %bb.7:
	global_load_ubyte v0, v[10:11], off
	v_mov_b32_e32 v1, 0xfff00000
	s_waitcnt vmcnt(0)
	v_and_b32_e32 v0, 1, v0
	v_cmp_eq_u32_e64 s[2:3], 1, v0
	v_cndmask_b32_e64 v1, v19, v1, s[2:3]
	v_cndmask_b32_e64 v0, v18, 0, s[2:3]
.LBB676_8:
	s_or_b64 exec, exec, s[4:5]
	s_mov_b64 s[4:5], 0
	s_and_saveexec_b64 s[6:7], s[8:9]
	s_cbranch_execz .LBB676_10
; %bb.9:
	s_and_b64 s[2:3], s[16:17], exec
	s_cselect_b32 s2, 0, 0
	s_cselect_b32 s3, 0, s10
	v_mov_b32_e32 v3, s2
	v_add_co_u32_e64 v2, s[2:3], s3, v10
	v_addc_co_u32_e64 v3, s[2:3], v11, v3, s[2:3]
	global_load_ubyte v2, v[2:3], off
	s_waitcnt vmcnt(0)
	v_and_b32_e32 v2, 1, v2
	v_cmp_eq_u32_e64 s[2:3], 1, v2
	s_xor_b64 s[2:3], s[2:3], -1
	s_and_b64 s[4:5], s[2:3], exec
.LBB676_10:
	s_or_b64 exec, exec, s[6:7]
	v_mov_b32_e32 v2, 0xfff00000
	s_waitcnt vmcnt(0)
	v_cndmask_b32_e64 v3, v2, v7, s[4:5]
	v_mbcnt_lo_u32_b32 v2, -1, 0
	v_mbcnt_hi_u32_b32 v16, -1, v2
	v_and_b32_e32 v2, 0x7c, v16
	v_add_u32_e32 v17, 4, v2
	v_xor_b32_e32 v2, 2, v16
	v_cmp_lt_i32_e64 s[2:3], v2, v17
	v_cndmask_b32_e64 v2, v16, v2, s[2:3]
	v_lshlrev_b32_e32 v25, 2, v2
	ds_bpermute_b32 v8, v25, v0
	ds_bpermute_b32 v9, v25, v1
	v_cndmask_b32_e64 v2, 0, v6, s[4:5]
	ds_bpermute_b32 v12, v25, v2
	ds_bpermute_b32 v13, v25, v3
	s_mov_b32 s4, 0
	s_waitcnt lgkmcnt(2)
	v_cmp_lt_f64_e64 s[2:3], v[0:1], v[8:9]
	v_cndmask_b32_e64 v21, v1, v9, s[2:3]
	v_cndmask_b32_e64 v20, v0, v8, s[2:3]
	s_waitcnt lgkmcnt(0)
	v_cmp_lt_f64_e64 s[2:3], v[2:3], v[12:13]
	v_xor_b32_e32 v0, 1, v16
	v_cndmask_b32_e64 v15, v3, v13, s[2:3]
	v_cndmask_b32_e64 v14, v2, v12, s[2:3]
	v_cmp_lt_i32_e64 s[2:3], v0, v17
	v_cndmask_b32_e64 v0, v16, v0, s[2:3]
	v_lshlrev_b32_e32 v26, 2, v0
	ds_bpermute_b32 v22, v26, v20
	ds_bpermute_b32 v23, v26, v21
	;; [unrolled: 1-line block ×4, first 2 shown]
	s_mov_b32 s5, s4
	s_mov_b32 s6, s4
	;; [unrolled: 1-line block ×3, first 2 shown]
	v_pk_mov_b32 v[8:9], 0, 0
	v_pk_mov_b32 v[0:1], s[4:5], s[4:5] op_sel:[0,1]
	v_pk_mov_b32 v[2:3], s[6:7], s[6:7] op_sel:[0,1]
	;; [unrolled: 1-line block ×3, first 2 shown]
	s_and_saveexec_b64 s[18:19], s[14:15]
	s_cbranch_execz .LBB676_14
; %bb.11:
	global_load_ubyte v12, v[10:11], off
	v_pk_mov_b32 v[0:1], s[4:5], s[4:5] op_sel:[0,1]
	v_pk_mov_b32 v[2:3], s[6:7], s[6:7] op_sel:[0,1]
	s_waitcnt vmcnt(0)
	v_and_b32_e32 v12, 1, v12
	v_cmp_eq_u32_e64 s[2:3], 1, v12
	s_xor_b64 s[2:3], s[2:3], -1
	v_pk_mov_b32 v[12:13], 0, 0
	s_and_saveexec_b64 s[6:7], s[2:3]
	s_cbranch_execz .LBB676_13
; %bb.12:
	s_waitcnt lgkmcnt(2)
	v_cmp_lt_f64_e64 s[2:3], v[20:21], v[22:23]
	v_cndmask_b32_e64 v1, v21, v23, s[2:3]
	v_cndmask_b32_e64 v0, v20, v22, s[2:3]
	s_mov_b32 s2, 0x652b82fe
	v_add_f64 v[0:1], v[18:19], -v[0:1]
	s_mov_b32 s3, 0x3ff71547
	v_mul_f64 v[2:3], v[0:1], s[2:3]
	s_mov_b32 s2, 0xfefa39ef
	v_rndne_f64_e32 v[2:3], v[2:3]
	s_mov_b32 s3, 0xbfe62e42
	v_fma_f64 v[12:13], s[2:3], v[2:3], v[0:1]
	s_mov_b32 s2, 0x3b39803f
	s_mov_b32 s3, 0xbc7abc9e
	v_fmac_f64_e32 v[12:13], s[2:3], v[2:3]
	s_mov_b32 s2, 0x6a5dcb37
	v_mov_b32_e32 v18, 0xfca7ab0c
	v_mov_b32_e32 v19, 0x3e928af3
	s_mov_b32 s3, 0x3e5ade15
	v_fmac_f64_e32 v[18:19], s[2:3], v[12:13]
	v_mov_b32_e32 v20, 0x623fde64
	v_mov_b32_e32 v21, 0x3ec71dee
	v_fmac_f64_e32 v[20:21], v[12:13], v[18:19]
	v_mov_b32_e32 v18, 0x7c89e6b0
	v_mov_b32_e32 v19, 0x3efa0199
	;; [unrolled: 3-line block ×8, first 2 shown]
	v_fmac_f64_e32 v[18:19], v[12:13], v[20:21]
	v_fma_f64 v[18:19], v[12:13], v[18:19], 1.0
	s_mov_b32 s2, 0
	s_mov_b32 s4, 0
	v_fma_f64 v[12:13], v[12:13], v[18:19], 1.0
	v_cvt_i32_f64_e32 v2, v[2:3]
	s_mov_b32 s3, 0x40900000
	s_mov_b32 s5, 0xc090cc00
	v_ldexp_f64 v[12:13], v[12:13], v2
	v_mov_b32_e32 v2, 0x7ff00000
	v_cmp_nlt_f64_e64 s[2:3], s[2:3], v[0:1]
	v_cmp_ngt_f64_e64 s[4:5], s[4:5], v[0:1]
	v_cndmask_b32_e64 v3, v2, v13, s[2:3]
	s_and_b64 s[2:3], s[4:5], s[2:3]
	v_mov_b32_e32 v2, 0
	v_cndmask_b32_e64 v13, 0, v3, s[4:5]
	v_cndmask_b32_e64 v12, 0, v12, s[2:3]
	v_add_f64 v[0:1], v[12:13], 0
	v_mov_b32_e32 v3, v2
.LBB676_13:
	s_or_b64 exec, exec, s[6:7]
.LBB676_14:
	s_or_b64 exec, exec, s[18:19]
	s_and_saveexec_b64 s[6:7], s[8:9]
	s_cbranch_execz .LBB676_18
; %bb.15:
	s_and_b64 s[2:3], s[16:17], exec
	s_cselect_b32 s2, 0, 0
	s_cselect_b32 s3, 0, s10
	v_mov_b32_e32 v9, s2
	v_add_co_u32_e64 v8, s[2:3], s3, v10
	v_addc_co_u32_e64 v9, s[2:3], v11, v9, s[2:3]
	global_load_ubyte v8, v[8:9], off
	s_waitcnt vmcnt(0)
	v_and_b32_e32 v8, 1, v8
	v_cmp_eq_u32_e64 s[2:3], 1, v8
	s_xor_b64 s[2:3], s[2:3], -1
	v_pk_mov_b32 v[8:9], 0, 0
	s_and_saveexec_b64 s[8:9], s[2:3]
	s_cbranch_execz .LBB676_17
; %bb.16:
	s_waitcnt lgkmcnt(0)
	v_cmp_lt_f64_e64 s[2:3], v[14:15], v[16:17]
	v_cndmask_b32_e64 v9, v15, v17, s[2:3]
	v_cndmask_b32_e64 v8, v14, v16, s[2:3]
	s_mov_b32 s2, 0x652b82fe
	v_add_f64 v[6:7], v[6:7], -v[8:9]
	s_mov_b32 s3, 0x3ff71547
	v_mul_f64 v[8:9], v[6:7], s[2:3]
	s_mov_b32 s2, 0xfefa39ef
	v_rndne_f64_e32 v[8:9], v[8:9]
	s_mov_b32 s3, 0xbfe62e42
	v_fma_f64 v[10:11], s[2:3], v[8:9], v[6:7]
	s_mov_b32 s2, 0x3b39803f
	s_mov_b32 s3, 0xbc7abc9e
	v_fmac_f64_e32 v[10:11], s[2:3], v[8:9]
	s_mov_b32 s2, 0x6a5dcb37
	v_mov_b32_e32 v14, 0xfca7ab0c
	v_mov_b32_e32 v15, 0x3e928af3
	s_mov_b32 s3, 0x3e5ade15
	v_fmac_f64_e32 v[14:15], s[2:3], v[10:11]
	v_mov_b32_e32 v16, 0x623fde64
	v_mov_b32_e32 v17, 0x3ec71dee
	v_fmac_f64_e32 v[16:17], v[10:11], v[14:15]
	v_mov_b32_e32 v14, 0x7c89e6b0
	v_mov_b32_e32 v15, 0x3efa0199
	;; [unrolled: 3-line block ×8, first 2 shown]
	v_fmac_f64_e32 v[14:15], v[10:11], v[16:17]
	v_fma_f64 v[14:15], v[10:11], v[14:15], 1.0
	s_mov_b32 s2, 0
	s_mov_b32 s4, 0
	v_fma_f64 v[10:11], v[10:11], v[14:15], 1.0
	v_cvt_i32_f64_e32 v8, v[8:9]
	s_mov_b32 s3, 0x40900000
	s_mov_b32 s5, 0xc090cc00
	v_ldexp_f64 v[8:9], v[10:11], v8
	v_mov_b32_e32 v10, 0x7ff00000
	v_cmp_nlt_f64_e64 s[2:3], s[2:3], v[6:7]
	v_cmp_ngt_f64_e64 s[4:5], s[4:5], v[6:7]
	v_cndmask_b32_e64 v9, v10, v9, s[2:3]
	s_and_b64 s[2:3], s[4:5], s[2:3]
	v_cndmask_b32_e64 v9, 0, v9, s[4:5]
	v_cndmask_b32_e64 v8, 0, v8, s[2:3]
	v_add_f64 v[2:3], v[2:3], v[8:9]
.LBB676_17:
	s_or_b64 exec, exec, s[8:9]
.LBB676_18:
	s_or_b64 exec, exec, s[6:7]
	ds_bpermute_b32 v6, v25, v0
	ds_bpermute_b32 v7, v25, v1
	;; [unrolled: 1-line block ×4, first 2 shown]
	s_waitcnt lgkmcnt(2)
	v_add_f64 v[10:11], v[0:1], v[6:7]
	s_waitcnt lgkmcnt(0)
	v_add_f64 v[2:3], v[2:3], v[14:15]
	ds_bpermute_b32 v14, v26, v10
	ds_bpermute_b32 v15, v26, v11
	;; [unrolled: 1-line block ×4, first 2 shown]
	s_and_saveexec_b64 s[2:3], vcc
	s_cbranch_execz .LBB676_24
; %bb.19:
	v_mov_b32_e32 v1, s13
	v_add_co_u32_e32 v0, vcc, s12, v4
	v_addc_co_u32_e32 v1, vcc, v1, v5, vcc
	s_and_saveexec_b64 s[2:3], s[0:1]
	s_cbranch_execz .LBB676_21
; %bb.20:
	s_waitcnt lgkmcnt(2)
	v_add_f64 v[4:5], v[10:11], v[14:15]
	v_div_scale_f64 v[10:11], s[4:5], v[4:5], v[4:5], v[12:13]
	v_rcp_f64_e32 v[14:15], v[10:11]
	v_div_scale_f64 v[16:17], vcc, v[12:13], v[4:5], v[12:13]
	v_fma_f64 v[18:19], -v[10:11], v[14:15], 1.0
	v_fmac_f64_e32 v[14:15], v[14:15], v[18:19]
	v_fma_f64 v[18:19], -v[10:11], v[14:15], 1.0
	v_fmac_f64_e32 v[14:15], v[14:15], v[18:19]
	v_mul_f64 v[18:19], v[16:17], v[14:15]
	v_fma_f64 v[10:11], -v[10:11], v[18:19], v[16:17]
	v_div_fmas_f64 v[10:11], v[10:11], v[14:15], v[18:19]
	v_div_fixup_f64 v[10:11], v[10:11], v[4:5], v[12:13]
	v_mov_b32_e32 v12, 0x7ff80000
	v_cmp_neq_f64_e32 vcc, 0, v[4:5]
	v_cndmask_b32_e32 v5, v12, v11, vcc
	v_cndmask_b32_e32 v4, 0, v10, vcc
	global_store_dwordx2 v[0:1], v[4:5], off
.LBB676_21:
	s_or_b64 exec, exec, s[2:3]
	v_cmp_ne_u32_e32 vcc, 1, v24
	s_and_b64 exec, exec, vcc
	s_cbranch_execz .LBB676_24
; %bb.22:
	s_and_b64 exec, exec, s[0:1]
	s_cbranch_execz .LBB676_24
; %bb.23:
	s_waitcnt lgkmcnt(0)
	v_add_f64 v[2:3], v[2:3], v[6:7]
	v_div_scale_f64 v[4:5], s[0:1], v[2:3], v[2:3], v[8:9]
	v_rcp_f64_e32 v[6:7], v[4:5]
	v_div_scale_f64 v[10:11], vcc, v[8:9], v[2:3], v[8:9]
	s_mov_b32 s11, 0
	v_fma_f64 v[12:13], -v[4:5], v[6:7], 1.0
	v_fmac_f64_e32 v[6:7], v[6:7], v[12:13]
	v_fma_f64 v[12:13], -v[4:5], v[6:7], 1.0
	v_fmac_f64_e32 v[6:7], v[6:7], v[12:13]
	v_mul_f64 v[12:13], v[10:11], v[6:7]
	v_fma_f64 v[4:5], -v[4:5], v[12:13], v[10:11]
	s_lshl_b64 s[0:1], s[10:11], 3
	v_div_fmas_f64 v[4:5], v[4:5], v[6:7], v[12:13]
	v_mov_b32_e32 v6, s1
	v_add_co_u32_e32 v0, vcc, s0, v0
	v_addc_co_u32_e32 v1, vcc, v1, v6, vcc
	v_div_fixup_f64 v[4:5], v[4:5], v[2:3], v[8:9]
	v_mov_b32_e32 v6, 0x7ff80000
	v_cmp_neq_f64_e32 vcc, 0, v[2:3]
	v_cndmask_b32_e32 v3, v6, v5, vcc
	v_cndmask_b32_e32 v2, 0, v4, vcc
	global_store_dwordx2 v[0:1], v[2:3], off
.LBB676_24:
	s_endpgm
	.section	.rodata,"a",@progbits
	.p2align	6, 0x0
	.amdhsa_kernel _ZN12_GLOBAL__N_120softmax_warp_forwardIdddLi2ELb0ELb1ELi64EEEvPT0_PKT_iiiPKbib
		.amdhsa_group_segment_fixed_size 0
		.amdhsa_private_segment_fixed_size 0
		.amdhsa_kernarg_size 304
		.amdhsa_user_sgpr_count 6
		.amdhsa_user_sgpr_private_segment_buffer 1
		.amdhsa_user_sgpr_dispatch_ptr 0
		.amdhsa_user_sgpr_queue_ptr 0
		.amdhsa_user_sgpr_kernarg_segment_ptr 1
		.amdhsa_user_sgpr_dispatch_id 0
		.amdhsa_user_sgpr_flat_scratch_init 0
		.amdhsa_user_sgpr_kernarg_preload_length 0
		.amdhsa_user_sgpr_kernarg_preload_offset 0
		.amdhsa_user_sgpr_private_segment_size 0
		.amdhsa_uses_dynamic_stack 0
		.amdhsa_system_sgpr_private_segment_wavefront_offset 0
		.amdhsa_system_sgpr_workgroup_id_x 1
		.amdhsa_system_sgpr_workgroup_id_y 0
		.amdhsa_system_sgpr_workgroup_id_z 0
		.amdhsa_system_sgpr_workgroup_info 0
		.amdhsa_system_vgpr_workitem_id 1
		.amdhsa_next_free_vgpr 27
		.amdhsa_next_free_sgpr 20
		.amdhsa_accum_offset 28
		.amdhsa_reserve_vcc 1
		.amdhsa_reserve_flat_scratch 0
		.amdhsa_float_round_mode_32 0
		.amdhsa_float_round_mode_16_64 0
		.amdhsa_float_denorm_mode_32 3
		.amdhsa_float_denorm_mode_16_64 3
		.amdhsa_dx10_clamp 1
		.amdhsa_ieee_mode 1
		.amdhsa_fp16_overflow 0
		.amdhsa_tg_split 0
		.amdhsa_exception_fp_ieee_invalid_op 0
		.amdhsa_exception_fp_denorm_src 0
		.amdhsa_exception_fp_ieee_div_zero 0
		.amdhsa_exception_fp_ieee_overflow 0
		.amdhsa_exception_fp_ieee_underflow 0
		.amdhsa_exception_fp_ieee_inexact 0
		.amdhsa_exception_int_div_zero 0
	.end_amdhsa_kernel
	.section	.text._ZN12_GLOBAL__N_120softmax_warp_forwardIdddLi2ELb0ELb1ELi64EEEvPT0_PKT_iiiPKbib,"axG",@progbits,_ZN12_GLOBAL__N_120softmax_warp_forwardIdddLi2ELb0ELb1ELi64EEEvPT0_PKT_iiiPKbib,comdat
.Lfunc_end676:
	.size	_ZN12_GLOBAL__N_120softmax_warp_forwardIdddLi2ELb0ELb1ELi64EEEvPT0_PKT_iiiPKbib, .Lfunc_end676-_ZN12_GLOBAL__N_120softmax_warp_forwardIdddLi2ELb0ELb1ELi64EEEvPT0_PKT_iiiPKbib
                                        ; -- End function
	.section	.AMDGPU.csdata,"",@progbits
; Kernel info:
; codeLenInByte = 2240
; NumSgprs: 24
; NumVgprs: 27
; NumAgprs: 0
; TotalNumVgprs: 27
; ScratchSize: 0
; MemoryBound: 0
; FloatMode: 240
; IeeeMode: 1
; LDSByteSize: 0 bytes/workgroup (compile time only)
; SGPRBlocks: 2
; VGPRBlocks: 3
; NumSGPRsForWavesPerEU: 24
; NumVGPRsForWavesPerEU: 27
; AccumOffset: 28
; Occupancy: 8
; WaveLimiterHint : 0
; COMPUTE_PGM_RSRC2:SCRATCH_EN: 0
; COMPUTE_PGM_RSRC2:USER_SGPR: 6
; COMPUTE_PGM_RSRC2:TRAP_HANDLER: 0
; COMPUTE_PGM_RSRC2:TGID_X_EN: 1
; COMPUTE_PGM_RSRC2:TGID_Y_EN: 0
; COMPUTE_PGM_RSRC2:TGID_Z_EN: 0
; COMPUTE_PGM_RSRC2:TIDIG_COMP_CNT: 1
; COMPUTE_PGM_RSRC3_GFX90A:ACCUM_OFFSET: 6
; COMPUTE_PGM_RSRC3_GFX90A:TG_SPLIT: 0
	.section	.text._ZN12_GLOBAL__N_120softmax_warp_forwardIdddLi2ELb0ELb1ELi32EEEvPT0_PKT_iiiPKbib,"axG",@progbits,_ZN12_GLOBAL__N_120softmax_warp_forwardIdddLi2ELb0ELb1ELi32EEEvPT0_PKT_iiiPKbib,comdat
	.globl	_ZN12_GLOBAL__N_120softmax_warp_forwardIdddLi2ELb0ELb1ELi32EEEvPT0_PKT_iiiPKbib ; -- Begin function _ZN12_GLOBAL__N_120softmax_warp_forwardIdddLi2ELb0ELb1ELi32EEEvPT0_PKT_iiiPKbib
	.p2align	8
	.type	_ZN12_GLOBAL__N_120softmax_warp_forwardIdddLi2ELb0ELb1ELi32EEEvPT0_PKT_iiiPKbib,@function
_ZN12_GLOBAL__N_120softmax_warp_forwardIdddLi2ELb0ELb1ELi32EEEvPT0_PKT_iiiPKbib: ; @_ZN12_GLOBAL__N_120softmax_warp_forwardIdddLi2ELb0ELb1ELi32EEEvPT0_PKT_iiiPKbib
; %bb.0:
	s_load_dwordx2 s[0:1], s[4:5], 0x28
	s_load_dword s2, s[4:5], 0x3c
	s_load_dwordx4 s[8:11], s[4:5], 0x10
	v_bfe_u32 v1, v0, 10, 10
	v_and_b32_e32 v2, 0x3ff, v0
	s_waitcnt lgkmcnt(0)
	s_bitcmp1_b32 s1, 0
	s_cselect_b64 s[16:17], -1, 0
	s_lshr_b32 s2, s2, 16
	s_mul_i32 s6, s6, s2
	v_add_lshl_u32 v3, s6, v1, 1
	v_mul_lo_u32 v6, v3, s9
	v_add_u32_e32 v4, v6, v2
	v_ashrrev_i32_e32 v5, 31, v4
	s_bitcmp0_b32 s1, 0
	v_pk_mov_b32 v[0:1], v[4:5], v[4:5] op_sel:[0,1]
	s_cbranch_scc1 .LBB677_2
; %bb.1:
	s_abs_i32 s1, s0
	v_cvt_f32_u32_e32 v0, s1
	v_xor_b32_e32 v1, s0, v6
	v_sub_u32_e32 v7, 0, v6
	s_sub_i32 s0, 0, s1
	v_rcp_iflag_f32_e32 v0, v0
	v_max_i32_e32 v6, v6, v7
	v_ashrrev_i32_e32 v1, 31, v1
	v_mul_f32_e32 v0, 0x4f7ffffe, v0
	v_cvt_u32_f32_e32 v0, v0
	v_mul_lo_u32 v7, s0, v0
	v_mul_hi_u32 v7, v0, v7
	v_add_u32_e32 v0, v0, v7
	v_mul_hi_u32 v0, v6, v0
	v_mul_lo_u32 v7, v0, s1
	v_sub_u32_e32 v6, v6, v7
	v_add_u32_e32 v8, 1, v0
	v_cmp_le_u32_e32 vcc, s1, v6
	v_subrev_u32_e32 v7, s1, v6
	v_cndmask_b32_e32 v0, v0, v8, vcc
	v_cndmask_b32_e32 v6, v6, v7, vcc
	v_add_u32_e32 v7, 1, v0
	v_cmp_le_u32_e32 vcc, s1, v6
	v_cndmask_b32_e32 v0, v0, v7, vcc
	v_xor_b32_e32 v0, v0, v1
	v_sub_u32_e32 v0, v0, v1
	v_mad_u64_u32 v[0:1], s[0:1], v0, s9, v[2:3]
	v_ashrrev_i32_e32 v1, 31, v0
.LBB677_2:
	s_load_dwordx4 s[12:15], s[4:5], 0x0
	v_lshlrev_b64 v[4:5], 3, v[4:5]
	v_sub_u32_e32 v24, s8, v3
	v_mov_b32_e32 v6, 0
	v_cmp_gt_i32_e64 s[0:1], s10, v2
	s_waitcnt lgkmcnt(0)
	v_mov_b32_e32 v3, s15
	v_add_co_u32_e32 v8, vcc, s14, v4
	v_addc_co_u32_e32 v9, vcc, v3, v5, vcc
	v_cmp_lt_i32_e32 vcc, 0, v24
	v_mov_b32_e32 v7, 0xfff00000
	s_and_b64 s[14:15], s[0:1], vcc
	v_pk_mov_b32 v[18:19], v[6:7], v[6:7] op_sel:[0,1]
	s_and_saveexec_b64 s[2:3], s[14:15]
	s_cbranch_execz .LBB677_4
; %bb.3:
	global_load_dwordx2 v[18:19], v[8:9], off
.LBB677_4:
	s_or_b64 exec, exec, s[2:3]
	v_cmp_lt_i32_e64 s[2:3], 1, v24
	s_and_b64 s[8:9], s[0:1], s[2:3]
	s_and_saveexec_b64 s[6:7], s[8:9]
	s_cbranch_execz .LBB677_6
; %bb.5:
	s_mov_b32 s11, 0
	s_lshl_b64 s[2:3], s[10:11], 3
	v_mov_b32_e32 v3, s3
	v_add_co_u32_e64 v2, s[2:3], s2, v8
	v_addc_co_u32_e64 v3, s[2:3], v9, v3, s[2:3]
	global_load_dwordx2 v[6:7], v[2:3], off
.LBB677_6:
	s_or_b64 exec, exec, s[6:7]
	s_load_dwordx2 s[2:3], s[4:5], 0x20
	s_waitcnt lgkmcnt(0)
	v_mov_b32_e32 v2, s3
	v_add_co_u32_e64 v10, s[2:3], s2, v0
	v_addc_co_u32_e64 v11, s[2:3], v2, v1, s[2:3]
	v_mov_b32_e32 v0, 0
	v_mov_b32_e32 v1, 0xfff00000
	s_and_saveexec_b64 s[4:5], s[14:15]
	s_cbranch_execz .LBB677_8
; %bb.7:
	global_load_ubyte v0, v[10:11], off
	v_mov_b32_e32 v1, 0xfff00000
	s_waitcnt vmcnt(0)
	v_and_b32_e32 v0, 1, v0
	v_cmp_eq_u32_e64 s[2:3], 1, v0
	v_cndmask_b32_e64 v1, v19, v1, s[2:3]
	v_cndmask_b32_e64 v0, v18, 0, s[2:3]
.LBB677_8:
	s_or_b64 exec, exec, s[4:5]
	s_mov_b64 s[4:5], 0
	s_and_saveexec_b64 s[6:7], s[8:9]
	s_cbranch_execz .LBB677_10
; %bb.9:
	s_and_b64 s[2:3], s[16:17], exec
	s_cselect_b32 s2, 0, 0
	s_cselect_b32 s3, 0, s10
	v_mov_b32_e32 v3, s2
	v_add_co_u32_e64 v2, s[2:3], s3, v10
	v_addc_co_u32_e64 v3, s[2:3], v11, v3, s[2:3]
	global_load_ubyte v2, v[2:3], off
	s_waitcnt vmcnt(0)
	v_and_b32_e32 v2, 1, v2
	v_cmp_eq_u32_e64 s[2:3], 1, v2
	s_xor_b64 s[2:3], s[2:3], -1
	s_and_b64 s[4:5], s[2:3], exec
.LBB677_10:
	s_or_b64 exec, exec, s[6:7]
	v_mov_b32_e32 v2, 0xfff00000
	s_waitcnt vmcnt(0)
	v_cndmask_b32_e64 v3, v2, v7, s[4:5]
	v_mbcnt_lo_u32_b32 v2, -1, 0
	v_mbcnt_hi_u32_b32 v16, -1, v2
	v_and_b32_e32 v2, 0x7c, v16
	v_add_u32_e32 v17, 4, v2
	v_xor_b32_e32 v2, 2, v16
	v_cmp_lt_i32_e64 s[2:3], v2, v17
	v_cndmask_b32_e64 v2, v16, v2, s[2:3]
	v_lshlrev_b32_e32 v25, 2, v2
	ds_bpermute_b32 v8, v25, v0
	ds_bpermute_b32 v9, v25, v1
	v_cndmask_b32_e64 v2, 0, v6, s[4:5]
	ds_bpermute_b32 v12, v25, v2
	ds_bpermute_b32 v13, v25, v3
	s_mov_b32 s4, 0
	s_waitcnt lgkmcnt(2)
	v_cmp_lt_f64_e64 s[2:3], v[0:1], v[8:9]
	v_cndmask_b32_e64 v21, v1, v9, s[2:3]
	v_cndmask_b32_e64 v20, v0, v8, s[2:3]
	s_waitcnt lgkmcnt(0)
	v_cmp_lt_f64_e64 s[2:3], v[2:3], v[12:13]
	v_xor_b32_e32 v0, 1, v16
	v_cndmask_b32_e64 v15, v3, v13, s[2:3]
	v_cndmask_b32_e64 v14, v2, v12, s[2:3]
	v_cmp_lt_i32_e64 s[2:3], v0, v17
	v_cndmask_b32_e64 v0, v16, v0, s[2:3]
	v_lshlrev_b32_e32 v26, 2, v0
	ds_bpermute_b32 v22, v26, v20
	ds_bpermute_b32 v23, v26, v21
	;; [unrolled: 1-line block ×4, first 2 shown]
	s_mov_b32 s5, s4
	s_mov_b32 s6, s4
	;; [unrolled: 1-line block ×3, first 2 shown]
	v_pk_mov_b32 v[8:9], 0, 0
	v_pk_mov_b32 v[0:1], s[4:5], s[4:5] op_sel:[0,1]
	v_pk_mov_b32 v[2:3], s[6:7], s[6:7] op_sel:[0,1]
	;; [unrolled: 1-line block ×3, first 2 shown]
	s_and_saveexec_b64 s[18:19], s[14:15]
	s_cbranch_execz .LBB677_14
; %bb.11:
	global_load_ubyte v12, v[10:11], off
	v_pk_mov_b32 v[0:1], s[4:5], s[4:5] op_sel:[0,1]
	v_pk_mov_b32 v[2:3], s[6:7], s[6:7] op_sel:[0,1]
	s_waitcnt vmcnt(0)
	v_and_b32_e32 v12, 1, v12
	v_cmp_eq_u32_e64 s[2:3], 1, v12
	s_xor_b64 s[2:3], s[2:3], -1
	v_pk_mov_b32 v[12:13], 0, 0
	s_and_saveexec_b64 s[6:7], s[2:3]
	s_cbranch_execz .LBB677_13
; %bb.12:
	s_waitcnt lgkmcnt(2)
	v_cmp_lt_f64_e64 s[2:3], v[20:21], v[22:23]
	v_cndmask_b32_e64 v1, v21, v23, s[2:3]
	v_cndmask_b32_e64 v0, v20, v22, s[2:3]
	s_mov_b32 s2, 0x652b82fe
	v_add_f64 v[0:1], v[18:19], -v[0:1]
	s_mov_b32 s3, 0x3ff71547
	v_mul_f64 v[2:3], v[0:1], s[2:3]
	s_mov_b32 s2, 0xfefa39ef
	v_rndne_f64_e32 v[2:3], v[2:3]
	s_mov_b32 s3, 0xbfe62e42
	v_fma_f64 v[12:13], s[2:3], v[2:3], v[0:1]
	s_mov_b32 s2, 0x3b39803f
	s_mov_b32 s3, 0xbc7abc9e
	v_fmac_f64_e32 v[12:13], s[2:3], v[2:3]
	s_mov_b32 s2, 0x6a5dcb37
	v_mov_b32_e32 v18, 0xfca7ab0c
	v_mov_b32_e32 v19, 0x3e928af3
	s_mov_b32 s3, 0x3e5ade15
	v_fmac_f64_e32 v[18:19], s[2:3], v[12:13]
	v_mov_b32_e32 v20, 0x623fde64
	v_mov_b32_e32 v21, 0x3ec71dee
	v_fmac_f64_e32 v[20:21], v[12:13], v[18:19]
	v_mov_b32_e32 v18, 0x7c89e6b0
	v_mov_b32_e32 v19, 0x3efa0199
	;; [unrolled: 3-line block ×8, first 2 shown]
	v_fmac_f64_e32 v[18:19], v[12:13], v[20:21]
	v_fma_f64 v[18:19], v[12:13], v[18:19], 1.0
	s_mov_b32 s2, 0
	s_mov_b32 s4, 0
	v_fma_f64 v[12:13], v[12:13], v[18:19], 1.0
	v_cvt_i32_f64_e32 v2, v[2:3]
	s_mov_b32 s3, 0x40900000
	s_mov_b32 s5, 0xc090cc00
	v_ldexp_f64 v[12:13], v[12:13], v2
	v_mov_b32_e32 v2, 0x7ff00000
	v_cmp_nlt_f64_e64 s[2:3], s[2:3], v[0:1]
	v_cmp_ngt_f64_e64 s[4:5], s[4:5], v[0:1]
	v_cndmask_b32_e64 v3, v2, v13, s[2:3]
	s_and_b64 s[2:3], s[4:5], s[2:3]
	v_mov_b32_e32 v2, 0
	v_cndmask_b32_e64 v13, 0, v3, s[4:5]
	v_cndmask_b32_e64 v12, 0, v12, s[2:3]
	v_add_f64 v[0:1], v[12:13], 0
	v_mov_b32_e32 v3, v2
.LBB677_13:
	s_or_b64 exec, exec, s[6:7]
.LBB677_14:
	s_or_b64 exec, exec, s[18:19]
	s_and_saveexec_b64 s[6:7], s[8:9]
	s_cbranch_execz .LBB677_18
; %bb.15:
	s_and_b64 s[2:3], s[16:17], exec
	s_cselect_b32 s2, 0, 0
	s_cselect_b32 s3, 0, s10
	v_mov_b32_e32 v9, s2
	v_add_co_u32_e64 v8, s[2:3], s3, v10
	v_addc_co_u32_e64 v9, s[2:3], v11, v9, s[2:3]
	global_load_ubyte v8, v[8:9], off
	s_waitcnt vmcnt(0)
	v_and_b32_e32 v8, 1, v8
	v_cmp_eq_u32_e64 s[2:3], 1, v8
	s_xor_b64 s[2:3], s[2:3], -1
	v_pk_mov_b32 v[8:9], 0, 0
	s_and_saveexec_b64 s[8:9], s[2:3]
	s_cbranch_execz .LBB677_17
; %bb.16:
	s_waitcnt lgkmcnt(0)
	v_cmp_lt_f64_e64 s[2:3], v[14:15], v[16:17]
	v_cndmask_b32_e64 v9, v15, v17, s[2:3]
	v_cndmask_b32_e64 v8, v14, v16, s[2:3]
	s_mov_b32 s2, 0x652b82fe
	v_add_f64 v[6:7], v[6:7], -v[8:9]
	s_mov_b32 s3, 0x3ff71547
	v_mul_f64 v[8:9], v[6:7], s[2:3]
	s_mov_b32 s2, 0xfefa39ef
	v_rndne_f64_e32 v[8:9], v[8:9]
	s_mov_b32 s3, 0xbfe62e42
	v_fma_f64 v[10:11], s[2:3], v[8:9], v[6:7]
	s_mov_b32 s2, 0x3b39803f
	s_mov_b32 s3, 0xbc7abc9e
	v_fmac_f64_e32 v[10:11], s[2:3], v[8:9]
	s_mov_b32 s2, 0x6a5dcb37
	v_mov_b32_e32 v14, 0xfca7ab0c
	v_mov_b32_e32 v15, 0x3e928af3
	s_mov_b32 s3, 0x3e5ade15
	v_fmac_f64_e32 v[14:15], s[2:3], v[10:11]
	v_mov_b32_e32 v16, 0x623fde64
	v_mov_b32_e32 v17, 0x3ec71dee
	v_fmac_f64_e32 v[16:17], v[10:11], v[14:15]
	v_mov_b32_e32 v14, 0x7c89e6b0
	v_mov_b32_e32 v15, 0x3efa0199
	;; [unrolled: 3-line block ×8, first 2 shown]
	v_fmac_f64_e32 v[14:15], v[10:11], v[16:17]
	v_fma_f64 v[14:15], v[10:11], v[14:15], 1.0
	s_mov_b32 s2, 0
	s_mov_b32 s4, 0
	v_fma_f64 v[10:11], v[10:11], v[14:15], 1.0
	v_cvt_i32_f64_e32 v8, v[8:9]
	s_mov_b32 s3, 0x40900000
	s_mov_b32 s5, 0xc090cc00
	v_ldexp_f64 v[8:9], v[10:11], v8
	v_mov_b32_e32 v10, 0x7ff00000
	v_cmp_nlt_f64_e64 s[2:3], s[2:3], v[6:7]
	v_cmp_ngt_f64_e64 s[4:5], s[4:5], v[6:7]
	v_cndmask_b32_e64 v9, v10, v9, s[2:3]
	s_and_b64 s[2:3], s[4:5], s[2:3]
	v_cndmask_b32_e64 v9, 0, v9, s[4:5]
	v_cndmask_b32_e64 v8, 0, v8, s[2:3]
	v_add_f64 v[2:3], v[2:3], v[8:9]
.LBB677_17:
	s_or_b64 exec, exec, s[8:9]
.LBB677_18:
	s_or_b64 exec, exec, s[6:7]
	ds_bpermute_b32 v6, v25, v0
	ds_bpermute_b32 v7, v25, v1
	;; [unrolled: 1-line block ×4, first 2 shown]
	s_waitcnt lgkmcnt(2)
	v_add_f64 v[10:11], v[0:1], v[6:7]
	s_waitcnt lgkmcnt(0)
	v_add_f64 v[2:3], v[2:3], v[14:15]
	ds_bpermute_b32 v14, v26, v10
	ds_bpermute_b32 v15, v26, v11
	;; [unrolled: 1-line block ×4, first 2 shown]
	s_and_saveexec_b64 s[2:3], vcc
	s_cbranch_execz .LBB677_24
; %bb.19:
	v_mov_b32_e32 v1, s13
	v_add_co_u32_e32 v0, vcc, s12, v4
	v_addc_co_u32_e32 v1, vcc, v1, v5, vcc
	s_and_saveexec_b64 s[2:3], s[0:1]
	s_cbranch_execz .LBB677_21
; %bb.20:
	s_waitcnt lgkmcnt(2)
	v_add_f64 v[4:5], v[10:11], v[14:15]
	v_div_scale_f64 v[10:11], s[4:5], v[4:5], v[4:5], v[12:13]
	v_rcp_f64_e32 v[14:15], v[10:11]
	v_div_scale_f64 v[16:17], vcc, v[12:13], v[4:5], v[12:13]
	v_fma_f64 v[18:19], -v[10:11], v[14:15], 1.0
	v_fmac_f64_e32 v[14:15], v[14:15], v[18:19]
	v_fma_f64 v[18:19], -v[10:11], v[14:15], 1.0
	v_fmac_f64_e32 v[14:15], v[14:15], v[18:19]
	v_mul_f64 v[18:19], v[16:17], v[14:15]
	v_fma_f64 v[10:11], -v[10:11], v[18:19], v[16:17]
	v_div_fmas_f64 v[10:11], v[10:11], v[14:15], v[18:19]
	v_div_fixup_f64 v[10:11], v[10:11], v[4:5], v[12:13]
	v_mov_b32_e32 v12, 0x7ff80000
	v_cmp_neq_f64_e32 vcc, 0, v[4:5]
	v_cndmask_b32_e32 v5, v12, v11, vcc
	v_cndmask_b32_e32 v4, 0, v10, vcc
	global_store_dwordx2 v[0:1], v[4:5], off
.LBB677_21:
	s_or_b64 exec, exec, s[2:3]
	v_cmp_ne_u32_e32 vcc, 1, v24
	s_and_b64 exec, exec, vcc
	s_cbranch_execz .LBB677_24
; %bb.22:
	s_and_b64 exec, exec, s[0:1]
	s_cbranch_execz .LBB677_24
; %bb.23:
	s_waitcnt lgkmcnt(0)
	v_add_f64 v[2:3], v[2:3], v[6:7]
	v_div_scale_f64 v[4:5], s[0:1], v[2:3], v[2:3], v[8:9]
	v_rcp_f64_e32 v[6:7], v[4:5]
	v_div_scale_f64 v[10:11], vcc, v[8:9], v[2:3], v[8:9]
	s_mov_b32 s11, 0
	v_fma_f64 v[12:13], -v[4:5], v[6:7], 1.0
	v_fmac_f64_e32 v[6:7], v[6:7], v[12:13]
	v_fma_f64 v[12:13], -v[4:5], v[6:7], 1.0
	v_fmac_f64_e32 v[6:7], v[6:7], v[12:13]
	v_mul_f64 v[12:13], v[10:11], v[6:7]
	v_fma_f64 v[4:5], -v[4:5], v[12:13], v[10:11]
	s_lshl_b64 s[0:1], s[10:11], 3
	v_div_fmas_f64 v[4:5], v[4:5], v[6:7], v[12:13]
	v_mov_b32_e32 v6, s1
	v_add_co_u32_e32 v0, vcc, s0, v0
	v_addc_co_u32_e32 v1, vcc, v1, v6, vcc
	v_div_fixup_f64 v[4:5], v[4:5], v[2:3], v[8:9]
	v_mov_b32_e32 v6, 0x7ff80000
	v_cmp_neq_f64_e32 vcc, 0, v[2:3]
	v_cndmask_b32_e32 v3, v6, v5, vcc
	v_cndmask_b32_e32 v2, 0, v4, vcc
	global_store_dwordx2 v[0:1], v[2:3], off
.LBB677_24:
	s_endpgm
	.section	.rodata,"a",@progbits
	.p2align	6, 0x0
	.amdhsa_kernel _ZN12_GLOBAL__N_120softmax_warp_forwardIdddLi2ELb0ELb1ELi32EEEvPT0_PKT_iiiPKbib
		.amdhsa_group_segment_fixed_size 0
		.amdhsa_private_segment_fixed_size 0
		.amdhsa_kernarg_size 304
		.amdhsa_user_sgpr_count 6
		.amdhsa_user_sgpr_private_segment_buffer 1
		.amdhsa_user_sgpr_dispatch_ptr 0
		.amdhsa_user_sgpr_queue_ptr 0
		.amdhsa_user_sgpr_kernarg_segment_ptr 1
		.amdhsa_user_sgpr_dispatch_id 0
		.amdhsa_user_sgpr_flat_scratch_init 0
		.amdhsa_user_sgpr_kernarg_preload_length 0
		.amdhsa_user_sgpr_kernarg_preload_offset 0
		.amdhsa_user_sgpr_private_segment_size 0
		.amdhsa_uses_dynamic_stack 0
		.amdhsa_system_sgpr_private_segment_wavefront_offset 0
		.amdhsa_system_sgpr_workgroup_id_x 1
		.amdhsa_system_sgpr_workgroup_id_y 0
		.amdhsa_system_sgpr_workgroup_id_z 0
		.amdhsa_system_sgpr_workgroup_info 0
		.amdhsa_system_vgpr_workitem_id 1
		.amdhsa_next_free_vgpr 27
		.amdhsa_next_free_sgpr 20
		.amdhsa_accum_offset 28
		.amdhsa_reserve_vcc 1
		.amdhsa_reserve_flat_scratch 0
		.amdhsa_float_round_mode_32 0
		.amdhsa_float_round_mode_16_64 0
		.amdhsa_float_denorm_mode_32 3
		.amdhsa_float_denorm_mode_16_64 3
		.amdhsa_dx10_clamp 1
		.amdhsa_ieee_mode 1
		.amdhsa_fp16_overflow 0
		.amdhsa_tg_split 0
		.amdhsa_exception_fp_ieee_invalid_op 0
		.amdhsa_exception_fp_denorm_src 0
		.amdhsa_exception_fp_ieee_div_zero 0
		.amdhsa_exception_fp_ieee_overflow 0
		.amdhsa_exception_fp_ieee_underflow 0
		.amdhsa_exception_fp_ieee_inexact 0
		.amdhsa_exception_int_div_zero 0
	.end_amdhsa_kernel
	.section	.text._ZN12_GLOBAL__N_120softmax_warp_forwardIdddLi2ELb0ELb1ELi32EEEvPT0_PKT_iiiPKbib,"axG",@progbits,_ZN12_GLOBAL__N_120softmax_warp_forwardIdddLi2ELb0ELb1ELi32EEEvPT0_PKT_iiiPKbib,comdat
.Lfunc_end677:
	.size	_ZN12_GLOBAL__N_120softmax_warp_forwardIdddLi2ELb0ELb1ELi32EEEvPT0_PKT_iiiPKbib, .Lfunc_end677-_ZN12_GLOBAL__N_120softmax_warp_forwardIdddLi2ELb0ELb1ELi32EEEvPT0_PKT_iiiPKbib
                                        ; -- End function
	.section	.AMDGPU.csdata,"",@progbits
; Kernel info:
; codeLenInByte = 2240
; NumSgprs: 24
; NumVgprs: 27
; NumAgprs: 0
; TotalNumVgprs: 27
; ScratchSize: 0
; MemoryBound: 0
; FloatMode: 240
; IeeeMode: 1
; LDSByteSize: 0 bytes/workgroup (compile time only)
; SGPRBlocks: 2
; VGPRBlocks: 3
; NumSGPRsForWavesPerEU: 24
; NumVGPRsForWavesPerEU: 27
; AccumOffset: 28
; Occupancy: 8
; WaveLimiterHint : 0
; COMPUTE_PGM_RSRC2:SCRATCH_EN: 0
; COMPUTE_PGM_RSRC2:USER_SGPR: 6
; COMPUTE_PGM_RSRC2:TRAP_HANDLER: 0
; COMPUTE_PGM_RSRC2:TGID_X_EN: 1
; COMPUTE_PGM_RSRC2:TGID_Y_EN: 0
; COMPUTE_PGM_RSRC2:TGID_Z_EN: 0
; COMPUTE_PGM_RSRC2:TIDIG_COMP_CNT: 1
; COMPUTE_PGM_RSRC3_GFX90A:ACCUM_OFFSET: 6
; COMPUTE_PGM_RSRC3_GFX90A:TG_SPLIT: 0
	.section	.text._ZN12_GLOBAL__N_120softmax_warp_forwardIdddLi3ELb0ELb1ELi64EEEvPT0_PKT_iiiPKbib,"axG",@progbits,_ZN12_GLOBAL__N_120softmax_warp_forwardIdddLi3ELb0ELb1ELi64EEEvPT0_PKT_iiiPKbib,comdat
	.globl	_ZN12_GLOBAL__N_120softmax_warp_forwardIdddLi3ELb0ELb1ELi64EEEvPT0_PKT_iiiPKbib ; -- Begin function _ZN12_GLOBAL__N_120softmax_warp_forwardIdddLi3ELb0ELb1ELi64EEEvPT0_PKT_iiiPKbib
	.p2align	8
	.type	_ZN12_GLOBAL__N_120softmax_warp_forwardIdddLi3ELb0ELb1ELi64EEEvPT0_PKT_iiiPKbib,@function
_ZN12_GLOBAL__N_120softmax_warp_forwardIdddLi3ELb0ELb1ELi64EEEvPT0_PKT_iiiPKbib: ; @_ZN12_GLOBAL__N_120softmax_warp_forwardIdddLi3ELb0ELb1ELi64EEEvPT0_PKT_iiiPKbib
; %bb.0:
	s_load_dwordx2 s[0:1], s[4:5], 0x28
	s_load_dword s2, s[4:5], 0x3c
	s_load_dwordx4 s[8:11], s[4:5], 0x10
	v_bfe_u32 v1, v0, 10, 10
	v_and_b32_e32 v2, 0x3ff, v0
	s_waitcnt lgkmcnt(0)
	s_bitcmp1_b32 s1, 0
	s_cselect_b64 s[16:17], -1, 0
	s_lshr_b32 s2, s2, 16
	s_mul_i32 s6, s6, s2
	v_add_lshl_u32 v3, s6, v1, 1
	v_mul_lo_u32 v6, v3, s9
	v_add_u32_e32 v4, v6, v2
	v_ashrrev_i32_e32 v5, 31, v4
	s_bitcmp0_b32 s1, 0
	v_pk_mov_b32 v[0:1], v[4:5], v[4:5] op_sel:[0,1]
	s_cbranch_scc1 .LBB678_2
; %bb.1:
	s_abs_i32 s1, s0
	v_cvt_f32_u32_e32 v0, s1
	v_xor_b32_e32 v1, s0, v6
	v_sub_u32_e32 v7, 0, v6
	s_sub_i32 s0, 0, s1
	v_rcp_iflag_f32_e32 v0, v0
	v_max_i32_e32 v6, v6, v7
	v_ashrrev_i32_e32 v1, 31, v1
	v_mul_f32_e32 v0, 0x4f7ffffe, v0
	v_cvt_u32_f32_e32 v0, v0
	v_mul_lo_u32 v7, s0, v0
	v_mul_hi_u32 v7, v0, v7
	v_add_u32_e32 v0, v0, v7
	v_mul_hi_u32 v0, v6, v0
	v_mul_lo_u32 v7, v0, s1
	v_sub_u32_e32 v6, v6, v7
	v_add_u32_e32 v8, 1, v0
	v_cmp_le_u32_e32 vcc, s1, v6
	v_subrev_u32_e32 v7, s1, v6
	v_cndmask_b32_e32 v0, v0, v8, vcc
	v_cndmask_b32_e32 v6, v6, v7, vcc
	v_add_u32_e32 v7, 1, v0
	v_cmp_le_u32_e32 vcc, s1, v6
	v_cndmask_b32_e32 v0, v0, v7, vcc
	v_xor_b32_e32 v0, v0, v1
	v_sub_u32_e32 v0, v0, v1
	v_mad_u64_u32 v[0:1], s[0:1], v0, s9, v[2:3]
	v_ashrrev_i32_e32 v1, 31, v0
.LBB678_2:
	s_load_dwordx4 s[12:15], s[4:5], 0x0
	v_lshlrev_b64 v[4:5], 3, v[4:5]
	v_sub_u32_e32 v24, s8, v3
	v_mov_b32_e32 v6, 0
	v_cmp_gt_i32_e64 s[0:1], s10, v2
	s_waitcnt lgkmcnt(0)
	v_mov_b32_e32 v3, s15
	v_add_co_u32_e32 v8, vcc, s14, v4
	v_addc_co_u32_e32 v9, vcc, v3, v5, vcc
	v_cmp_lt_i32_e32 vcc, 0, v24
	v_mov_b32_e32 v7, 0xfff00000
	s_and_b64 s[14:15], s[0:1], vcc
	v_pk_mov_b32 v[14:15], v[6:7], v[6:7] op_sel:[0,1]
	s_and_saveexec_b64 s[2:3], s[14:15]
	s_cbranch_execz .LBB678_4
; %bb.3:
	global_load_dwordx2 v[14:15], v[8:9], off
.LBB678_4:
	s_or_b64 exec, exec, s[2:3]
	v_cmp_lt_i32_e64 s[2:3], 1, v24
	s_and_b64 s[8:9], s[0:1], s[2:3]
	s_and_saveexec_b64 s[6:7], s[8:9]
	s_cbranch_execz .LBB678_6
; %bb.5:
	s_mov_b32 s11, 0
	s_lshl_b64 s[2:3], s[10:11], 3
	v_mov_b32_e32 v3, s3
	v_add_co_u32_e64 v2, s[2:3], s2, v8
	v_addc_co_u32_e64 v3, s[2:3], v9, v3, s[2:3]
	global_load_dwordx2 v[6:7], v[2:3], off
.LBB678_6:
	s_or_b64 exec, exec, s[6:7]
	s_load_dwordx2 s[2:3], s[4:5], 0x20
	s_waitcnt lgkmcnt(0)
	v_mov_b32_e32 v2, s3
	v_add_co_u32_e64 v10, s[2:3], s2, v0
	v_addc_co_u32_e64 v11, s[2:3], v2, v1, s[2:3]
	v_mov_b32_e32 v0, 0
	v_mov_b32_e32 v1, 0xfff00000
	s_and_saveexec_b64 s[4:5], s[14:15]
	s_cbranch_execz .LBB678_8
; %bb.7:
	global_load_ubyte v0, v[10:11], off
	v_mov_b32_e32 v1, 0xfff00000
	s_waitcnt vmcnt(0)
	v_and_b32_e32 v0, 1, v0
	v_cmp_eq_u32_e64 s[2:3], 1, v0
	v_cndmask_b32_e64 v1, v15, v1, s[2:3]
	v_cndmask_b32_e64 v0, v14, 0, s[2:3]
.LBB678_8:
	s_or_b64 exec, exec, s[4:5]
	s_mov_b64 s[4:5], 0
	s_and_saveexec_b64 s[6:7], s[8:9]
	s_cbranch_execz .LBB678_10
; %bb.9:
	s_and_b64 s[2:3], s[16:17], exec
	s_cselect_b32 s2, 0, 0
	s_cselect_b32 s3, 0, s10
	v_mov_b32_e32 v3, s2
	v_add_co_u32_e64 v2, s[2:3], s3, v10
	v_addc_co_u32_e64 v3, s[2:3], v11, v3, s[2:3]
	global_load_ubyte v2, v[2:3], off
	s_waitcnt vmcnt(0)
	v_and_b32_e32 v2, 1, v2
	v_cmp_eq_u32_e64 s[2:3], 1, v2
	s_xor_b64 s[2:3], s[2:3], -1
	s_and_b64 s[4:5], s[2:3], exec
.LBB678_10:
	s_or_b64 exec, exec, s[6:7]
	v_mov_b32_e32 v2, 0xfff00000
	s_waitcnt vmcnt(0)
	v_cndmask_b32_e64 v3, v2, v7, s[4:5]
	v_mbcnt_lo_u32_b32 v2, -1, 0
	v_mbcnt_hi_u32_b32 v18, -1, v2
	v_and_b32_e32 v2, 0x78, v18
	v_add_u32_e32 v19, 8, v2
	v_xor_b32_e32 v2, 4, v18
	v_cmp_lt_i32_e64 s[2:3], v2, v19
	v_cndmask_b32_e64 v2, v18, v2, s[2:3]
	v_lshlrev_b32_e32 v25, 2, v2
	ds_bpermute_b32 v8, v25, v0
	ds_bpermute_b32 v9, v25, v1
	v_cndmask_b32_e64 v2, 0, v6, s[4:5]
	ds_bpermute_b32 v12, v25, v2
	ds_bpermute_b32 v13, v25, v3
	s_waitcnt lgkmcnt(2)
	v_cmp_lt_f64_e64 s[2:3], v[0:1], v[8:9]
	v_cndmask_b32_e64 v0, v0, v8, s[2:3]
	v_xor_b32_e32 v8, 2, v18
	v_cmp_lt_i32_e64 s[4:5], v8, v19
	v_cndmask_b32_e64 v8, v18, v8, s[4:5]
	v_cndmask_b32_e64 v1, v1, v9, s[2:3]
	s_waitcnt lgkmcnt(0)
	v_cmp_lt_f64_e64 s[2:3], v[2:3], v[12:13]
	v_lshlrev_b32_e32 v26, 2, v8
	v_cndmask_b32_e64 v3, v3, v13, s[2:3]
	ds_bpermute_b32 v8, v26, v0
	ds_bpermute_b32 v9, v26, v1
	v_cndmask_b32_e64 v2, v2, v12, s[2:3]
	ds_bpermute_b32 v12, v26, v2
	ds_bpermute_b32 v13, v26, v3
	s_mov_b32 s4, 0
	s_waitcnt lgkmcnt(2)
	v_cmp_lt_f64_e64 s[2:3], v[0:1], v[8:9]
	v_cndmask_b32_e64 v21, v1, v9, s[2:3]
	v_cndmask_b32_e64 v20, v0, v8, s[2:3]
	s_waitcnt lgkmcnt(0)
	v_cmp_lt_f64_e64 s[2:3], v[2:3], v[12:13]
	v_xor_b32_e32 v0, 1, v18
	v_cndmask_b32_e64 v17, v3, v13, s[2:3]
	v_cndmask_b32_e64 v16, v2, v12, s[2:3]
	v_cmp_lt_i32_e64 s[2:3], v0, v19
	v_cndmask_b32_e64 v0, v18, v0, s[2:3]
	v_lshlrev_b32_e32 v27, 2, v0
	ds_bpermute_b32 v22, v27, v20
	ds_bpermute_b32 v23, v27, v21
	;; [unrolled: 1-line block ×4, first 2 shown]
	s_mov_b32 s5, s4
	s_mov_b32 s6, s4
	;; [unrolled: 1-line block ×3, first 2 shown]
	v_pk_mov_b32 v[8:9], 0, 0
	v_pk_mov_b32 v[0:1], s[4:5], s[4:5] op_sel:[0,1]
	v_pk_mov_b32 v[2:3], s[6:7], s[6:7] op_sel:[0,1]
	;; [unrolled: 1-line block ×3, first 2 shown]
	s_and_saveexec_b64 s[18:19], s[14:15]
	s_cbranch_execz .LBB678_14
; %bb.11:
	global_load_ubyte v12, v[10:11], off
	v_pk_mov_b32 v[0:1], s[4:5], s[4:5] op_sel:[0,1]
	v_pk_mov_b32 v[2:3], s[6:7], s[6:7] op_sel:[0,1]
	s_waitcnt vmcnt(0)
	v_and_b32_e32 v12, 1, v12
	v_cmp_eq_u32_e64 s[2:3], 1, v12
	s_xor_b64 s[2:3], s[2:3], -1
	v_pk_mov_b32 v[12:13], 0, 0
	s_and_saveexec_b64 s[6:7], s[2:3]
	s_cbranch_execz .LBB678_13
; %bb.12:
	s_waitcnt lgkmcnt(2)
	v_cmp_lt_f64_e64 s[2:3], v[20:21], v[22:23]
	v_cndmask_b32_e64 v1, v21, v23, s[2:3]
	v_cndmask_b32_e64 v0, v20, v22, s[2:3]
	s_mov_b32 s2, 0x652b82fe
	v_add_f64 v[0:1], v[14:15], -v[0:1]
	s_mov_b32 s3, 0x3ff71547
	v_mul_f64 v[2:3], v[0:1], s[2:3]
	s_mov_b32 s2, 0xfefa39ef
	v_rndne_f64_e32 v[2:3], v[2:3]
	s_mov_b32 s3, 0xbfe62e42
	v_fma_f64 v[12:13], s[2:3], v[2:3], v[0:1]
	s_mov_b32 s2, 0x3b39803f
	s_mov_b32 s3, 0xbc7abc9e
	v_fmac_f64_e32 v[12:13], s[2:3], v[2:3]
	s_mov_b32 s2, 0x6a5dcb37
	v_mov_b32_e32 v14, 0xfca7ab0c
	v_mov_b32_e32 v15, 0x3e928af3
	s_mov_b32 s3, 0x3e5ade15
	v_fmac_f64_e32 v[14:15], s[2:3], v[12:13]
	v_mov_b32_e32 v20, 0x623fde64
	v_mov_b32_e32 v21, 0x3ec71dee
	v_fmac_f64_e32 v[20:21], v[12:13], v[14:15]
	v_mov_b32_e32 v14, 0x7c89e6b0
	v_mov_b32_e32 v15, 0x3efa0199
	;; [unrolled: 3-line block ×8, first 2 shown]
	v_fmac_f64_e32 v[14:15], v[12:13], v[20:21]
	v_fma_f64 v[14:15], v[12:13], v[14:15], 1.0
	s_mov_b32 s2, 0
	s_mov_b32 s4, 0
	v_fma_f64 v[12:13], v[12:13], v[14:15], 1.0
	v_cvt_i32_f64_e32 v2, v[2:3]
	s_mov_b32 s3, 0x40900000
	s_mov_b32 s5, 0xc090cc00
	v_ldexp_f64 v[12:13], v[12:13], v2
	v_mov_b32_e32 v2, 0x7ff00000
	v_cmp_nlt_f64_e64 s[2:3], s[2:3], v[0:1]
	v_cmp_ngt_f64_e64 s[4:5], s[4:5], v[0:1]
	v_cndmask_b32_e64 v3, v2, v13, s[2:3]
	s_and_b64 s[2:3], s[4:5], s[2:3]
	v_mov_b32_e32 v2, 0
	v_cndmask_b32_e64 v13, 0, v3, s[4:5]
	v_cndmask_b32_e64 v12, 0, v12, s[2:3]
	v_add_f64 v[0:1], v[12:13], 0
	v_mov_b32_e32 v3, v2
.LBB678_13:
	s_or_b64 exec, exec, s[6:7]
.LBB678_14:
	s_or_b64 exec, exec, s[18:19]
	s_and_saveexec_b64 s[6:7], s[8:9]
	s_cbranch_execz .LBB678_18
; %bb.15:
	s_and_b64 s[2:3], s[16:17], exec
	s_cselect_b32 s2, 0, 0
	s_cselect_b32 s3, 0, s10
	v_mov_b32_e32 v9, s2
	v_add_co_u32_e64 v8, s[2:3], s3, v10
	v_addc_co_u32_e64 v9, s[2:3], v11, v9, s[2:3]
	global_load_ubyte v8, v[8:9], off
	s_waitcnt vmcnt(0)
	v_and_b32_e32 v8, 1, v8
	v_cmp_eq_u32_e64 s[2:3], 1, v8
	s_xor_b64 s[2:3], s[2:3], -1
	v_pk_mov_b32 v[8:9], 0, 0
	s_and_saveexec_b64 s[8:9], s[2:3]
	s_cbranch_execz .LBB678_17
; %bb.16:
	s_waitcnt lgkmcnt(0)
	v_cmp_lt_f64_e64 s[2:3], v[16:17], v[18:19]
	v_cndmask_b32_e64 v9, v17, v19, s[2:3]
	v_cndmask_b32_e64 v8, v16, v18, s[2:3]
	s_mov_b32 s2, 0x652b82fe
	v_add_f64 v[6:7], v[6:7], -v[8:9]
	s_mov_b32 s3, 0x3ff71547
	v_mul_f64 v[8:9], v[6:7], s[2:3]
	s_mov_b32 s2, 0xfefa39ef
	v_rndne_f64_e32 v[8:9], v[8:9]
	s_mov_b32 s3, 0xbfe62e42
	v_fma_f64 v[10:11], s[2:3], v[8:9], v[6:7]
	s_mov_b32 s2, 0x3b39803f
	s_mov_b32 s3, 0xbc7abc9e
	v_fmac_f64_e32 v[10:11], s[2:3], v[8:9]
	s_mov_b32 s2, 0x6a5dcb37
	v_mov_b32_e32 v14, 0xfca7ab0c
	v_mov_b32_e32 v15, 0x3e928af3
	s_mov_b32 s3, 0x3e5ade15
	v_fmac_f64_e32 v[14:15], s[2:3], v[10:11]
	v_mov_b32_e32 v16, 0x623fde64
	v_mov_b32_e32 v17, 0x3ec71dee
	v_fmac_f64_e32 v[16:17], v[10:11], v[14:15]
	v_mov_b32_e32 v14, 0x7c89e6b0
	v_mov_b32_e32 v15, 0x3efa0199
	;; [unrolled: 3-line block ×8, first 2 shown]
	v_fmac_f64_e32 v[14:15], v[10:11], v[16:17]
	v_fma_f64 v[14:15], v[10:11], v[14:15], 1.0
	s_mov_b32 s2, 0
	s_mov_b32 s4, 0
	v_fma_f64 v[10:11], v[10:11], v[14:15], 1.0
	v_cvt_i32_f64_e32 v8, v[8:9]
	s_mov_b32 s3, 0x40900000
	s_mov_b32 s5, 0xc090cc00
	v_ldexp_f64 v[8:9], v[10:11], v8
	v_mov_b32_e32 v10, 0x7ff00000
	v_cmp_nlt_f64_e64 s[2:3], s[2:3], v[6:7]
	v_cmp_ngt_f64_e64 s[4:5], s[4:5], v[6:7]
	v_cndmask_b32_e64 v9, v10, v9, s[2:3]
	s_and_b64 s[2:3], s[4:5], s[2:3]
	v_cndmask_b32_e64 v9, 0, v9, s[4:5]
	v_cndmask_b32_e64 v8, 0, v8, s[2:3]
	v_add_f64 v[2:3], v[2:3], v[8:9]
.LBB678_17:
	s_or_b64 exec, exec, s[8:9]
.LBB678_18:
	s_or_b64 exec, exec, s[6:7]
	ds_bpermute_b32 v6, v25, v0
	ds_bpermute_b32 v7, v25, v1
	;; [unrolled: 1-line block ×4, first 2 shown]
	s_waitcnt lgkmcnt(2)
	v_add_f64 v[0:1], v[0:1], v[6:7]
	ds_bpermute_b32 v6, v26, v0
	s_waitcnt lgkmcnt(1)
	v_add_f64 v[2:3], v[2:3], v[10:11]
	ds_bpermute_b32 v7, v26, v1
	ds_bpermute_b32 v14, v26, v2
	;; [unrolled: 1-line block ×3, first 2 shown]
	s_waitcnt lgkmcnt(2)
	v_add_f64 v[10:11], v[0:1], v[6:7]
	s_waitcnt lgkmcnt(0)
	v_add_f64 v[2:3], v[2:3], v[14:15]
	ds_bpermute_b32 v14, v27, v10
	ds_bpermute_b32 v15, v27, v11
	;; [unrolled: 1-line block ×4, first 2 shown]
	s_and_saveexec_b64 s[2:3], vcc
	s_cbranch_execz .LBB678_24
; %bb.19:
	v_mov_b32_e32 v1, s13
	v_add_co_u32_e32 v0, vcc, s12, v4
	v_addc_co_u32_e32 v1, vcc, v1, v5, vcc
	s_and_saveexec_b64 s[2:3], s[0:1]
	s_cbranch_execz .LBB678_21
; %bb.20:
	s_waitcnt lgkmcnt(2)
	v_add_f64 v[4:5], v[10:11], v[14:15]
	v_div_scale_f64 v[10:11], s[4:5], v[4:5], v[4:5], v[12:13]
	v_rcp_f64_e32 v[14:15], v[10:11]
	v_div_scale_f64 v[16:17], vcc, v[12:13], v[4:5], v[12:13]
	v_fma_f64 v[18:19], -v[10:11], v[14:15], 1.0
	v_fmac_f64_e32 v[14:15], v[14:15], v[18:19]
	v_fma_f64 v[18:19], -v[10:11], v[14:15], 1.0
	v_fmac_f64_e32 v[14:15], v[14:15], v[18:19]
	v_mul_f64 v[18:19], v[16:17], v[14:15]
	v_fma_f64 v[10:11], -v[10:11], v[18:19], v[16:17]
	v_div_fmas_f64 v[10:11], v[10:11], v[14:15], v[18:19]
	v_div_fixup_f64 v[10:11], v[10:11], v[4:5], v[12:13]
	v_mov_b32_e32 v12, 0x7ff80000
	v_cmp_neq_f64_e32 vcc, 0, v[4:5]
	v_cndmask_b32_e32 v5, v12, v11, vcc
	v_cndmask_b32_e32 v4, 0, v10, vcc
	global_store_dwordx2 v[0:1], v[4:5], off
.LBB678_21:
	s_or_b64 exec, exec, s[2:3]
	v_cmp_ne_u32_e32 vcc, 1, v24
	s_and_b64 exec, exec, vcc
	s_cbranch_execz .LBB678_24
; %bb.22:
	s_and_b64 exec, exec, s[0:1]
	s_cbranch_execz .LBB678_24
; %bb.23:
	s_waitcnt lgkmcnt(0)
	v_add_f64 v[2:3], v[2:3], v[6:7]
	v_div_scale_f64 v[4:5], s[0:1], v[2:3], v[2:3], v[8:9]
	v_rcp_f64_e32 v[6:7], v[4:5]
	v_div_scale_f64 v[10:11], vcc, v[8:9], v[2:3], v[8:9]
	s_mov_b32 s11, 0
	v_fma_f64 v[12:13], -v[4:5], v[6:7], 1.0
	v_fmac_f64_e32 v[6:7], v[6:7], v[12:13]
	v_fma_f64 v[12:13], -v[4:5], v[6:7], 1.0
	v_fmac_f64_e32 v[6:7], v[6:7], v[12:13]
	v_mul_f64 v[12:13], v[10:11], v[6:7]
	v_fma_f64 v[4:5], -v[4:5], v[12:13], v[10:11]
	s_lshl_b64 s[0:1], s[10:11], 3
	v_div_fmas_f64 v[4:5], v[4:5], v[6:7], v[12:13]
	v_mov_b32_e32 v6, s1
	v_add_co_u32_e32 v0, vcc, s0, v0
	v_addc_co_u32_e32 v1, vcc, v1, v6, vcc
	v_div_fixup_f64 v[4:5], v[4:5], v[2:3], v[8:9]
	v_mov_b32_e32 v6, 0x7ff80000
	v_cmp_neq_f64_e32 vcc, 0, v[2:3]
	v_cndmask_b32_e32 v3, v6, v5, vcc
	v_cndmask_b32_e32 v2, 0, v4, vcc
	global_store_dwordx2 v[0:1], v[2:3], off
.LBB678_24:
	s_endpgm
	.section	.rodata,"a",@progbits
	.p2align	6, 0x0
	.amdhsa_kernel _ZN12_GLOBAL__N_120softmax_warp_forwardIdddLi3ELb0ELb1ELi64EEEvPT0_PKT_iiiPKbib
		.amdhsa_group_segment_fixed_size 0
		.amdhsa_private_segment_fixed_size 0
		.amdhsa_kernarg_size 304
		.amdhsa_user_sgpr_count 6
		.amdhsa_user_sgpr_private_segment_buffer 1
		.amdhsa_user_sgpr_dispatch_ptr 0
		.amdhsa_user_sgpr_queue_ptr 0
		.amdhsa_user_sgpr_kernarg_segment_ptr 1
		.amdhsa_user_sgpr_dispatch_id 0
		.amdhsa_user_sgpr_flat_scratch_init 0
		.amdhsa_user_sgpr_kernarg_preload_length 0
		.amdhsa_user_sgpr_kernarg_preload_offset 0
		.amdhsa_user_sgpr_private_segment_size 0
		.amdhsa_uses_dynamic_stack 0
		.amdhsa_system_sgpr_private_segment_wavefront_offset 0
		.amdhsa_system_sgpr_workgroup_id_x 1
		.amdhsa_system_sgpr_workgroup_id_y 0
		.amdhsa_system_sgpr_workgroup_id_z 0
		.amdhsa_system_sgpr_workgroup_info 0
		.amdhsa_system_vgpr_workitem_id 1
		.amdhsa_next_free_vgpr 28
		.amdhsa_next_free_sgpr 20
		.amdhsa_accum_offset 28
		.amdhsa_reserve_vcc 1
		.amdhsa_reserve_flat_scratch 0
		.amdhsa_float_round_mode_32 0
		.amdhsa_float_round_mode_16_64 0
		.amdhsa_float_denorm_mode_32 3
		.amdhsa_float_denorm_mode_16_64 3
		.amdhsa_dx10_clamp 1
		.amdhsa_ieee_mode 1
		.amdhsa_fp16_overflow 0
		.amdhsa_tg_split 0
		.amdhsa_exception_fp_ieee_invalid_op 0
		.amdhsa_exception_fp_denorm_src 0
		.amdhsa_exception_fp_ieee_div_zero 0
		.amdhsa_exception_fp_ieee_overflow 0
		.amdhsa_exception_fp_ieee_underflow 0
		.amdhsa_exception_fp_ieee_inexact 0
		.amdhsa_exception_int_div_zero 0
	.end_amdhsa_kernel
	.section	.text._ZN12_GLOBAL__N_120softmax_warp_forwardIdddLi3ELb0ELb1ELi64EEEvPT0_PKT_iiiPKbib,"axG",@progbits,_ZN12_GLOBAL__N_120softmax_warp_forwardIdddLi3ELb0ELb1ELi64EEEvPT0_PKT_iiiPKbib,comdat
.Lfunc_end678:
	.size	_ZN12_GLOBAL__N_120softmax_warp_forwardIdddLi3ELb0ELb1ELi64EEEvPT0_PKT_iiiPKbib, .Lfunc_end678-_ZN12_GLOBAL__N_120softmax_warp_forwardIdddLi3ELb0ELb1ELi64EEEvPT0_PKT_iiiPKbib
                                        ; -- End function
	.section	.AMDGPU.csdata,"",@progbits
; Kernel info:
; codeLenInByte = 2408
; NumSgprs: 24
; NumVgprs: 28
; NumAgprs: 0
; TotalNumVgprs: 28
; ScratchSize: 0
; MemoryBound: 0
; FloatMode: 240
; IeeeMode: 1
; LDSByteSize: 0 bytes/workgroup (compile time only)
; SGPRBlocks: 2
; VGPRBlocks: 3
; NumSGPRsForWavesPerEU: 24
; NumVGPRsForWavesPerEU: 28
; AccumOffset: 28
; Occupancy: 8
; WaveLimiterHint : 0
; COMPUTE_PGM_RSRC2:SCRATCH_EN: 0
; COMPUTE_PGM_RSRC2:USER_SGPR: 6
; COMPUTE_PGM_RSRC2:TRAP_HANDLER: 0
; COMPUTE_PGM_RSRC2:TGID_X_EN: 1
; COMPUTE_PGM_RSRC2:TGID_Y_EN: 0
; COMPUTE_PGM_RSRC2:TGID_Z_EN: 0
; COMPUTE_PGM_RSRC2:TIDIG_COMP_CNT: 1
; COMPUTE_PGM_RSRC3_GFX90A:ACCUM_OFFSET: 6
; COMPUTE_PGM_RSRC3_GFX90A:TG_SPLIT: 0
	.section	.text._ZN12_GLOBAL__N_120softmax_warp_forwardIdddLi3ELb0ELb1ELi32EEEvPT0_PKT_iiiPKbib,"axG",@progbits,_ZN12_GLOBAL__N_120softmax_warp_forwardIdddLi3ELb0ELb1ELi32EEEvPT0_PKT_iiiPKbib,comdat
	.globl	_ZN12_GLOBAL__N_120softmax_warp_forwardIdddLi3ELb0ELb1ELi32EEEvPT0_PKT_iiiPKbib ; -- Begin function _ZN12_GLOBAL__N_120softmax_warp_forwardIdddLi3ELb0ELb1ELi32EEEvPT0_PKT_iiiPKbib
	.p2align	8
	.type	_ZN12_GLOBAL__N_120softmax_warp_forwardIdddLi3ELb0ELb1ELi32EEEvPT0_PKT_iiiPKbib,@function
_ZN12_GLOBAL__N_120softmax_warp_forwardIdddLi3ELb0ELb1ELi32EEEvPT0_PKT_iiiPKbib: ; @_ZN12_GLOBAL__N_120softmax_warp_forwardIdddLi3ELb0ELb1ELi32EEEvPT0_PKT_iiiPKbib
; %bb.0:
	s_load_dwordx2 s[0:1], s[4:5], 0x28
	s_load_dword s2, s[4:5], 0x3c
	s_load_dwordx4 s[8:11], s[4:5], 0x10
	v_bfe_u32 v1, v0, 10, 10
	v_and_b32_e32 v2, 0x3ff, v0
	s_waitcnt lgkmcnt(0)
	s_bitcmp1_b32 s1, 0
	s_cselect_b64 s[16:17], -1, 0
	s_lshr_b32 s2, s2, 16
	s_mul_i32 s6, s6, s2
	v_add_lshl_u32 v3, s6, v1, 1
	v_mul_lo_u32 v6, v3, s9
	v_add_u32_e32 v4, v6, v2
	v_ashrrev_i32_e32 v5, 31, v4
	s_bitcmp0_b32 s1, 0
	v_pk_mov_b32 v[0:1], v[4:5], v[4:5] op_sel:[0,1]
	s_cbranch_scc1 .LBB679_2
; %bb.1:
	s_abs_i32 s1, s0
	v_cvt_f32_u32_e32 v0, s1
	v_xor_b32_e32 v1, s0, v6
	v_sub_u32_e32 v7, 0, v6
	s_sub_i32 s0, 0, s1
	v_rcp_iflag_f32_e32 v0, v0
	v_max_i32_e32 v6, v6, v7
	v_ashrrev_i32_e32 v1, 31, v1
	v_mul_f32_e32 v0, 0x4f7ffffe, v0
	v_cvt_u32_f32_e32 v0, v0
	v_mul_lo_u32 v7, s0, v0
	v_mul_hi_u32 v7, v0, v7
	v_add_u32_e32 v0, v0, v7
	v_mul_hi_u32 v0, v6, v0
	v_mul_lo_u32 v7, v0, s1
	v_sub_u32_e32 v6, v6, v7
	v_add_u32_e32 v8, 1, v0
	v_cmp_le_u32_e32 vcc, s1, v6
	v_subrev_u32_e32 v7, s1, v6
	v_cndmask_b32_e32 v0, v0, v8, vcc
	v_cndmask_b32_e32 v6, v6, v7, vcc
	v_add_u32_e32 v7, 1, v0
	v_cmp_le_u32_e32 vcc, s1, v6
	v_cndmask_b32_e32 v0, v0, v7, vcc
	v_xor_b32_e32 v0, v0, v1
	v_sub_u32_e32 v0, v0, v1
	v_mad_u64_u32 v[0:1], s[0:1], v0, s9, v[2:3]
	v_ashrrev_i32_e32 v1, 31, v0
.LBB679_2:
	s_load_dwordx4 s[12:15], s[4:5], 0x0
	v_lshlrev_b64 v[4:5], 3, v[4:5]
	v_sub_u32_e32 v24, s8, v3
	v_mov_b32_e32 v6, 0
	v_cmp_gt_i32_e64 s[0:1], s10, v2
	s_waitcnt lgkmcnt(0)
	v_mov_b32_e32 v3, s15
	v_add_co_u32_e32 v8, vcc, s14, v4
	v_addc_co_u32_e32 v9, vcc, v3, v5, vcc
	v_cmp_lt_i32_e32 vcc, 0, v24
	v_mov_b32_e32 v7, 0xfff00000
	s_and_b64 s[14:15], s[0:1], vcc
	v_pk_mov_b32 v[14:15], v[6:7], v[6:7] op_sel:[0,1]
	s_and_saveexec_b64 s[2:3], s[14:15]
	s_cbranch_execz .LBB679_4
; %bb.3:
	global_load_dwordx2 v[14:15], v[8:9], off
.LBB679_4:
	s_or_b64 exec, exec, s[2:3]
	v_cmp_lt_i32_e64 s[2:3], 1, v24
	s_and_b64 s[8:9], s[0:1], s[2:3]
	s_and_saveexec_b64 s[6:7], s[8:9]
	s_cbranch_execz .LBB679_6
; %bb.5:
	s_mov_b32 s11, 0
	s_lshl_b64 s[2:3], s[10:11], 3
	v_mov_b32_e32 v3, s3
	v_add_co_u32_e64 v2, s[2:3], s2, v8
	v_addc_co_u32_e64 v3, s[2:3], v9, v3, s[2:3]
	global_load_dwordx2 v[6:7], v[2:3], off
.LBB679_6:
	s_or_b64 exec, exec, s[6:7]
	s_load_dwordx2 s[2:3], s[4:5], 0x20
	s_waitcnt lgkmcnt(0)
	v_mov_b32_e32 v2, s3
	v_add_co_u32_e64 v10, s[2:3], s2, v0
	v_addc_co_u32_e64 v11, s[2:3], v2, v1, s[2:3]
	v_mov_b32_e32 v0, 0
	v_mov_b32_e32 v1, 0xfff00000
	s_and_saveexec_b64 s[4:5], s[14:15]
	s_cbranch_execz .LBB679_8
; %bb.7:
	global_load_ubyte v0, v[10:11], off
	v_mov_b32_e32 v1, 0xfff00000
	s_waitcnt vmcnt(0)
	v_and_b32_e32 v0, 1, v0
	v_cmp_eq_u32_e64 s[2:3], 1, v0
	v_cndmask_b32_e64 v1, v15, v1, s[2:3]
	v_cndmask_b32_e64 v0, v14, 0, s[2:3]
.LBB679_8:
	s_or_b64 exec, exec, s[4:5]
	s_mov_b64 s[4:5], 0
	s_and_saveexec_b64 s[6:7], s[8:9]
	s_cbranch_execz .LBB679_10
; %bb.9:
	s_and_b64 s[2:3], s[16:17], exec
	s_cselect_b32 s2, 0, 0
	s_cselect_b32 s3, 0, s10
	v_mov_b32_e32 v3, s2
	v_add_co_u32_e64 v2, s[2:3], s3, v10
	v_addc_co_u32_e64 v3, s[2:3], v11, v3, s[2:3]
	global_load_ubyte v2, v[2:3], off
	s_waitcnt vmcnt(0)
	v_and_b32_e32 v2, 1, v2
	v_cmp_eq_u32_e64 s[2:3], 1, v2
	s_xor_b64 s[2:3], s[2:3], -1
	s_and_b64 s[4:5], s[2:3], exec
.LBB679_10:
	s_or_b64 exec, exec, s[6:7]
	v_mov_b32_e32 v2, 0xfff00000
	s_waitcnt vmcnt(0)
	v_cndmask_b32_e64 v3, v2, v7, s[4:5]
	v_mbcnt_lo_u32_b32 v2, -1, 0
	v_mbcnt_hi_u32_b32 v18, -1, v2
	v_and_b32_e32 v2, 0x78, v18
	v_add_u32_e32 v19, 8, v2
	v_xor_b32_e32 v2, 4, v18
	v_cmp_lt_i32_e64 s[2:3], v2, v19
	v_cndmask_b32_e64 v2, v18, v2, s[2:3]
	v_lshlrev_b32_e32 v25, 2, v2
	ds_bpermute_b32 v8, v25, v0
	ds_bpermute_b32 v9, v25, v1
	v_cndmask_b32_e64 v2, 0, v6, s[4:5]
	ds_bpermute_b32 v12, v25, v2
	ds_bpermute_b32 v13, v25, v3
	s_waitcnt lgkmcnt(2)
	v_cmp_lt_f64_e64 s[2:3], v[0:1], v[8:9]
	v_cndmask_b32_e64 v0, v0, v8, s[2:3]
	v_xor_b32_e32 v8, 2, v18
	v_cmp_lt_i32_e64 s[4:5], v8, v19
	v_cndmask_b32_e64 v8, v18, v8, s[4:5]
	v_cndmask_b32_e64 v1, v1, v9, s[2:3]
	s_waitcnt lgkmcnt(0)
	v_cmp_lt_f64_e64 s[2:3], v[2:3], v[12:13]
	v_lshlrev_b32_e32 v26, 2, v8
	v_cndmask_b32_e64 v3, v3, v13, s[2:3]
	ds_bpermute_b32 v8, v26, v0
	ds_bpermute_b32 v9, v26, v1
	v_cndmask_b32_e64 v2, v2, v12, s[2:3]
	ds_bpermute_b32 v12, v26, v2
	ds_bpermute_b32 v13, v26, v3
	s_mov_b32 s4, 0
	s_waitcnt lgkmcnt(2)
	v_cmp_lt_f64_e64 s[2:3], v[0:1], v[8:9]
	v_cndmask_b32_e64 v21, v1, v9, s[2:3]
	v_cndmask_b32_e64 v20, v0, v8, s[2:3]
	s_waitcnt lgkmcnt(0)
	v_cmp_lt_f64_e64 s[2:3], v[2:3], v[12:13]
	v_xor_b32_e32 v0, 1, v18
	v_cndmask_b32_e64 v17, v3, v13, s[2:3]
	v_cndmask_b32_e64 v16, v2, v12, s[2:3]
	v_cmp_lt_i32_e64 s[2:3], v0, v19
	v_cndmask_b32_e64 v0, v18, v0, s[2:3]
	v_lshlrev_b32_e32 v27, 2, v0
	ds_bpermute_b32 v22, v27, v20
	ds_bpermute_b32 v23, v27, v21
	;; [unrolled: 1-line block ×4, first 2 shown]
	s_mov_b32 s5, s4
	s_mov_b32 s6, s4
	;; [unrolled: 1-line block ×3, first 2 shown]
	v_pk_mov_b32 v[8:9], 0, 0
	v_pk_mov_b32 v[0:1], s[4:5], s[4:5] op_sel:[0,1]
	v_pk_mov_b32 v[2:3], s[6:7], s[6:7] op_sel:[0,1]
	;; [unrolled: 1-line block ×3, first 2 shown]
	s_and_saveexec_b64 s[18:19], s[14:15]
	s_cbranch_execz .LBB679_14
; %bb.11:
	global_load_ubyte v12, v[10:11], off
	v_pk_mov_b32 v[0:1], s[4:5], s[4:5] op_sel:[0,1]
	v_pk_mov_b32 v[2:3], s[6:7], s[6:7] op_sel:[0,1]
	s_waitcnt vmcnt(0)
	v_and_b32_e32 v12, 1, v12
	v_cmp_eq_u32_e64 s[2:3], 1, v12
	s_xor_b64 s[2:3], s[2:3], -1
	v_pk_mov_b32 v[12:13], 0, 0
	s_and_saveexec_b64 s[6:7], s[2:3]
	s_cbranch_execz .LBB679_13
; %bb.12:
	s_waitcnt lgkmcnt(2)
	v_cmp_lt_f64_e64 s[2:3], v[20:21], v[22:23]
	v_cndmask_b32_e64 v1, v21, v23, s[2:3]
	v_cndmask_b32_e64 v0, v20, v22, s[2:3]
	s_mov_b32 s2, 0x652b82fe
	v_add_f64 v[0:1], v[14:15], -v[0:1]
	s_mov_b32 s3, 0x3ff71547
	v_mul_f64 v[2:3], v[0:1], s[2:3]
	s_mov_b32 s2, 0xfefa39ef
	v_rndne_f64_e32 v[2:3], v[2:3]
	s_mov_b32 s3, 0xbfe62e42
	v_fma_f64 v[12:13], s[2:3], v[2:3], v[0:1]
	s_mov_b32 s2, 0x3b39803f
	s_mov_b32 s3, 0xbc7abc9e
	v_fmac_f64_e32 v[12:13], s[2:3], v[2:3]
	s_mov_b32 s2, 0x6a5dcb37
	v_mov_b32_e32 v14, 0xfca7ab0c
	v_mov_b32_e32 v15, 0x3e928af3
	s_mov_b32 s3, 0x3e5ade15
	v_fmac_f64_e32 v[14:15], s[2:3], v[12:13]
	v_mov_b32_e32 v20, 0x623fde64
	v_mov_b32_e32 v21, 0x3ec71dee
	v_fmac_f64_e32 v[20:21], v[12:13], v[14:15]
	v_mov_b32_e32 v14, 0x7c89e6b0
	v_mov_b32_e32 v15, 0x3efa0199
	;; [unrolled: 3-line block ×8, first 2 shown]
	v_fmac_f64_e32 v[14:15], v[12:13], v[20:21]
	v_fma_f64 v[14:15], v[12:13], v[14:15], 1.0
	s_mov_b32 s2, 0
	s_mov_b32 s4, 0
	v_fma_f64 v[12:13], v[12:13], v[14:15], 1.0
	v_cvt_i32_f64_e32 v2, v[2:3]
	s_mov_b32 s3, 0x40900000
	s_mov_b32 s5, 0xc090cc00
	v_ldexp_f64 v[12:13], v[12:13], v2
	v_mov_b32_e32 v2, 0x7ff00000
	v_cmp_nlt_f64_e64 s[2:3], s[2:3], v[0:1]
	v_cmp_ngt_f64_e64 s[4:5], s[4:5], v[0:1]
	v_cndmask_b32_e64 v3, v2, v13, s[2:3]
	s_and_b64 s[2:3], s[4:5], s[2:3]
	v_mov_b32_e32 v2, 0
	v_cndmask_b32_e64 v13, 0, v3, s[4:5]
	v_cndmask_b32_e64 v12, 0, v12, s[2:3]
	v_add_f64 v[0:1], v[12:13], 0
	v_mov_b32_e32 v3, v2
.LBB679_13:
	s_or_b64 exec, exec, s[6:7]
.LBB679_14:
	s_or_b64 exec, exec, s[18:19]
	s_and_saveexec_b64 s[6:7], s[8:9]
	s_cbranch_execz .LBB679_18
; %bb.15:
	s_and_b64 s[2:3], s[16:17], exec
	s_cselect_b32 s2, 0, 0
	s_cselect_b32 s3, 0, s10
	v_mov_b32_e32 v9, s2
	v_add_co_u32_e64 v8, s[2:3], s3, v10
	v_addc_co_u32_e64 v9, s[2:3], v11, v9, s[2:3]
	global_load_ubyte v8, v[8:9], off
	s_waitcnt vmcnt(0)
	v_and_b32_e32 v8, 1, v8
	v_cmp_eq_u32_e64 s[2:3], 1, v8
	s_xor_b64 s[2:3], s[2:3], -1
	v_pk_mov_b32 v[8:9], 0, 0
	s_and_saveexec_b64 s[8:9], s[2:3]
	s_cbranch_execz .LBB679_17
; %bb.16:
	s_waitcnt lgkmcnt(0)
	v_cmp_lt_f64_e64 s[2:3], v[16:17], v[18:19]
	v_cndmask_b32_e64 v9, v17, v19, s[2:3]
	v_cndmask_b32_e64 v8, v16, v18, s[2:3]
	s_mov_b32 s2, 0x652b82fe
	v_add_f64 v[6:7], v[6:7], -v[8:9]
	s_mov_b32 s3, 0x3ff71547
	v_mul_f64 v[8:9], v[6:7], s[2:3]
	s_mov_b32 s2, 0xfefa39ef
	v_rndne_f64_e32 v[8:9], v[8:9]
	s_mov_b32 s3, 0xbfe62e42
	v_fma_f64 v[10:11], s[2:3], v[8:9], v[6:7]
	s_mov_b32 s2, 0x3b39803f
	s_mov_b32 s3, 0xbc7abc9e
	v_fmac_f64_e32 v[10:11], s[2:3], v[8:9]
	s_mov_b32 s2, 0x6a5dcb37
	v_mov_b32_e32 v14, 0xfca7ab0c
	v_mov_b32_e32 v15, 0x3e928af3
	s_mov_b32 s3, 0x3e5ade15
	v_fmac_f64_e32 v[14:15], s[2:3], v[10:11]
	v_mov_b32_e32 v16, 0x623fde64
	v_mov_b32_e32 v17, 0x3ec71dee
	v_fmac_f64_e32 v[16:17], v[10:11], v[14:15]
	v_mov_b32_e32 v14, 0x7c89e6b0
	v_mov_b32_e32 v15, 0x3efa0199
	;; [unrolled: 3-line block ×8, first 2 shown]
	v_fmac_f64_e32 v[14:15], v[10:11], v[16:17]
	v_fma_f64 v[14:15], v[10:11], v[14:15], 1.0
	s_mov_b32 s2, 0
	s_mov_b32 s4, 0
	v_fma_f64 v[10:11], v[10:11], v[14:15], 1.0
	v_cvt_i32_f64_e32 v8, v[8:9]
	s_mov_b32 s3, 0x40900000
	s_mov_b32 s5, 0xc090cc00
	v_ldexp_f64 v[8:9], v[10:11], v8
	v_mov_b32_e32 v10, 0x7ff00000
	v_cmp_nlt_f64_e64 s[2:3], s[2:3], v[6:7]
	v_cmp_ngt_f64_e64 s[4:5], s[4:5], v[6:7]
	v_cndmask_b32_e64 v9, v10, v9, s[2:3]
	s_and_b64 s[2:3], s[4:5], s[2:3]
	v_cndmask_b32_e64 v9, 0, v9, s[4:5]
	v_cndmask_b32_e64 v8, 0, v8, s[2:3]
	v_add_f64 v[2:3], v[2:3], v[8:9]
.LBB679_17:
	s_or_b64 exec, exec, s[8:9]
.LBB679_18:
	s_or_b64 exec, exec, s[6:7]
	ds_bpermute_b32 v6, v25, v0
	ds_bpermute_b32 v7, v25, v1
	;; [unrolled: 1-line block ×4, first 2 shown]
	s_waitcnt lgkmcnt(2)
	v_add_f64 v[0:1], v[0:1], v[6:7]
	ds_bpermute_b32 v6, v26, v0
	s_waitcnt lgkmcnt(1)
	v_add_f64 v[2:3], v[2:3], v[10:11]
	ds_bpermute_b32 v7, v26, v1
	ds_bpermute_b32 v14, v26, v2
	;; [unrolled: 1-line block ×3, first 2 shown]
	s_waitcnt lgkmcnt(2)
	v_add_f64 v[10:11], v[0:1], v[6:7]
	s_waitcnt lgkmcnt(0)
	v_add_f64 v[2:3], v[2:3], v[14:15]
	ds_bpermute_b32 v14, v27, v10
	ds_bpermute_b32 v15, v27, v11
	;; [unrolled: 1-line block ×4, first 2 shown]
	s_and_saveexec_b64 s[2:3], vcc
	s_cbranch_execz .LBB679_24
; %bb.19:
	v_mov_b32_e32 v1, s13
	v_add_co_u32_e32 v0, vcc, s12, v4
	v_addc_co_u32_e32 v1, vcc, v1, v5, vcc
	s_and_saveexec_b64 s[2:3], s[0:1]
	s_cbranch_execz .LBB679_21
; %bb.20:
	s_waitcnt lgkmcnt(2)
	v_add_f64 v[4:5], v[10:11], v[14:15]
	v_div_scale_f64 v[10:11], s[4:5], v[4:5], v[4:5], v[12:13]
	v_rcp_f64_e32 v[14:15], v[10:11]
	v_div_scale_f64 v[16:17], vcc, v[12:13], v[4:5], v[12:13]
	v_fma_f64 v[18:19], -v[10:11], v[14:15], 1.0
	v_fmac_f64_e32 v[14:15], v[14:15], v[18:19]
	v_fma_f64 v[18:19], -v[10:11], v[14:15], 1.0
	v_fmac_f64_e32 v[14:15], v[14:15], v[18:19]
	v_mul_f64 v[18:19], v[16:17], v[14:15]
	v_fma_f64 v[10:11], -v[10:11], v[18:19], v[16:17]
	v_div_fmas_f64 v[10:11], v[10:11], v[14:15], v[18:19]
	v_div_fixup_f64 v[10:11], v[10:11], v[4:5], v[12:13]
	v_mov_b32_e32 v12, 0x7ff80000
	v_cmp_neq_f64_e32 vcc, 0, v[4:5]
	v_cndmask_b32_e32 v5, v12, v11, vcc
	v_cndmask_b32_e32 v4, 0, v10, vcc
	global_store_dwordx2 v[0:1], v[4:5], off
.LBB679_21:
	s_or_b64 exec, exec, s[2:3]
	v_cmp_ne_u32_e32 vcc, 1, v24
	s_and_b64 exec, exec, vcc
	s_cbranch_execz .LBB679_24
; %bb.22:
	s_and_b64 exec, exec, s[0:1]
	s_cbranch_execz .LBB679_24
; %bb.23:
	s_waitcnt lgkmcnt(0)
	v_add_f64 v[2:3], v[2:3], v[6:7]
	v_div_scale_f64 v[4:5], s[0:1], v[2:3], v[2:3], v[8:9]
	v_rcp_f64_e32 v[6:7], v[4:5]
	v_div_scale_f64 v[10:11], vcc, v[8:9], v[2:3], v[8:9]
	s_mov_b32 s11, 0
	v_fma_f64 v[12:13], -v[4:5], v[6:7], 1.0
	v_fmac_f64_e32 v[6:7], v[6:7], v[12:13]
	v_fma_f64 v[12:13], -v[4:5], v[6:7], 1.0
	v_fmac_f64_e32 v[6:7], v[6:7], v[12:13]
	v_mul_f64 v[12:13], v[10:11], v[6:7]
	v_fma_f64 v[4:5], -v[4:5], v[12:13], v[10:11]
	s_lshl_b64 s[0:1], s[10:11], 3
	v_div_fmas_f64 v[4:5], v[4:5], v[6:7], v[12:13]
	v_mov_b32_e32 v6, s1
	v_add_co_u32_e32 v0, vcc, s0, v0
	v_addc_co_u32_e32 v1, vcc, v1, v6, vcc
	v_div_fixup_f64 v[4:5], v[4:5], v[2:3], v[8:9]
	v_mov_b32_e32 v6, 0x7ff80000
	v_cmp_neq_f64_e32 vcc, 0, v[2:3]
	v_cndmask_b32_e32 v3, v6, v5, vcc
	v_cndmask_b32_e32 v2, 0, v4, vcc
	global_store_dwordx2 v[0:1], v[2:3], off
.LBB679_24:
	s_endpgm
	.section	.rodata,"a",@progbits
	.p2align	6, 0x0
	.amdhsa_kernel _ZN12_GLOBAL__N_120softmax_warp_forwardIdddLi3ELb0ELb1ELi32EEEvPT0_PKT_iiiPKbib
		.amdhsa_group_segment_fixed_size 0
		.amdhsa_private_segment_fixed_size 0
		.amdhsa_kernarg_size 304
		.amdhsa_user_sgpr_count 6
		.amdhsa_user_sgpr_private_segment_buffer 1
		.amdhsa_user_sgpr_dispatch_ptr 0
		.amdhsa_user_sgpr_queue_ptr 0
		.amdhsa_user_sgpr_kernarg_segment_ptr 1
		.amdhsa_user_sgpr_dispatch_id 0
		.amdhsa_user_sgpr_flat_scratch_init 0
		.amdhsa_user_sgpr_kernarg_preload_length 0
		.amdhsa_user_sgpr_kernarg_preload_offset 0
		.amdhsa_user_sgpr_private_segment_size 0
		.amdhsa_uses_dynamic_stack 0
		.amdhsa_system_sgpr_private_segment_wavefront_offset 0
		.amdhsa_system_sgpr_workgroup_id_x 1
		.amdhsa_system_sgpr_workgroup_id_y 0
		.amdhsa_system_sgpr_workgroup_id_z 0
		.amdhsa_system_sgpr_workgroup_info 0
		.amdhsa_system_vgpr_workitem_id 1
		.amdhsa_next_free_vgpr 28
		.amdhsa_next_free_sgpr 20
		.amdhsa_accum_offset 28
		.amdhsa_reserve_vcc 1
		.amdhsa_reserve_flat_scratch 0
		.amdhsa_float_round_mode_32 0
		.amdhsa_float_round_mode_16_64 0
		.amdhsa_float_denorm_mode_32 3
		.amdhsa_float_denorm_mode_16_64 3
		.amdhsa_dx10_clamp 1
		.amdhsa_ieee_mode 1
		.amdhsa_fp16_overflow 0
		.amdhsa_tg_split 0
		.amdhsa_exception_fp_ieee_invalid_op 0
		.amdhsa_exception_fp_denorm_src 0
		.amdhsa_exception_fp_ieee_div_zero 0
		.amdhsa_exception_fp_ieee_overflow 0
		.amdhsa_exception_fp_ieee_underflow 0
		.amdhsa_exception_fp_ieee_inexact 0
		.amdhsa_exception_int_div_zero 0
	.end_amdhsa_kernel
	.section	.text._ZN12_GLOBAL__N_120softmax_warp_forwardIdddLi3ELb0ELb1ELi32EEEvPT0_PKT_iiiPKbib,"axG",@progbits,_ZN12_GLOBAL__N_120softmax_warp_forwardIdddLi3ELb0ELb1ELi32EEEvPT0_PKT_iiiPKbib,comdat
.Lfunc_end679:
	.size	_ZN12_GLOBAL__N_120softmax_warp_forwardIdddLi3ELb0ELb1ELi32EEEvPT0_PKT_iiiPKbib, .Lfunc_end679-_ZN12_GLOBAL__N_120softmax_warp_forwardIdddLi3ELb0ELb1ELi32EEEvPT0_PKT_iiiPKbib
                                        ; -- End function
	.section	.AMDGPU.csdata,"",@progbits
; Kernel info:
; codeLenInByte = 2408
; NumSgprs: 24
; NumVgprs: 28
; NumAgprs: 0
; TotalNumVgprs: 28
; ScratchSize: 0
; MemoryBound: 0
; FloatMode: 240
; IeeeMode: 1
; LDSByteSize: 0 bytes/workgroup (compile time only)
; SGPRBlocks: 2
; VGPRBlocks: 3
; NumSGPRsForWavesPerEU: 24
; NumVGPRsForWavesPerEU: 28
; AccumOffset: 28
; Occupancy: 8
; WaveLimiterHint : 0
; COMPUTE_PGM_RSRC2:SCRATCH_EN: 0
; COMPUTE_PGM_RSRC2:USER_SGPR: 6
; COMPUTE_PGM_RSRC2:TRAP_HANDLER: 0
; COMPUTE_PGM_RSRC2:TGID_X_EN: 1
; COMPUTE_PGM_RSRC2:TGID_Y_EN: 0
; COMPUTE_PGM_RSRC2:TGID_Z_EN: 0
; COMPUTE_PGM_RSRC2:TIDIG_COMP_CNT: 1
; COMPUTE_PGM_RSRC3_GFX90A:ACCUM_OFFSET: 6
; COMPUTE_PGM_RSRC3_GFX90A:TG_SPLIT: 0
	.section	.text._ZN12_GLOBAL__N_120softmax_warp_forwardIdddLi4ELb0ELb1ELi64EEEvPT0_PKT_iiiPKbib,"axG",@progbits,_ZN12_GLOBAL__N_120softmax_warp_forwardIdddLi4ELb0ELb1ELi64EEEvPT0_PKT_iiiPKbib,comdat
	.globl	_ZN12_GLOBAL__N_120softmax_warp_forwardIdddLi4ELb0ELb1ELi64EEEvPT0_PKT_iiiPKbib ; -- Begin function _ZN12_GLOBAL__N_120softmax_warp_forwardIdddLi4ELb0ELb1ELi64EEEvPT0_PKT_iiiPKbib
	.p2align	8
	.type	_ZN12_GLOBAL__N_120softmax_warp_forwardIdddLi4ELb0ELb1ELi64EEEvPT0_PKT_iiiPKbib,@function
_ZN12_GLOBAL__N_120softmax_warp_forwardIdddLi4ELb0ELb1ELi64EEEvPT0_PKT_iiiPKbib: ; @_ZN12_GLOBAL__N_120softmax_warp_forwardIdddLi4ELb0ELb1ELi64EEEvPT0_PKT_iiiPKbib
; %bb.0:
	s_load_dwordx2 s[0:1], s[4:5], 0x28
	s_load_dword s2, s[4:5], 0x3c
	s_load_dwordx4 s[8:11], s[4:5], 0x10
	v_bfe_u32 v1, v0, 10, 10
	v_and_b32_e32 v2, 0x3ff, v0
	s_waitcnt lgkmcnt(0)
	s_bitcmp1_b32 s1, 0
	s_cselect_b64 s[16:17], -1, 0
	s_lshr_b32 s2, s2, 16
	s_mul_i32 s6, s6, s2
	v_add_lshl_u32 v3, s6, v1, 1
	v_mul_lo_u32 v6, v3, s9
	v_add_u32_e32 v4, v6, v2
	v_ashrrev_i32_e32 v5, 31, v4
	s_bitcmp0_b32 s1, 0
	v_pk_mov_b32 v[0:1], v[4:5], v[4:5] op_sel:[0,1]
	s_cbranch_scc1 .LBB680_2
; %bb.1:
	s_abs_i32 s1, s0
	v_cvt_f32_u32_e32 v0, s1
	v_xor_b32_e32 v1, s0, v6
	v_sub_u32_e32 v7, 0, v6
	s_sub_i32 s0, 0, s1
	v_rcp_iflag_f32_e32 v0, v0
	v_max_i32_e32 v6, v6, v7
	v_ashrrev_i32_e32 v1, 31, v1
	v_mul_f32_e32 v0, 0x4f7ffffe, v0
	v_cvt_u32_f32_e32 v0, v0
	v_mul_lo_u32 v7, s0, v0
	v_mul_hi_u32 v7, v0, v7
	v_add_u32_e32 v0, v0, v7
	v_mul_hi_u32 v0, v6, v0
	v_mul_lo_u32 v7, v0, s1
	v_sub_u32_e32 v6, v6, v7
	v_add_u32_e32 v8, 1, v0
	v_cmp_le_u32_e32 vcc, s1, v6
	v_subrev_u32_e32 v7, s1, v6
	v_cndmask_b32_e32 v0, v0, v8, vcc
	v_cndmask_b32_e32 v6, v6, v7, vcc
	v_add_u32_e32 v7, 1, v0
	v_cmp_le_u32_e32 vcc, s1, v6
	v_cndmask_b32_e32 v0, v0, v7, vcc
	v_xor_b32_e32 v0, v0, v1
	v_sub_u32_e32 v0, v0, v1
	v_mad_u64_u32 v[0:1], s[0:1], v0, s9, v[2:3]
	v_ashrrev_i32_e32 v1, 31, v0
.LBB680_2:
	s_load_dwordx4 s[12:15], s[4:5], 0x0
	v_lshlrev_b64 v[4:5], 3, v[4:5]
	v_sub_u32_e32 v24, s8, v3
	v_mov_b32_e32 v6, 0
	v_cmp_gt_i32_e64 s[0:1], s10, v2
	s_waitcnt lgkmcnt(0)
	v_mov_b32_e32 v3, s15
	v_add_co_u32_e32 v8, vcc, s14, v4
	v_addc_co_u32_e32 v9, vcc, v3, v5, vcc
	v_cmp_lt_i32_e32 vcc, 0, v24
	v_mov_b32_e32 v7, 0xfff00000
	s_and_b64 s[14:15], s[0:1], vcc
	v_pk_mov_b32 v[14:15], v[6:7], v[6:7] op_sel:[0,1]
	s_and_saveexec_b64 s[2:3], s[14:15]
	s_cbranch_execz .LBB680_4
; %bb.3:
	global_load_dwordx2 v[14:15], v[8:9], off
.LBB680_4:
	s_or_b64 exec, exec, s[2:3]
	v_cmp_lt_i32_e64 s[2:3], 1, v24
	s_and_b64 s[8:9], s[0:1], s[2:3]
	s_and_saveexec_b64 s[6:7], s[8:9]
	s_cbranch_execz .LBB680_6
; %bb.5:
	s_mov_b32 s11, 0
	s_lshl_b64 s[2:3], s[10:11], 3
	v_mov_b32_e32 v3, s3
	v_add_co_u32_e64 v2, s[2:3], s2, v8
	v_addc_co_u32_e64 v3, s[2:3], v9, v3, s[2:3]
	global_load_dwordx2 v[6:7], v[2:3], off
.LBB680_6:
	s_or_b64 exec, exec, s[6:7]
	s_load_dwordx2 s[2:3], s[4:5], 0x20
	s_waitcnt lgkmcnt(0)
	v_mov_b32_e32 v2, s3
	v_add_co_u32_e64 v8, s[2:3], s2, v0
	v_addc_co_u32_e64 v9, s[2:3], v2, v1, s[2:3]
	v_mov_b32_e32 v0, 0
	v_mov_b32_e32 v1, 0xfff00000
	s_and_saveexec_b64 s[4:5], s[14:15]
	s_cbranch_execz .LBB680_8
; %bb.7:
	global_load_ubyte v0, v[8:9], off
	v_mov_b32_e32 v1, 0xfff00000
	s_waitcnt vmcnt(0)
	v_and_b32_e32 v0, 1, v0
	v_cmp_eq_u32_e64 s[2:3], 1, v0
	v_cndmask_b32_e64 v1, v15, v1, s[2:3]
	v_cndmask_b32_e64 v0, v14, 0, s[2:3]
.LBB680_8:
	s_or_b64 exec, exec, s[4:5]
	s_mov_b64 s[4:5], 0
	s_and_saveexec_b64 s[6:7], s[8:9]
	s_cbranch_execz .LBB680_10
; %bb.9:
	s_and_b64 s[2:3], s[16:17], exec
	s_cselect_b32 s2, 0, 0
	s_cselect_b32 s3, 0, s10
	v_mov_b32_e32 v3, s2
	v_add_co_u32_e64 v2, s[2:3], s3, v8
	v_addc_co_u32_e64 v3, s[2:3], v9, v3, s[2:3]
	global_load_ubyte v2, v[2:3], off
	s_waitcnt vmcnt(0)
	v_and_b32_e32 v2, 1, v2
	v_cmp_eq_u32_e64 s[2:3], 1, v2
	s_xor_b64 s[2:3], s[2:3], -1
	s_and_b64 s[4:5], s[2:3], exec
.LBB680_10:
	s_or_b64 exec, exec, s[6:7]
	v_mov_b32_e32 v2, 0xfff00000
	s_waitcnt vmcnt(0)
	v_cndmask_b32_e64 v3, v2, v7, s[4:5]
	v_mbcnt_lo_u32_b32 v2, -1, 0
	v_mbcnt_hi_u32_b32 v18, -1, v2
	v_and_b32_e32 v2, 0x70, v18
	v_add_u32_e32 v19, 16, v2
	v_xor_b32_e32 v2, 8, v18
	v_cmp_lt_i32_e64 s[2:3], v2, v19
	v_cndmask_b32_e64 v2, v18, v2, s[2:3]
	v_lshlrev_b32_e32 v25, 2, v2
	ds_bpermute_b32 v10, v25, v0
	ds_bpermute_b32 v11, v25, v1
	v_cndmask_b32_e64 v2, 0, v6, s[4:5]
	ds_bpermute_b32 v12, v25, v2
	ds_bpermute_b32 v13, v25, v3
	s_waitcnt lgkmcnt(2)
	v_cmp_lt_f64_e64 s[2:3], v[0:1], v[10:11]
	v_cndmask_b32_e64 v0, v0, v10, s[2:3]
	v_xor_b32_e32 v10, 4, v18
	v_cmp_lt_i32_e64 s[4:5], v10, v19
	v_cndmask_b32_e64 v10, v18, v10, s[4:5]
	v_cndmask_b32_e64 v1, v1, v11, s[2:3]
	v_lshlrev_b32_e32 v26, 2, v10
	ds_bpermute_b32 v10, v26, v0
	ds_bpermute_b32 v11, v26, v1
	s_waitcnt lgkmcnt(2)
	v_cmp_lt_f64_e64 s[2:3], v[2:3], v[12:13]
	v_cndmask_b32_e64 v3, v3, v13, s[2:3]
	v_cndmask_b32_e64 v2, v2, v12, s[2:3]
	ds_bpermute_b32 v12, v26, v2
	ds_bpermute_b32 v13, v26, v3
	s_waitcnt lgkmcnt(2)
	v_cmp_lt_f64_e64 s[2:3], v[0:1], v[10:11]
	v_cndmask_b32_e64 v0, v0, v10, s[2:3]
	v_xor_b32_e32 v10, 2, v18
	v_cmp_lt_i32_e64 s[4:5], v10, v19
	v_cndmask_b32_e64 v10, v18, v10, s[4:5]
	v_cndmask_b32_e64 v1, v1, v11, s[2:3]
	s_waitcnt lgkmcnt(0)
	v_cmp_lt_f64_e64 s[2:3], v[2:3], v[12:13]
	v_lshlrev_b32_e32 v27, 2, v10
	v_cndmask_b32_e64 v3, v3, v13, s[2:3]
	ds_bpermute_b32 v10, v27, v0
	ds_bpermute_b32 v11, v27, v1
	v_cndmask_b32_e64 v2, v2, v12, s[2:3]
	ds_bpermute_b32 v12, v27, v2
	ds_bpermute_b32 v13, v27, v3
	s_mov_b32 s4, 0
	s_waitcnt lgkmcnt(2)
	v_cmp_lt_f64_e64 s[2:3], v[0:1], v[10:11]
	v_cndmask_b32_e64 v21, v1, v11, s[2:3]
	v_cndmask_b32_e64 v20, v0, v10, s[2:3]
	s_waitcnt lgkmcnt(0)
	v_cmp_lt_f64_e64 s[2:3], v[2:3], v[12:13]
	v_xor_b32_e32 v0, 1, v18
	v_cndmask_b32_e64 v17, v3, v13, s[2:3]
	v_cndmask_b32_e64 v16, v2, v12, s[2:3]
	v_cmp_lt_i32_e64 s[2:3], v0, v19
	v_cndmask_b32_e64 v0, v18, v0, s[2:3]
	v_lshlrev_b32_e32 v28, 2, v0
	ds_bpermute_b32 v22, v28, v20
	ds_bpermute_b32 v23, v28, v21
	;; [unrolled: 1-line block ×4, first 2 shown]
	s_mov_b32 s5, s4
	s_mov_b32 s6, s4
	;; [unrolled: 1-line block ×3, first 2 shown]
	v_pk_mov_b32 v[10:11], 0, 0
	v_pk_mov_b32 v[0:1], s[4:5], s[4:5] op_sel:[0,1]
	v_pk_mov_b32 v[2:3], s[6:7], s[6:7] op_sel:[0,1]
	;; [unrolled: 1-line block ×3, first 2 shown]
	s_and_saveexec_b64 s[18:19], s[14:15]
	s_cbranch_execz .LBB680_14
; %bb.11:
	global_load_ubyte v12, v[8:9], off
	v_pk_mov_b32 v[0:1], s[4:5], s[4:5] op_sel:[0,1]
	v_pk_mov_b32 v[2:3], s[6:7], s[6:7] op_sel:[0,1]
	s_waitcnt vmcnt(0)
	v_and_b32_e32 v12, 1, v12
	v_cmp_eq_u32_e64 s[2:3], 1, v12
	s_xor_b64 s[2:3], s[2:3], -1
	v_pk_mov_b32 v[12:13], 0, 0
	s_and_saveexec_b64 s[6:7], s[2:3]
	s_cbranch_execz .LBB680_13
; %bb.12:
	s_waitcnt lgkmcnt(2)
	v_cmp_lt_f64_e64 s[2:3], v[20:21], v[22:23]
	v_cndmask_b32_e64 v1, v21, v23, s[2:3]
	v_cndmask_b32_e64 v0, v20, v22, s[2:3]
	s_mov_b32 s2, 0x652b82fe
	v_add_f64 v[0:1], v[14:15], -v[0:1]
	s_mov_b32 s3, 0x3ff71547
	v_mul_f64 v[2:3], v[0:1], s[2:3]
	s_mov_b32 s2, 0xfefa39ef
	v_rndne_f64_e32 v[2:3], v[2:3]
	s_mov_b32 s3, 0xbfe62e42
	v_fma_f64 v[12:13], s[2:3], v[2:3], v[0:1]
	s_mov_b32 s2, 0x3b39803f
	s_mov_b32 s3, 0xbc7abc9e
	v_fmac_f64_e32 v[12:13], s[2:3], v[2:3]
	s_mov_b32 s2, 0x6a5dcb37
	v_mov_b32_e32 v14, 0xfca7ab0c
	v_mov_b32_e32 v15, 0x3e928af3
	s_mov_b32 s3, 0x3e5ade15
	v_fmac_f64_e32 v[14:15], s[2:3], v[12:13]
	v_mov_b32_e32 v20, 0x623fde64
	v_mov_b32_e32 v21, 0x3ec71dee
	v_fmac_f64_e32 v[20:21], v[12:13], v[14:15]
	v_mov_b32_e32 v14, 0x7c89e6b0
	v_mov_b32_e32 v15, 0x3efa0199
	;; [unrolled: 3-line block ×8, first 2 shown]
	v_fmac_f64_e32 v[14:15], v[12:13], v[20:21]
	v_fma_f64 v[14:15], v[12:13], v[14:15], 1.0
	s_mov_b32 s2, 0
	s_mov_b32 s4, 0
	v_fma_f64 v[12:13], v[12:13], v[14:15], 1.0
	v_cvt_i32_f64_e32 v2, v[2:3]
	s_mov_b32 s3, 0x40900000
	s_mov_b32 s5, 0xc090cc00
	v_ldexp_f64 v[12:13], v[12:13], v2
	v_mov_b32_e32 v2, 0x7ff00000
	v_cmp_nlt_f64_e64 s[2:3], s[2:3], v[0:1]
	v_cmp_ngt_f64_e64 s[4:5], s[4:5], v[0:1]
	v_cndmask_b32_e64 v3, v2, v13, s[2:3]
	s_and_b64 s[2:3], s[4:5], s[2:3]
	v_mov_b32_e32 v2, 0
	v_cndmask_b32_e64 v13, 0, v3, s[4:5]
	v_cndmask_b32_e64 v12, 0, v12, s[2:3]
	v_add_f64 v[0:1], v[12:13], 0
	v_mov_b32_e32 v3, v2
.LBB680_13:
	s_or_b64 exec, exec, s[6:7]
.LBB680_14:
	s_or_b64 exec, exec, s[18:19]
	s_and_saveexec_b64 s[6:7], s[8:9]
	s_cbranch_execz .LBB680_18
; %bb.15:
	s_and_b64 s[2:3], s[16:17], exec
	s_cselect_b32 s2, 0, 0
	s_cselect_b32 s3, 0, s10
	v_mov_b32_e32 v10, s2
	v_add_co_u32_e64 v8, s[2:3], s3, v8
	v_addc_co_u32_e64 v9, s[2:3], v9, v10, s[2:3]
	global_load_ubyte v8, v[8:9], off
	v_pk_mov_b32 v[10:11], 0, 0
	s_waitcnt vmcnt(0)
	v_and_b32_e32 v8, 1, v8
	v_cmp_eq_u32_e64 s[2:3], 1, v8
	s_xor_b64 s[2:3], s[2:3], -1
	s_and_saveexec_b64 s[8:9], s[2:3]
	s_cbranch_execz .LBB680_17
; %bb.16:
	s_waitcnt lgkmcnt(0)
	v_cmp_lt_f64_e64 s[2:3], v[16:17], v[18:19]
	v_cndmask_b32_e64 v9, v17, v19, s[2:3]
	v_cndmask_b32_e64 v8, v16, v18, s[2:3]
	s_mov_b32 s2, 0x652b82fe
	v_add_f64 v[6:7], v[6:7], -v[8:9]
	s_mov_b32 s3, 0x3ff71547
	v_mul_f64 v[8:9], v[6:7], s[2:3]
	s_mov_b32 s2, 0xfefa39ef
	v_rndne_f64_e32 v[8:9], v[8:9]
	s_mov_b32 s3, 0xbfe62e42
	v_fma_f64 v[10:11], s[2:3], v[8:9], v[6:7]
	s_mov_b32 s2, 0x3b39803f
	s_mov_b32 s3, 0xbc7abc9e
	v_fmac_f64_e32 v[10:11], s[2:3], v[8:9]
	s_mov_b32 s2, 0x6a5dcb37
	v_mov_b32_e32 v14, 0xfca7ab0c
	v_mov_b32_e32 v15, 0x3e928af3
	s_mov_b32 s3, 0x3e5ade15
	v_fmac_f64_e32 v[14:15], s[2:3], v[10:11]
	v_mov_b32_e32 v16, 0x623fde64
	v_mov_b32_e32 v17, 0x3ec71dee
	v_fmac_f64_e32 v[16:17], v[10:11], v[14:15]
	v_mov_b32_e32 v14, 0x7c89e6b0
	v_mov_b32_e32 v15, 0x3efa0199
	;; [unrolled: 3-line block ×8, first 2 shown]
	v_fmac_f64_e32 v[14:15], v[10:11], v[16:17]
	v_fma_f64 v[14:15], v[10:11], v[14:15], 1.0
	s_mov_b32 s2, 0
	s_mov_b32 s4, 0
	v_fma_f64 v[10:11], v[10:11], v[14:15], 1.0
	v_cvt_i32_f64_e32 v8, v[8:9]
	s_mov_b32 s3, 0x40900000
	s_mov_b32 s5, 0xc090cc00
	v_ldexp_f64 v[8:9], v[10:11], v8
	v_mov_b32_e32 v10, 0x7ff00000
	v_cmp_nlt_f64_e64 s[2:3], s[2:3], v[6:7]
	v_cmp_ngt_f64_e64 s[4:5], s[4:5], v[6:7]
	v_cndmask_b32_e64 v9, v10, v9, s[2:3]
	s_and_b64 s[2:3], s[4:5], s[2:3]
	v_cndmask_b32_e64 v11, 0, v9, s[4:5]
	v_cndmask_b32_e64 v10, 0, v8, s[2:3]
	v_add_f64 v[2:3], v[2:3], v[10:11]
.LBB680_17:
	s_or_b64 exec, exec, s[8:9]
.LBB680_18:
	s_or_b64 exec, exec, s[6:7]
	ds_bpermute_b32 v6, v25, v0
	ds_bpermute_b32 v7, v25, v1
	;; [unrolled: 1-line block ×4, first 2 shown]
	s_waitcnt lgkmcnt(2)
	v_add_f64 v[0:1], v[0:1], v[6:7]
	ds_bpermute_b32 v6, v26, v0
	s_waitcnt lgkmcnt(1)
	v_add_f64 v[2:3], v[2:3], v[8:9]
	ds_bpermute_b32 v7, v26, v1
	ds_bpermute_b32 v8, v26, v2
	;; [unrolled: 1-line block ×3, first 2 shown]
	s_waitcnt lgkmcnt(2)
	v_add_f64 v[0:1], v[0:1], v[6:7]
	ds_bpermute_b32 v6, v27, v0
	s_waitcnt lgkmcnt(1)
	v_add_f64 v[2:3], v[2:3], v[8:9]
	ds_bpermute_b32 v7, v27, v1
	ds_bpermute_b32 v14, v27, v2
	;; [unrolled: 1-line block ×3, first 2 shown]
	s_waitcnt lgkmcnt(2)
	v_add_f64 v[8:9], v[0:1], v[6:7]
	s_waitcnt lgkmcnt(0)
	v_add_f64 v[2:3], v[2:3], v[14:15]
	ds_bpermute_b32 v14, v28, v8
	ds_bpermute_b32 v15, v28, v9
	;; [unrolled: 1-line block ×4, first 2 shown]
	s_and_saveexec_b64 s[2:3], vcc
	s_cbranch_execz .LBB680_24
; %bb.19:
	v_mov_b32_e32 v1, s13
	v_add_co_u32_e32 v0, vcc, s12, v4
	v_addc_co_u32_e32 v1, vcc, v1, v5, vcc
	s_and_saveexec_b64 s[2:3], s[0:1]
	s_cbranch_execz .LBB680_21
; %bb.20:
	s_waitcnt lgkmcnt(2)
	v_add_f64 v[4:5], v[8:9], v[14:15]
	v_div_scale_f64 v[8:9], s[4:5], v[4:5], v[4:5], v[12:13]
	v_rcp_f64_e32 v[14:15], v[8:9]
	v_div_scale_f64 v[16:17], vcc, v[12:13], v[4:5], v[12:13]
	v_fma_f64 v[18:19], -v[8:9], v[14:15], 1.0
	v_fmac_f64_e32 v[14:15], v[14:15], v[18:19]
	v_fma_f64 v[18:19], -v[8:9], v[14:15], 1.0
	v_fmac_f64_e32 v[14:15], v[14:15], v[18:19]
	v_mul_f64 v[18:19], v[16:17], v[14:15]
	v_fma_f64 v[8:9], -v[8:9], v[18:19], v[16:17]
	v_div_fmas_f64 v[8:9], v[8:9], v[14:15], v[18:19]
	v_div_fixup_f64 v[8:9], v[8:9], v[4:5], v[12:13]
	v_mov_b32_e32 v12, 0x7ff80000
	v_cmp_neq_f64_e32 vcc, 0, v[4:5]
	v_cndmask_b32_e32 v5, v12, v9, vcc
	v_cndmask_b32_e32 v4, 0, v8, vcc
	global_store_dwordx2 v[0:1], v[4:5], off
.LBB680_21:
	s_or_b64 exec, exec, s[2:3]
	v_cmp_ne_u32_e32 vcc, 1, v24
	s_and_b64 exec, exec, vcc
	s_cbranch_execz .LBB680_24
; %bb.22:
	s_and_b64 exec, exec, s[0:1]
	s_cbranch_execz .LBB680_24
; %bb.23:
	s_waitcnt lgkmcnt(0)
	v_add_f64 v[2:3], v[2:3], v[6:7]
	v_div_scale_f64 v[4:5], s[0:1], v[2:3], v[2:3], v[10:11]
	v_rcp_f64_e32 v[6:7], v[4:5]
	v_div_scale_f64 v[8:9], vcc, v[10:11], v[2:3], v[10:11]
	s_mov_b32 s11, 0
	v_fma_f64 v[12:13], -v[4:5], v[6:7], 1.0
	v_fmac_f64_e32 v[6:7], v[6:7], v[12:13]
	v_fma_f64 v[12:13], -v[4:5], v[6:7], 1.0
	v_fmac_f64_e32 v[6:7], v[6:7], v[12:13]
	v_mul_f64 v[12:13], v[8:9], v[6:7]
	v_fma_f64 v[4:5], -v[4:5], v[12:13], v[8:9]
	s_lshl_b64 s[0:1], s[10:11], 3
	v_div_fmas_f64 v[4:5], v[4:5], v[6:7], v[12:13]
	v_mov_b32_e32 v6, s1
	v_add_co_u32_e32 v0, vcc, s0, v0
	v_addc_co_u32_e32 v1, vcc, v1, v6, vcc
	v_div_fixup_f64 v[4:5], v[4:5], v[2:3], v[10:11]
	v_mov_b32_e32 v6, 0x7ff80000
	v_cmp_neq_f64_e32 vcc, 0, v[2:3]
	v_cndmask_b32_e32 v3, v6, v5, vcc
	v_cndmask_b32_e32 v2, 0, v4, vcc
	global_store_dwordx2 v[0:1], v[2:3], off
.LBB680_24:
	s_endpgm
	.section	.rodata,"a",@progbits
	.p2align	6, 0x0
	.amdhsa_kernel _ZN12_GLOBAL__N_120softmax_warp_forwardIdddLi4ELb0ELb1ELi64EEEvPT0_PKT_iiiPKbib
		.amdhsa_group_segment_fixed_size 0
		.amdhsa_private_segment_fixed_size 0
		.amdhsa_kernarg_size 304
		.amdhsa_user_sgpr_count 6
		.amdhsa_user_sgpr_private_segment_buffer 1
		.amdhsa_user_sgpr_dispatch_ptr 0
		.amdhsa_user_sgpr_queue_ptr 0
		.amdhsa_user_sgpr_kernarg_segment_ptr 1
		.amdhsa_user_sgpr_dispatch_id 0
		.amdhsa_user_sgpr_flat_scratch_init 0
		.amdhsa_user_sgpr_kernarg_preload_length 0
		.amdhsa_user_sgpr_kernarg_preload_offset 0
		.amdhsa_user_sgpr_private_segment_size 0
		.amdhsa_uses_dynamic_stack 0
		.amdhsa_system_sgpr_private_segment_wavefront_offset 0
		.amdhsa_system_sgpr_workgroup_id_x 1
		.amdhsa_system_sgpr_workgroup_id_y 0
		.amdhsa_system_sgpr_workgroup_id_z 0
		.amdhsa_system_sgpr_workgroup_info 0
		.amdhsa_system_vgpr_workitem_id 1
		.amdhsa_next_free_vgpr 29
		.amdhsa_next_free_sgpr 20
		.amdhsa_accum_offset 32
		.amdhsa_reserve_vcc 1
		.amdhsa_reserve_flat_scratch 0
		.amdhsa_float_round_mode_32 0
		.amdhsa_float_round_mode_16_64 0
		.amdhsa_float_denorm_mode_32 3
		.amdhsa_float_denorm_mode_16_64 3
		.amdhsa_dx10_clamp 1
		.amdhsa_ieee_mode 1
		.amdhsa_fp16_overflow 0
		.amdhsa_tg_split 0
		.amdhsa_exception_fp_ieee_invalid_op 0
		.amdhsa_exception_fp_denorm_src 0
		.amdhsa_exception_fp_ieee_div_zero 0
		.amdhsa_exception_fp_ieee_overflow 0
		.amdhsa_exception_fp_ieee_underflow 0
		.amdhsa_exception_fp_ieee_inexact 0
		.amdhsa_exception_int_div_zero 0
	.end_amdhsa_kernel
	.section	.text._ZN12_GLOBAL__N_120softmax_warp_forwardIdddLi4ELb0ELb1ELi64EEEvPT0_PKT_iiiPKbib,"axG",@progbits,_ZN12_GLOBAL__N_120softmax_warp_forwardIdddLi4ELb0ELb1ELi64EEEvPT0_PKT_iiiPKbib,comdat
.Lfunc_end680:
	.size	_ZN12_GLOBAL__N_120softmax_warp_forwardIdddLi4ELb0ELb1ELi64EEEvPT0_PKT_iiiPKbib, .Lfunc_end680-_ZN12_GLOBAL__N_120softmax_warp_forwardIdddLi4ELb0ELb1ELi64EEEvPT0_PKT_iiiPKbib
                                        ; -- End function
	.section	.AMDGPU.csdata,"",@progbits
; Kernel info:
; codeLenInByte = 2576
; NumSgprs: 24
; NumVgprs: 29
; NumAgprs: 0
; TotalNumVgprs: 29
; ScratchSize: 0
; MemoryBound: 0
; FloatMode: 240
; IeeeMode: 1
; LDSByteSize: 0 bytes/workgroup (compile time only)
; SGPRBlocks: 2
; VGPRBlocks: 3
; NumSGPRsForWavesPerEU: 24
; NumVGPRsForWavesPerEU: 29
; AccumOffset: 32
; Occupancy: 8
; WaveLimiterHint : 0
; COMPUTE_PGM_RSRC2:SCRATCH_EN: 0
; COMPUTE_PGM_RSRC2:USER_SGPR: 6
; COMPUTE_PGM_RSRC2:TRAP_HANDLER: 0
; COMPUTE_PGM_RSRC2:TGID_X_EN: 1
; COMPUTE_PGM_RSRC2:TGID_Y_EN: 0
; COMPUTE_PGM_RSRC2:TGID_Z_EN: 0
; COMPUTE_PGM_RSRC2:TIDIG_COMP_CNT: 1
; COMPUTE_PGM_RSRC3_GFX90A:ACCUM_OFFSET: 7
; COMPUTE_PGM_RSRC3_GFX90A:TG_SPLIT: 0
	.section	.text._ZN12_GLOBAL__N_120softmax_warp_forwardIdddLi4ELb0ELb1ELi32EEEvPT0_PKT_iiiPKbib,"axG",@progbits,_ZN12_GLOBAL__N_120softmax_warp_forwardIdddLi4ELb0ELb1ELi32EEEvPT0_PKT_iiiPKbib,comdat
	.globl	_ZN12_GLOBAL__N_120softmax_warp_forwardIdddLi4ELb0ELb1ELi32EEEvPT0_PKT_iiiPKbib ; -- Begin function _ZN12_GLOBAL__N_120softmax_warp_forwardIdddLi4ELb0ELb1ELi32EEEvPT0_PKT_iiiPKbib
	.p2align	8
	.type	_ZN12_GLOBAL__N_120softmax_warp_forwardIdddLi4ELb0ELb1ELi32EEEvPT0_PKT_iiiPKbib,@function
_ZN12_GLOBAL__N_120softmax_warp_forwardIdddLi4ELb0ELb1ELi32EEEvPT0_PKT_iiiPKbib: ; @_ZN12_GLOBAL__N_120softmax_warp_forwardIdddLi4ELb0ELb1ELi32EEEvPT0_PKT_iiiPKbib
; %bb.0:
	s_load_dwordx2 s[0:1], s[4:5], 0x28
	s_load_dword s2, s[4:5], 0x3c
	s_load_dwordx4 s[8:11], s[4:5], 0x10
	v_bfe_u32 v1, v0, 10, 10
	v_and_b32_e32 v2, 0x3ff, v0
	s_waitcnt lgkmcnt(0)
	s_bitcmp1_b32 s1, 0
	s_cselect_b64 s[16:17], -1, 0
	s_lshr_b32 s2, s2, 16
	s_mul_i32 s6, s6, s2
	v_add_lshl_u32 v3, s6, v1, 1
	v_mul_lo_u32 v6, v3, s9
	v_add_u32_e32 v4, v6, v2
	v_ashrrev_i32_e32 v5, 31, v4
	s_bitcmp0_b32 s1, 0
	v_pk_mov_b32 v[0:1], v[4:5], v[4:5] op_sel:[0,1]
	s_cbranch_scc1 .LBB681_2
; %bb.1:
	s_abs_i32 s1, s0
	v_cvt_f32_u32_e32 v0, s1
	v_xor_b32_e32 v1, s0, v6
	v_sub_u32_e32 v7, 0, v6
	s_sub_i32 s0, 0, s1
	v_rcp_iflag_f32_e32 v0, v0
	v_max_i32_e32 v6, v6, v7
	v_ashrrev_i32_e32 v1, 31, v1
	v_mul_f32_e32 v0, 0x4f7ffffe, v0
	v_cvt_u32_f32_e32 v0, v0
	v_mul_lo_u32 v7, s0, v0
	v_mul_hi_u32 v7, v0, v7
	v_add_u32_e32 v0, v0, v7
	v_mul_hi_u32 v0, v6, v0
	v_mul_lo_u32 v7, v0, s1
	v_sub_u32_e32 v6, v6, v7
	v_add_u32_e32 v8, 1, v0
	v_cmp_le_u32_e32 vcc, s1, v6
	v_subrev_u32_e32 v7, s1, v6
	v_cndmask_b32_e32 v0, v0, v8, vcc
	v_cndmask_b32_e32 v6, v6, v7, vcc
	v_add_u32_e32 v7, 1, v0
	v_cmp_le_u32_e32 vcc, s1, v6
	v_cndmask_b32_e32 v0, v0, v7, vcc
	v_xor_b32_e32 v0, v0, v1
	v_sub_u32_e32 v0, v0, v1
	v_mad_u64_u32 v[0:1], s[0:1], v0, s9, v[2:3]
	v_ashrrev_i32_e32 v1, 31, v0
.LBB681_2:
	s_load_dwordx4 s[12:15], s[4:5], 0x0
	v_lshlrev_b64 v[4:5], 3, v[4:5]
	v_sub_u32_e32 v24, s8, v3
	v_mov_b32_e32 v6, 0
	v_cmp_gt_i32_e64 s[0:1], s10, v2
	s_waitcnt lgkmcnt(0)
	v_mov_b32_e32 v3, s15
	v_add_co_u32_e32 v8, vcc, s14, v4
	v_addc_co_u32_e32 v9, vcc, v3, v5, vcc
	v_cmp_lt_i32_e32 vcc, 0, v24
	v_mov_b32_e32 v7, 0xfff00000
	s_and_b64 s[14:15], s[0:1], vcc
	v_pk_mov_b32 v[14:15], v[6:7], v[6:7] op_sel:[0,1]
	s_and_saveexec_b64 s[2:3], s[14:15]
	s_cbranch_execz .LBB681_4
; %bb.3:
	global_load_dwordx2 v[14:15], v[8:9], off
.LBB681_4:
	s_or_b64 exec, exec, s[2:3]
	v_cmp_lt_i32_e64 s[2:3], 1, v24
	s_and_b64 s[8:9], s[0:1], s[2:3]
	s_and_saveexec_b64 s[6:7], s[8:9]
	s_cbranch_execz .LBB681_6
; %bb.5:
	s_mov_b32 s11, 0
	s_lshl_b64 s[2:3], s[10:11], 3
	v_mov_b32_e32 v3, s3
	v_add_co_u32_e64 v2, s[2:3], s2, v8
	v_addc_co_u32_e64 v3, s[2:3], v9, v3, s[2:3]
	global_load_dwordx2 v[6:7], v[2:3], off
.LBB681_6:
	s_or_b64 exec, exec, s[6:7]
	s_load_dwordx2 s[2:3], s[4:5], 0x20
	s_waitcnt lgkmcnt(0)
	v_mov_b32_e32 v2, s3
	v_add_co_u32_e64 v8, s[2:3], s2, v0
	v_addc_co_u32_e64 v9, s[2:3], v2, v1, s[2:3]
	v_mov_b32_e32 v0, 0
	v_mov_b32_e32 v1, 0xfff00000
	s_and_saveexec_b64 s[4:5], s[14:15]
	s_cbranch_execz .LBB681_8
; %bb.7:
	global_load_ubyte v0, v[8:9], off
	v_mov_b32_e32 v1, 0xfff00000
	s_waitcnt vmcnt(0)
	v_and_b32_e32 v0, 1, v0
	v_cmp_eq_u32_e64 s[2:3], 1, v0
	v_cndmask_b32_e64 v1, v15, v1, s[2:3]
	v_cndmask_b32_e64 v0, v14, 0, s[2:3]
.LBB681_8:
	s_or_b64 exec, exec, s[4:5]
	s_mov_b64 s[4:5], 0
	s_and_saveexec_b64 s[6:7], s[8:9]
	s_cbranch_execz .LBB681_10
; %bb.9:
	s_and_b64 s[2:3], s[16:17], exec
	s_cselect_b32 s2, 0, 0
	s_cselect_b32 s3, 0, s10
	v_mov_b32_e32 v3, s2
	v_add_co_u32_e64 v2, s[2:3], s3, v8
	v_addc_co_u32_e64 v3, s[2:3], v9, v3, s[2:3]
	global_load_ubyte v2, v[2:3], off
	s_waitcnt vmcnt(0)
	v_and_b32_e32 v2, 1, v2
	v_cmp_eq_u32_e64 s[2:3], 1, v2
	s_xor_b64 s[2:3], s[2:3], -1
	s_and_b64 s[4:5], s[2:3], exec
.LBB681_10:
	s_or_b64 exec, exec, s[6:7]
	v_mov_b32_e32 v2, 0xfff00000
	s_waitcnt vmcnt(0)
	v_cndmask_b32_e64 v3, v2, v7, s[4:5]
	v_mbcnt_lo_u32_b32 v2, -1, 0
	v_mbcnt_hi_u32_b32 v18, -1, v2
	v_and_b32_e32 v2, 0x70, v18
	v_add_u32_e32 v19, 16, v2
	v_xor_b32_e32 v2, 8, v18
	v_cmp_lt_i32_e64 s[2:3], v2, v19
	v_cndmask_b32_e64 v2, v18, v2, s[2:3]
	v_lshlrev_b32_e32 v25, 2, v2
	ds_bpermute_b32 v10, v25, v0
	ds_bpermute_b32 v11, v25, v1
	v_cndmask_b32_e64 v2, 0, v6, s[4:5]
	ds_bpermute_b32 v12, v25, v2
	ds_bpermute_b32 v13, v25, v3
	s_waitcnt lgkmcnt(2)
	v_cmp_lt_f64_e64 s[2:3], v[0:1], v[10:11]
	v_cndmask_b32_e64 v0, v0, v10, s[2:3]
	v_xor_b32_e32 v10, 4, v18
	v_cmp_lt_i32_e64 s[4:5], v10, v19
	v_cndmask_b32_e64 v10, v18, v10, s[4:5]
	v_cndmask_b32_e64 v1, v1, v11, s[2:3]
	v_lshlrev_b32_e32 v26, 2, v10
	ds_bpermute_b32 v10, v26, v0
	ds_bpermute_b32 v11, v26, v1
	s_waitcnt lgkmcnt(2)
	v_cmp_lt_f64_e64 s[2:3], v[2:3], v[12:13]
	v_cndmask_b32_e64 v3, v3, v13, s[2:3]
	v_cndmask_b32_e64 v2, v2, v12, s[2:3]
	ds_bpermute_b32 v12, v26, v2
	ds_bpermute_b32 v13, v26, v3
	s_waitcnt lgkmcnt(2)
	v_cmp_lt_f64_e64 s[2:3], v[0:1], v[10:11]
	v_cndmask_b32_e64 v0, v0, v10, s[2:3]
	v_xor_b32_e32 v10, 2, v18
	v_cmp_lt_i32_e64 s[4:5], v10, v19
	v_cndmask_b32_e64 v10, v18, v10, s[4:5]
	v_cndmask_b32_e64 v1, v1, v11, s[2:3]
	s_waitcnt lgkmcnt(0)
	v_cmp_lt_f64_e64 s[2:3], v[2:3], v[12:13]
	v_lshlrev_b32_e32 v27, 2, v10
	v_cndmask_b32_e64 v3, v3, v13, s[2:3]
	ds_bpermute_b32 v10, v27, v0
	ds_bpermute_b32 v11, v27, v1
	v_cndmask_b32_e64 v2, v2, v12, s[2:3]
	ds_bpermute_b32 v12, v27, v2
	ds_bpermute_b32 v13, v27, v3
	s_mov_b32 s4, 0
	s_waitcnt lgkmcnt(2)
	v_cmp_lt_f64_e64 s[2:3], v[0:1], v[10:11]
	v_cndmask_b32_e64 v21, v1, v11, s[2:3]
	v_cndmask_b32_e64 v20, v0, v10, s[2:3]
	s_waitcnt lgkmcnt(0)
	v_cmp_lt_f64_e64 s[2:3], v[2:3], v[12:13]
	v_xor_b32_e32 v0, 1, v18
	v_cndmask_b32_e64 v17, v3, v13, s[2:3]
	v_cndmask_b32_e64 v16, v2, v12, s[2:3]
	v_cmp_lt_i32_e64 s[2:3], v0, v19
	v_cndmask_b32_e64 v0, v18, v0, s[2:3]
	v_lshlrev_b32_e32 v28, 2, v0
	ds_bpermute_b32 v22, v28, v20
	ds_bpermute_b32 v23, v28, v21
	;; [unrolled: 1-line block ×4, first 2 shown]
	s_mov_b32 s5, s4
	s_mov_b32 s6, s4
	;; [unrolled: 1-line block ×3, first 2 shown]
	v_pk_mov_b32 v[10:11], 0, 0
	v_pk_mov_b32 v[0:1], s[4:5], s[4:5] op_sel:[0,1]
	v_pk_mov_b32 v[2:3], s[6:7], s[6:7] op_sel:[0,1]
	;; [unrolled: 1-line block ×3, first 2 shown]
	s_and_saveexec_b64 s[18:19], s[14:15]
	s_cbranch_execz .LBB681_14
; %bb.11:
	global_load_ubyte v12, v[8:9], off
	v_pk_mov_b32 v[0:1], s[4:5], s[4:5] op_sel:[0,1]
	v_pk_mov_b32 v[2:3], s[6:7], s[6:7] op_sel:[0,1]
	s_waitcnt vmcnt(0)
	v_and_b32_e32 v12, 1, v12
	v_cmp_eq_u32_e64 s[2:3], 1, v12
	s_xor_b64 s[2:3], s[2:3], -1
	v_pk_mov_b32 v[12:13], 0, 0
	s_and_saveexec_b64 s[6:7], s[2:3]
	s_cbranch_execz .LBB681_13
; %bb.12:
	s_waitcnt lgkmcnt(2)
	v_cmp_lt_f64_e64 s[2:3], v[20:21], v[22:23]
	v_cndmask_b32_e64 v1, v21, v23, s[2:3]
	v_cndmask_b32_e64 v0, v20, v22, s[2:3]
	s_mov_b32 s2, 0x652b82fe
	v_add_f64 v[0:1], v[14:15], -v[0:1]
	s_mov_b32 s3, 0x3ff71547
	v_mul_f64 v[2:3], v[0:1], s[2:3]
	s_mov_b32 s2, 0xfefa39ef
	v_rndne_f64_e32 v[2:3], v[2:3]
	s_mov_b32 s3, 0xbfe62e42
	v_fma_f64 v[12:13], s[2:3], v[2:3], v[0:1]
	s_mov_b32 s2, 0x3b39803f
	s_mov_b32 s3, 0xbc7abc9e
	v_fmac_f64_e32 v[12:13], s[2:3], v[2:3]
	s_mov_b32 s2, 0x6a5dcb37
	v_mov_b32_e32 v14, 0xfca7ab0c
	v_mov_b32_e32 v15, 0x3e928af3
	s_mov_b32 s3, 0x3e5ade15
	v_fmac_f64_e32 v[14:15], s[2:3], v[12:13]
	v_mov_b32_e32 v20, 0x623fde64
	v_mov_b32_e32 v21, 0x3ec71dee
	v_fmac_f64_e32 v[20:21], v[12:13], v[14:15]
	v_mov_b32_e32 v14, 0x7c89e6b0
	v_mov_b32_e32 v15, 0x3efa0199
	;; [unrolled: 3-line block ×8, first 2 shown]
	v_fmac_f64_e32 v[14:15], v[12:13], v[20:21]
	v_fma_f64 v[14:15], v[12:13], v[14:15], 1.0
	s_mov_b32 s2, 0
	s_mov_b32 s4, 0
	v_fma_f64 v[12:13], v[12:13], v[14:15], 1.0
	v_cvt_i32_f64_e32 v2, v[2:3]
	s_mov_b32 s3, 0x40900000
	s_mov_b32 s5, 0xc090cc00
	v_ldexp_f64 v[12:13], v[12:13], v2
	v_mov_b32_e32 v2, 0x7ff00000
	v_cmp_nlt_f64_e64 s[2:3], s[2:3], v[0:1]
	v_cmp_ngt_f64_e64 s[4:5], s[4:5], v[0:1]
	v_cndmask_b32_e64 v3, v2, v13, s[2:3]
	s_and_b64 s[2:3], s[4:5], s[2:3]
	v_mov_b32_e32 v2, 0
	v_cndmask_b32_e64 v13, 0, v3, s[4:5]
	v_cndmask_b32_e64 v12, 0, v12, s[2:3]
	v_add_f64 v[0:1], v[12:13], 0
	v_mov_b32_e32 v3, v2
.LBB681_13:
	s_or_b64 exec, exec, s[6:7]
.LBB681_14:
	s_or_b64 exec, exec, s[18:19]
	s_and_saveexec_b64 s[6:7], s[8:9]
	s_cbranch_execz .LBB681_18
; %bb.15:
	s_and_b64 s[2:3], s[16:17], exec
	s_cselect_b32 s2, 0, 0
	s_cselect_b32 s3, 0, s10
	v_mov_b32_e32 v10, s2
	v_add_co_u32_e64 v8, s[2:3], s3, v8
	v_addc_co_u32_e64 v9, s[2:3], v9, v10, s[2:3]
	global_load_ubyte v8, v[8:9], off
	v_pk_mov_b32 v[10:11], 0, 0
	s_waitcnt vmcnt(0)
	v_and_b32_e32 v8, 1, v8
	v_cmp_eq_u32_e64 s[2:3], 1, v8
	s_xor_b64 s[2:3], s[2:3], -1
	s_and_saveexec_b64 s[8:9], s[2:3]
	s_cbranch_execz .LBB681_17
; %bb.16:
	s_waitcnt lgkmcnt(0)
	v_cmp_lt_f64_e64 s[2:3], v[16:17], v[18:19]
	v_cndmask_b32_e64 v9, v17, v19, s[2:3]
	v_cndmask_b32_e64 v8, v16, v18, s[2:3]
	s_mov_b32 s2, 0x652b82fe
	v_add_f64 v[6:7], v[6:7], -v[8:9]
	s_mov_b32 s3, 0x3ff71547
	v_mul_f64 v[8:9], v[6:7], s[2:3]
	s_mov_b32 s2, 0xfefa39ef
	v_rndne_f64_e32 v[8:9], v[8:9]
	s_mov_b32 s3, 0xbfe62e42
	v_fma_f64 v[10:11], s[2:3], v[8:9], v[6:7]
	s_mov_b32 s2, 0x3b39803f
	s_mov_b32 s3, 0xbc7abc9e
	v_fmac_f64_e32 v[10:11], s[2:3], v[8:9]
	s_mov_b32 s2, 0x6a5dcb37
	v_mov_b32_e32 v14, 0xfca7ab0c
	v_mov_b32_e32 v15, 0x3e928af3
	s_mov_b32 s3, 0x3e5ade15
	v_fmac_f64_e32 v[14:15], s[2:3], v[10:11]
	v_mov_b32_e32 v16, 0x623fde64
	v_mov_b32_e32 v17, 0x3ec71dee
	v_fmac_f64_e32 v[16:17], v[10:11], v[14:15]
	v_mov_b32_e32 v14, 0x7c89e6b0
	v_mov_b32_e32 v15, 0x3efa0199
	;; [unrolled: 3-line block ×8, first 2 shown]
	v_fmac_f64_e32 v[14:15], v[10:11], v[16:17]
	v_fma_f64 v[14:15], v[10:11], v[14:15], 1.0
	s_mov_b32 s2, 0
	s_mov_b32 s4, 0
	v_fma_f64 v[10:11], v[10:11], v[14:15], 1.0
	v_cvt_i32_f64_e32 v8, v[8:9]
	s_mov_b32 s3, 0x40900000
	s_mov_b32 s5, 0xc090cc00
	v_ldexp_f64 v[8:9], v[10:11], v8
	v_mov_b32_e32 v10, 0x7ff00000
	v_cmp_nlt_f64_e64 s[2:3], s[2:3], v[6:7]
	v_cmp_ngt_f64_e64 s[4:5], s[4:5], v[6:7]
	v_cndmask_b32_e64 v9, v10, v9, s[2:3]
	s_and_b64 s[2:3], s[4:5], s[2:3]
	v_cndmask_b32_e64 v11, 0, v9, s[4:5]
	v_cndmask_b32_e64 v10, 0, v8, s[2:3]
	v_add_f64 v[2:3], v[2:3], v[10:11]
.LBB681_17:
	s_or_b64 exec, exec, s[8:9]
.LBB681_18:
	s_or_b64 exec, exec, s[6:7]
	ds_bpermute_b32 v6, v25, v0
	ds_bpermute_b32 v7, v25, v1
	;; [unrolled: 1-line block ×4, first 2 shown]
	s_waitcnt lgkmcnt(2)
	v_add_f64 v[0:1], v[0:1], v[6:7]
	ds_bpermute_b32 v6, v26, v0
	s_waitcnt lgkmcnt(1)
	v_add_f64 v[2:3], v[2:3], v[8:9]
	ds_bpermute_b32 v7, v26, v1
	ds_bpermute_b32 v8, v26, v2
	ds_bpermute_b32 v9, v26, v3
	s_waitcnt lgkmcnt(2)
	v_add_f64 v[0:1], v[0:1], v[6:7]
	ds_bpermute_b32 v6, v27, v0
	s_waitcnt lgkmcnt(1)
	v_add_f64 v[2:3], v[2:3], v[8:9]
	ds_bpermute_b32 v7, v27, v1
	ds_bpermute_b32 v14, v27, v2
	;; [unrolled: 1-line block ×3, first 2 shown]
	s_waitcnt lgkmcnt(2)
	v_add_f64 v[8:9], v[0:1], v[6:7]
	s_waitcnt lgkmcnt(0)
	v_add_f64 v[2:3], v[2:3], v[14:15]
	ds_bpermute_b32 v14, v28, v8
	ds_bpermute_b32 v15, v28, v9
	;; [unrolled: 1-line block ×4, first 2 shown]
	s_and_saveexec_b64 s[2:3], vcc
	s_cbranch_execz .LBB681_24
; %bb.19:
	v_mov_b32_e32 v1, s13
	v_add_co_u32_e32 v0, vcc, s12, v4
	v_addc_co_u32_e32 v1, vcc, v1, v5, vcc
	s_and_saveexec_b64 s[2:3], s[0:1]
	s_cbranch_execz .LBB681_21
; %bb.20:
	s_waitcnt lgkmcnt(2)
	v_add_f64 v[4:5], v[8:9], v[14:15]
	v_div_scale_f64 v[8:9], s[4:5], v[4:5], v[4:5], v[12:13]
	v_rcp_f64_e32 v[14:15], v[8:9]
	v_div_scale_f64 v[16:17], vcc, v[12:13], v[4:5], v[12:13]
	v_fma_f64 v[18:19], -v[8:9], v[14:15], 1.0
	v_fmac_f64_e32 v[14:15], v[14:15], v[18:19]
	v_fma_f64 v[18:19], -v[8:9], v[14:15], 1.0
	v_fmac_f64_e32 v[14:15], v[14:15], v[18:19]
	v_mul_f64 v[18:19], v[16:17], v[14:15]
	v_fma_f64 v[8:9], -v[8:9], v[18:19], v[16:17]
	v_div_fmas_f64 v[8:9], v[8:9], v[14:15], v[18:19]
	v_div_fixup_f64 v[8:9], v[8:9], v[4:5], v[12:13]
	v_mov_b32_e32 v12, 0x7ff80000
	v_cmp_neq_f64_e32 vcc, 0, v[4:5]
	v_cndmask_b32_e32 v5, v12, v9, vcc
	v_cndmask_b32_e32 v4, 0, v8, vcc
	global_store_dwordx2 v[0:1], v[4:5], off
.LBB681_21:
	s_or_b64 exec, exec, s[2:3]
	v_cmp_ne_u32_e32 vcc, 1, v24
	s_and_b64 exec, exec, vcc
	s_cbranch_execz .LBB681_24
; %bb.22:
	s_and_b64 exec, exec, s[0:1]
	s_cbranch_execz .LBB681_24
; %bb.23:
	s_waitcnt lgkmcnt(0)
	v_add_f64 v[2:3], v[2:3], v[6:7]
	v_div_scale_f64 v[4:5], s[0:1], v[2:3], v[2:3], v[10:11]
	v_rcp_f64_e32 v[6:7], v[4:5]
	v_div_scale_f64 v[8:9], vcc, v[10:11], v[2:3], v[10:11]
	s_mov_b32 s11, 0
	v_fma_f64 v[12:13], -v[4:5], v[6:7], 1.0
	v_fmac_f64_e32 v[6:7], v[6:7], v[12:13]
	v_fma_f64 v[12:13], -v[4:5], v[6:7], 1.0
	v_fmac_f64_e32 v[6:7], v[6:7], v[12:13]
	v_mul_f64 v[12:13], v[8:9], v[6:7]
	v_fma_f64 v[4:5], -v[4:5], v[12:13], v[8:9]
	s_lshl_b64 s[0:1], s[10:11], 3
	v_div_fmas_f64 v[4:5], v[4:5], v[6:7], v[12:13]
	v_mov_b32_e32 v6, s1
	v_add_co_u32_e32 v0, vcc, s0, v0
	v_addc_co_u32_e32 v1, vcc, v1, v6, vcc
	v_div_fixup_f64 v[4:5], v[4:5], v[2:3], v[10:11]
	v_mov_b32_e32 v6, 0x7ff80000
	v_cmp_neq_f64_e32 vcc, 0, v[2:3]
	v_cndmask_b32_e32 v3, v6, v5, vcc
	v_cndmask_b32_e32 v2, 0, v4, vcc
	global_store_dwordx2 v[0:1], v[2:3], off
.LBB681_24:
	s_endpgm
	.section	.rodata,"a",@progbits
	.p2align	6, 0x0
	.amdhsa_kernel _ZN12_GLOBAL__N_120softmax_warp_forwardIdddLi4ELb0ELb1ELi32EEEvPT0_PKT_iiiPKbib
		.amdhsa_group_segment_fixed_size 0
		.amdhsa_private_segment_fixed_size 0
		.amdhsa_kernarg_size 304
		.amdhsa_user_sgpr_count 6
		.amdhsa_user_sgpr_private_segment_buffer 1
		.amdhsa_user_sgpr_dispatch_ptr 0
		.amdhsa_user_sgpr_queue_ptr 0
		.amdhsa_user_sgpr_kernarg_segment_ptr 1
		.amdhsa_user_sgpr_dispatch_id 0
		.amdhsa_user_sgpr_flat_scratch_init 0
		.amdhsa_user_sgpr_kernarg_preload_length 0
		.amdhsa_user_sgpr_kernarg_preload_offset 0
		.amdhsa_user_sgpr_private_segment_size 0
		.amdhsa_uses_dynamic_stack 0
		.amdhsa_system_sgpr_private_segment_wavefront_offset 0
		.amdhsa_system_sgpr_workgroup_id_x 1
		.amdhsa_system_sgpr_workgroup_id_y 0
		.amdhsa_system_sgpr_workgroup_id_z 0
		.amdhsa_system_sgpr_workgroup_info 0
		.amdhsa_system_vgpr_workitem_id 1
		.amdhsa_next_free_vgpr 29
		.amdhsa_next_free_sgpr 20
		.amdhsa_accum_offset 32
		.amdhsa_reserve_vcc 1
		.amdhsa_reserve_flat_scratch 0
		.amdhsa_float_round_mode_32 0
		.amdhsa_float_round_mode_16_64 0
		.amdhsa_float_denorm_mode_32 3
		.amdhsa_float_denorm_mode_16_64 3
		.amdhsa_dx10_clamp 1
		.amdhsa_ieee_mode 1
		.amdhsa_fp16_overflow 0
		.amdhsa_tg_split 0
		.amdhsa_exception_fp_ieee_invalid_op 0
		.amdhsa_exception_fp_denorm_src 0
		.amdhsa_exception_fp_ieee_div_zero 0
		.amdhsa_exception_fp_ieee_overflow 0
		.amdhsa_exception_fp_ieee_underflow 0
		.amdhsa_exception_fp_ieee_inexact 0
		.amdhsa_exception_int_div_zero 0
	.end_amdhsa_kernel
	.section	.text._ZN12_GLOBAL__N_120softmax_warp_forwardIdddLi4ELb0ELb1ELi32EEEvPT0_PKT_iiiPKbib,"axG",@progbits,_ZN12_GLOBAL__N_120softmax_warp_forwardIdddLi4ELb0ELb1ELi32EEEvPT0_PKT_iiiPKbib,comdat
.Lfunc_end681:
	.size	_ZN12_GLOBAL__N_120softmax_warp_forwardIdddLi4ELb0ELb1ELi32EEEvPT0_PKT_iiiPKbib, .Lfunc_end681-_ZN12_GLOBAL__N_120softmax_warp_forwardIdddLi4ELb0ELb1ELi32EEEvPT0_PKT_iiiPKbib
                                        ; -- End function
	.section	.AMDGPU.csdata,"",@progbits
; Kernel info:
; codeLenInByte = 2576
; NumSgprs: 24
; NumVgprs: 29
; NumAgprs: 0
; TotalNumVgprs: 29
; ScratchSize: 0
; MemoryBound: 0
; FloatMode: 240
; IeeeMode: 1
; LDSByteSize: 0 bytes/workgroup (compile time only)
; SGPRBlocks: 2
; VGPRBlocks: 3
; NumSGPRsForWavesPerEU: 24
; NumVGPRsForWavesPerEU: 29
; AccumOffset: 32
; Occupancy: 8
; WaveLimiterHint : 0
; COMPUTE_PGM_RSRC2:SCRATCH_EN: 0
; COMPUTE_PGM_RSRC2:USER_SGPR: 6
; COMPUTE_PGM_RSRC2:TRAP_HANDLER: 0
; COMPUTE_PGM_RSRC2:TGID_X_EN: 1
; COMPUTE_PGM_RSRC2:TGID_Y_EN: 0
; COMPUTE_PGM_RSRC2:TGID_Z_EN: 0
; COMPUTE_PGM_RSRC2:TIDIG_COMP_CNT: 1
; COMPUTE_PGM_RSRC3_GFX90A:ACCUM_OFFSET: 7
; COMPUTE_PGM_RSRC3_GFX90A:TG_SPLIT: 0
	.section	.text._ZN12_GLOBAL__N_120softmax_warp_forwardIdddLi5ELb0ELb1ELi64EEEvPT0_PKT_iiiPKbib,"axG",@progbits,_ZN12_GLOBAL__N_120softmax_warp_forwardIdddLi5ELb0ELb1ELi64EEEvPT0_PKT_iiiPKbib,comdat
	.globl	_ZN12_GLOBAL__N_120softmax_warp_forwardIdddLi5ELb0ELb1ELi64EEEvPT0_PKT_iiiPKbib ; -- Begin function _ZN12_GLOBAL__N_120softmax_warp_forwardIdddLi5ELb0ELb1ELi64EEEvPT0_PKT_iiiPKbib
	.p2align	8
	.type	_ZN12_GLOBAL__N_120softmax_warp_forwardIdddLi5ELb0ELb1ELi64EEEvPT0_PKT_iiiPKbib,@function
_ZN12_GLOBAL__N_120softmax_warp_forwardIdddLi5ELb0ELb1ELi64EEEvPT0_PKT_iiiPKbib: ; @_ZN12_GLOBAL__N_120softmax_warp_forwardIdddLi5ELb0ELb1ELi64EEEvPT0_PKT_iiiPKbib
; %bb.0:
	s_load_dwordx2 s[0:1], s[4:5], 0x28
	s_load_dword s2, s[4:5], 0x3c
	s_load_dwordx4 s[8:11], s[4:5], 0x10
	v_bfe_u32 v1, v0, 10, 10
	v_and_b32_e32 v2, 0x3ff, v0
	s_waitcnt lgkmcnt(0)
	s_bitcmp1_b32 s1, 0
	s_cselect_b64 s[16:17], -1, 0
	s_lshr_b32 s2, s2, 16
	s_mul_i32 s6, s6, s2
	v_add_lshl_u32 v3, s6, v1, 1
	v_mul_lo_u32 v6, v3, s9
	v_add_u32_e32 v4, v6, v2
	v_ashrrev_i32_e32 v5, 31, v4
	s_bitcmp0_b32 s1, 0
	v_pk_mov_b32 v[0:1], v[4:5], v[4:5] op_sel:[0,1]
	s_cbranch_scc1 .LBB682_2
; %bb.1:
	s_abs_i32 s1, s0
	v_cvt_f32_u32_e32 v0, s1
	v_xor_b32_e32 v1, s0, v6
	v_sub_u32_e32 v7, 0, v6
	s_sub_i32 s0, 0, s1
	v_rcp_iflag_f32_e32 v0, v0
	v_max_i32_e32 v6, v6, v7
	v_ashrrev_i32_e32 v1, 31, v1
	v_mul_f32_e32 v0, 0x4f7ffffe, v0
	v_cvt_u32_f32_e32 v0, v0
	v_mul_lo_u32 v7, s0, v0
	v_mul_hi_u32 v7, v0, v7
	v_add_u32_e32 v0, v0, v7
	v_mul_hi_u32 v0, v6, v0
	v_mul_lo_u32 v7, v0, s1
	v_sub_u32_e32 v6, v6, v7
	v_add_u32_e32 v8, 1, v0
	v_cmp_le_u32_e32 vcc, s1, v6
	v_subrev_u32_e32 v7, s1, v6
	v_cndmask_b32_e32 v0, v0, v8, vcc
	v_cndmask_b32_e32 v6, v6, v7, vcc
	v_add_u32_e32 v7, 1, v0
	v_cmp_le_u32_e32 vcc, s1, v6
	v_cndmask_b32_e32 v0, v0, v7, vcc
	v_xor_b32_e32 v0, v0, v1
	v_sub_u32_e32 v0, v0, v1
	v_mad_u64_u32 v[0:1], s[0:1], v0, s9, v[2:3]
	v_ashrrev_i32_e32 v1, 31, v0
.LBB682_2:
	s_load_dwordx4 s[12:15], s[4:5], 0x0
	v_lshlrev_b64 v[4:5], 3, v[4:5]
	v_sub_u32_e32 v24, s8, v3
	v_mov_b32_e32 v6, 0
	v_cmp_gt_i32_e64 s[0:1], s10, v2
	s_waitcnt lgkmcnt(0)
	v_mov_b32_e32 v3, s15
	v_add_co_u32_e32 v8, vcc, s14, v4
	v_addc_co_u32_e32 v9, vcc, v3, v5, vcc
	v_cmp_lt_i32_e32 vcc, 0, v24
	v_mov_b32_e32 v7, 0xfff00000
	s_and_b64 s[14:15], s[0:1], vcc
	v_pk_mov_b32 v[14:15], v[6:7], v[6:7] op_sel:[0,1]
	s_and_saveexec_b64 s[2:3], s[14:15]
	s_cbranch_execz .LBB682_4
; %bb.3:
	global_load_dwordx2 v[14:15], v[8:9], off
.LBB682_4:
	s_or_b64 exec, exec, s[2:3]
	v_cmp_lt_i32_e64 s[2:3], 1, v24
	s_and_b64 s[8:9], s[0:1], s[2:3]
	s_and_saveexec_b64 s[6:7], s[8:9]
	s_cbranch_execz .LBB682_6
; %bb.5:
	s_mov_b32 s11, 0
	s_lshl_b64 s[2:3], s[10:11], 3
	v_mov_b32_e32 v3, s3
	v_add_co_u32_e64 v2, s[2:3], s2, v8
	v_addc_co_u32_e64 v3, s[2:3], v9, v3, s[2:3]
	global_load_dwordx2 v[6:7], v[2:3], off
.LBB682_6:
	s_or_b64 exec, exec, s[6:7]
	s_load_dwordx2 s[2:3], s[4:5], 0x20
	s_waitcnt lgkmcnt(0)
	v_mov_b32_e32 v2, s3
	v_add_co_u32_e64 v8, s[2:3], s2, v0
	v_addc_co_u32_e64 v9, s[2:3], v2, v1, s[2:3]
	v_mov_b32_e32 v0, 0
	v_mov_b32_e32 v1, 0xfff00000
	s_and_saveexec_b64 s[4:5], s[14:15]
	s_cbranch_execz .LBB682_8
; %bb.7:
	global_load_ubyte v0, v[8:9], off
	v_mov_b32_e32 v1, 0xfff00000
	s_waitcnt vmcnt(0)
	v_and_b32_e32 v0, 1, v0
	v_cmp_eq_u32_e64 s[2:3], 1, v0
	v_cndmask_b32_e64 v1, v15, v1, s[2:3]
	v_cndmask_b32_e64 v0, v14, 0, s[2:3]
.LBB682_8:
	s_or_b64 exec, exec, s[4:5]
	s_mov_b64 s[4:5], 0
	s_and_saveexec_b64 s[6:7], s[8:9]
	s_cbranch_execz .LBB682_10
; %bb.9:
	s_and_b64 s[2:3], s[16:17], exec
	s_cselect_b32 s2, 0, 0
	s_cselect_b32 s3, 0, s10
	v_mov_b32_e32 v3, s2
	v_add_co_u32_e64 v2, s[2:3], s3, v8
	v_addc_co_u32_e64 v3, s[2:3], v9, v3, s[2:3]
	global_load_ubyte v2, v[2:3], off
	s_waitcnt vmcnt(0)
	v_and_b32_e32 v2, 1, v2
	v_cmp_eq_u32_e64 s[2:3], 1, v2
	s_xor_b64 s[2:3], s[2:3], -1
	s_and_b64 s[4:5], s[2:3], exec
.LBB682_10:
	s_or_b64 exec, exec, s[6:7]
	v_mov_b32_e32 v2, 0xfff00000
	s_waitcnt vmcnt(0)
	v_cndmask_b32_e64 v3, v2, v7, s[4:5]
	v_mbcnt_lo_u32_b32 v2, -1, 0
	v_mbcnt_hi_u32_b32 v18, -1, v2
	v_and_b32_e32 v2, 0x60, v18
	v_add_u32_e32 v19, 32, v2
	v_xor_b32_e32 v2, 16, v18
	v_cmp_lt_i32_e64 s[2:3], v2, v19
	v_cndmask_b32_e64 v2, v18, v2, s[2:3]
	v_lshlrev_b32_e32 v25, 2, v2
	ds_bpermute_b32 v10, v25, v0
	ds_bpermute_b32 v11, v25, v1
	v_cndmask_b32_e64 v2, 0, v6, s[4:5]
	ds_bpermute_b32 v12, v25, v2
	ds_bpermute_b32 v13, v25, v3
	s_waitcnt lgkmcnt(2)
	v_cmp_lt_f64_e64 s[2:3], v[0:1], v[10:11]
	v_cndmask_b32_e64 v0, v0, v10, s[2:3]
	v_xor_b32_e32 v10, 8, v18
	v_cmp_lt_i32_e64 s[4:5], v10, v19
	v_cndmask_b32_e64 v10, v18, v10, s[4:5]
	v_cndmask_b32_e64 v1, v1, v11, s[2:3]
	v_lshlrev_b32_e32 v26, 2, v10
	ds_bpermute_b32 v10, v26, v0
	ds_bpermute_b32 v11, v26, v1
	s_waitcnt lgkmcnt(2)
	v_cmp_lt_f64_e64 s[2:3], v[2:3], v[12:13]
	v_cndmask_b32_e64 v3, v3, v13, s[2:3]
	v_cndmask_b32_e64 v2, v2, v12, s[2:3]
	ds_bpermute_b32 v12, v26, v2
	s_waitcnt lgkmcnt(1)
	v_cmp_lt_f64_e64 s[2:3], v[0:1], v[10:11]
	v_cndmask_b32_e64 v0, v0, v10, s[2:3]
	v_xor_b32_e32 v10, 4, v18
	ds_bpermute_b32 v13, v26, v3
	v_cmp_lt_i32_e64 s[4:5], v10, v19
	v_cndmask_b32_e64 v10, v18, v10, s[4:5]
	v_cndmask_b32_e64 v1, v1, v11, s[2:3]
	v_lshlrev_b32_e32 v27, 2, v10
	ds_bpermute_b32 v10, v27, v0
	ds_bpermute_b32 v11, v27, v1
	s_waitcnt lgkmcnt(2)
	v_cmp_lt_f64_e64 s[2:3], v[2:3], v[12:13]
	v_cndmask_b32_e64 v3, v3, v13, s[2:3]
	v_cndmask_b32_e64 v2, v2, v12, s[2:3]
	ds_bpermute_b32 v12, v27, v2
	ds_bpermute_b32 v13, v27, v3
	s_waitcnt lgkmcnt(2)
	v_cmp_lt_f64_e64 s[2:3], v[0:1], v[10:11]
	v_cndmask_b32_e64 v0, v0, v10, s[2:3]
	v_xor_b32_e32 v10, 2, v18
	v_cmp_lt_i32_e64 s[4:5], v10, v19
	v_cndmask_b32_e64 v10, v18, v10, s[4:5]
	v_cndmask_b32_e64 v1, v1, v11, s[2:3]
	s_waitcnt lgkmcnt(0)
	v_cmp_lt_f64_e64 s[2:3], v[2:3], v[12:13]
	v_lshlrev_b32_e32 v28, 2, v10
	v_cndmask_b32_e64 v3, v3, v13, s[2:3]
	ds_bpermute_b32 v10, v28, v0
	ds_bpermute_b32 v11, v28, v1
	v_cndmask_b32_e64 v2, v2, v12, s[2:3]
	ds_bpermute_b32 v12, v28, v2
	ds_bpermute_b32 v13, v28, v3
	s_mov_b32 s4, 0
	s_waitcnt lgkmcnt(2)
	v_cmp_lt_f64_e64 s[2:3], v[0:1], v[10:11]
	v_cndmask_b32_e64 v21, v1, v11, s[2:3]
	v_cndmask_b32_e64 v20, v0, v10, s[2:3]
	s_waitcnt lgkmcnt(0)
	v_cmp_lt_f64_e64 s[2:3], v[2:3], v[12:13]
	v_xor_b32_e32 v0, 1, v18
	v_cndmask_b32_e64 v17, v3, v13, s[2:3]
	v_cndmask_b32_e64 v16, v2, v12, s[2:3]
	v_cmp_lt_i32_e64 s[2:3], v0, v19
	v_cndmask_b32_e64 v0, v18, v0, s[2:3]
	v_lshlrev_b32_e32 v29, 2, v0
	ds_bpermute_b32 v22, v29, v20
	ds_bpermute_b32 v23, v29, v21
	;; [unrolled: 1-line block ×4, first 2 shown]
	s_mov_b32 s5, s4
	s_mov_b32 s6, s4
	;; [unrolled: 1-line block ×3, first 2 shown]
	v_pk_mov_b32 v[10:11], 0, 0
	v_pk_mov_b32 v[0:1], s[4:5], s[4:5] op_sel:[0,1]
	v_pk_mov_b32 v[2:3], s[6:7], s[6:7] op_sel:[0,1]
	;; [unrolled: 1-line block ×3, first 2 shown]
	s_and_saveexec_b64 s[18:19], s[14:15]
	s_cbranch_execz .LBB682_14
; %bb.11:
	global_load_ubyte v12, v[8:9], off
	v_pk_mov_b32 v[0:1], s[4:5], s[4:5] op_sel:[0,1]
	v_pk_mov_b32 v[2:3], s[6:7], s[6:7] op_sel:[0,1]
	s_waitcnt vmcnt(0)
	v_and_b32_e32 v12, 1, v12
	v_cmp_eq_u32_e64 s[2:3], 1, v12
	s_xor_b64 s[2:3], s[2:3], -1
	v_pk_mov_b32 v[12:13], 0, 0
	s_and_saveexec_b64 s[6:7], s[2:3]
	s_cbranch_execz .LBB682_13
; %bb.12:
	s_waitcnt lgkmcnt(2)
	v_cmp_lt_f64_e64 s[2:3], v[20:21], v[22:23]
	v_cndmask_b32_e64 v1, v21, v23, s[2:3]
	v_cndmask_b32_e64 v0, v20, v22, s[2:3]
	s_mov_b32 s2, 0x652b82fe
	v_add_f64 v[0:1], v[14:15], -v[0:1]
	s_mov_b32 s3, 0x3ff71547
	v_mul_f64 v[2:3], v[0:1], s[2:3]
	s_mov_b32 s2, 0xfefa39ef
	v_rndne_f64_e32 v[2:3], v[2:3]
	s_mov_b32 s3, 0xbfe62e42
	v_fma_f64 v[12:13], s[2:3], v[2:3], v[0:1]
	s_mov_b32 s2, 0x3b39803f
	s_mov_b32 s3, 0xbc7abc9e
	v_fmac_f64_e32 v[12:13], s[2:3], v[2:3]
	s_mov_b32 s2, 0x6a5dcb37
	v_mov_b32_e32 v14, 0xfca7ab0c
	v_mov_b32_e32 v15, 0x3e928af3
	s_mov_b32 s3, 0x3e5ade15
	v_fmac_f64_e32 v[14:15], s[2:3], v[12:13]
	v_mov_b32_e32 v20, 0x623fde64
	v_mov_b32_e32 v21, 0x3ec71dee
	v_fmac_f64_e32 v[20:21], v[12:13], v[14:15]
	v_mov_b32_e32 v14, 0x7c89e6b0
	v_mov_b32_e32 v15, 0x3efa0199
	;; [unrolled: 3-line block ×8, first 2 shown]
	v_fmac_f64_e32 v[14:15], v[12:13], v[20:21]
	v_fma_f64 v[14:15], v[12:13], v[14:15], 1.0
	s_mov_b32 s2, 0
	s_mov_b32 s4, 0
	v_fma_f64 v[12:13], v[12:13], v[14:15], 1.0
	v_cvt_i32_f64_e32 v2, v[2:3]
	s_mov_b32 s3, 0x40900000
	s_mov_b32 s5, 0xc090cc00
	v_ldexp_f64 v[12:13], v[12:13], v2
	v_mov_b32_e32 v2, 0x7ff00000
	v_cmp_nlt_f64_e64 s[2:3], s[2:3], v[0:1]
	v_cmp_ngt_f64_e64 s[4:5], s[4:5], v[0:1]
	v_cndmask_b32_e64 v3, v2, v13, s[2:3]
	s_and_b64 s[2:3], s[4:5], s[2:3]
	v_mov_b32_e32 v2, 0
	v_cndmask_b32_e64 v13, 0, v3, s[4:5]
	v_cndmask_b32_e64 v12, 0, v12, s[2:3]
	v_add_f64 v[0:1], v[12:13], 0
	v_mov_b32_e32 v3, v2
.LBB682_13:
	s_or_b64 exec, exec, s[6:7]
.LBB682_14:
	s_or_b64 exec, exec, s[18:19]
	s_and_saveexec_b64 s[6:7], s[8:9]
	s_cbranch_execz .LBB682_18
; %bb.15:
	s_and_b64 s[2:3], s[16:17], exec
	s_cselect_b32 s2, 0, 0
	s_cselect_b32 s3, 0, s10
	v_mov_b32_e32 v10, s2
	v_add_co_u32_e64 v8, s[2:3], s3, v8
	v_addc_co_u32_e64 v9, s[2:3], v9, v10, s[2:3]
	global_load_ubyte v8, v[8:9], off
	v_pk_mov_b32 v[10:11], 0, 0
	s_waitcnt vmcnt(0)
	v_and_b32_e32 v8, 1, v8
	v_cmp_eq_u32_e64 s[2:3], 1, v8
	s_xor_b64 s[2:3], s[2:3], -1
	s_and_saveexec_b64 s[8:9], s[2:3]
	s_cbranch_execz .LBB682_17
; %bb.16:
	s_waitcnt lgkmcnt(0)
	v_cmp_lt_f64_e64 s[2:3], v[16:17], v[18:19]
	v_cndmask_b32_e64 v9, v17, v19, s[2:3]
	v_cndmask_b32_e64 v8, v16, v18, s[2:3]
	s_mov_b32 s2, 0x652b82fe
	v_add_f64 v[6:7], v[6:7], -v[8:9]
	s_mov_b32 s3, 0x3ff71547
	v_mul_f64 v[8:9], v[6:7], s[2:3]
	s_mov_b32 s2, 0xfefa39ef
	v_rndne_f64_e32 v[8:9], v[8:9]
	s_mov_b32 s3, 0xbfe62e42
	v_fma_f64 v[10:11], s[2:3], v[8:9], v[6:7]
	s_mov_b32 s2, 0x3b39803f
	s_mov_b32 s3, 0xbc7abc9e
	v_fmac_f64_e32 v[10:11], s[2:3], v[8:9]
	s_mov_b32 s2, 0x6a5dcb37
	v_mov_b32_e32 v14, 0xfca7ab0c
	v_mov_b32_e32 v15, 0x3e928af3
	s_mov_b32 s3, 0x3e5ade15
	v_fmac_f64_e32 v[14:15], s[2:3], v[10:11]
	v_mov_b32_e32 v16, 0x623fde64
	v_mov_b32_e32 v17, 0x3ec71dee
	v_fmac_f64_e32 v[16:17], v[10:11], v[14:15]
	v_mov_b32_e32 v14, 0x7c89e6b0
	v_mov_b32_e32 v15, 0x3efa0199
	;; [unrolled: 3-line block ×8, first 2 shown]
	v_fmac_f64_e32 v[14:15], v[10:11], v[16:17]
	v_fma_f64 v[14:15], v[10:11], v[14:15], 1.0
	s_mov_b32 s2, 0
	s_mov_b32 s4, 0
	v_fma_f64 v[10:11], v[10:11], v[14:15], 1.0
	v_cvt_i32_f64_e32 v8, v[8:9]
	s_mov_b32 s3, 0x40900000
	s_mov_b32 s5, 0xc090cc00
	v_ldexp_f64 v[8:9], v[10:11], v8
	v_mov_b32_e32 v10, 0x7ff00000
	v_cmp_nlt_f64_e64 s[2:3], s[2:3], v[6:7]
	v_cmp_ngt_f64_e64 s[4:5], s[4:5], v[6:7]
	v_cndmask_b32_e64 v9, v10, v9, s[2:3]
	s_and_b64 s[2:3], s[4:5], s[2:3]
	v_cndmask_b32_e64 v11, 0, v9, s[4:5]
	v_cndmask_b32_e64 v10, 0, v8, s[2:3]
	v_add_f64 v[2:3], v[2:3], v[10:11]
.LBB682_17:
	s_or_b64 exec, exec, s[8:9]
.LBB682_18:
	s_or_b64 exec, exec, s[6:7]
	ds_bpermute_b32 v6, v25, v0
	ds_bpermute_b32 v7, v25, v1
	;; [unrolled: 1-line block ×4, first 2 shown]
	s_waitcnt lgkmcnt(2)
	v_add_f64 v[0:1], v[0:1], v[6:7]
	ds_bpermute_b32 v6, v26, v0
	s_waitcnt lgkmcnt(1)
	v_add_f64 v[2:3], v[2:3], v[8:9]
	ds_bpermute_b32 v7, v26, v1
	ds_bpermute_b32 v8, v26, v2
	ds_bpermute_b32 v9, v26, v3
	s_waitcnt lgkmcnt(2)
	v_add_f64 v[0:1], v[0:1], v[6:7]
	ds_bpermute_b32 v6, v27, v0
	s_waitcnt lgkmcnt(1)
	v_add_f64 v[2:3], v[2:3], v[8:9]
	ds_bpermute_b32 v7, v27, v1
	ds_bpermute_b32 v8, v27, v2
	ds_bpermute_b32 v9, v27, v3
	;; [unrolled: 8-line block ×3, first 2 shown]
	s_waitcnt lgkmcnt(2)
	v_add_f64 v[8:9], v[0:1], v[6:7]
	s_waitcnt lgkmcnt(0)
	v_add_f64 v[2:3], v[2:3], v[14:15]
	ds_bpermute_b32 v14, v29, v8
	ds_bpermute_b32 v15, v29, v9
	;; [unrolled: 1-line block ×4, first 2 shown]
	s_and_saveexec_b64 s[2:3], vcc
	s_cbranch_execz .LBB682_24
; %bb.19:
	v_mov_b32_e32 v1, s13
	v_add_co_u32_e32 v0, vcc, s12, v4
	v_addc_co_u32_e32 v1, vcc, v1, v5, vcc
	s_and_saveexec_b64 s[2:3], s[0:1]
	s_cbranch_execz .LBB682_21
; %bb.20:
	s_waitcnt lgkmcnt(2)
	v_add_f64 v[4:5], v[8:9], v[14:15]
	v_div_scale_f64 v[8:9], s[4:5], v[4:5], v[4:5], v[12:13]
	v_rcp_f64_e32 v[14:15], v[8:9]
	v_div_scale_f64 v[16:17], vcc, v[12:13], v[4:5], v[12:13]
	v_fma_f64 v[18:19], -v[8:9], v[14:15], 1.0
	v_fmac_f64_e32 v[14:15], v[14:15], v[18:19]
	v_fma_f64 v[18:19], -v[8:9], v[14:15], 1.0
	v_fmac_f64_e32 v[14:15], v[14:15], v[18:19]
	v_mul_f64 v[18:19], v[16:17], v[14:15]
	v_fma_f64 v[8:9], -v[8:9], v[18:19], v[16:17]
	v_div_fmas_f64 v[8:9], v[8:9], v[14:15], v[18:19]
	v_div_fixup_f64 v[8:9], v[8:9], v[4:5], v[12:13]
	v_mov_b32_e32 v12, 0x7ff80000
	v_cmp_neq_f64_e32 vcc, 0, v[4:5]
	v_cndmask_b32_e32 v5, v12, v9, vcc
	v_cndmask_b32_e32 v4, 0, v8, vcc
	global_store_dwordx2 v[0:1], v[4:5], off
.LBB682_21:
	s_or_b64 exec, exec, s[2:3]
	v_cmp_ne_u32_e32 vcc, 1, v24
	s_and_b64 exec, exec, vcc
	s_cbranch_execz .LBB682_24
; %bb.22:
	s_and_b64 exec, exec, s[0:1]
	s_cbranch_execz .LBB682_24
; %bb.23:
	s_waitcnt lgkmcnt(0)
	v_add_f64 v[2:3], v[2:3], v[6:7]
	v_div_scale_f64 v[4:5], s[0:1], v[2:3], v[2:3], v[10:11]
	v_rcp_f64_e32 v[6:7], v[4:5]
	v_div_scale_f64 v[8:9], vcc, v[10:11], v[2:3], v[10:11]
	s_mov_b32 s11, 0
	v_fma_f64 v[12:13], -v[4:5], v[6:7], 1.0
	v_fmac_f64_e32 v[6:7], v[6:7], v[12:13]
	v_fma_f64 v[12:13], -v[4:5], v[6:7], 1.0
	v_fmac_f64_e32 v[6:7], v[6:7], v[12:13]
	v_mul_f64 v[12:13], v[8:9], v[6:7]
	v_fma_f64 v[4:5], -v[4:5], v[12:13], v[8:9]
	s_lshl_b64 s[0:1], s[10:11], 3
	v_div_fmas_f64 v[4:5], v[4:5], v[6:7], v[12:13]
	v_mov_b32_e32 v6, s1
	v_add_co_u32_e32 v0, vcc, s0, v0
	v_addc_co_u32_e32 v1, vcc, v1, v6, vcc
	v_div_fixup_f64 v[4:5], v[4:5], v[2:3], v[10:11]
	v_mov_b32_e32 v6, 0x7ff80000
	v_cmp_neq_f64_e32 vcc, 0, v[2:3]
	v_cndmask_b32_e32 v3, v6, v5, vcc
	v_cndmask_b32_e32 v2, 0, v4, vcc
	global_store_dwordx2 v[0:1], v[2:3], off
.LBB682_24:
	s_endpgm
	.section	.rodata,"a",@progbits
	.p2align	6, 0x0
	.amdhsa_kernel _ZN12_GLOBAL__N_120softmax_warp_forwardIdddLi5ELb0ELb1ELi64EEEvPT0_PKT_iiiPKbib
		.amdhsa_group_segment_fixed_size 0
		.amdhsa_private_segment_fixed_size 0
		.amdhsa_kernarg_size 304
		.amdhsa_user_sgpr_count 6
		.amdhsa_user_sgpr_private_segment_buffer 1
		.amdhsa_user_sgpr_dispatch_ptr 0
		.amdhsa_user_sgpr_queue_ptr 0
		.amdhsa_user_sgpr_kernarg_segment_ptr 1
		.amdhsa_user_sgpr_dispatch_id 0
		.amdhsa_user_sgpr_flat_scratch_init 0
		.amdhsa_user_sgpr_kernarg_preload_length 0
		.amdhsa_user_sgpr_kernarg_preload_offset 0
		.amdhsa_user_sgpr_private_segment_size 0
		.amdhsa_uses_dynamic_stack 0
		.amdhsa_system_sgpr_private_segment_wavefront_offset 0
		.amdhsa_system_sgpr_workgroup_id_x 1
		.amdhsa_system_sgpr_workgroup_id_y 0
		.amdhsa_system_sgpr_workgroup_id_z 0
		.amdhsa_system_sgpr_workgroup_info 0
		.amdhsa_system_vgpr_workitem_id 1
		.amdhsa_next_free_vgpr 30
		.amdhsa_next_free_sgpr 20
		.amdhsa_accum_offset 32
		.amdhsa_reserve_vcc 1
		.amdhsa_reserve_flat_scratch 0
		.amdhsa_float_round_mode_32 0
		.amdhsa_float_round_mode_16_64 0
		.amdhsa_float_denorm_mode_32 3
		.amdhsa_float_denorm_mode_16_64 3
		.amdhsa_dx10_clamp 1
		.amdhsa_ieee_mode 1
		.amdhsa_fp16_overflow 0
		.amdhsa_tg_split 0
		.amdhsa_exception_fp_ieee_invalid_op 0
		.amdhsa_exception_fp_denorm_src 0
		.amdhsa_exception_fp_ieee_div_zero 0
		.amdhsa_exception_fp_ieee_overflow 0
		.amdhsa_exception_fp_ieee_underflow 0
		.amdhsa_exception_fp_ieee_inexact 0
		.amdhsa_exception_int_div_zero 0
	.end_amdhsa_kernel
	.section	.text._ZN12_GLOBAL__N_120softmax_warp_forwardIdddLi5ELb0ELb1ELi64EEEvPT0_PKT_iiiPKbib,"axG",@progbits,_ZN12_GLOBAL__N_120softmax_warp_forwardIdddLi5ELb0ELb1ELi64EEEvPT0_PKT_iiiPKbib,comdat
.Lfunc_end682:
	.size	_ZN12_GLOBAL__N_120softmax_warp_forwardIdddLi5ELb0ELb1ELi64EEEvPT0_PKT_iiiPKbib, .Lfunc_end682-_ZN12_GLOBAL__N_120softmax_warp_forwardIdddLi5ELb0ELb1ELi64EEEvPT0_PKT_iiiPKbib
                                        ; -- End function
	.section	.AMDGPU.csdata,"",@progbits
; Kernel info:
; codeLenInByte = 2744
; NumSgprs: 24
; NumVgprs: 30
; NumAgprs: 0
; TotalNumVgprs: 30
; ScratchSize: 0
; MemoryBound: 0
; FloatMode: 240
; IeeeMode: 1
; LDSByteSize: 0 bytes/workgroup (compile time only)
; SGPRBlocks: 2
; VGPRBlocks: 3
; NumSGPRsForWavesPerEU: 24
; NumVGPRsForWavesPerEU: 30
; AccumOffset: 32
; Occupancy: 8
; WaveLimiterHint : 0
; COMPUTE_PGM_RSRC2:SCRATCH_EN: 0
; COMPUTE_PGM_RSRC2:USER_SGPR: 6
; COMPUTE_PGM_RSRC2:TRAP_HANDLER: 0
; COMPUTE_PGM_RSRC2:TGID_X_EN: 1
; COMPUTE_PGM_RSRC2:TGID_Y_EN: 0
; COMPUTE_PGM_RSRC2:TGID_Z_EN: 0
; COMPUTE_PGM_RSRC2:TIDIG_COMP_CNT: 1
; COMPUTE_PGM_RSRC3_GFX90A:ACCUM_OFFSET: 7
; COMPUTE_PGM_RSRC3_GFX90A:TG_SPLIT: 0
	.section	.text._ZN12_GLOBAL__N_120softmax_warp_forwardIdddLi5ELb0ELb1ELi32EEEvPT0_PKT_iiiPKbib,"axG",@progbits,_ZN12_GLOBAL__N_120softmax_warp_forwardIdddLi5ELb0ELb1ELi32EEEvPT0_PKT_iiiPKbib,comdat
	.globl	_ZN12_GLOBAL__N_120softmax_warp_forwardIdddLi5ELb0ELb1ELi32EEEvPT0_PKT_iiiPKbib ; -- Begin function _ZN12_GLOBAL__N_120softmax_warp_forwardIdddLi5ELb0ELb1ELi32EEEvPT0_PKT_iiiPKbib
	.p2align	8
	.type	_ZN12_GLOBAL__N_120softmax_warp_forwardIdddLi5ELb0ELb1ELi32EEEvPT0_PKT_iiiPKbib,@function
_ZN12_GLOBAL__N_120softmax_warp_forwardIdddLi5ELb0ELb1ELi32EEEvPT0_PKT_iiiPKbib: ; @_ZN12_GLOBAL__N_120softmax_warp_forwardIdddLi5ELb0ELb1ELi32EEEvPT0_PKT_iiiPKbib
; %bb.0:
	s_load_dwordx2 s[0:1], s[4:5], 0x28
	s_load_dword s2, s[4:5], 0x3c
	s_load_dwordx4 s[8:11], s[4:5], 0x10
	v_bfe_u32 v1, v0, 10, 10
	v_and_b32_e32 v2, 0x3ff, v0
	s_waitcnt lgkmcnt(0)
	s_bitcmp1_b32 s1, 0
	s_cselect_b64 s[16:17], -1, 0
	s_lshr_b32 s2, s2, 16
	s_mul_i32 s6, s6, s2
	v_add_lshl_u32 v3, s6, v1, 1
	v_mul_lo_u32 v6, v3, s9
	v_add_u32_e32 v4, v6, v2
	v_ashrrev_i32_e32 v5, 31, v4
	s_bitcmp0_b32 s1, 0
	v_pk_mov_b32 v[0:1], v[4:5], v[4:5] op_sel:[0,1]
	s_cbranch_scc1 .LBB683_2
; %bb.1:
	s_abs_i32 s1, s0
	v_cvt_f32_u32_e32 v0, s1
	v_xor_b32_e32 v1, s0, v6
	v_sub_u32_e32 v7, 0, v6
	s_sub_i32 s0, 0, s1
	v_rcp_iflag_f32_e32 v0, v0
	v_max_i32_e32 v6, v6, v7
	v_ashrrev_i32_e32 v1, 31, v1
	v_mul_f32_e32 v0, 0x4f7ffffe, v0
	v_cvt_u32_f32_e32 v0, v0
	v_mul_lo_u32 v7, s0, v0
	v_mul_hi_u32 v7, v0, v7
	v_add_u32_e32 v0, v0, v7
	v_mul_hi_u32 v0, v6, v0
	v_mul_lo_u32 v7, v0, s1
	v_sub_u32_e32 v6, v6, v7
	v_add_u32_e32 v8, 1, v0
	v_cmp_le_u32_e32 vcc, s1, v6
	v_subrev_u32_e32 v7, s1, v6
	v_cndmask_b32_e32 v0, v0, v8, vcc
	v_cndmask_b32_e32 v6, v6, v7, vcc
	v_add_u32_e32 v7, 1, v0
	v_cmp_le_u32_e32 vcc, s1, v6
	v_cndmask_b32_e32 v0, v0, v7, vcc
	v_xor_b32_e32 v0, v0, v1
	v_sub_u32_e32 v0, v0, v1
	v_mad_u64_u32 v[0:1], s[0:1], v0, s9, v[2:3]
	v_ashrrev_i32_e32 v1, 31, v0
.LBB683_2:
	s_load_dwordx4 s[12:15], s[4:5], 0x0
	v_lshlrev_b64 v[4:5], 3, v[4:5]
	v_sub_u32_e32 v24, s8, v3
	v_mov_b32_e32 v6, 0
	v_cmp_gt_i32_e64 s[0:1], s10, v2
	s_waitcnt lgkmcnt(0)
	v_mov_b32_e32 v3, s15
	v_add_co_u32_e32 v8, vcc, s14, v4
	v_addc_co_u32_e32 v9, vcc, v3, v5, vcc
	v_cmp_lt_i32_e32 vcc, 0, v24
	v_mov_b32_e32 v7, 0xfff00000
	s_and_b64 s[14:15], s[0:1], vcc
	v_pk_mov_b32 v[14:15], v[6:7], v[6:7] op_sel:[0,1]
	s_and_saveexec_b64 s[2:3], s[14:15]
	s_cbranch_execz .LBB683_4
; %bb.3:
	global_load_dwordx2 v[14:15], v[8:9], off
.LBB683_4:
	s_or_b64 exec, exec, s[2:3]
	v_cmp_lt_i32_e64 s[2:3], 1, v24
	s_and_b64 s[8:9], s[0:1], s[2:3]
	s_and_saveexec_b64 s[6:7], s[8:9]
	s_cbranch_execz .LBB683_6
; %bb.5:
	s_mov_b32 s11, 0
	s_lshl_b64 s[2:3], s[10:11], 3
	v_mov_b32_e32 v3, s3
	v_add_co_u32_e64 v2, s[2:3], s2, v8
	v_addc_co_u32_e64 v3, s[2:3], v9, v3, s[2:3]
	global_load_dwordx2 v[6:7], v[2:3], off
.LBB683_6:
	s_or_b64 exec, exec, s[6:7]
	s_load_dwordx2 s[2:3], s[4:5], 0x20
	s_waitcnt lgkmcnt(0)
	v_mov_b32_e32 v2, s3
	v_add_co_u32_e64 v8, s[2:3], s2, v0
	v_addc_co_u32_e64 v9, s[2:3], v2, v1, s[2:3]
	v_mov_b32_e32 v0, 0
	v_mov_b32_e32 v1, 0xfff00000
	s_and_saveexec_b64 s[4:5], s[14:15]
	s_cbranch_execz .LBB683_8
; %bb.7:
	global_load_ubyte v0, v[8:9], off
	v_mov_b32_e32 v1, 0xfff00000
	s_waitcnt vmcnt(0)
	v_and_b32_e32 v0, 1, v0
	v_cmp_eq_u32_e64 s[2:3], 1, v0
	v_cndmask_b32_e64 v1, v15, v1, s[2:3]
	v_cndmask_b32_e64 v0, v14, 0, s[2:3]
.LBB683_8:
	s_or_b64 exec, exec, s[4:5]
	s_mov_b64 s[4:5], 0
	s_and_saveexec_b64 s[6:7], s[8:9]
	s_cbranch_execz .LBB683_10
; %bb.9:
	s_and_b64 s[2:3], s[16:17], exec
	s_cselect_b32 s2, 0, 0
	s_cselect_b32 s3, 0, s10
	v_mov_b32_e32 v3, s2
	v_add_co_u32_e64 v2, s[2:3], s3, v8
	v_addc_co_u32_e64 v3, s[2:3], v9, v3, s[2:3]
	global_load_ubyte v2, v[2:3], off
	s_waitcnt vmcnt(0)
	v_and_b32_e32 v2, 1, v2
	v_cmp_eq_u32_e64 s[2:3], 1, v2
	s_xor_b64 s[2:3], s[2:3], -1
	s_and_b64 s[4:5], s[2:3], exec
.LBB683_10:
	s_or_b64 exec, exec, s[6:7]
	v_mov_b32_e32 v2, 0xfff00000
	s_waitcnt vmcnt(0)
	v_cndmask_b32_e64 v3, v2, v7, s[4:5]
	v_mbcnt_lo_u32_b32 v2, -1, 0
	v_mbcnt_hi_u32_b32 v18, -1, v2
	v_and_b32_e32 v2, 0x60, v18
	v_add_u32_e32 v19, 32, v2
	v_xor_b32_e32 v2, 16, v18
	v_cmp_lt_i32_e64 s[2:3], v2, v19
	v_cndmask_b32_e64 v2, v18, v2, s[2:3]
	v_lshlrev_b32_e32 v25, 2, v2
	ds_bpermute_b32 v10, v25, v0
	ds_bpermute_b32 v11, v25, v1
	v_cndmask_b32_e64 v2, 0, v6, s[4:5]
	ds_bpermute_b32 v12, v25, v2
	ds_bpermute_b32 v13, v25, v3
	s_waitcnt lgkmcnt(2)
	v_cmp_lt_f64_e64 s[2:3], v[0:1], v[10:11]
	v_cndmask_b32_e64 v0, v0, v10, s[2:3]
	v_xor_b32_e32 v10, 8, v18
	v_cmp_lt_i32_e64 s[4:5], v10, v19
	v_cndmask_b32_e64 v10, v18, v10, s[4:5]
	v_cndmask_b32_e64 v1, v1, v11, s[2:3]
	v_lshlrev_b32_e32 v26, 2, v10
	ds_bpermute_b32 v10, v26, v0
	ds_bpermute_b32 v11, v26, v1
	s_waitcnt lgkmcnt(2)
	v_cmp_lt_f64_e64 s[2:3], v[2:3], v[12:13]
	v_cndmask_b32_e64 v3, v3, v13, s[2:3]
	v_cndmask_b32_e64 v2, v2, v12, s[2:3]
	ds_bpermute_b32 v12, v26, v2
	s_waitcnt lgkmcnt(1)
	v_cmp_lt_f64_e64 s[2:3], v[0:1], v[10:11]
	v_cndmask_b32_e64 v0, v0, v10, s[2:3]
	v_xor_b32_e32 v10, 4, v18
	ds_bpermute_b32 v13, v26, v3
	v_cmp_lt_i32_e64 s[4:5], v10, v19
	v_cndmask_b32_e64 v10, v18, v10, s[4:5]
	v_cndmask_b32_e64 v1, v1, v11, s[2:3]
	v_lshlrev_b32_e32 v27, 2, v10
	ds_bpermute_b32 v10, v27, v0
	ds_bpermute_b32 v11, v27, v1
	s_waitcnt lgkmcnt(2)
	v_cmp_lt_f64_e64 s[2:3], v[2:3], v[12:13]
	v_cndmask_b32_e64 v3, v3, v13, s[2:3]
	v_cndmask_b32_e64 v2, v2, v12, s[2:3]
	ds_bpermute_b32 v12, v27, v2
	ds_bpermute_b32 v13, v27, v3
	s_waitcnt lgkmcnt(2)
	v_cmp_lt_f64_e64 s[2:3], v[0:1], v[10:11]
	v_cndmask_b32_e64 v0, v0, v10, s[2:3]
	v_xor_b32_e32 v10, 2, v18
	v_cmp_lt_i32_e64 s[4:5], v10, v19
	v_cndmask_b32_e64 v10, v18, v10, s[4:5]
	v_cndmask_b32_e64 v1, v1, v11, s[2:3]
	s_waitcnt lgkmcnt(0)
	v_cmp_lt_f64_e64 s[2:3], v[2:3], v[12:13]
	v_lshlrev_b32_e32 v28, 2, v10
	v_cndmask_b32_e64 v3, v3, v13, s[2:3]
	ds_bpermute_b32 v10, v28, v0
	ds_bpermute_b32 v11, v28, v1
	v_cndmask_b32_e64 v2, v2, v12, s[2:3]
	ds_bpermute_b32 v12, v28, v2
	ds_bpermute_b32 v13, v28, v3
	s_mov_b32 s4, 0
	s_waitcnt lgkmcnt(2)
	v_cmp_lt_f64_e64 s[2:3], v[0:1], v[10:11]
	v_cndmask_b32_e64 v21, v1, v11, s[2:3]
	v_cndmask_b32_e64 v20, v0, v10, s[2:3]
	s_waitcnt lgkmcnt(0)
	v_cmp_lt_f64_e64 s[2:3], v[2:3], v[12:13]
	v_xor_b32_e32 v0, 1, v18
	v_cndmask_b32_e64 v17, v3, v13, s[2:3]
	v_cndmask_b32_e64 v16, v2, v12, s[2:3]
	v_cmp_lt_i32_e64 s[2:3], v0, v19
	v_cndmask_b32_e64 v0, v18, v0, s[2:3]
	v_lshlrev_b32_e32 v29, 2, v0
	ds_bpermute_b32 v22, v29, v20
	ds_bpermute_b32 v23, v29, v21
	;; [unrolled: 1-line block ×4, first 2 shown]
	s_mov_b32 s5, s4
	s_mov_b32 s6, s4
	;; [unrolled: 1-line block ×3, first 2 shown]
	v_pk_mov_b32 v[10:11], 0, 0
	v_pk_mov_b32 v[0:1], s[4:5], s[4:5] op_sel:[0,1]
	v_pk_mov_b32 v[2:3], s[6:7], s[6:7] op_sel:[0,1]
	v_pk_mov_b32 v[12:13], v[10:11], v[10:11] op_sel:[0,1]
	s_and_saveexec_b64 s[18:19], s[14:15]
	s_cbranch_execz .LBB683_14
; %bb.11:
	global_load_ubyte v12, v[8:9], off
	v_pk_mov_b32 v[0:1], s[4:5], s[4:5] op_sel:[0,1]
	v_pk_mov_b32 v[2:3], s[6:7], s[6:7] op_sel:[0,1]
	s_waitcnt vmcnt(0)
	v_and_b32_e32 v12, 1, v12
	v_cmp_eq_u32_e64 s[2:3], 1, v12
	s_xor_b64 s[2:3], s[2:3], -1
	v_pk_mov_b32 v[12:13], 0, 0
	s_and_saveexec_b64 s[6:7], s[2:3]
	s_cbranch_execz .LBB683_13
; %bb.12:
	s_waitcnt lgkmcnt(2)
	v_cmp_lt_f64_e64 s[2:3], v[20:21], v[22:23]
	v_cndmask_b32_e64 v1, v21, v23, s[2:3]
	v_cndmask_b32_e64 v0, v20, v22, s[2:3]
	s_mov_b32 s2, 0x652b82fe
	v_add_f64 v[0:1], v[14:15], -v[0:1]
	s_mov_b32 s3, 0x3ff71547
	v_mul_f64 v[2:3], v[0:1], s[2:3]
	s_mov_b32 s2, 0xfefa39ef
	v_rndne_f64_e32 v[2:3], v[2:3]
	s_mov_b32 s3, 0xbfe62e42
	v_fma_f64 v[12:13], s[2:3], v[2:3], v[0:1]
	s_mov_b32 s2, 0x3b39803f
	s_mov_b32 s3, 0xbc7abc9e
	v_fmac_f64_e32 v[12:13], s[2:3], v[2:3]
	s_mov_b32 s2, 0x6a5dcb37
	v_mov_b32_e32 v14, 0xfca7ab0c
	v_mov_b32_e32 v15, 0x3e928af3
	s_mov_b32 s3, 0x3e5ade15
	v_fmac_f64_e32 v[14:15], s[2:3], v[12:13]
	v_mov_b32_e32 v20, 0x623fde64
	v_mov_b32_e32 v21, 0x3ec71dee
	v_fmac_f64_e32 v[20:21], v[12:13], v[14:15]
	v_mov_b32_e32 v14, 0x7c89e6b0
	v_mov_b32_e32 v15, 0x3efa0199
	;; [unrolled: 3-line block ×8, first 2 shown]
	v_fmac_f64_e32 v[14:15], v[12:13], v[20:21]
	v_fma_f64 v[14:15], v[12:13], v[14:15], 1.0
	s_mov_b32 s2, 0
	s_mov_b32 s4, 0
	v_fma_f64 v[12:13], v[12:13], v[14:15], 1.0
	v_cvt_i32_f64_e32 v2, v[2:3]
	s_mov_b32 s3, 0x40900000
	s_mov_b32 s5, 0xc090cc00
	v_ldexp_f64 v[12:13], v[12:13], v2
	v_mov_b32_e32 v2, 0x7ff00000
	v_cmp_nlt_f64_e64 s[2:3], s[2:3], v[0:1]
	v_cmp_ngt_f64_e64 s[4:5], s[4:5], v[0:1]
	v_cndmask_b32_e64 v3, v2, v13, s[2:3]
	s_and_b64 s[2:3], s[4:5], s[2:3]
	v_mov_b32_e32 v2, 0
	v_cndmask_b32_e64 v13, 0, v3, s[4:5]
	v_cndmask_b32_e64 v12, 0, v12, s[2:3]
	v_add_f64 v[0:1], v[12:13], 0
	v_mov_b32_e32 v3, v2
.LBB683_13:
	s_or_b64 exec, exec, s[6:7]
.LBB683_14:
	s_or_b64 exec, exec, s[18:19]
	s_and_saveexec_b64 s[6:7], s[8:9]
	s_cbranch_execz .LBB683_18
; %bb.15:
	s_and_b64 s[2:3], s[16:17], exec
	s_cselect_b32 s2, 0, 0
	s_cselect_b32 s3, 0, s10
	v_mov_b32_e32 v10, s2
	v_add_co_u32_e64 v8, s[2:3], s3, v8
	v_addc_co_u32_e64 v9, s[2:3], v9, v10, s[2:3]
	global_load_ubyte v8, v[8:9], off
	v_pk_mov_b32 v[10:11], 0, 0
	s_waitcnt vmcnt(0)
	v_and_b32_e32 v8, 1, v8
	v_cmp_eq_u32_e64 s[2:3], 1, v8
	s_xor_b64 s[2:3], s[2:3], -1
	s_and_saveexec_b64 s[8:9], s[2:3]
	s_cbranch_execz .LBB683_17
; %bb.16:
	s_waitcnt lgkmcnt(0)
	v_cmp_lt_f64_e64 s[2:3], v[16:17], v[18:19]
	v_cndmask_b32_e64 v9, v17, v19, s[2:3]
	v_cndmask_b32_e64 v8, v16, v18, s[2:3]
	s_mov_b32 s2, 0x652b82fe
	v_add_f64 v[6:7], v[6:7], -v[8:9]
	s_mov_b32 s3, 0x3ff71547
	v_mul_f64 v[8:9], v[6:7], s[2:3]
	s_mov_b32 s2, 0xfefa39ef
	v_rndne_f64_e32 v[8:9], v[8:9]
	s_mov_b32 s3, 0xbfe62e42
	v_fma_f64 v[10:11], s[2:3], v[8:9], v[6:7]
	s_mov_b32 s2, 0x3b39803f
	s_mov_b32 s3, 0xbc7abc9e
	v_fmac_f64_e32 v[10:11], s[2:3], v[8:9]
	s_mov_b32 s2, 0x6a5dcb37
	v_mov_b32_e32 v14, 0xfca7ab0c
	v_mov_b32_e32 v15, 0x3e928af3
	s_mov_b32 s3, 0x3e5ade15
	v_fmac_f64_e32 v[14:15], s[2:3], v[10:11]
	v_mov_b32_e32 v16, 0x623fde64
	v_mov_b32_e32 v17, 0x3ec71dee
	v_fmac_f64_e32 v[16:17], v[10:11], v[14:15]
	v_mov_b32_e32 v14, 0x7c89e6b0
	v_mov_b32_e32 v15, 0x3efa0199
	;; [unrolled: 3-line block ×8, first 2 shown]
	v_fmac_f64_e32 v[14:15], v[10:11], v[16:17]
	v_fma_f64 v[14:15], v[10:11], v[14:15], 1.0
	s_mov_b32 s2, 0
	s_mov_b32 s4, 0
	v_fma_f64 v[10:11], v[10:11], v[14:15], 1.0
	v_cvt_i32_f64_e32 v8, v[8:9]
	s_mov_b32 s3, 0x40900000
	s_mov_b32 s5, 0xc090cc00
	v_ldexp_f64 v[8:9], v[10:11], v8
	v_mov_b32_e32 v10, 0x7ff00000
	v_cmp_nlt_f64_e64 s[2:3], s[2:3], v[6:7]
	v_cmp_ngt_f64_e64 s[4:5], s[4:5], v[6:7]
	v_cndmask_b32_e64 v9, v10, v9, s[2:3]
	s_and_b64 s[2:3], s[4:5], s[2:3]
	v_cndmask_b32_e64 v11, 0, v9, s[4:5]
	v_cndmask_b32_e64 v10, 0, v8, s[2:3]
	v_add_f64 v[2:3], v[2:3], v[10:11]
.LBB683_17:
	s_or_b64 exec, exec, s[8:9]
.LBB683_18:
	s_or_b64 exec, exec, s[6:7]
	ds_bpermute_b32 v6, v25, v0
	ds_bpermute_b32 v7, v25, v1
	;; [unrolled: 1-line block ×4, first 2 shown]
	s_waitcnt lgkmcnt(2)
	v_add_f64 v[0:1], v[0:1], v[6:7]
	ds_bpermute_b32 v6, v26, v0
	s_waitcnt lgkmcnt(1)
	v_add_f64 v[2:3], v[2:3], v[8:9]
	ds_bpermute_b32 v7, v26, v1
	ds_bpermute_b32 v8, v26, v2
	ds_bpermute_b32 v9, v26, v3
	s_waitcnt lgkmcnt(2)
	v_add_f64 v[0:1], v[0:1], v[6:7]
	ds_bpermute_b32 v6, v27, v0
	s_waitcnt lgkmcnt(1)
	v_add_f64 v[2:3], v[2:3], v[8:9]
	ds_bpermute_b32 v7, v27, v1
	ds_bpermute_b32 v8, v27, v2
	ds_bpermute_b32 v9, v27, v3
	;; [unrolled: 8-line block ×3, first 2 shown]
	s_waitcnt lgkmcnt(2)
	v_add_f64 v[8:9], v[0:1], v[6:7]
	s_waitcnt lgkmcnt(0)
	v_add_f64 v[2:3], v[2:3], v[14:15]
	ds_bpermute_b32 v14, v29, v8
	ds_bpermute_b32 v15, v29, v9
	;; [unrolled: 1-line block ×4, first 2 shown]
	s_and_saveexec_b64 s[2:3], vcc
	s_cbranch_execz .LBB683_24
; %bb.19:
	v_mov_b32_e32 v1, s13
	v_add_co_u32_e32 v0, vcc, s12, v4
	v_addc_co_u32_e32 v1, vcc, v1, v5, vcc
	s_and_saveexec_b64 s[2:3], s[0:1]
	s_cbranch_execz .LBB683_21
; %bb.20:
	s_waitcnt lgkmcnt(2)
	v_add_f64 v[4:5], v[8:9], v[14:15]
	v_div_scale_f64 v[8:9], s[4:5], v[4:5], v[4:5], v[12:13]
	v_rcp_f64_e32 v[14:15], v[8:9]
	v_div_scale_f64 v[16:17], vcc, v[12:13], v[4:5], v[12:13]
	v_fma_f64 v[18:19], -v[8:9], v[14:15], 1.0
	v_fmac_f64_e32 v[14:15], v[14:15], v[18:19]
	v_fma_f64 v[18:19], -v[8:9], v[14:15], 1.0
	v_fmac_f64_e32 v[14:15], v[14:15], v[18:19]
	v_mul_f64 v[18:19], v[16:17], v[14:15]
	v_fma_f64 v[8:9], -v[8:9], v[18:19], v[16:17]
	v_div_fmas_f64 v[8:9], v[8:9], v[14:15], v[18:19]
	v_div_fixup_f64 v[8:9], v[8:9], v[4:5], v[12:13]
	v_mov_b32_e32 v12, 0x7ff80000
	v_cmp_neq_f64_e32 vcc, 0, v[4:5]
	v_cndmask_b32_e32 v5, v12, v9, vcc
	v_cndmask_b32_e32 v4, 0, v8, vcc
	global_store_dwordx2 v[0:1], v[4:5], off
.LBB683_21:
	s_or_b64 exec, exec, s[2:3]
	v_cmp_ne_u32_e32 vcc, 1, v24
	s_and_b64 exec, exec, vcc
	s_cbranch_execz .LBB683_24
; %bb.22:
	s_and_b64 exec, exec, s[0:1]
	s_cbranch_execz .LBB683_24
; %bb.23:
	s_waitcnt lgkmcnt(0)
	v_add_f64 v[2:3], v[2:3], v[6:7]
	v_div_scale_f64 v[4:5], s[0:1], v[2:3], v[2:3], v[10:11]
	v_rcp_f64_e32 v[6:7], v[4:5]
	v_div_scale_f64 v[8:9], vcc, v[10:11], v[2:3], v[10:11]
	s_mov_b32 s11, 0
	v_fma_f64 v[12:13], -v[4:5], v[6:7], 1.0
	v_fmac_f64_e32 v[6:7], v[6:7], v[12:13]
	v_fma_f64 v[12:13], -v[4:5], v[6:7], 1.0
	v_fmac_f64_e32 v[6:7], v[6:7], v[12:13]
	v_mul_f64 v[12:13], v[8:9], v[6:7]
	v_fma_f64 v[4:5], -v[4:5], v[12:13], v[8:9]
	s_lshl_b64 s[0:1], s[10:11], 3
	v_div_fmas_f64 v[4:5], v[4:5], v[6:7], v[12:13]
	v_mov_b32_e32 v6, s1
	v_add_co_u32_e32 v0, vcc, s0, v0
	v_addc_co_u32_e32 v1, vcc, v1, v6, vcc
	v_div_fixup_f64 v[4:5], v[4:5], v[2:3], v[10:11]
	v_mov_b32_e32 v6, 0x7ff80000
	v_cmp_neq_f64_e32 vcc, 0, v[2:3]
	v_cndmask_b32_e32 v3, v6, v5, vcc
	v_cndmask_b32_e32 v2, 0, v4, vcc
	global_store_dwordx2 v[0:1], v[2:3], off
.LBB683_24:
	s_endpgm
	.section	.rodata,"a",@progbits
	.p2align	6, 0x0
	.amdhsa_kernel _ZN12_GLOBAL__N_120softmax_warp_forwardIdddLi5ELb0ELb1ELi32EEEvPT0_PKT_iiiPKbib
		.amdhsa_group_segment_fixed_size 0
		.amdhsa_private_segment_fixed_size 0
		.amdhsa_kernarg_size 304
		.amdhsa_user_sgpr_count 6
		.amdhsa_user_sgpr_private_segment_buffer 1
		.amdhsa_user_sgpr_dispatch_ptr 0
		.amdhsa_user_sgpr_queue_ptr 0
		.amdhsa_user_sgpr_kernarg_segment_ptr 1
		.amdhsa_user_sgpr_dispatch_id 0
		.amdhsa_user_sgpr_flat_scratch_init 0
		.amdhsa_user_sgpr_kernarg_preload_length 0
		.amdhsa_user_sgpr_kernarg_preload_offset 0
		.amdhsa_user_sgpr_private_segment_size 0
		.amdhsa_uses_dynamic_stack 0
		.amdhsa_system_sgpr_private_segment_wavefront_offset 0
		.amdhsa_system_sgpr_workgroup_id_x 1
		.amdhsa_system_sgpr_workgroup_id_y 0
		.amdhsa_system_sgpr_workgroup_id_z 0
		.amdhsa_system_sgpr_workgroup_info 0
		.amdhsa_system_vgpr_workitem_id 1
		.amdhsa_next_free_vgpr 30
		.amdhsa_next_free_sgpr 20
		.amdhsa_accum_offset 32
		.amdhsa_reserve_vcc 1
		.amdhsa_reserve_flat_scratch 0
		.amdhsa_float_round_mode_32 0
		.amdhsa_float_round_mode_16_64 0
		.amdhsa_float_denorm_mode_32 3
		.amdhsa_float_denorm_mode_16_64 3
		.amdhsa_dx10_clamp 1
		.amdhsa_ieee_mode 1
		.amdhsa_fp16_overflow 0
		.amdhsa_tg_split 0
		.amdhsa_exception_fp_ieee_invalid_op 0
		.amdhsa_exception_fp_denorm_src 0
		.amdhsa_exception_fp_ieee_div_zero 0
		.amdhsa_exception_fp_ieee_overflow 0
		.amdhsa_exception_fp_ieee_underflow 0
		.amdhsa_exception_fp_ieee_inexact 0
		.amdhsa_exception_int_div_zero 0
	.end_amdhsa_kernel
	.section	.text._ZN12_GLOBAL__N_120softmax_warp_forwardIdddLi5ELb0ELb1ELi32EEEvPT0_PKT_iiiPKbib,"axG",@progbits,_ZN12_GLOBAL__N_120softmax_warp_forwardIdddLi5ELb0ELb1ELi32EEEvPT0_PKT_iiiPKbib,comdat
.Lfunc_end683:
	.size	_ZN12_GLOBAL__N_120softmax_warp_forwardIdddLi5ELb0ELb1ELi32EEEvPT0_PKT_iiiPKbib, .Lfunc_end683-_ZN12_GLOBAL__N_120softmax_warp_forwardIdddLi5ELb0ELb1ELi32EEEvPT0_PKT_iiiPKbib
                                        ; -- End function
	.section	.AMDGPU.csdata,"",@progbits
; Kernel info:
; codeLenInByte = 2744
; NumSgprs: 24
; NumVgprs: 30
; NumAgprs: 0
; TotalNumVgprs: 30
; ScratchSize: 0
; MemoryBound: 0
; FloatMode: 240
; IeeeMode: 1
; LDSByteSize: 0 bytes/workgroup (compile time only)
; SGPRBlocks: 2
; VGPRBlocks: 3
; NumSGPRsForWavesPerEU: 24
; NumVGPRsForWavesPerEU: 30
; AccumOffset: 32
; Occupancy: 8
; WaveLimiterHint : 0
; COMPUTE_PGM_RSRC2:SCRATCH_EN: 0
; COMPUTE_PGM_RSRC2:USER_SGPR: 6
; COMPUTE_PGM_RSRC2:TRAP_HANDLER: 0
; COMPUTE_PGM_RSRC2:TGID_X_EN: 1
; COMPUTE_PGM_RSRC2:TGID_Y_EN: 0
; COMPUTE_PGM_RSRC2:TGID_Z_EN: 0
; COMPUTE_PGM_RSRC2:TIDIG_COMP_CNT: 1
; COMPUTE_PGM_RSRC3_GFX90A:ACCUM_OFFSET: 7
; COMPUTE_PGM_RSRC3_GFX90A:TG_SPLIT: 0
	.section	.text._ZN12_GLOBAL__N_120softmax_warp_forwardIdddLi6ELb0ELb1ELi64EEEvPT0_PKT_iiiPKbib,"axG",@progbits,_ZN12_GLOBAL__N_120softmax_warp_forwardIdddLi6ELb0ELb1ELi64EEEvPT0_PKT_iiiPKbib,comdat
	.globl	_ZN12_GLOBAL__N_120softmax_warp_forwardIdddLi6ELb0ELb1ELi64EEEvPT0_PKT_iiiPKbib ; -- Begin function _ZN12_GLOBAL__N_120softmax_warp_forwardIdddLi6ELb0ELb1ELi64EEEvPT0_PKT_iiiPKbib
	.p2align	8
	.type	_ZN12_GLOBAL__N_120softmax_warp_forwardIdddLi6ELb0ELb1ELi64EEEvPT0_PKT_iiiPKbib,@function
_ZN12_GLOBAL__N_120softmax_warp_forwardIdddLi6ELb0ELb1ELi64EEEvPT0_PKT_iiiPKbib: ; @_ZN12_GLOBAL__N_120softmax_warp_forwardIdddLi6ELb0ELb1ELi64EEEvPT0_PKT_iiiPKbib
; %bb.0:
	s_load_dwordx2 s[0:1], s[4:5], 0x28
	s_load_dword s2, s[4:5], 0x3c
	s_load_dwordx4 s[8:11], s[4:5], 0x10
	v_bfe_u32 v1, v0, 10, 10
	v_and_b32_e32 v2, 0x3ff, v0
	s_waitcnt lgkmcnt(0)
	s_bitcmp1_b32 s1, 0
	s_cselect_b64 s[16:17], -1, 0
	s_lshr_b32 s2, s2, 16
	s_mul_i32 s6, s6, s2
	v_add_lshl_u32 v3, s6, v1, 1
	v_mul_lo_u32 v6, v3, s9
	v_add_u32_e32 v4, v6, v2
	v_ashrrev_i32_e32 v5, 31, v4
	s_bitcmp0_b32 s1, 0
	v_pk_mov_b32 v[0:1], v[4:5], v[4:5] op_sel:[0,1]
	s_cbranch_scc1 .LBB684_2
; %bb.1:
	s_abs_i32 s1, s0
	v_cvt_f32_u32_e32 v0, s1
	v_xor_b32_e32 v1, s0, v6
	v_sub_u32_e32 v7, 0, v6
	s_sub_i32 s0, 0, s1
	v_rcp_iflag_f32_e32 v0, v0
	v_max_i32_e32 v6, v6, v7
	v_ashrrev_i32_e32 v1, 31, v1
	v_mul_f32_e32 v0, 0x4f7ffffe, v0
	v_cvt_u32_f32_e32 v0, v0
	v_mul_lo_u32 v7, s0, v0
	v_mul_hi_u32 v7, v0, v7
	v_add_u32_e32 v0, v0, v7
	v_mul_hi_u32 v0, v6, v0
	v_mul_lo_u32 v7, v0, s1
	v_sub_u32_e32 v6, v6, v7
	v_add_u32_e32 v8, 1, v0
	v_cmp_le_u32_e32 vcc, s1, v6
	v_subrev_u32_e32 v7, s1, v6
	v_cndmask_b32_e32 v0, v0, v8, vcc
	v_cndmask_b32_e32 v6, v6, v7, vcc
	v_add_u32_e32 v7, 1, v0
	v_cmp_le_u32_e32 vcc, s1, v6
	v_cndmask_b32_e32 v0, v0, v7, vcc
	v_xor_b32_e32 v0, v0, v1
	v_sub_u32_e32 v0, v0, v1
	v_mad_u64_u32 v[0:1], s[0:1], v0, s9, v[2:3]
	v_ashrrev_i32_e32 v1, 31, v0
.LBB684_2:
	s_load_dwordx4 s[12:15], s[4:5], 0x0
	v_lshlrev_b64 v[4:5], 3, v[4:5]
	v_sub_u32_e32 v24, s8, v3
	v_mov_b32_e32 v6, 0
	v_cmp_gt_i32_e64 s[0:1], s10, v2
	s_waitcnt lgkmcnt(0)
	v_mov_b32_e32 v3, s15
	v_add_co_u32_e32 v8, vcc, s14, v4
	v_addc_co_u32_e32 v9, vcc, v3, v5, vcc
	v_cmp_lt_i32_e32 vcc, 0, v24
	v_mov_b32_e32 v7, 0xfff00000
	s_and_b64 s[14:15], s[0:1], vcc
	v_pk_mov_b32 v[14:15], v[6:7], v[6:7] op_sel:[0,1]
	s_and_saveexec_b64 s[2:3], s[14:15]
	s_cbranch_execz .LBB684_4
; %bb.3:
	global_load_dwordx2 v[14:15], v[8:9], off
.LBB684_4:
	s_or_b64 exec, exec, s[2:3]
	v_cmp_lt_i32_e64 s[2:3], 1, v24
	s_and_b64 s[8:9], s[0:1], s[2:3]
	s_and_saveexec_b64 s[6:7], s[8:9]
	s_cbranch_execz .LBB684_6
; %bb.5:
	s_mov_b32 s11, 0
	s_lshl_b64 s[2:3], s[10:11], 3
	v_mov_b32_e32 v3, s3
	v_add_co_u32_e64 v2, s[2:3], s2, v8
	v_addc_co_u32_e64 v3, s[2:3], v9, v3, s[2:3]
	global_load_dwordx2 v[6:7], v[2:3], off
.LBB684_6:
	s_or_b64 exec, exec, s[6:7]
	s_load_dwordx2 s[2:3], s[4:5], 0x20
	s_waitcnt lgkmcnt(0)
	v_mov_b32_e32 v2, s3
	v_add_co_u32_e64 v8, s[2:3], s2, v0
	v_addc_co_u32_e64 v9, s[2:3], v2, v1, s[2:3]
	v_mov_b32_e32 v0, 0
	v_mov_b32_e32 v1, 0xfff00000
	s_and_saveexec_b64 s[4:5], s[14:15]
	s_cbranch_execz .LBB684_8
; %bb.7:
	global_load_ubyte v0, v[8:9], off
	v_mov_b32_e32 v1, 0xfff00000
	s_waitcnt vmcnt(0)
	v_and_b32_e32 v0, 1, v0
	v_cmp_eq_u32_e64 s[2:3], 1, v0
	v_cndmask_b32_e64 v1, v15, v1, s[2:3]
	v_cndmask_b32_e64 v0, v14, 0, s[2:3]
.LBB684_8:
	s_or_b64 exec, exec, s[4:5]
	s_mov_b64 s[4:5], 0
	s_and_saveexec_b64 s[6:7], s[8:9]
	s_cbranch_execz .LBB684_10
; %bb.9:
	s_and_b64 s[2:3], s[16:17], exec
	s_cselect_b32 s2, 0, 0
	s_cselect_b32 s3, 0, s10
	v_mov_b32_e32 v3, s2
	v_add_co_u32_e64 v2, s[2:3], s3, v8
	v_addc_co_u32_e64 v3, s[2:3], v9, v3, s[2:3]
	global_load_ubyte v2, v[2:3], off
	s_waitcnt vmcnt(0)
	v_and_b32_e32 v2, 1, v2
	v_cmp_eq_u32_e64 s[2:3], 1, v2
	s_xor_b64 s[2:3], s[2:3], -1
	s_and_b64 s[4:5], s[2:3], exec
.LBB684_10:
	s_or_b64 exec, exec, s[6:7]
	v_mov_b32_e32 v2, 0xfff00000
	s_waitcnt vmcnt(0)
	v_cndmask_b32_e64 v3, v2, v7, s[4:5]
	v_mbcnt_lo_u32_b32 v2, -1, 0
	v_mbcnt_hi_u32_b32 v18, -1, v2
	v_and_b32_e32 v2, 64, v18
	v_add_u32_e32 v19, 64, v2
	v_xor_b32_e32 v2, 32, v18
	v_cmp_lt_i32_e64 s[2:3], v2, v19
	v_cndmask_b32_e64 v2, v18, v2, s[2:3]
	v_lshlrev_b32_e32 v25, 2, v2
	ds_bpermute_b32 v10, v25, v0
	ds_bpermute_b32 v11, v25, v1
	v_cndmask_b32_e64 v2, 0, v6, s[4:5]
	ds_bpermute_b32 v12, v25, v2
	ds_bpermute_b32 v13, v25, v3
	s_waitcnt lgkmcnt(2)
	v_cmp_lt_f64_e64 s[2:3], v[0:1], v[10:11]
	v_cndmask_b32_e64 v0, v0, v10, s[2:3]
	v_xor_b32_e32 v10, 16, v18
	v_cmp_lt_i32_e64 s[4:5], v10, v19
	v_cndmask_b32_e64 v10, v18, v10, s[4:5]
	v_cndmask_b32_e64 v1, v1, v11, s[2:3]
	v_lshlrev_b32_e32 v26, 2, v10
	ds_bpermute_b32 v10, v26, v0
	ds_bpermute_b32 v11, v26, v1
	s_waitcnt lgkmcnt(2)
	v_cmp_lt_f64_e64 s[2:3], v[2:3], v[12:13]
	v_cndmask_b32_e64 v3, v3, v13, s[2:3]
	v_cndmask_b32_e64 v2, v2, v12, s[2:3]
	ds_bpermute_b32 v12, v26, v2
	s_waitcnt lgkmcnt(1)
	v_cmp_lt_f64_e64 s[2:3], v[0:1], v[10:11]
	v_cndmask_b32_e64 v0, v0, v10, s[2:3]
	v_xor_b32_e32 v10, 8, v18
	v_cmp_lt_i32_e64 s[4:5], v10, v19
	v_cndmask_b32_e64 v10, v18, v10, s[4:5]
	ds_bpermute_b32 v13, v26, v3
	v_cndmask_b32_e64 v1, v1, v11, s[2:3]
	v_lshlrev_b32_e32 v27, 2, v10
	ds_bpermute_b32 v10, v27, v0
	ds_bpermute_b32 v11, v27, v1
	s_waitcnt lgkmcnt(2)
	v_cmp_lt_f64_e64 s[2:3], v[2:3], v[12:13]
	v_cndmask_b32_e64 v3, v3, v13, s[2:3]
	v_cndmask_b32_e64 v2, v2, v12, s[2:3]
	ds_bpermute_b32 v12, v27, v2
	s_waitcnt lgkmcnt(1)
	v_cmp_lt_f64_e64 s[2:3], v[0:1], v[10:11]
	v_cndmask_b32_e64 v0, v0, v10, s[2:3]
	v_xor_b32_e32 v10, 4, v18
	ds_bpermute_b32 v13, v27, v3
	v_cmp_lt_i32_e64 s[4:5], v10, v19
	v_cndmask_b32_e64 v10, v18, v10, s[4:5]
	v_cndmask_b32_e64 v1, v1, v11, s[2:3]
	v_lshlrev_b32_e32 v28, 2, v10
	ds_bpermute_b32 v10, v28, v0
	ds_bpermute_b32 v11, v28, v1
	s_waitcnt lgkmcnt(2)
	v_cmp_lt_f64_e64 s[2:3], v[2:3], v[12:13]
	v_cndmask_b32_e64 v3, v3, v13, s[2:3]
	v_cndmask_b32_e64 v2, v2, v12, s[2:3]
	ds_bpermute_b32 v12, v28, v2
	ds_bpermute_b32 v13, v28, v3
	s_waitcnt lgkmcnt(2)
	v_cmp_lt_f64_e64 s[2:3], v[0:1], v[10:11]
	v_cndmask_b32_e64 v0, v0, v10, s[2:3]
	v_xor_b32_e32 v10, 2, v18
	v_cmp_lt_i32_e64 s[4:5], v10, v19
	v_cndmask_b32_e64 v10, v18, v10, s[4:5]
	v_cndmask_b32_e64 v1, v1, v11, s[2:3]
	s_waitcnt lgkmcnt(0)
	v_cmp_lt_f64_e64 s[2:3], v[2:3], v[12:13]
	v_lshlrev_b32_e32 v29, 2, v10
	v_cndmask_b32_e64 v3, v3, v13, s[2:3]
	ds_bpermute_b32 v10, v29, v0
	ds_bpermute_b32 v11, v29, v1
	v_cndmask_b32_e64 v2, v2, v12, s[2:3]
	ds_bpermute_b32 v12, v29, v2
	ds_bpermute_b32 v13, v29, v3
	s_mov_b32 s4, 0
	s_waitcnt lgkmcnt(2)
	v_cmp_lt_f64_e64 s[2:3], v[0:1], v[10:11]
	v_cndmask_b32_e64 v21, v1, v11, s[2:3]
	v_cndmask_b32_e64 v20, v0, v10, s[2:3]
	s_waitcnt lgkmcnt(0)
	v_cmp_lt_f64_e64 s[2:3], v[2:3], v[12:13]
	v_xor_b32_e32 v0, 1, v18
	v_cndmask_b32_e64 v17, v3, v13, s[2:3]
	v_cndmask_b32_e64 v16, v2, v12, s[2:3]
	v_cmp_lt_i32_e64 s[2:3], v0, v19
	v_cndmask_b32_e64 v0, v18, v0, s[2:3]
	v_lshlrev_b32_e32 v30, 2, v0
	ds_bpermute_b32 v22, v30, v20
	ds_bpermute_b32 v23, v30, v21
	;; [unrolled: 1-line block ×4, first 2 shown]
	s_mov_b32 s5, s4
	s_mov_b32 s6, s4
	s_mov_b32 s7, s4
	v_pk_mov_b32 v[10:11], 0, 0
	v_pk_mov_b32 v[0:1], s[4:5], s[4:5] op_sel:[0,1]
	v_pk_mov_b32 v[2:3], s[6:7], s[6:7] op_sel:[0,1]
	;; [unrolled: 1-line block ×3, first 2 shown]
	s_and_saveexec_b64 s[18:19], s[14:15]
	s_cbranch_execz .LBB684_14
; %bb.11:
	global_load_ubyte v12, v[8:9], off
	v_pk_mov_b32 v[0:1], s[4:5], s[4:5] op_sel:[0,1]
	v_pk_mov_b32 v[2:3], s[6:7], s[6:7] op_sel:[0,1]
	s_waitcnt vmcnt(0)
	v_and_b32_e32 v12, 1, v12
	v_cmp_eq_u32_e64 s[2:3], 1, v12
	s_xor_b64 s[2:3], s[2:3], -1
	v_pk_mov_b32 v[12:13], 0, 0
	s_and_saveexec_b64 s[6:7], s[2:3]
	s_cbranch_execz .LBB684_13
; %bb.12:
	s_waitcnt lgkmcnt(2)
	v_cmp_lt_f64_e64 s[2:3], v[20:21], v[22:23]
	v_cndmask_b32_e64 v1, v21, v23, s[2:3]
	v_cndmask_b32_e64 v0, v20, v22, s[2:3]
	s_mov_b32 s2, 0x652b82fe
	v_add_f64 v[0:1], v[14:15], -v[0:1]
	s_mov_b32 s3, 0x3ff71547
	v_mul_f64 v[2:3], v[0:1], s[2:3]
	s_mov_b32 s2, 0xfefa39ef
	v_rndne_f64_e32 v[2:3], v[2:3]
	s_mov_b32 s3, 0xbfe62e42
	v_fma_f64 v[12:13], s[2:3], v[2:3], v[0:1]
	s_mov_b32 s2, 0x3b39803f
	s_mov_b32 s3, 0xbc7abc9e
	v_fmac_f64_e32 v[12:13], s[2:3], v[2:3]
	s_mov_b32 s2, 0x6a5dcb37
	v_mov_b32_e32 v14, 0xfca7ab0c
	v_mov_b32_e32 v15, 0x3e928af3
	s_mov_b32 s3, 0x3e5ade15
	v_fmac_f64_e32 v[14:15], s[2:3], v[12:13]
	v_mov_b32_e32 v20, 0x623fde64
	v_mov_b32_e32 v21, 0x3ec71dee
	v_fmac_f64_e32 v[20:21], v[12:13], v[14:15]
	v_mov_b32_e32 v14, 0x7c89e6b0
	v_mov_b32_e32 v15, 0x3efa0199
	;; [unrolled: 3-line block ×8, first 2 shown]
	v_fmac_f64_e32 v[14:15], v[12:13], v[20:21]
	v_fma_f64 v[14:15], v[12:13], v[14:15], 1.0
	s_mov_b32 s2, 0
	s_mov_b32 s4, 0
	v_fma_f64 v[12:13], v[12:13], v[14:15], 1.0
	v_cvt_i32_f64_e32 v2, v[2:3]
	s_mov_b32 s3, 0x40900000
	s_mov_b32 s5, 0xc090cc00
	v_ldexp_f64 v[12:13], v[12:13], v2
	v_mov_b32_e32 v2, 0x7ff00000
	v_cmp_nlt_f64_e64 s[2:3], s[2:3], v[0:1]
	v_cmp_ngt_f64_e64 s[4:5], s[4:5], v[0:1]
	v_cndmask_b32_e64 v3, v2, v13, s[2:3]
	s_and_b64 s[2:3], s[4:5], s[2:3]
	v_mov_b32_e32 v2, 0
	v_cndmask_b32_e64 v13, 0, v3, s[4:5]
	v_cndmask_b32_e64 v12, 0, v12, s[2:3]
	v_add_f64 v[0:1], v[12:13], 0
	v_mov_b32_e32 v3, v2
.LBB684_13:
	s_or_b64 exec, exec, s[6:7]
.LBB684_14:
	s_or_b64 exec, exec, s[18:19]
	s_and_saveexec_b64 s[6:7], s[8:9]
	s_cbranch_execz .LBB684_18
; %bb.15:
	s_and_b64 s[2:3], s[16:17], exec
	s_cselect_b32 s2, 0, 0
	s_cselect_b32 s3, 0, s10
	v_mov_b32_e32 v10, s2
	v_add_co_u32_e64 v8, s[2:3], s3, v8
	v_addc_co_u32_e64 v9, s[2:3], v9, v10, s[2:3]
	global_load_ubyte v8, v[8:9], off
	v_pk_mov_b32 v[10:11], 0, 0
	s_waitcnt vmcnt(0)
	v_and_b32_e32 v8, 1, v8
	v_cmp_eq_u32_e64 s[2:3], 1, v8
	s_xor_b64 s[2:3], s[2:3], -1
	s_and_saveexec_b64 s[8:9], s[2:3]
	s_cbranch_execz .LBB684_17
; %bb.16:
	s_waitcnt lgkmcnt(0)
	v_cmp_lt_f64_e64 s[2:3], v[16:17], v[18:19]
	v_cndmask_b32_e64 v9, v17, v19, s[2:3]
	v_cndmask_b32_e64 v8, v16, v18, s[2:3]
	s_mov_b32 s2, 0x652b82fe
	v_add_f64 v[6:7], v[6:7], -v[8:9]
	s_mov_b32 s3, 0x3ff71547
	v_mul_f64 v[8:9], v[6:7], s[2:3]
	s_mov_b32 s2, 0xfefa39ef
	v_rndne_f64_e32 v[8:9], v[8:9]
	s_mov_b32 s3, 0xbfe62e42
	v_fma_f64 v[10:11], s[2:3], v[8:9], v[6:7]
	s_mov_b32 s2, 0x3b39803f
	s_mov_b32 s3, 0xbc7abc9e
	v_fmac_f64_e32 v[10:11], s[2:3], v[8:9]
	s_mov_b32 s2, 0x6a5dcb37
	v_mov_b32_e32 v14, 0xfca7ab0c
	v_mov_b32_e32 v15, 0x3e928af3
	s_mov_b32 s3, 0x3e5ade15
	v_fmac_f64_e32 v[14:15], s[2:3], v[10:11]
	v_mov_b32_e32 v16, 0x623fde64
	v_mov_b32_e32 v17, 0x3ec71dee
	v_fmac_f64_e32 v[16:17], v[10:11], v[14:15]
	v_mov_b32_e32 v14, 0x7c89e6b0
	v_mov_b32_e32 v15, 0x3efa0199
	;; [unrolled: 3-line block ×8, first 2 shown]
	v_fmac_f64_e32 v[14:15], v[10:11], v[16:17]
	v_fma_f64 v[14:15], v[10:11], v[14:15], 1.0
	s_mov_b32 s2, 0
	s_mov_b32 s4, 0
	v_fma_f64 v[10:11], v[10:11], v[14:15], 1.0
	v_cvt_i32_f64_e32 v8, v[8:9]
	s_mov_b32 s3, 0x40900000
	s_mov_b32 s5, 0xc090cc00
	v_ldexp_f64 v[8:9], v[10:11], v8
	v_mov_b32_e32 v10, 0x7ff00000
	v_cmp_nlt_f64_e64 s[2:3], s[2:3], v[6:7]
	v_cmp_ngt_f64_e64 s[4:5], s[4:5], v[6:7]
	v_cndmask_b32_e64 v9, v10, v9, s[2:3]
	s_and_b64 s[2:3], s[4:5], s[2:3]
	v_cndmask_b32_e64 v11, 0, v9, s[4:5]
	v_cndmask_b32_e64 v10, 0, v8, s[2:3]
	v_add_f64 v[2:3], v[2:3], v[10:11]
.LBB684_17:
	s_or_b64 exec, exec, s[8:9]
.LBB684_18:
	s_or_b64 exec, exec, s[6:7]
	ds_bpermute_b32 v6, v25, v0
	ds_bpermute_b32 v7, v25, v1
	;; [unrolled: 1-line block ×4, first 2 shown]
	s_waitcnt lgkmcnt(2)
	v_add_f64 v[0:1], v[0:1], v[6:7]
	ds_bpermute_b32 v6, v26, v0
	s_waitcnt lgkmcnt(1)
	v_add_f64 v[2:3], v[2:3], v[8:9]
	ds_bpermute_b32 v7, v26, v1
	ds_bpermute_b32 v8, v26, v2
	ds_bpermute_b32 v9, v26, v3
	s_waitcnt lgkmcnt(2)
	v_add_f64 v[0:1], v[0:1], v[6:7]
	ds_bpermute_b32 v6, v27, v0
	s_waitcnt lgkmcnt(1)
	v_add_f64 v[2:3], v[2:3], v[8:9]
	ds_bpermute_b32 v7, v27, v1
	ds_bpermute_b32 v8, v27, v2
	ds_bpermute_b32 v9, v27, v3
	s_waitcnt lgkmcnt(2)
	v_add_f64 v[0:1], v[0:1], v[6:7]
	ds_bpermute_b32 v6, v28, v0
	s_waitcnt lgkmcnt(1)
	v_add_f64 v[2:3], v[2:3], v[8:9]
	ds_bpermute_b32 v7, v28, v1
	ds_bpermute_b32 v8, v28, v2
	ds_bpermute_b32 v9, v28, v3
	s_waitcnt lgkmcnt(2)
	v_add_f64 v[0:1], v[0:1], v[6:7]
	ds_bpermute_b32 v6, v29, v0
	s_waitcnt lgkmcnt(1)
	v_add_f64 v[2:3], v[2:3], v[8:9]
	ds_bpermute_b32 v7, v29, v1
	ds_bpermute_b32 v14, v29, v2
	ds_bpermute_b32 v15, v29, v3
	s_waitcnt lgkmcnt(2)
	v_add_f64 v[8:9], v[0:1], v[6:7]
	s_waitcnt lgkmcnt(0)
	v_add_f64 v[2:3], v[2:3], v[14:15]
	ds_bpermute_b32 v14, v30, v8
	ds_bpermute_b32 v15, v30, v9
	;; [unrolled: 1-line block ×4, first 2 shown]
	s_and_saveexec_b64 s[2:3], vcc
	s_cbranch_execz .LBB684_24
; %bb.19:
	v_mov_b32_e32 v1, s13
	v_add_co_u32_e32 v0, vcc, s12, v4
	v_addc_co_u32_e32 v1, vcc, v1, v5, vcc
	s_and_saveexec_b64 s[2:3], s[0:1]
	s_cbranch_execz .LBB684_21
; %bb.20:
	s_waitcnt lgkmcnt(2)
	v_add_f64 v[4:5], v[8:9], v[14:15]
	v_div_scale_f64 v[8:9], s[4:5], v[4:5], v[4:5], v[12:13]
	v_rcp_f64_e32 v[14:15], v[8:9]
	v_div_scale_f64 v[16:17], vcc, v[12:13], v[4:5], v[12:13]
	v_fma_f64 v[18:19], -v[8:9], v[14:15], 1.0
	v_fmac_f64_e32 v[14:15], v[14:15], v[18:19]
	v_fma_f64 v[18:19], -v[8:9], v[14:15], 1.0
	v_fmac_f64_e32 v[14:15], v[14:15], v[18:19]
	v_mul_f64 v[18:19], v[16:17], v[14:15]
	v_fma_f64 v[8:9], -v[8:9], v[18:19], v[16:17]
	v_div_fmas_f64 v[8:9], v[8:9], v[14:15], v[18:19]
	v_div_fixup_f64 v[8:9], v[8:9], v[4:5], v[12:13]
	v_mov_b32_e32 v12, 0x7ff80000
	v_cmp_neq_f64_e32 vcc, 0, v[4:5]
	v_cndmask_b32_e32 v5, v12, v9, vcc
	v_cndmask_b32_e32 v4, 0, v8, vcc
	global_store_dwordx2 v[0:1], v[4:5], off
.LBB684_21:
	s_or_b64 exec, exec, s[2:3]
	v_cmp_ne_u32_e32 vcc, 1, v24
	s_and_b64 exec, exec, vcc
	s_cbranch_execz .LBB684_24
; %bb.22:
	s_and_b64 exec, exec, s[0:1]
	s_cbranch_execz .LBB684_24
; %bb.23:
	s_waitcnt lgkmcnt(0)
	v_add_f64 v[2:3], v[2:3], v[6:7]
	v_div_scale_f64 v[4:5], s[0:1], v[2:3], v[2:3], v[10:11]
	v_rcp_f64_e32 v[6:7], v[4:5]
	v_div_scale_f64 v[8:9], vcc, v[10:11], v[2:3], v[10:11]
	s_mov_b32 s11, 0
	v_fma_f64 v[12:13], -v[4:5], v[6:7], 1.0
	v_fmac_f64_e32 v[6:7], v[6:7], v[12:13]
	v_fma_f64 v[12:13], -v[4:5], v[6:7], 1.0
	v_fmac_f64_e32 v[6:7], v[6:7], v[12:13]
	v_mul_f64 v[12:13], v[8:9], v[6:7]
	v_fma_f64 v[4:5], -v[4:5], v[12:13], v[8:9]
	s_lshl_b64 s[0:1], s[10:11], 3
	v_div_fmas_f64 v[4:5], v[4:5], v[6:7], v[12:13]
	v_mov_b32_e32 v6, s1
	v_add_co_u32_e32 v0, vcc, s0, v0
	v_addc_co_u32_e32 v1, vcc, v1, v6, vcc
	v_div_fixup_f64 v[4:5], v[4:5], v[2:3], v[10:11]
	v_mov_b32_e32 v6, 0x7ff80000
	v_cmp_neq_f64_e32 vcc, 0, v[2:3]
	v_cndmask_b32_e32 v3, v6, v5, vcc
	v_cndmask_b32_e32 v2, 0, v4, vcc
	global_store_dwordx2 v[0:1], v[2:3], off
.LBB684_24:
	s_endpgm
	.section	.rodata,"a",@progbits
	.p2align	6, 0x0
	.amdhsa_kernel _ZN12_GLOBAL__N_120softmax_warp_forwardIdddLi6ELb0ELb1ELi64EEEvPT0_PKT_iiiPKbib
		.amdhsa_group_segment_fixed_size 0
		.amdhsa_private_segment_fixed_size 0
		.amdhsa_kernarg_size 304
		.amdhsa_user_sgpr_count 6
		.amdhsa_user_sgpr_private_segment_buffer 1
		.amdhsa_user_sgpr_dispatch_ptr 0
		.amdhsa_user_sgpr_queue_ptr 0
		.amdhsa_user_sgpr_kernarg_segment_ptr 1
		.amdhsa_user_sgpr_dispatch_id 0
		.amdhsa_user_sgpr_flat_scratch_init 0
		.amdhsa_user_sgpr_kernarg_preload_length 0
		.amdhsa_user_sgpr_kernarg_preload_offset 0
		.amdhsa_user_sgpr_private_segment_size 0
		.amdhsa_uses_dynamic_stack 0
		.amdhsa_system_sgpr_private_segment_wavefront_offset 0
		.amdhsa_system_sgpr_workgroup_id_x 1
		.amdhsa_system_sgpr_workgroup_id_y 0
		.amdhsa_system_sgpr_workgroup_id_z 0
		.amdhsa_system_sgpr_workgroup_info 0
		.amdhsa_system_vgpr_workitem_id 1
		.amdhsa_next_free_vgpr 31
		.amdhsa_next_free_sgpr 20
		.amdhsa_accum_offset 32
		.amdhsa_reserve_vcc 1
		.amdhsa_reserve_flat_scratch 0
		.amdhsa_float_round_mode_32 0
		.amdhsa_float_round_mode_16_64 0
		.amdhsa_float_denorm_mode_32 3
		.amdhsa_float_denorm_mode_16_64 3
		.amdhsa_dx10_clamp 1
		.amdhsa_ieee_mode 1
		.amdhsa_fp16_overflow 0
		.amdhsa_tg_split 0
		.amdhsa_exception_fp_ieee_invalid_op 0
		.amdhsa_exception_fp_denorm_src 0
		.amdhsa_exception_fp_ieee_div_zero 0
		.amdhsa_exception_fp_ieee_overflow 0
		.amdhsa_exception_fp_ieee_underflow 0
		.amdhsa_exception_fp_ieee_inexact 0
		.amdhsa_exception_int_div_zero 0
	.end_amdhsa_kernel
	.section	.text._ZN12_GLOBAL__N_120softmax_warp_forwardIdddLi6ELb0ELb1ELi64EEEvPT0_PKT_iiiPKbib,"axG",@progbits,_ZN12_GLOBAL__N_120softmax_warp_forwardIdddLi6ELb0ELb1ELi64EEEvPT0_PKT_iiiPKbib,comdat
.Lfunc_end684:
	.size	_ZN12_GLOBAL__N_120softmax_warp_forwardIdddLi6ELb0ELb1ELi64EEEvPT0_PKT_iiiPKbib, .Lfunc_end684-_ZN12_GLOBAL__N_120softmax_warp_forwardIdddLi6ELb0ELb1ELi64EEEvPT0_PKT_iiiPKbib
                                        ; -- End function
	.section	.AMDGPU.csdata,"",@progbits
; Kernel info:
; codeLenInByte = 2908
; NumSgprs: 24
; NumVgprs: 31
; NumAgprs: 0
; TotalNumVgprs: 31
; ScratchSize: 0
; MemoryBound: 0
; FloatMode: 240
; IeeeMode: 1
; LDSByteSize: 0 bytes/workgroup (compile time only)
; SGPRBlocks: 2
; VGPRBlocks: 3
; NumSGPRsForWavesPerEU: 24
; NumVGPRsForWavesPerEU: 31
; AccumOffset: 32
; Occupancy: 8
; WaveLimiterHint : 0
; COMPUTE_PGM_RSRC2:SCRATCH_EN: 0
; COMPUTE_PGM_RSRC2:USER_SGPR: 6
; COMPUTE_PGM_RSRC2:TRAP_HANDLER: 0
; COMPUTE_PGM_RSRC2:TGID_X_EN: 1
; COMPUTE_PGM_RSRC2:TGID_Y_EN: 0
; COMPUTE_PGM_RSRC2:TGID_Z_EN: 0
; COMPUTE_PGM_RSRC2:TIDIG_COMP_CNT: 1
; COMPUTE_PGM_RSRC3_GFX90A:ACCUM_OFFSET: 7
; COMPUTE_PGM_RSRC3_GFX90A:TG_SPLIT: 0
	.section	.text._ZN12_GLOBAL__N_120softmax_warp_forwardIdddLi6ELb0ELb1ELi32EEEvPT0_PKT_iiiPKbib,"axG",@progbits,_ZN12_GLOBAL__N_120softmax_warp_forwardIdddLi6ELb0ELb1ELi32EEEvPT0_PKT_iiiPKbib,comdat
	.globl	_ZN12_GLOBAL__N_120softmax_warp_forwardIdddLi6ELb0ELb1ELi32EEEvPT0_PKT_iiiPKbib ; -- Begin function _ZN12_GLOBAL__N_120softmax_warp_forwardIdddLi6ELb0ELb1ELi32EEEvPT0_PKT_iiiPKbib
	.p2align	8
	.type	_ZN12_GLOBAL__N_120softmax_warp_forwardIdddLi6ELb0ELb1ELi32EEEvPT0_PKT_iiiPKbib,@function
_ZN12_GLOBAL__N_120softmax_warp_forwardIdddLi6ELb0ELb1ELi32EEEvPT0_PKT_iiiPKbib: ; @_ZN12_GLOBAL__N_120softmax_warp_forwardIdddLi6ELb0ELb1ELi32EEEvPT0_PKT_iiiPKbib
; %bb.0:
	s_load_dwordx2 s[0:1], s[4:5], 0x28
	s_load_dword s2, s[4:5], 0x3c
	s_load_dwordx4 s[8:11], s[4:5], 0x10
	v_bfe_u32 v1, v0, 10, 10
	v_and_b32_e32 v2, 0x3ff, v0
	s_waitcnt lgkmcnt(0)
	s_bitcmp1_b32 s1, 0
	s_cselect_b64 s[16:17], -1, 0
	s_lshr_b32 s2, s2, 16
	s_mul_i32 s6, s6, s2
	v_add_lshl_u32 v3, s6, v1, 1
	v_mul_lo_u32 v6, v3, s9
	v_add_u32_e32 v4, v6, v2
	v_ashrrev_i32_e32 v5, 31, v4
	s_bitcmp0_b32 s1, 0
	v_pk_mov_b32 v[0:1], v[4:5], v[4:5] op_sel:[0,1]
	s_cbranch_scc1 .LBB685_2
; %bb.1:
	s_abs_i32 s1, s0
	v_cvt_f32_u32_e32 v0, s1
	v_xor_b32_e32 v1, s0, v6
	v_sub_u32_e32 v7, 0, v6
	s_sub_i32 s0, 0, s1
	v_rcp_iflag_f32_e32 v0, v0
	v_max_i32_e32 v6, v6, v7
	v_ashrrev_i32_e32 v1, 31, v1
	v_mul_f32_e32 v0, 0x4f7ffffe, v0
	v_cvt_u32_f32_e32 v0, v0
	v_mul_lo_u32 v7, s0, v0
	v_mul_hi_u32 v7, v0, v7
	v_add_u32_e32 v0, v0, v7
	v_mul_hi_u32 v0, v6, v0
	v_mul_lo_u32 v7, v0, s1
	v_sub_u32_e32 v6, v6, v7
	v_add_u32_e32 v8, 1, v0
	v_cmp_le_u32_e32 vcc, s1, v6
	v_subrev_u32_e32 v7, s1, v6
	v_cndmask_b32_e32 v0, v0, v8, vcc
	v_cndmask_b32_e32 v6, v6, v7, vcc
	v_add_u32_e32 v7, 1, v0
	v_cmp_le_u32_e32 vcc, s1, v6
	v_cndmask_b32_e32 v0, v0, v7, vcc
	v_xor_b32_e32 v0, v0, v1
	v_sub_u32_e32 v0, v0, v1
	v_mad_u64_u32 v[0:1], s[0:1], v0, s9, v[2:3]
	v_ashrrev_i32_e32 v1, 31, v0
.LBB685_2:
	s_load_dwordx4 s[12:15], s[4:5], 0x0
	v_lshlrev_b64 v[10:11], 3, v[4:5]
	v_sub_u32_e32 v26, s8, v3
	v_mov_b32_e32 v18, 0
	v_cmp_gt_i32_e64 s[2:3], s10, v2
	s_waitcnt lgkmcnt(0)
	v_mov_b32_e32 v3, s15
	v_add_co_u32_e32 v4, vcc, s14, v10
	v_addc_co_u32_e32 v5, vcc, v3, v11, vcc
	v_cmp_lt_i32_e32 vcc, 0, v26
	v_mov_b32_e32 v19, 0xfff00000
	s_and_b64 s[22:23], vcc, s[2:3]
	v_pk_mov_b32 v[8:9], v[18:19], v[18:19] op_sel:[0,1]
	s_and_saveexec_b64 s[0:1], s[22:23]
	s_cbranch_execz .LBB685_4
; %bb.3:
	global_load_dwordx2 v[8:9], v[4:5], off
.LBB685_4:
	s_or_b64 exec, exec, s[0:1]
	v_add_u32_e32 v2, 32, v2
	v_cmp_gt_i32_e64 s[0:1], s10, v2
	s_and_b64 s[20:21], vcc, s[0:1]
	s_and_saveexec_b64 s[6:7], s[20:21]
	s_cbranch_execz .LBB685_6
; %bb.5:
	global_load_dwordx2 v[18:19], v[4:5], off offset:256
.LBB685_6:
	s_or_b64 exec, exec, s[6:7]
	v_mov_b32_e32 v12, 0
	v_cmp_lt_i32_e64 s[6:7], 1, v26
	v_mov_b32_e32 v13, 0xfff00000
	s_and_b64 s[14:15], s[6:7], s[2:3]
	v_pk_mov_b32 v[2:3], v[12:13], v[12:13] op_sel:[0,1]
	s_and_saveexec_b64 s[18:19], s[14:15]
	s_cbranch_execz .LBB685_8
; %bb.7:
	s_mov_b32 s11, 0
	s_lshl_b64 s[8:9], s[10:11], 3
	v_mov_b32_e32 v3, s9
	v_add_co_u32_e64 v2, s[8:9], s8, v4
	v_addc_co_u32_e64 v3, s[8:9], v5, v3, s[8:9]
	global_load_dwordx2 v[2:3], v[2:3], off
.LBB685_8:
	s_or_b64 exec, exec, s[18:19]
	s_and_b64 s[8:9], s[6:7], s[0:1]
	s_and_saveexec_b64 s[18:19], s[8:9]
	s_cbranch_execz .LBB685_10
; %bb.9:
	s_mov_b32 s11, 0
	s_lshl_b64 s[6:7], s[10:11], 3
	v_mov_b32_e32 v6, s7
	v_add_co_u32_e64 v4, s[6:7], s6, v4
	v_addc_co_u32_e64 v5, s[6:7], v5, v6, s[6:7]
	global_load_dwordx2 v[12:13], v[4:5], off offset:256
.LBB685_10:
	s_or_b64 exec, exec, s[18:19]
	s_load_dwordx2 s[4:5], s[4:5], 0x20
	s_mov_b64 s[6:7], 0
	s_waitcnt lgkmcnt(0)
	v_mov_b32_e32 v4, s5
	v_add_co_u32_e64 v14, s[4:5], s4, v0
	v_addc_co_u32_e64 v15, s[4:5], v4, v1, s[4:5]
	s_waitcnt vmcnt(0)
	v_pk_mov_b32 v[4:5], v[8:9], v[8:9] op_sel:[0,1]
	v_pk_mov_b32 v[6:7], v[10:11], v[10:11] op_sel:[0,1]
	s_and_saveexec_b64 s[18:19], s[22:23]
	s_cbranch_execz .LBB685_12
; %bb.11:
	global_load_ubyte v0, v[14:15], off
	v_pk_mov_b32 v[4:5], v[8:9], v[8:9] op_sel:[0,1]
	v_pk_mov_b32 v[6:7], v[10:11], v[10:11] op_sel:[0,1]
	s_waitcnt vmcnt(0)
	v_and_b32_e32 v0, 1, v0
	v_cmp_eq_u32_e64 s[4:5], 1, v0
	s_xor_b64 s[4:5], s[4:5], -1
	s_and_b64 s[6:7], s[4:5], exec
.LBB685_12:
	s_or_b64 exec, exec, s[18:19]
	s_and_saveexec_b64 s[18:19], s[20:21]
	s_cbranch_execz .LBB685_16
; %bb.13:
	global_load_ubyte v0, v[14:15], off offset:32
	s_waitcnt vmcnt(0)
	v_and_b32_e32 v0, 1, v0
	v_cmp_eq_u32_e64 s[4:5], 1, v0
	s_xor_b64 s[26:27], s[4:5], -1
	s_mov_b64 s[4:5], s[6:7]
	s_and_saveexec_b64 s[24:25], s[26:27]
; %bb.14:
	v_cmp_gt_f64_e64 s[4:5], v[4:5], v[18:19]
	s_and_b64 s[4:5], s[6:7], s[4:5]
	v_cndmask_b32_e64 v5, v19, v5, s[4:5]
	v_cndmask_b32_e64 v4, v18, v4, s[4:5]
	s_or_b64 s[4:5], s[6:7], exec
; %bb.15:
	s_or_b64 exec, exec, s[24:25]
	s_andn2_b64 s[6:7], s[6:7], exec
	s_and_b64 s[4:5], s[4:5], exec
	s_or_b64 s[6:7], s[6:7], s[4:5]
.LBB685_16:
	s_or_b64 exec, exec, s[18:19]
	v_mov_b32_e32 v0, 0xfff00000
	v_cndmask_b32_e64 v1, v0, v5, s[6:7]
	v_cndmask_b32_e64 v0, 0, v4, s[6:7]
	s_and_b64 s[4:5], s[16:17], exec
	v_pk_mov_b32 v[6:7], v[2:3], v[2:3] op_sel:[0,1]
	s_cselect_b32 s11, 0, s10
	s_mov_b64 s[6:7], 0
	v_pk_mov_b32 v[4:5], v[0:1], v[0:1] op_sel:[0,1]
	s_and_saveexec_b64 s[16:17], s[14:15]
	s_cbranch_execz .LBB685_18
; %bb.17:
	s_ashr_i32 s4, s11, 31
	v_mov_b32_e32 v5, s4
	v_add_co_u32_e64 v4, s[4:5], s11, v14
	v_addc_co_u32_e64 v5, s[4:5], v15, v5, s[4:5]
	global_load_ubyte v4, v[4:5], off
	s_waitcnt vmcnt(0)
	v_and_b32_e32 v4, 1, v4
	v_cmp_eq_u32_e64 s[4:5], 1, v4
	s_xor_b64 s[4:5], s[4:5], -1
	v_pk_mov_b32 v[6:7], v[2:3], v[2:3] op_sel:[0,1]
	s_and_b64 s[6:7], s[4:5], exec
	v_pk_mov_b32 v[4:5], v[0:1], v[0:1] op_sel:[0,1]
.LBB685_18:
	s_or_b64 exec, exec, s[16:17]
	s_and_saveexec_b64 s[16:17], s[8:9]
	s_cbranch_execz .LBB685_22
; %bb.19:
	s_ashr_i32 s4, s11, 31
	v_mov_b32_e32 v1, s4
	v_add_co_u32_e64 v0, s[4:5], s11, v14
	v_addc_co_u32_e64 v1, s[4:5], v15, v1, s[4:5]
	global_load_ubyte v0, v[0:1], off offset:32
	s_waitcnt vmcnt(0)
	v_and_b32_e32 v0, 1, v0
	v_cmp_eq_u32_e64 s[4:5], 1, v0
	s_xor_b64 s[24:25], s[4:5], -1
	s_mov_b64 s[4:5], s[6:7]
	s_and_saveexec_b64 s[18:19], s[24:25]
; %bb.20:
	v_cmp_gt_f64_e64 s[4:5], v[6:7], v[12:13]
	s_and_b64 s[4:5], s[6:7], s[4:5]
	v_cndmask_b32_e64 v7, v13, v7, s[4:5]
	v_cndmask_b32_e64 v6, v12, v6, s[4:5]
	s_or_b64 s[4:5], s[6:7], exec
; %bb.21:
	s_or_b64 exec, exec, s[18:19]
	s_andn2_b64 s[6:7], s[6:7], exec
	s_and_b64 s[4:5], s[4:5], exec
	s_or_b64 s[6:7], s[6:7], s[4:5]
.LBB685_22:
	s_or_b64 exec, exec, s[16:17]
	v_mbcnt_lo_u32_b32 v0, -1, 0
	v_mbcnt_hi_u32_b32 v20, -1, v0
	v_and_b32_e32 v0, 0x60, v20
	v_add_u32_e32 v21, 32, v0
	v_xor_b32_e32 v0, 16, v20
	v_cmp_lt_i32_e64 s[4:5], v0, v21
	v_cndmask_b32_e64 v0, v20, v0, s[4:5]
	v_lshlrev_b32_e32 v27, 2, v0
	ds_bpermute_b32 v0, v27, v4
	ds_bpermute_b32 v1, v27, v5
	v_mov_b32_e32 v16, 0xfff00000
	v_cndmask_b32_e64 v7, v16, v7, s[6:7]
	v_xor_b32_e32 v16, 8, v20
	v_cndmask_b32_e64 v6, 0, v6, s[6:7]
	s_waitcnt lgkmcnt(0)
	v_cmp_lt_f64_e64 s[4:5], v[4:5], v[0:1]
	v_cndmask_b32_e64 v1, v5, v1, s[4:5]
	v_cndmask_b32_e64 v0, v4, v0, s[4:5]
	v_cmp_lt_i32_e64 s[4:5], v16, v21
	v_cndmask_b32_e64 v16, v20, v16, s[4:5]
	ds_bpermute_b32 v4, v27, v6
	ds_bpermute_b32 v5, v27, v7
	v_lshlrev_b32_e32 v28, 2, v16
	ds_bpermute_b32 v16, v28, v0
	ds_bpermute_b32 v17, v28, v1
	s_mov_b32 s16, 0
	s_waitcnt lgkmcnt(2)
	v_cmp_lt_f64_e64 s[4:5], v[6:7], v[4:5]
	v_cndmask_b32_e64 v5, v7, v5, s[4:5]
	v_cndmask_b32_e64 v4, v6, v4, s[4:5]
	s_waitcnt lgkmcnt(0)
	v_cmp_lt_f64_e64 s[4:5], v[0:1], v[16:17]
	v_cndmask_b32_e64 v0, v0, v16, s[4:5]
	v_xor_b32_e32 v16, 4, v20
	v_cndmask_b32_e64 v1, v1, v17, s[4:5]
	v_cmp_lt_i32_e64 s[4:5], v16, v21
	v_cndmask_b32_e64 v16, v20, v16, s[4:5]
	ds_bpermute_b32 v6, v28, v4
	ds_bpermute_b32 v7, v28, v5
	v_lshlrev_b32_e32 v29, 2, v16
	ds_bpermute_b32 v16, v29, v0
	ds_bpermute_b32 v17, v29, v1
	s_mov_b32 s17, s16
	s_waitcnt lgkmcnt(2)
	v_cmp_lt_f64_e64 s[4:5], v[4:5], v[6:7]
	v_cndmask_b32_e64 v5, v5, v7, s[4:5]
	v_cndmask_b32_e64 v4, v4, v6, s[4:5]
	s_waitcnt lgkmcnt(0)
	v_cmp_lt_f64_e64 s[4:5], v[0:1], v[16:17]
	v_cndmask_b32_e64 v0, v0, v16, s[4:5]
	v_xor_b32_e32 v16, 2, v20
	v_cndmask_b32_e64 v1, v1, v17, s[4:5]
	v_cmp_lt_i32_e64 s[4:5], v16, v21
	v_cndmask_b32_e64 v16, v20, v16, s[4:5]
	ds_bpermute_b32 v6, v29, v4
	ds_bpermute_b32 v7, v29, v5
	v_lshlrev_b32_e32 v30, 2, v16
	ds_bpermute_b32 v16, v30, v0
	ds_bpermute_b32 v17, v30, v1
	s_mov_b32 s18, s16
	s_waitcnt lgkmcnt(2)
	v_cmp_lt_f64_e64 s[4:5], v[4:5], v[6:7]
	v_cndmask_b32_e64 v5, v5, v7, s[4:5]
	v_cndmask_b32_e64 v4, v4, v6, s[4:5]
	s_waitcnt lgkmcnt(0)
	v_cmp_lt_f64_e64 s[4:5], v[0:1], v[16:17]
	v_cndmask_b32_e64 v0, v0, v16, s[4:5]
	ds_bpermute_b32 v6, v30, v4
	ds_bpermute_b32 v7, v30, v5
	v_xor_b32_e32 v16, 1, v20
	v_cndmask_b32_e64 v1, v1, v17, s[4:5]
	v_cmp_lt_i32_e64 s[4:5], v16, v21
	v_cndmask_b32_e64 v16, v20, v16, s[4:5]
	v_lshlrev_b32_e32 v31, 2, v16
	ds_bpermute_b32 v16, v31, v0
	ds_bpermute_b32 v17, v31, v1
	s_waitcnt lgkmcnt(2)
	v_cmp_lt_f64_e64 s[4:5], v[4:5], v[6:7]
	v_cndmask_b32_e64 v21, v5, v7, s[4:5]
	v_cndmask_b32_e64 v20, v4, v6, s[4:5]
	ds_bpermute_b32 v22, v31, v20
	ds_bpermute_b32 v23, v31, v21
	s_waitcnt lgkmcnt(2)
	v_cmp_lt_f64_e64 s[4:5], v[0:1], v[16:17]
	v_cndmask_b32_e64 v25, v1, v17, s[4:5]
	v_cndmask_b32_e64 v24, v0, v16, s[4:5]
	s_mov_b32 s19, s16
	v_pk_mov_b32 v[0:1], 0, 0
	v_pk_mov_b32 v[4:5], s[16:17], s[16:17] op_sel:[0,1]
	v_pk_mov_b32 v[6:7], s[18:19], s[18:19] op_sel:[0,1]
	;; [unrolled: 1-line block ×3, first 2 shown]
	s_and_saveexec_b64 s[24:25], s[22:23]
	s_cbranch_execz .LBB685_26
; %bb.23:
	global_load_ubyte v16, v[14:15], off
	v_pk_mov_b32 v[4:5], s[16:17], s[16:17] op_sel:[0,1]
	v_pk_mov_b32 v[6:7], s[18:19], s[18:19] op_sel:[0,1]
	s_waitcnt vmcnt(0)
	v_and_b32_e32 v16, 1, v16
	v_cmp_eq_u32_e64 s[4:5], 1, v16
	s_xor_b64 s[4:5], s[4:5], -1
	v_pk_mov_b32 v[16:17], 0, 0
	s_and_saveexec_b64 s[16:17], s[4:5]
	s_cbranch_execz .LBB685_25
; %bb.24:
	s_mov_b32 s4, 0x652b82fe
	v_add_f64 v[4:5], v[8:9], -v[24:25]
	s_mov_b32 s5, 0x3ff71547
	v_mul_f64 v[6:7], v[4:5], s[4:5]
	s_mov_b32 s4, 0xfefa39ef
	v_rndne_f64_e32 v[6:7], v[6:7]
	s_mov_b32 s5, 0xbfe62e42
	v_fma_f64 v[8:9], s[4:5], v[6:7], v[4:5]
	s_mov_b32 s4, 0x3b39803f
	s_mov_b32 s5, 0xbc7abc9e
	v_fmac_f64_e32 v[8:9], s[4:5], v[6:7]
	s_mov_b32 s4, 0x6a5dcb37
	v_mov_b32_e32 v16, 0xfca7ab0c
	v_mov_b32_e32 v17, 0x3e928af3
	s_mov_b32 s5, 0x3e5ade15
	v_fmac_f64_e32 v[16:17], s[4:5], v[8:9]
	v_mov_b32_e32 v32, 0x623fde64
	v_mov_b32_e32 v33, 0x3ec71dee
	v_fmac_f64_e32 v[32:33], v[8:9], v[16:17]
	v_mov_b32_e32 v16, 0x7c89e6b0
	v_mov_b32_e32 v17, 0x3efa0199
	;; [unrolled: 3-line block ×8, first 2 shown]
	v_fmac_f64_e32 v[16:17], v[8:9], v[32:33]
	v_fma_f64 v[16:17], v[8:9], v[16:17], 1.0
	s_mov_b32 s4, 0
	s_mov_b32 s6, 0
	v_fma_f64 v[8:9], v[8:9], v[16:17], 1.0
	v_cvt_i32_f64_e32 v6, v[6:7]
	s_mov_b32 s5, 0x40900000
	s_mov_b32 s7, 0xc090cc00
	v_ldexp_f64 v[8:9], v[8:9], v6
	v_mov_b32_e32 v6, 0x7ff00000
	v_cmp_nlt_f64_e64 s[4:5], s[4:5], v[4:5]
	v_cmp_ngt_f64_e64 s[6:7], s[6:7], v[4:5]
	v_cndmask_b32_e64 v7, v6, v9, s[4:5]
	s_and_b64 s[4:5], s[6:7], s[4:5]
	v_mov_b32_e32 v6, 0
	v_cndmask_b32_e64 v17, 0, v7, s[6:7]
	v_cndmask_b32_e64 v16, 0, v8, s[4:5]
	v_add_f64 v[4:5], v[16:17], 0
	v_mov_b32_e32 v7, v6
.LBB685_25:
	s_or_b64 exec, exec, s[16:17]
.LBB685_26:
	s_or_b64 exec, exec, s[24:25]
	s_and_saveexec_b64 s[16:17], s[20:21]
	s_cbranch_execz .LBB685_30
; %bb.27:
	global_load_ubyte v0, v[14:15], off offset:32
	s_waitcnt vmcnt(0)
	v_and_b32_e32 v0, 1, v0
	v_cmp_eq_u32_e64 s[4:5], 1, v0
	s_xor_b64 s[4:5], s[4:5], -1
	v_pk_mov_b32 v[0:1], 0, 0
	s_and_saveexec_b64 s[18:19], s[4:5]
	s_cbranch_execz .LBB685_29
; %bb.28:
	s_mov_b32 s4, 0x652b82fe
	v_add_f64 v[0:1], v[18:19], -v[24:25]
	s_mov_b32 s5, 0x3ff71547
	v_mul_f64 v[8:9], v[0:1], s[4:5]
	s_mov_b32 s4, 0xfefa39ef
	v_rndne_f64_e32 v[8:9], v[8:9]
	s_mov_b32 s5, 0xbfe62e42
	v_fma_f64 v[18:19], s[4:5], v[8:9], v[0:1]
	s_mov_b32 s4, 0x3b39803f
	s_mov_b32 s5, 0xbc7abc9e
	v_fmac_f64_e32 v[18:19], s[4:5], v[8:9]
	s_mov_b32 s4, 0x6a5dcb37
	v_mov_b32_e32 v24, 0xfca7ab0c
	v_mov_b32_e32 v25, 0x3e928af3
	s_mov_b32 s5, 0x3e5ade15
	v_fmac_f64_e32 v[24:25], s[4:5], v[18:19]
	v_mov_b32_e32 v32, 0x623fde64
	v_mov_b32_e32 v33, 0x3ec71dee
	v_fmac_f64_e32 v[32:33], v[18:19], v[24:25]
	v_mov_b32_e32 v24, 0x7c89e6b0
	v_mov_b32_e32 v25, 0x3efa0199
	;; [unrolled: 3-line block ×8, first 2 shown]
	v_fmac_f64_e32 v[24:25], v[18:19], v[32:33]
	v_fma_f64 v[24:25], v[18:19], v[24:25], 1.0
	s_mov_b32 s4, 0
	s_mov_b32 s6, 0
	v_fma_f64 v[18:19], v[18:19], v[24:25], 1.0
	v_cvt_i32_f64_e32 v8, v[8:9]
	s_mov_b32 s5, 0x40900000
	s_mov_b32 s7, 0xc090cc00
	v_ldexp_f64 v[8:9], v[18:19], v8
	v_mov_b32_e32 v18, 0x7ff00000
	v_cmp_nlt_f64_e64 s[4:5], s[4:5], v[0:1]
	v_cmp_ngt_f64_e64 s[6:7], s[6:7], v[0:1]
	v_cndmask_b32_e64 v9, v18, v9, s[4:5]
	s_and_b64 s[4:5], s[6:7], s[4:5]
	v_cndmask_b32_e64 v1, 0, v9, s[6:7]
	v_cndmask_b32_e64 v0, 0, v8, s[4:5]
	v_add_f64 v[4:5], v[4:5], v[0:1]
.LBB685_29:
	s_or_b64 exec, exec, s[18:19]
.LBB685_30:
	s_or_b64 exec, exec, s[16:17]
	s_waitcnt lgkmcnt(0)
	v_cmp_lt_f64_e64 s[4:5], v[20:21], v[22:23]
	v_pk_mov_b32 v[8:9], 0, 0
	v_cndmask_b32_e64 v21, v21, v23, s[4:5]
	v_cndmask_b32_e64 v20, v20, v22, s[4:5]
	v_pk_mov_b32 v[18:19], v[8:9], v[8:9] op_sel:[0,1]
	s_and_saveexec_b64 s[16:17], s[14:15]
	s_cbranch_execz .LBB685_34
; %bb.31:
	s_ashr_i32 s4, s11, 31
	v_mov_b32_e32 v19, s4
	v_add_co_u32_e64 v18, s[4:5], s11, v14
	v_addc_co_u32_e64 v19, s[4:5], v15, v19, s[4:5]
	global_load_ubyte v18, v[18:19], off
	s_waitcnt vmcnt(0)
	v_and_b32_e32 v18, 1, v18
	v_cmp_eq_u32_e64 s[4:5], 1, v18
	s_xor_b64 s[4:5], s[4:5], -1
	v_pk_mov_b32 v[18:19], 0, 0
	s_and_saveexec_b64 s[14:15], s[4:5]
	s_cbranch_execz .LBB685_33
; %bb.32:
	s_mov_b32 s4, 0x652b82fe
	v_add_f64 v[2:3], v[2:3], -v[20:21]
	s_mov_b32 s5, 0x3ff71547
	v_mul_f64 v[18:19], v[2:3], s[4:5]
	s_mov_b32 s4, 0xfefa39ef
	v_rndne_f64_e32 v[18:19], v[18:19]
	s_mov_b32 s5, 0xbfe62e42
	v_fma_f64 v[22:23], s[4:5], v[18:19], v[2:3]
	s_mov_b32 s4, 0x3b39803f
	s_mov_b32 s5, 0xbc7abc9e
	v_fmac_f64_e32 v[22:23], s[4:5], v[18:19]
	s_mov_b32 s4, 0x6a5dcb37
	v_mov_b32_e32 v24, 0xfca7ab0c
	v_mov_b32_e32 v25, 0x3e928af3
	s_mov_b32 s5, 0x3e5ade15
	v_fmac_f64_e32 v[24:25], s[4:5], v[22:23]
	v_mov_b32_e32 v32, 0x623fde64
	v_mov_b32_e32 v33, 0x3ec71dee
	v_fmac_f64_e32 v[32:33], v[22:23], v[24:25]
	v_mov_b32_e32 v24, 0x7c89e6b0
	v_mov_b32_e32 v25, 0x3efa0199
	;; [unrolled: 3-line block ×8, first 2 shown]
	v_fmac_f64_e32 v[24:25], v[22:23], v[32:33]
	v_fma_f64 v[24:25], v[22:23], v[24:25], 1.0
	s_mov_b32 s4, 0
	s_mov_b32 s6, 0
	v_fma_f64 v[22:23], v[22:23], v[24:25], 1.0
	v_cvt_i32_f64_e32 v18, v[18:19]
	s_mov_b32 s5, 0x40900000
	s_mov_b32 s7, 0xc090cc00
	v_ldexp_f64 v[18:19], v[22:23], v18
	v_mov_b32_e32 v22, 0x7ff00000
	v_cmp_nlt_f64_e64 s[4:5], s[4:5], v[2:3]
	v_cmp_ngt_f64_e64 s[6:7], s[6:7], v[2:3]
	v_cndmask_b32_e64 v19, v22, v19, s[4:5]
	s_and_b64 s[4:5], s[6:7], s[4:5]
	v_cndmask_b32_e64 v19, 0, v19, s[6:7]
	v_cndmask_b32_e64 v18, 0, v18, s[4:5]
	v_add_f64 v[6:7], v[6:7], v[18:19]
.LBB685_33:
	s_or_b64 exec, exec, s[14:15]
.LBB685_34:
	s_or_b64 exec, exec, s[16:17]
	s_and_saveexec_b64 s[14:15], s[8:9]
	s_cbranch_execz .LBB685_38
; %bb.35:
	s_ashr_i32 s4, s11, 31
	v_mov_b32_e32 v3, s4
	v_add_co_u32_e64 v2, s[4:5], s11, v14
	v_addc_co_u32_e64 v3, s[4:5], v15, v3, s[4:5]
	global_load_ubyte v2, v[2:3], off offset:32
	v_pk_mov_b32 v[8:9], 0, 0
	s_waitcnt vmcnt(0)
	v_and_b32_e32 v2, 1, v2
	v_cmp_eq_u32_e64 s[4:5], 1, v2
	s_xor_b64 s[4:5], s[4:5], -1
	s_and_saveexec_b64 s[8:9], s[4:5]
	s_cbranch_execz .LBB685_37
; %bb.36:
	s_mov_b32 s4, 0x652b82fe
	v_add_f64 v[2:3], v[12:13], -v[20:21]
	s_mov_b32 s5, 0x3ff71547
	v_mul_f64 v[8:9], v[2:3], s[4:5]
	s_mov_b32 s4, 0xfefa39ef
	v_rndne_f64_e32 v[8:9], v[8:9]
	s_mov_b32 s5, 0xbfe62e42
	v_fma_f64 v[12:13], s[4:5], v[8:9], v[2:3]
	s_mov_b32 s4, 0x3b39803f
	s_mov_b32 s5, 0xbc7abc9e
	v_fmac_f64_e32 v[12:13], s[4:5], v[8:9]
	s_mov_b32 s4, 0x6a5dcb37
	v_mov_b32_e32 v14, 0xfca7ab0c
	v_mov_b32_e32 v15, 0x3e928af3
	s_mov_b32 s5, 0x3e5ade15
	v_fmac_f64_e32 v[14:15], s[4:5], v[12:13]
	v_mov_b32_e32 v20, 0x623fde64
	v_mov_b32_e32 v21, 0x3ec71dee
	v_fmac_f64_e32 v[20:21], v[12:13], v[14:15]
	v_mov_b32_e32 v14, 0x7c89e6b0
	v_mov_b32_e32 v15, 0x3efa0199
	;; [unrolled: 3-line block ×8, first 2 shown]
	v_fmac_f64_e32 v[14:15], v[12:13], v[20:21]
	v_fma_f64 v[14:15], v[12:13], v[14:15], 1.0
	s_mov_b32 s4, 0
	s_mov_b32 s6, 0
	v_fma_f64 v[12:13], v[12:13], v[14:15], 1.0
	v_cvt_i32_f64_e32 v8, v[8:9]
	s_mov_b32 s5, 0x40900000
	s_mov_b32 s7, 0xc090cc00
	v_ldexp_f64 v[8:9], v[12:13], v8
	v_mov_b32_e32 v12, 0x7ff00000
	v_cmp_nlt_f64_e64 s[4:5], s[4:5], v[2:3]
	v_cmp_ngt_f64_e64 s[6:7], s[6:7], v[2:3]
	v_cndmask_b32_e64 v9, v12, v9, s[4:5]
	s_and_b64 s[4:5], s[6:7], s[4:5]
	v_cndmask_b32_e64 v9, 0, v9, s[6:7]
	v_cndmask_b32_e64 v8, 0, v8, s[4:5]
	v_add_f64 v[6:7], v[6:7], v[8:9]
.LBB685_37:
	s_or_b64 exec, exec, s[8:9]
.LBB685_38:
	s_or_b64 exec, exec, s[14:15]
	ds_bpermute_b32 v2, v27, v4
	ds_bpermute_b32 v3, v27, v5
	;; [unrolled: 1-line block ×4, first 2 shown]
	s_waitcnt lgkmcnt(2)
	v_add_f64 v[2:3], v[4:5], v[2:3]
	s_waitcnt lgkmcnt(0)
	v_add_f64 v[4:5], v[6:7], v[12:13]
	ds_bpermute_b32 v6, v28, v2
	ds_bpermute_b32 v7, v28, v3
	;; [unrolled: 1-line block ×4, first 2 shown]
	s_waitcnt lgkmcnt(2)
	v_add_f64 v[2:3], v[2:3], v[6:7]
	ds_bpermute_b32 v6, v29, v2
	s_waitcnt lgkmcnt(1)
	v_add_f64 v[4:5], v[4:5], v[12:13]
	ds_bpermute_b32 v7, v29, v3
	ds_bpermute_b32 v12, v29, v4
	;; [unrolled: 1-line block ×3, first 2 shown]
	s_waitcnt lgkmcnt(2)
	v_add_f64 v[2:3], v[2:3], v[6:7]
	ds_bpermute_b32 v6, v30, v2
	s_waitcnt lgkmcnt(1)
	v_add_f64 v[4:5], v[4:5], v[12:13]
	ds_bpermute_b32 v7, v30, v3
	ds_bpermute_b32 v14, v30, v4
	ds_bpermute_b32 v15, v30, v5
	s_waitcnt lgkmcnt(2)
	v_add_f64 v[12:13], v[2:3], v[6:7]
	s_waitcnt lgkmcnt(0)
	v_add_f64 v[4:5], v[4:5], v[14:15]
	ds_bpermute_b32 v14, v31, v12
	ds_bpermute_b32 v15, v31, v13
	;; [unrolled: 1-line block ×4, first 2 shown]
	s_and_saveexec_b64 s[4:5], vcc
	s_cbranch_execz .LBB685_46
; %bb.39:
	v_mov_b32_e32 v3, s13
	v_add_co_u32_e32 v2, vcc, s12, v10
	v_addc_co_u32_e32 v3, vcc, v3, v11, vcc
	s_and_saveexec_b64 s[6:7], s[2:3]
	s_cbranch_execz .LBB685_42
; %bb.40:
	s_waitcnt lgkmcnt(2)
	v_add_f64 v[10:11], v[12:13], v[14:15]
	v_div_scale_f64 v[12:13], s[4:5], v[10:11], v[10:11], v[16:17]
	v_rcp_f64_e32 v[14:15], v[12:13]
	v_div_scale_f64 v[20:21], vcc, v[16:17], v[10:11], v[16:17]
	v_cmp_eq_f64_e64 s[4:5], 0, v[10:11]
	v_fma_f64 v[22:23], -v[12:13], v[14:15], 1.0
	v_fmac_f64_e32 v[14:15], v[14:15], v[22:23]
	v_fma_f64 v[22:23], -v[12:13], v[14:15], 1.0
	v_fmac_f64_e32 v[14:15], v[14:15], v[22:23]
	v_mul_f64 v[22:23], v[20:21], v[14:15]
	v_fma_f64 v[12:13], -v[12:13], v[22:23], v[20:21]
	v_div_fmas_f64 v[12:13], v[12:13], v[14:15], v[22:23]
	v_div_fixup_f64 v[14:15], v[12:13], v[10:11], v[16:17]
	v_mov_b32_e32 v12, 0x7ff80000
	v_cndmask_b32_e64 v15, v15, v12, s[4:5]
	v_cndmask_b32_e64 v14, v14, 0, s[4:5]
	global_store_dwordx2 v[2:3], v[14:15], off
	s_and_b64 exec, exec, s[0:1]
	s_cbranch_execz .LBB685_42
; %bb.41:
	v_div_scale_f64 v[14:15], s[8:9], v[10:11], v[10:11], v[0:1]
	v_rcp_f64_e32 v[16:17], v[14:15]
	v_div_scale_f64 v[20:21], vcc, v[0:1], v[10:11], v[0:1]
	v_fma_f64 v[22:23], -v[14:15], v[16:17], 1.0
	v_fmac_f64_e32 v[16:17], v[16:17], v[22:23]
	v_fma_f64 v[22:23], -v[14:15], v[16:17], 1.0
	v_fmac_f64_e32 v[16:17], v[16:17], v[22:23]
	v_mul_f64 v[22:23], v[20:21], v[16:17]
	v_fma_f64 v[14:15], -v[14:15], v[22:23], v[20:21]
	v_div_fmas_f64 v[14:15], v[14:15], v[16:17], v[22:23]
	v_div_fixup_f64 v[0:1], v[14:15], v[10:11], v[0:1]
	v_cndmask_b32_e64 v1, v1, v12, s[4:5]
	v_cndmask_b32_e64 v0, v0, 0, s[4:5]
	global_store_dwordx2 v[2:3], v[0:1], off offset:256
.LBB685_42:
	s_or_b64 exec, exec, s[6:7]
	v_cmp_ne_u32_e32 vcc, 1, v26
	s_and_b64 exec, exec, vcc
	s_cbranch_execz .LBB685_46
; %bb.43:
	s_and_b64 exec, exec, s[2:3]
	s_cbranch_execz .LBB685_46
; %bb.44:
	s_waitcnt lgkmcnt(0)
	v_add_f64 v[0:1], v[4:5], v[6:7]
	v_div_scale_f64 v[4:5], s[2:3], v[0:1], v[0:1], v[18:19]
	v_rcp_f64_e32 v[6:7], v[4:5]
	v_div_scale_f64 v[10:11], vcc, v[18:19], v[0:1], v[18:19]
	s_mov_b32 s11, 0
	v_fma_f64 v[12:13], -v[4:5], v[6:7], 1.0
	v_fmac_f64_e32 v[6:7], v[6:7], v[12:13]
	v_fma_f64 v[12:13], -v[4:5], v[6:7], 1.0
	v_fmac_f64_e32 v[6:7], v[6:7], v[12:13]
	v_mul_f64 v[12:13], v[10:11], v[6:7]
	v_fma_f64 v[4:5], -v[4:5], v[12:13], v[10:11]
	v_div_fmas_f64 v[4:5], v[4:5], v[6:7], v[12:13]
	s_lshl_b64 s[2:3], s[10:11], 3
	v_div_fixup_f64 v[6:7], v[4:5], v[0:1], v[18:19]
	v_mov_b32_e32 v4, s3
	v_add_co_u32_e32 v10, vcc, s2, v2
	v_addc_co_u32_e32 v11, vcc, v3, v4, vcc
	v_mov_b32_e32 v4, 0x7ff80000
	v_cmp_eq_f64_e64 s[2:3], 0, v[0:1]
	v_cndmask_b32_e64 v7, v7, v4, s[2:3]
	v_cndmask_b32_e64 v6, v6, 0, s[2:3]
	global_store_dwordx2 v[10:11], v[6:7], off
	s_and_b64 exec, exec, s[0:1]
	s_cbranch_execz .LBB685_46
; %bb.45:
	v_div_scale_f64 v[6:7], s[0:1], v[0:1], v[0:1], v[8:9]
	v_rcp_f64_e32 v[10:11], v[6:7]
	v_div_scale_f64 v[12:13], vcc, v[8:9], v[0:1], v[8:9]
	s_ashr_i32 s11, s10, 31
	v_fma_f64 v[14:15], -v[6:7], v[10:11], 1.0
	v_fmac_f64_e32 v[10:11], v[10:11], v[14:15]
	v_fma_f64 v[14:15], -v[6:7], v[10:11], 1.0
	v_fmac_f64_e32 v[10:11], v[10:11], v[14:15]
	v_mul_f64 v[14:15], v[12:13], v[10:11]
	v_fma_f64 v[6:7], -v[6:7], v[14:15], v[12:13]
	v_div_fmas_f64 v[6:7], v[6:7], v[10:11], v[14:15]
	s_lshl_b64 s[0:1], s[10:11], 3
	v_div_fixup_f64 v[0:1], v[6:7], v[0:1], v[8:9]
	v_mov_b32_e32 v5, s1
	v_add_co_u32_e32 v2, vcc, s0, v2
	v_addc_co_u32_e32 v3, vcc, v3, v5, vcc
	v_cndmask_b32_e64 v1, v1, v4, s[2:3]
	v_cndmask_b32_e64 v0, v0, 0, s[2:3]
	global_store_dwordx2 v[2:3], v[0:1], off offset:256
.LBB685_46:
	s_endpgm
	.section	.rodata,"a",@progbits
	.p2align	6, 0x0
	.amdhsa_kernel _ZN12_GLOBAL__N_120softmax_warp_forwardIdddLi6ELb0ELb1ELi32EEEvPT0_PKT_iiiPKbib
		.amdhsa_group_segment_fixed_size 0
		.amdhsa_private_segment_fixed_size 0
		.amdhsa_kernarg_size 304
		.amdhsa_user_sgpr_count 6
		.amdhsa_user_sgpr_private_segment_buffer 1
		.amdhsa_user_sgpr_dispatch_ptr 0
		.amdhsa_user_sgpr_queue_ptr 0
		.amdhsa_user_sgpr_kernarg_segment_ptr 1
		.amdhsa_user_sgpr_dispatch_id 0
		.amdhsa_user_sgpr_flat_scratch_init 0
		.amdhsa_user_sgpr_kernarg_preload_length 0
		.amdhsa_user_sgpr_kernarg_preload_offset 0
		.amdhsa_user_sgpr_private_segment_size 0
		.amdhsa_uses_dynamic_stack 0
		.amdhsa_system_sgpr_private_segment_wavefront_offset 0
		.amdhsa_system_sgpr_workgroup_id_x 1
		.amdhsa_system_sgpr_workgroup_id_y 0
		.amdhsa_system_sgpr_workgroup_id_z 0
		.amdhsa_system_sgpr_workgroup_info 0
		.amdhsa_system_vgpr_workitem_id 1
		.amdhsa_next_free_vgpr 34
		.amdhsa_next_free_sgpr 28
		.amdhsa_accum_offset 36
		.amdhsa_reserve_vcc 1
		.amdhsa_reserve_flat_scratch 0
		.amdhsa_float_round_mode_32 0
		.amdhsa_float_round_mode_16_64 0
		.amdhsa_float_denorm_mode_32 3
		.amdhsa_float_denorm_mode_16_64 3
		.amdhsa_dx10_clamp 1
		.amdhsa_ieee_mode 1
		.amdhsa_fp16_overflow 0
		.amdhsa_tg_split 0
		.amdhsa_exception_fp_ieee_invalid_op 0
		.amdhsa_exception_fp_denorm_src 0
		.amdhsa_exception_fp_ieee_div_zero 0
		.amdhsa_exception_fp_ieee_overflow 0
		.amdhsa_exception_fp_ieee_underflow 0
		.amdhsa_exception_fp_ieee_inexact 0
		.amdhsa_exception_int_div_zero 0
	.end_amdhsa_kernel
	.section	.text._ZN12_GLOBAL__N_120softmax_warp_forwardIdddLi6ELb0ELb1ELi32EEEvPT0_PKT_iiiPKbib,"axG",@progbits,_ZN12_GLOBAL__N_120softmax_warp_forwardIdddLi6ELb0ELb1ELi32EEEvPT0_PKT_iiiPKbib,comdat
.Lfunc_end685:
	.size	_ZN12_GLOBAL__N_120softmax_warp_forwardIdddLi6ELb0ELb1ELi32EEEvPT0_PKT_iiiPKbib, .Lfunc_end685-_ZN12_GLOBAL__N_120softmax_warp_forwardIdddLi6ELb0ELb1ELi32EEEvPT0_PKT_iiiPKbib
                                        ; -- End function
	.section	.AMDGPU.csdata,"",@progbits
; Kernel info:
; codeLenInByte = 4312
; NumSgprs: 32
; NumVgprs: 34
; NumAgprs: 0
; TotalNumVgprs: 34
; ScratchSize: 0
; MemoryBound: 0
; FloatMode: 240
; IeeeMode: 1
; LDSByteSize: 0 bytes/workgroup (compile time only)
; SGPRBlocks: 3
; VGPRBlocks: 4
; NumSGPRsForWavesPerEU: 32
; NumVGPRsForWavesPerEU: 34
; AccumOffset: 36
; Occupancy: 8
; WaveLimiterHint : 0
; COMPUTE_PGM_RSRC2:SCRATCH_EN: 0
; COMPUTE_PGM_RSRC2:USER_SGPR: 6
; COMPUTE_PGM_RSRC2:TRAP_HANDLER: 0
; COMPUTE_PGM_RSRC2:TGID_X_EN: 1
; COMPUTE_PGM_RSRC2:TGID_Y_EN: 0
; COMPUTE_PGM_RSRC2:TGID_Z_EN: 0
; COMPUTE_PGM_RSRC2:TIDIG_COMP_CNT: 1
; COMPUTE_PGM_RSRC3_GFX90A:ACCUM_OFFSET: 8
; COMPUTE_PGM_RSRC3_GFX90A:TG_SPLIT: 0
	.section	.text._ZN12_GLOBAL__N_120softmax_warp_forwardIdddLi7ELb0ELb1ELi64EEEvPT0_PKT_iiiPKbib,"axG",@progbits,_ZN12_GLOBAL__N_120softmax_warp_forwardIdddLi7ELb0ELb1ELi64EEEvPT0_PKT_iiiPKbib,comdat
	.globl	_ZN12_GLOBAL__N_120softmax_warp_forwardIdddLi7ELb0ELb1ELi64EEEvPT0_PKT_iiiPKbib ; -- Begin function _ZN12_GLOBAL__N_120softmax_warp_forwardIdddLi7ELb0ELb1ELi64EEEvPT0_PKT_iiiPKbib
	.p2align	8
	.type	_ZN12_GLOBAL__N_120softmax_warp_forwardIdddLi7ELb0ELb1ELi64EEEvPT0_PKT_iiiPKbib,@function
_ZN12_GLOBAL__N_120softmax_warp_forwardIdddLi7ELb0ELb1ELi64EEEvPT0_PKT_iiiPKbib: ; @_ZN12_GLOBAL__N_120softmax_warp_forwardIdddLi7ELb0ELb1ELi64EEEvPT0_PKT_iiiPKbib
; %bb.0:
	s_load_dwordx2 s[0:1], s[4:5], 0x28
	s_load_dword s2, s[4:5], 0x3c
	s_load_dwordx4 s[8:11], s[4:5], 0x10
	v_bfe_u32 v1, v0, 10, 10
	v_and_b32_e32 v2, 0x3ff, v0
	s_waitcnt lgkmcnt(0)
	s_bitcmp1_b32 s1, 0
	s_cselect_b64 s[16:17], -1, 0
	s_lshr_b32 s2, s2, 16
	s_mul_i32 s6, s6, s2
	v_add_lshl_u32 v3, s6, v1, 1
	v_mul_lo_u32 v6, v3, s9
	v_add_u32_e32 v4, v6, v2
	v_ashrrev_i32_e32 v5, 31, v4
	s_bitcmp0_b32 s1, 0
	v_pk_mov_b32 v[0:1], v[4:5], v[4:5] op_sel:[0,1]
	s_cbranch_scc1 .LBB686_2
; %bb.1:
	s_abs_i32 s1, s0
	v_cvt_f32_u32_e32 v0, s1
	v_xor_b32_e32 v1, s0, v6
	v_sub_u32_e32 v7, 0, v6
	s_sub_i32 s0, 0, s1
	v_rcp_iflag_f32_e32 v0, v0
	v_max_i32_e32 v6, v6, v7
	v_ashrrev_i32_e32 v1, 31, v1
	v_mul_f32_e32 v0, 0x4f7ffffe, v0
	v_cvt_u32_f32_e32 v0, v0
	v_mul_lo_u32 v7, s0, v0
	v_mul_hi_u32 v7, v0, v7
	v_add_u32_e32 v0, v0, v7
	v_mul_hi_u32 v0, v6, v0
	v_mul_lo_u32 v7, v0, s1
	v_sub_u32_e32 v6, v6, v7
	v_add_u32_e32 v8, 1, v0
	v_cmp_le_u32_e32 vcc, s1, v6
	v_subrev_u32_e32 v7, s1, v6
	v_cndmask_b32_e32 v0, v0, v8, vcc
	v_cndmask_b32_e32 v6, v6, v7, vcc
	v_add_u32_e32 v7, 1, v0
	v_cmp_le_u32_e32 vcc, s1, v6
	v_cndmask_b32_e32 v0, v0, v7, vcc
	v_xor_b32_e32 v0, v0, v1
	v_sub_u32_e32 v0, v0, v1
	v_mad_u64_u32 v[0:1], s[0:1], v0, s9, v[2:3]
	v_ashrrev_i32_e32 v1, 31, v0
.LBB686_2:
	s_load_dwordx4 s[12:15], s[4:5], 0x0
	v_lshlrev_b64 v[10:11], 3, v[4:5]
	v_sub_u32_e32 v26, s8, v3
	v_mov_b32_e32 v18, 0
	v_cmp_gt_i32_e64 s[2:3], s10, v2
	s_waitcnt lgkmcnt(0)
	v_mov_b32_e32 v3, s15
	v_add_co_u32_e32 v4, vcc, s14, v10
	v_addc_co_u32_e32 v5, vcc, v3, v11, vcc
	v_cmp_lt_i32_e32 vcc, 0, v26
	v_mov_b32_e32 v19, 0xfff00000
	s_and_b64 s[22:23], vcc, s[2:3]
	v_pk_mov_b32 v[8:9], v[18:19], v[18:19] op_sel:[0,1]
	s_and_saveexec_b64 s[0:1], s[22:23]
	s_cbranch_execz .LBB686_4
; %bb.3:
	global_load_dwordx2 v[8:9], v[4:5], off
.LBB686_4:
	s_or_b64 exec, exec, s[0:1]
	v_add_u32_e32 v2, 64, v2
	v_cmp_gt_i32_e64 s[0:1], s10, v2
	s_and_b64 s[20:21], vcc, s[0:1]
	s_and_saveexec_b64 s[6:7], s[20:21]
	s_cbranch_execz .LBB686_6
; %bb.5:
	global_load_dwordx2 v[18:19], v[4:5], off offset:512
.LBB686_6:
	s_or_b64 exec, exec, s[6:7]
	v_mov_b32_e32 v12, 0
	v_cmp_lt_i32_e64 s[6:7], 1, v26
	v_mov_b32_e32 v13, 0xfff00000
	s_and_b64 s[14:15], s[6:7], s[2:3]
	v_pk_mov_b32 v[2:3], v[12:13], v[12:13] op_sel:[0,1]
	s_and_saveexec_b64 s[18:19], s[14:15]
	s_cbranch_execz .LBB686_8
; %bb.7:
	s_mov_b32 s11, 0
	s_lshl_b64 s[8:9], s[10:11], 3
	v_mov_b32_e32 v3, s9
	v_add_co_u32_e64 v2, s[8:9], s8, v4
	v_addc_co_u32_e64 v3, s[8:9], v5, v3, s[8:9]
	global_load_dwordx2 v[2:3], v[2:3], off
.LBB686_8:
	s_or_b64 exec, exec, s[18:19]
	s_and_b64 s[8:9], s[6:7], s[0:1]
	s_and_saveexec_b64 s[18:19], s[8:9]
	s_cbranch_execz .LBB686_10
; %bb.9:
	s_mov_b32 s11, 0
	s_lshl_b64 s[6:7], s[10:11], 3
	v_mov_b32_e32 v6, s7
	v_add_co_u32_e64 v4, s[6:7], s6, v4
	v_addc_co_u32_e64 v5, s[6:7], v5, v6, s[6:7]
	global_load_dwordx2 v[12:13], v[4:5], off offset:512
.LBB686_10:
	s_or_b64 exec, exec, s[18:19]
	s_load_dwordx2 s[4:5], s[4:5], 0x20
	s_mov_b64 s[6:7], 0
	s_waitcnt lgkmcnt(0)
	v_mov_b32_e32 v4, s5
	v_add_co_u32_e64 v14, s[4:5], s4, v0
	v_addc_co_u32_e64 v15, s[4:5], v4, v1, s[4:5]
	s_waitcnt vmcnt(0)
	v_pk_mov_b32 v[4:5], v[8:9], v[8:9] op_sel:[0,1]
	v_pk_mov_b32 v[6:7], v[10:11], v[10:11] op_sel:[0,1]
	s_and_saveexec_b64 s[18:19], s[22:23]
	s_cbranch_execz .LBB686_12
; %bb.11:
	global_load_ubyte v0, v[14:15], off
	v_pk_mov_b32 v[4:5], v[8:9], v[8:9] op_sel:[0,1]
	v_pk_mov_b32 v[6:7], v[10:11], v[10:11] op_sel:[0,1]
	s_waitcnt vmcnt(0)
	v_and_b32_e32 v0, 1, v0
	v_cmp_eq_u32_e64 s[4:5], 1, v0
	s_xor_b64 s[4:5], s[4:5], -1
	s_and_b64 s[6:7], s[4:5], exec
.LBB686_12:
	s_or_b64 exec, exec, s[18:19]
	s_and_saveexec_b64 s[18:19], s[20:21]
	s_cbranch_execz .LBB686_16
; %bb.13:
	global_load_ubyte v0, v[14:15], off offset:64
	s_waitcnt vmcnt(0)
	v_and_b32_e32 v0, 1, v0
	v_cmp_eq_u32_e64 s[4:5], 1, v0
	s_xor_b64 s[26:27], s[4:5], -1
	s_mov_b64 s[4:5], s[6:7]
	s_and_saveexec_b64 s[24:25], s[26:27]
; %bb.14:
	v_cmp_gt_f64_e64 s[4:5], v[4:5], v[18:19]
	s_and_b64 s[4:5], s[6:7], s[4:5]
	v_cndmask_b32_e64 v5, v19, v5, s[4:5]
	v_cndmask_b32_e64 v4, v18, v4, s[4:5]
	s_or_b64 s[4:5], s[6:7], exec
; %bb.15:
	s_or_b64 exec, exec, s[24:25]
	s_andn2_b64 s[6:7], s[6:7], exec
	s_and_b64 s[4:5], s[4:5], exec
	s_or_b64 s[6:7], s[6:7], s[4:5]
.LBB686_16:
	s_or_b64 exec, exec, s[18:19]
	v_mov_b32_e32 v0, 0xfff00000
	v_cndmask_b32_e64 v1, v0, v5, s[6:7]
	v_cndmask_b32_e64 v0, 0, v4, s[6:7]
	s_and_b64 s[4:5], s[16:17], exec
	v_pk_mov_b32 v[6:7], v[2:3], v[2:3] op_sel:[0,1]
	s_cselect_b32 s11, 0, s10
	s_mov_b64 s[6:7], 0
	v_pk_mov_b32 v[4:5], v[0:1], v[0:1] op_sel:[0,1]
	s_and_saveexec_b64 s[16:17], s[14:15]
	s_cbranch_execz .LBB686_18
; %bb.17:
	s_ashr_i32 s4, s11, 31
	v_mov_b32_e32 v5, s4
	v_add_co_u32_e64 v4, s[4:5], s11, v14
	v_addc_co_u32_e64 v5, s[4:5], v15, v5, s[4:5]
	global_load_ubyte v4, v[4:5], off
	s_waitcnt vmcnt(0)
	v_and_b32_e32 v4, 1, v4
	v_cmp_eq_u32_e64 s[4:5], 1, v4
	s_xor_b64 s[4:5], s[4:5], -1
	v_pk_mov_b32 v[6:7], v[2:3], v[2:3] op_sel:[0,1]
	s_and_b64 s[6:7], s[4:5], exec
	v_pk_mov_b32 v[4:5], v[0:1], v[0:1] op_sel:[0,1]
.LBB686_18:
	s_or_b64 exec, exec, s[16:17]
	s_and_saveexec_b64 s[16:17], s[8:9]
	s_cbranch_execz .LBB686_22
; %bb.19:
	s_ashr_i32 s4, s11, 31
	v_mov_b32_e32 v1, s4
	v_add_co_u32_e64 v0, s[4:5], s11, v14
	v_addc_co_u32_e64 v1, s[4:5], v15, v1, s[4:5]
	global_load_ubyte v0, v[0:1], off offset:64
	s_waitcnt vmcnt(0)
	v_and_b32_e32 v0, 1, v0
	v_cmp_eq_u32_e64 s[4:5], 1, v0
	s_xor_b64 s[24:25], s[4:5], -1
	s_mov_b64 s[4:5], s[6:7]
	s_and_saveexec_b64 s[18:19], s[24:25]
; %bb.20:
	v_cmp_gt_f64_e64 s[4:5], v[6:7], v[12:13]
	s_and_b64 s[4:5], s[6:7], s[4:5]
	v_cndmask_b32_e64 v7, v13, v7, s[4:5]
	v_cndmask_b32_e64 v6, v12, v6, s[4:5]
	s_or_b64 s[4:5], s[6:7], exec
; %bb.21:
	s_or_b64 exec, exec, s[18:19]
	s_andn2_b64 s[6:7], s[6:7], exec
	s_and_b64 s[4:5], s[4:5], exec
	s_or_b64 s[6:7], s[6:7], s[4:5]
.LBB686_22:
	s_or_b64 exec, exec, s[16:17]
	v_mbcnt_lo_u32_b32 v0, -1, 0
	v_mbcnt_hi_u32_b32 v20, -1, v0
	v_and_b32_e32 v0, 64, v20
	v_add_u32_e32 v21, 64, v0
	v_xor_b32_e32 v0, 32, v20
	v_cmp_lt_i32_e64 s[4:5], v0, v21
	v_cndmask_b32_e64 v0, v20, v0, s[4:5]
	v_lshlrev_b32_e32 v27, 2, v0
	ds_bpermute_b32 v0, v27, v4
	ds_bpermute_b32 v1, v27, v5
	v_mov_b32_e32 v16, 0xfff00000
	v_cndmask_b32_e64 v7, v16, v7, s[6:7]
	v_xor_b32_e32 v16, 16, v20
	v_cndmask_b32_e64 v6, 0, v6, s[6:7]
	s_waitcnt lgkmcnt(0)
	v_cmp_lt_f64_e64 s[4:5], v[4:5], v[0:1]
	v_cndmask_b32_e64 v1, v5, v1, s[4:5]
	v_cndmask_b32_e64 v0, v4, v0, s[4:5]
	v_cmp_lt_i32_e64 s[4:5], v16, v21
	v_cndmask_b32_e64 v16, v20, v16, s[4:5]
	ds_bpermute_b32 v4, v27, v6
	ds_bpermute_b32 v5, v27, v7
	v_lshlrev_b32_e32 v28, 2, v16
	ds_bpermute_b32 v16, v28, v0
	ds_bpermute_b32 v17, v28, v1
	s_mov_b32 s16, 0
	s_waitcnt lgkmcnt(2)
	v_cmp_lt_f64_e64 s[4:5], v[6:7], v[4:5]
	v_cndmask_b32_e64 v5, v7, v5, s[4:5]
	v_cndmask_b32_e64 v4, v6, v4, s[4:5]
	s_waitcnt lgkmcnt(0)
	v_cmp_lt_f64_e64 s[4:5], v[0:1], v[16:17]
	v_cndmask_b32_e64 v0, v0, v16, s[4:5]
	v_xor_b32_e32 v16, 8, v20
	v_cndmask_b32_e64 v1, v1, v17, s[4:5]
	v_cmp_lt_i32_e64 s[4:5], v16, v21
	v_cndmask_b32_e64 v16, v20, v16, s[4:5]
	ds_bpermute_b32 v6, v28, v4
	ds_bpermute_b32 v7, v28, v5
	v_lshlrev_b32_e32 v29, 2, v16
	ds_bpermute_b32 v16, v29, v0
	ds_bpermute_b32 v17, v29, v1
	s_mov_b32 s17, s16
	s_waitcnt lgkmcnt(2)
	v_cmp_lt_f64_e64 s[4:5], v[4:5], v[6:7]
	v_cndmask_b32_e64 v5, v5, v7, s[4:5]
	v_cndmask_b32_e64 v4, v4, v6, s[4:5]
	s_waitcnt lgkmcnt(0)
	v_cmp_lt_f64_e64 s[4:5], v[0:1], v[16:17]
	v_cndmask_b32_e64 v0, v0, v16, s[4:5]
	v_xor_b32_e32 v16, 4, v20
	;; [unrolled: 17-line block ×3, first 2 shown]
	v_cndmask_b32_e64 v1, v1, v17, s[4:5]
	v_cmp_lt_i32_e64 s[4:5], v16, v21
	v_cndmask_b32_e64 v16, v20, v16, s[4:5]
	ds_bpermute_b32 v6, v30, v4
	ds_bpermute_b32 v7, v30, v5
	v_lshlrev_b32_e32 v31, 2, v16
	ds_bpermute_b32 v16, v31, v0
	ds_bpermute_b32 v17, v31, v1
	s_mov_b32 s19, s16
	s_waitcnt lgkmcnt(2)
	v_cmp_lt_f64_e64 s[4:5], v[4:5], v[6:7]
	v_cndmask_b32_e64 v5, v5, v7, s[4:5]
	v_cndmask_b32_e64 v4, v4, v6, s[4:5]
	s_waitcnt lgkmcnt(0)
	v_cmp_lt_f64_e64 s[4:5], v[0:1], v[16:17]
	v_cndmask_b32_e64 v0, v0, v16, s[4:5]
	ds_bpermute_b32 v6, v31, v4
	ds_bpermute_b32 v7, v31, v5
	v_xor_b32_e32 v16, 1, v20
	v_cndmask_b32_e64 v1, v1, v17, s[4:5]
	v_cmp_lt_i32_e64 s[4:5], v16, v21
	v_cndmask_b32_e64 v16, v20, v16, s[4:5]
	v_lshlrev_b32_e32 v32, 2, v16
	ds_bpermute_b32 v16, v32, v0
	ds_bpermute_b32 v17, v32, v1
	s_waitcnt lgkmcnt(2)
	v_cmp_lt_f64_e64 s[4:5], v[4:5], v[6:7]
	v_cndmask_b32_e64 v21, v5, v7, s[4:5]
	v_cndmask_b32_e64 v20, v4, v6, s[4:5]
	ds_bpermute_b32 v22, v32, v20
	ds_bpermute_b32 v23, v32, v21
	s_waitcnt lgkmcnt(2)
	v_cmp_lt_f64_e64 s[4:5], v[0:1], v[16:17]
	v_cndmask_b32_e64 v25, v1, v17, s[4:5]
	v_cndmask_b32_e64 v24, v0, v16, s[4:5]
	v_pk_mov_b32 v[0:1], 0, 0
	v_pk_mov_b32 v[4:5], s[16:17], s[16:17] op_sel:[0,1]
	v_pk_mov_b32 v[6:7], s[18:19], s[18:19] op_sel:[0,1]
	;; [unrolled: 1-line block ×3, first 2 shown]
	s_and_saveexec_b64 s[24:25], s[22:23]
	s_cbranch_execz .LBB686_26
; %bb.23:
	global_load_ubyte v16, v[14:15], off
	v_pk_mov_b32 v[4:5], s[16:17], s[16:17] op_sel:[0,1]
	v_pk_mov_b32 v[6:7], s[18:19], s[18:19] op_sel:[0,1]
	s_waitcnt vmcnt(0)
	v_and_b32_e32 v16, 1, v16
	v_cmp_eq_u32_e64 s[4:5], 1, v16
	s_xor_b64 s[4:5], s[4:5], -1
	v_pk_mov_b32 v[16:17], 0, 0
	s_and_saveexec_b64 s[16:17], s[4:5]
	s_cbranch_execz .LBB686_25
; %bb.24:
	s_mov_b32 s4, 0x652b82fe
	v_add_f64 v[4:5], v[8:9], -v[24:25]
	s_mov_b32 s5, 0x3ff71547
	v_mul_f64 v[6:7], v[4:5], s[4:5]
	s_mov_b32 s4, 0xfefa39ef
	v_rndne_f64_e32 v[6:7], v[6:7]
	s_mov_b32 s5, 0xbfe62e42
	v_fma_f64 v[8:9], s[4:5], v[6:7], v[4:5]
	s_mov_b32 s4, 0x3b39803f
	s_mov_b32 s5, 0xbc7abc9e
	v_fmac_f64_e32 v[8:9], s[4:5], v[6:7]
	s_mov_b32 s4, 0x6a5dcb37
	v_mov_b32_e32 v16, 0xfca7ab0c
	v_mov_b32_e32 v17, 0x3e928af3
	s_mov_b32 s5, 0x3e5ade15
	v_fmac_f64_e32 v[16:17], s[4:5], v[8:9]
	v_mov_b32_e32 v34, 0x623fde64
	v_mov_b32_e32 v35, 0x3ec71dee
	v_fmac_f64_e32 v[34:35], v[8:9], v[16:17]
	v_mov_b32_e32 v16, 0x7c89e6b0
	v_mov_b32_e32 v17, 0x3efa0199
	;; [unrolled: 3-line block ×8, first 2 shown]
	v_fmac_f64_e32 v[16:17], v[8:9], v[34:35]
	v_fma_f64 v[16:17], v[8:9], v[16:17], 1.0
	s_mov_b32 s4, 0
	s_mov_b32 s6, 0
	v_fma_f64 v[8:9], v[8:9], v[16:17], 1.0
	v_cvt_i32_f64_e32 v6, v[6:7]
	s_mov_b32 s5, 0x40900000
	s_mov_b32 s7, 0xc090cc00
	v_ldexp_f64 v[8:9], v[8:9], v6
	v_mov_b32_e32 v6, 0x7ff00000
	v_cmp_nlt_f64_e64 s[4:5], s[4:5], v[4:5]
	v_cmp_ngt_f64_e64 s[6:7], s[6:7], v[4:5]
	v_cndmask_b32_e64 v7, v6, v9, s[4:5]
	s_and_b64 s[4:5], s[6:7], s[4:5]
	v_mov_b32_e32 v6, 0
	v_cndmask_b32_e64 v17, 0, v7, s[6:7]
	v_cndmask_b32_e64 v16, 0, v8, s[4:5]
	v_add_f64 v[4:5], v[16:17], 0
	v_mov_b32_e32 v7, v6
.LBB686_25:
	s_or_b64 exec, exec, s[16:17]
.LBB686_26:
	s_or_b64 exec, exec, s[24:25]
	s_and_saveexec_b64 s[16:17], s[20:21]
	s_cbranch_execz .LBB686_30
; %bb.27:
	global_load_ubyte v0, v[14:15], off offset:64
	s_waitcnt vmcnt(0)
	v_and_b32_e32 v0, 1, v0
	v_cmp_eq_u32_e64 s[4:5], 1, v0
	s_xor_b64 s[4:5], s[4:5], -1
	v_pk_mov_b32 v[0:1], 0, 0
	s_and_saveexec_b64 s[18:19], s[4:5]
	s_cbranch_execz .LBB686_29
; %bb.28:
	s_mov_b32 s4, 0x652b82fe
	v_add_f64 v[0:1], v[18:19], -v[24:25]
	s_mov_b32 s5, 0x3ff71547
	v_mul_f64 v[8:9], v[0:1], s[4:5]
	s_mov_b32 s4, 0xfefa39ef
	v_rndne_f64_e32 v[8:9], v[8:9]
	s_mov_b32 s5, 0xbfe62e42
	v_fma_f64 v[18:19], s[4:5], v[8:9], v[0:1]
	s_mov_b32 s4, 0x3b39803f
	s_mov_b32 s5, 0xbc7abc9e
	v_fmac_f64_e32 v[18:19], s[4:5], v[8:9]
	s_mov_b32 s4, 0x6a5dcb37
	v_mov_b32_e32 v24, 0xfca7ab0c
	v_mov_b32_e32 v25, 0x3e928af3
	s_mov_b32 s5, 0x3e5ade15
	v_fmac_f64_e32 v[24:25], s[4:5], v[18:19]
	v_mov_b32_e32 v34, 0x623fde64
	v_mov_b32_e32 v35, 0x3ec71dee
	v_fmac_f64_e32 v[34:35], v[18:19], v[24:25]
	v_mov_b32_e32 v24, 0x7c89e6b0
	v_mov_b32_e32 v25, 0x3efa0199
	;; [unrolled: 3-line block ×8, first 2 shown]
	v_fmac_f64_e32 v[24:25], v[18:19], v[34:35]
	v_fma_f64 v[24:25], v[18:19], v[24:25], 1.0
	s_mov_b32 s4, 0
	s_mov_b32 s6, 0
	v_fma_f64 v[18:19], v[18:19], v[24:25], 1.0
	v_cvt_i32_f64_e32 v8, v[8:9]
	s_mov_b32 s5, 0x40900000
	s_mov_b32 s7, 0xc090cc00
	v_ldexp_f64 v[8:9], v[18:19], v8
	v_mov_b32_e32 v18, 0x7ff00000
	v_cmp_nlt_f64_e64 s[4:5], s[4:5], v[0:1]
	v_cmp_ngt_f64_e64 s[6:7], s[6:7], v[0:1]
	v_cndmask_b32_e64 v9, v18, v9, s[4:5]
	s_and_b64 s[4:5], s[6:7], s[4:5]
	v_cndmask_b32_e64 v1, 0, v9, s[6:7]
	v_cndmask_b32_e64 v0, 0, v8, s[4:5]
	v_add_f64 v[4:5], v[4:5], v[0:1]
.LBB686_29:
	s_or_b64 exec, exec, s[18:19]
.LBB686_30:
	s_or_b64 exec, exec, s[16:17]
	s_waitcnt lgkmcnt(0)
	v_cmp_lt_f64_e64 s[4:5], v[20:21], v[22:23]
	v_pk_mov_b32 v[8:9], 0, 0
	v_cndmask_b32_e64 v21, v21, v23, s[4:5]
	v_cndmask_b32_e64 v20, v20, v22, s[4:5]
	v_pk_mov_b32 v[18:19], v[8:9], v[8:9] op_sel:[0,1]
	s_and_saveexec_b64 s[16:17], s[14:15]
	s_cbranch_execz .LBB686_34
; %bb.31:
	s_ashr_i32 s4, s11, 31
	v_mov_b32_e32 v19, s4
	v_add_co_u32_e64 v18, s[4:5], s11, v14
	v_addc_co_u32_e64 v19, s[4:5], v15, v19, s[4:5]
	global_load_ubyte v18, v[18:19], off
	s_waitcnt vmcnt(0)
	v_and_b32_e32 v18, 1, v18
	v_cmp_eq_u32_e64 s[4:5], 1, v18
	s_xor_b64 s[4:5], s[4:5], -1
	v_pk_mov_b32 v[18:19], 0, 0
	s_and_saveexec_b64 s[14:15], s[4:5]
	s_cbranch_execz .LBB686_33
; %bb.32:
	s_mov_b32 s4, 0x652b82fe
	v_add_f64 v[2:3], v[2:3], -v[20:21]
	s_mov_b32 s5, 0x3ff71547
	v_mul_f64 v[18:19], v[2:3], s[4:5]
	s_mov_b32 s4, 0xfefa39ef
	v_rndne_f64_e32 v[18:19], v[18:19]
	s_mov_b32 s5, 0xbfe62e42
	v_fma_f64 v[22:23], s[4:5], v[18:19], v[2:3]
	s_mov_b32 s4, 0x3b39803f
	s_mov_b32 s5, 0xbc7abc9e
	v_fmac_f64_e32 v[22:23], s[4:5], v[18:19]
	s_mov_b32 s4, 0x6a5dcb37
	v_mov_b32_e32 v24, 0xfca7ab0c
	v_mov_b32_e32 v25, 0x3e928af3
	s_mov_b32 s5, 0x3e5ade15
	v_fmac_f64_e32 v[24:25], s[4:5], v[22:23]
	v_mov_b32_e32 v34, 0x623fde64
	v_mov_b32_e32 v35, 0x3ec71dee
	v_fmac_f64_e32 v[34:35], v[22:23], v[24:25]
	v_mov_b32_e32 v24, 0x7c89e6b0
	v_mov_b32_e32 v25, 0x3efa0199
	;; [unrolled: 3-line block ×8, first 2 shown]
	v_fmac_f64_e32 v[24:25], v[22:23], v[34:35]
	v_fma_f64 v[24:25], v[22:23], v[24:25], 1.0
	s_mov_b32 s4, 0
	s_mov_b32 s6, 0
	v_fma_f64 v[22:23], v[22:23], v[24:25], 1.0
	v_cvt_i32_f64_e32 v18, v[18:19]
	s_mov_b32 s5, 0x40900000
	s_mov_b32 s7, 0xc090cc00
	v_ldexp_f64 v[18:19], v[22:23], v18
	v_mov_b32_e32 v22, 0x7ff00000
	v_cmp_nlt_f64_e64 s[4:5], s[4:5], v[2:3]
	v_cmp_ngt_f64_e64 s[6:7], s[6:7], v[2:3]
	v_cndmask_b32_e64 v19, v22, v19, s[4:5]
	s_and_b64 s[4:5], s[6:7], s[4:5]
	v_cndmask_b32_e64 v19, 0, v19, s[6:7]
	v_cndmask_b32_e64 v18, 0, v18, s[4:5]
	v_add_f64 v[6:7], v[6:7], v[18:19]
.LBB686_33:
	s_or_b64 exec, exec, s[14:15]
.LBB686_34:
	s_or_b64 exec, exec, s[16:17]
	s_and_saveexec_b64 s[14:15], s[8:9]
	s_cbranch_execz .LBB686_38
; %bb.35:
	s_ashr_i32 s4, s11, 31
	v_mov_b32_e32 v3, s4
	v_add_co_u32_e64 v2, s[4:5], s11, v14
	v_addc_co_u32_e64 v3, s[4:5], v15, v3, s[4:5]
	global_load_ubyte v2, v[2:3], off offset:64
	v_pk_mov_b32 v[8:9], 0, 0
	s_waitcnt vmcnt(0)
	v_and_b32_e32 v2, 1, v2
	v_cmp_eq_u32_e64 s[4:5], 1, v2
	s_xor_b64 s[4:5], s[4:5], -1
	s_and_saveexec_b64 s[8:9], s[4:5]
	s_cbranch_execz .LBB686_37
; %bb.36:
	s_mov_b32 s4, 0x652b82fe
	v_add_f64 v[2:3], v[12:13], -v[20:21]
	s_mov_b32 s5, 0x3ff71547
	v_mul_f64 v[8:9], v[2:3], s[4:5]
	s_mov_b32 s4, 0xfefa39ef
	v_rndne_f64_e32 v[8:9], v[8:9]
	s_mov_b32 s5, 0xbfe62e42
	v_fma_f64 v[12:13], s[4:5], v[8:9], v[2:3]
	s_mov_b32 s4, 0x3b39803f
	s_mov_b32 s5, 0xbc7abc9e
	v_fmac_f64_e32 v[12:13], s[4:5], v[8:9]
	s_mov_b32 s4, 0x6a5dcb37
	v_mov_b32_e32 v14, 0xfca7ab0c
	v_mov_b32_e32 v15, 0x3e928af3
	s_mov_b32 s5, 0x3e5ade15
	v_fmac_f64_e32 v[14:15], s[4:5], v[12:13]
	v_mov_b32_e32 v20, 0x623fde64
	v_mov_b32_e32 v21, 0x3ec71dee
	v_fmac_f64_e32 v[20:21], v[12:13], v[14:15]
	v_mov_b32_e32 v14, 0x7c89e6b0
	v_mov_b32_e32 v15, 0x3efa0199
	;; [unrolled: 3-line block ×8, first 2 shown]
	v_fmac_f64_e32 v[14:15], v[12:13], v[20:21]
	v_fma_f64 v[14:15], v[12:13], v[14:15], 1.0
	s_mov_b32 s4, 0
	s_mov_b32 s6, 0
	v_fma_f64 v[12:13], v[12:13], v[14:15], 1.0
	v_cvt_i32_f64_e32 v8, v[8:9]
	s_mov_b32 s5, 0x40900000
	s_mov_b32 s7, 0xc090cc00
	v_ldexp_f64 v[8:9], v[12:13], v8
	v_mov_b32_e32 v12, 0x7ff00000
	v_cmp_nlt_f64_e64 s[4:5], s[4:5], v[2:3]
	v_cmp_ngt_f64_e64 s[6:7], s[6:7], v[2:3]
	v_cndmask_b32_e64 v9, v12, v9, s[4:5]
	s_and_b64 s[4:5], s[6:7], s[4:5]
	v_cndmask_b32_e64 v9, 0, v9, s[6:7]
	v_cndmask_b32_e64 v8, 0, v8, s[4:5]
	v_add_f64 v[6:7], v[6:7], v[8:9]
.LBB686_37:
	s_or_b64 exec, exec, s[8:9]
.LBB686_38:
	s_or_b64 exec, exec, s[14:15]
	ds_bpermute_b32 v2, v27, v4
	ds_bpermute_b32 v3, v27, v5
	;; [unrolled: 1-line block ×4, first 2 shown]
	s_waitcnt lgkmcnt(2)
	v_add_f64 v[2:3], v[4:5], v[2:3]
	s_waitcnt lgkmcnt(0)
	v_add_f64 v[4:5], v[6:7], v[12:13]
	ds_bpermute_b32 v6, v28, v2
	ds_bpermute_b32 v7, v28, v3
	;; [unrolled: 1-line block ×4, first 2 shown]
	s_waitcnt lgkmcnt(2)
	v_add_f64 v[2:3], v[2:3], v[6:7]
	ds_bpermute_b32 v6, v29, v2
	s_waitcnt lgkmcnt(1)
	v_add_f64 v[4:5], v[4:5], v[12:13]
	ds_bpermute_b32 v7, v29, v3
	ds_bpermute_b32 v12, v29, v4
	ds_bpermute_b32 v13, v29, v5
	s_waitcnt lgkmcnt(2)
	v_add_f64 v[2:3], v[2:3], v[6:7]
	ds_bpermute_b32 v6, v30, v2
	s_waitcnt lgkmcnt(1)
	v_add_f64 v[4:5], v[4:5], v[12:13]
	ds_bpermute_b32 v7, v30, v3
	ds_bpermute_b32 v12, v30, v4
	ds_bpermute_b32 v13, v30, v5
	;; [unrolled: 8-line block ×3, first 2 shown]
	s_waitcnt lgkmcnt(2)
	v_add_f64 v[12:13], v[2:3], v[6:7]
	s_waitcnt lgkmcnt(0)
	v_add_f64 v[4:5], v[4:5], v[14:15]
	ds_bpermute_b32 v14, v32, v12
	ds_bpermute_b32 v15, v32, v13
	;; [unrolled: 1-line block ×4, first 2 shown]
	s_and_saveexec_b64 s[4:5], vcc
	s_cbranch_execz .LBB686_46
; %bb.39:
	v_mov_b32_e32 v3, s13
	v_add_co_u32_e32 v2, vcc, s12, v10
	v_addc_co_u32_e32 v3, vcc, v3, v11, vcc
	s_and_saveexec_b64 s[6:7], s[2:3]
	s_cbranch_execz .LBB686_42
; %bb.40:
	s_waitcnt lgkmcnt(2)
	v_add_f64 v[10:11], v[12:13], v[14:15]
	v_div_scale_f64 v[12:13], s[4:5], v[10:11], v[10:11], v[16:17]
	v_rcp_f64_e32 v[14:15], v[12:13]
	v_div_scale_f64 v[20:21], vcc, v[16:17], v[10:11], v[16:17]
	v_cmp_eq_f64_e64 s[4:5], 0, v[10:11]
	v_fma_f64 v[22:23], -v[12:13], v[14:15], 1.0
	v_fmac_f64_e32 v[14:15], v[14:15], v[22:23]
	v_fma_f64 v[22:23], -v[12:13], v[14:15], 1.0
	v_fmac_f64_e32 v[14:15], v[14:15], v[22:23]
	v_mul_f64 v[22:23], v[20:21], v[14:15]
	v_fma_f64 v[12:13], -v[12:13], v[22:23], v[20:21]
	v_div_fmas_f64 v[12:13], v[12:13], v[14:15], v[22:23]
	v_div_fixup_f64 v[14:15], v[12:13], v[10:11], v[16:17]
	v_mov_b32_e32 v12, 0x7ff80000
	v_cndmask_b32_e64 v15, v15, v12, s[4:5]
	v_cndmask_b32_e64 v14, v14, 0, s[4:5]
	global_store_dwordx2 v[2:3], v[14:15], off
	s_and_b64 exec, exec, s[0:1]
	s_cbranch_execz .LBB686_42
; %bb.41:
	v_div_scale_f64 v[14:15], s[8:9], v[10:11], v[10:11], v[0:1]
	v_rcp_f64_e32 v[16:17], v[14:15]
	v_div_scale_f64 v[20:21], vcc, v[0:1], v[10:11], v[0:1]
	v_fma_f64 v[22:23], -v[14:15], v[16:17], 1.0
	v_fmac_f64_e32 v[16:17], v[16:17], v[22:23]
	v_fma_f64 v[22:23], -v[14:15], v[16:17], 1.0
	v_fmac_f64_e32 v[16:17], v[16:17], v[22:23]
	v_mul_f64 v[22:23], v[20:21], v[16:17]
	v_fma_f64 v[14:15], -v[14:15], v[22:23], v[20:21]
	v_div_fmas_f64 v[14:15], v[14:15], v[16:17], v[22:23]
	v_div_fixup_f64 v[0:1], v[14:15], v[10:11], v[0:1]
	v_cndmask_b32_e64 v1, v1, v12, s[4:5]
	v_cndmask_b32_e64 v0, v0, 0, s[4:5]
	global_store_dwordx2 v[2:3], v[0:1], off offset:512
.LBB686_42:
	s_or_b64 exec, exec, s[6:7]
	v_cmp_ne_u32_e32 vcc, 1, v26
	s_and_b64 exec, exec, vcc
	s_cbranch_execz .LBB686_46
; %bb.43:
	s_and_b64 exec, exec, s[2:3]
	s_cbranch_execz .LBB686_46
; %bb.44:
	s_waitcnt lgkmcnt(0)
	v_add_f64 v[0:1], v[4:5], v[6:7]
	v_div_scale_f64 v[4:5], s[2:3], v[0:1], v[0:1], v[18:19]
	v_rcp_f64_e32 v[6:7], v[4:5]
	v_div_scale_f64 v[10:11], vcc, v[18:19], v[0:1], v[18:19]
	s_mov_b32 s11, 0
	v_fma_f64 v[12:13], -v[4:5], v[6:7], 1.0
	v_fmac_f64_e32 v[6:7], v[6:7], v[12:13]
	v_fma_f64 v[12:13], -v[4:5], v[6:7], 1.0
	v_fmac_f64_e32 v[6:7], v[6:7], v[12:13]
	v_mul_f64 v[12:13], v[10:11], v[6:7]
	v_fma_f64 v[4:5], -v[4:5], v[12:13], v[10:11]
	v_div_fmas_f64 v[4:5], v[4:5], v[6:7], v[12:13]
	s_lshl_b64 s[2:3], s[10:11], 3
	v_div_fixup_f64 v[6:7], v[4:5], v[0:1], v[18:19]
	v_mov_b32_e32 v4, s3
	v_add_co_u32_e32 v10, vcc, s2, v2
	v_addc_co_u32_e32 v11, vcc, v3, v4, vcc
	v_mov_b32_e32 v4, 0x7ff80000
	v_cmp_eq_f64_e64 s[2:3], 0, v[0:1]
	v_cndmask_b32_e64 v7, v7, v4, s[2:3]
	v_cndmask_b32_e64 v6, v6, 0, s[2:3]
	global_store_dwordx2 v[10:11], v[6:7], off
	s_and_b64 exec, exec, s[0:1]
	s_cbranch_execz .LBB686_46
; %bb.45:
	v_div_scale_f64 v[6:7], s[0:1], v[0:1], v[0:1], v[8:9]
	v_rcp_f64_e32 v[10:11], v[6:7]
	v_div_scale_f64 v[12:13], vcc, v[8:9], v[0:1], v[8:9]
	s_ashr_i32 s11, s10, 31
	v_fma_f64 v[14:15], -v[6:7], v[10:11], 1.0
	v_fmac_f64_e32 v[10:11], v[10:11], v[14:15]
	v_fma_f64 v[14:15], -v[6:7], v[10:11], 1.0
	v_fmac_f64_e32 v[10:11], v[10:11], v[14:15]
	v_mul_f64 v[14:15], v[12:13], v[10:11]
	v_fma_f64 v[6:7], -v[6:7], v[14:15], v[12:13]
	v_div_fmas_f64 v[6:7], v[6:7], v[10:11], v[14:15]
	s_lshl_b64 s[0:1], s[10:11], 3
	v_div_fixup_f64 v[0:1], v[6:7], v[0:1], v[8:9]
	v_mov_b32_e32 v5, s1
	v_add_co_u32_e32 v2, vcc, s0, v2
	v_addc_co_u32_e32 v3, vcc, v3, v5, vcc
	v_cndmask_b32_e64 v1, v1, v4, s[2:3]
	v_cndmask_b32_e64 v0, v0, 0, s[2:3]
	global_store_dwordx2 v[2:3], v[0:1], off offset:512
.LBB686_46:
	s_endpgm
	.section	.rodata,"a",@progbits
	.p2align	6, 0x0
	.amdhsa_kernel _ZN12_GLOBAL__N_120softmax_warp_forwardIdddLi7ELb0ELb1ELi64EEEvPT0_PKT_iiiPKbib
		.amdhsa_group_segment_fixed_size 0
		.amdhsa_private_segment_fixed_size 0
		.amdhsa_kernarg_size 304
		.amdhsa_user_sgpr_count 6
		.amdhsa_user_sgpr_private_segment_buffer 1
		.amdhsa_user_sgpr_dispatch_ptr 0
		.amdhsa_user_sgpr_queue_ptr 0
		.amdhsa_user_sgpr_kernarg_segment_ptr 1
		.amdhsa_user_sgpr_dispatch_id 0
		.amdhsa_user_sgpr_flat_scratch_init 0
		.amdhsa_user_sgpr_kernarg_preload_length 0
		.amdhsa_user_sgpr_kernarg_preload_offset 0
		.amdhsa_user_sgpr_private_segment_size 0
		.amdhsa_uses_dynamic_stack 0
		.amdhsa_system_sgpr_private_segment_wavefront_offset 0
		.amdhsa_system_sgpr_workgroup_id_x 1
		.amdhsa_system_sgpr_workgroup_id_y 0
		.amdhsa_system_sgpr_workgroup_id_z 0
		.amdhsa_system_sgpr_workgroup_info 0
		.amdhsa_system_vgpr_workitem_id 1
		.amdhsa_next_free_vgpr 36
		.amdhsa_next_free_sgpr 28
		.amdhsa_accum_offset 36
		.amdhsa_reserve_vcc 1
		.amdhsa_reserve_flat_scratch 0
		.amdhsa_float_round_mode_32 0
		.amdhsa_float_round_mode_16_64 0
		.amdhsa_float_denorm_mode_32 3
		.amdhsa_float_denorm_mode_16_64 3
		.amdhsa_dx10_clamp 1
		.amdhsa_ieee_mode 1
		.amdhsa_fp16_overflow 0
		.amdhsa_tg_split 0
		.amdhsa_exception_fp_ieee_invalid_op 0
		.amdhsa_exception_fp_denorm_src 0
		.amdhsa_exception_fp_ieee_div_zero 0
		.amdhsa_exception_fp_ieee_overflow 0
		.amdhsa_exception_fp_ieee_underflow 0
		.amdhsa_exception_fp_ieee_inexact 0
		.amdhsa_exception_int_div_zero 0
	.end_amdhsa_kernel
	.section	.text._ZN12_GLOBAL__N_120softmax_warp_forwardIdddLi7ELb0ELb1ELi64EEEvPT0_PKT_iiiPKbib,"axG",@progbits,_ZN12_GLOBAL__N_120softmax_warp_forwardIdddLi7ELb0ELb1ELi64EEEvPT0_PKT_iiiPKbib,comdat
.Lfunc_end686:
	.size	_ZN12_GLOBAL__N_120softmax_warp_forwardIdddLi7ELb0ELb1ELi64EEEvPT0_PKT_iiiPKbib, .Lfunc_end686-_ZN12_GLOBAL__N_120softmax_warp_forwardIdddLi7ELb0ELb1ELi64EEEvPT0_PKT_iiiPKbib
                                        ; -- End function
	.section	.AMDGPU.csdata,"",@progbits
; Kernel info:
; codeLenInByte = 4476
; NumSgprs: 32
; NumVgprs: 36
; NumAgprs: 0
; TotalNumVgprs: 36
; ScratchSize: 0
; MemoryBound: 0
; FloatMode: 240
; IeeeMode: 1
; LDSByteSize: 0 bytes/workgroup (compile time only)
; SGPRBlocks: 3
; VGPRBlocks: 4
; NumSGPRsForWavesPerEU: 32
; NumVGPRsForWavesPerEU: 36
; AccumOffset: 36
; Occupancy: 8
; WaveLimiterHint : 0
; COMPUTE_PGM_RSRC2:SCRATCH_EN: 0
; COMPUTE_PGM_RSRC2:USER_SGPR: 6
; COMPUTE_PGM_RSRC2:TRAP_HANDLER: 0
; COMPUTE_PGM_RSRC2:TGID_X_EN: 1
; COMPUTE_PGM_RSRC2:TGID_Y_EN: 0
; COMPUTE_PGM_RSRC2:TGID_Z_EN: 0
; COMPUTE_PGM_RSRC2:TIDIG_COMP_CNT: 1
; COMPUTE_PGM_RSRC3_GFX90A:ACCUM_OFFSET: 8
; COMPUTE_PGM_RSRC3_GFX90A:TG_SPLIT: 0
	.section	.text._ZN12_GLOBAL__N_120softmax_warp_forwardIdddLi7ELb0ELb1ELi32EEEvPT0_PKT_iiiPKbib,"axG",@progbits,_ZN12_GLOBAL__N_120softmax_warp_forwardIdddLi7ELb0ELb1ELi32EEEvPT0_PKT_iiiPKbib,comdat
	.globl	_ZN12_GLOBAL__N_120softmax_warp_forwardIdddLi7ELb0ELb1ELi32EEEvPT0_PKT_iiiPKbib ; -- Begin function _ZN12_GLOBAL__N_120softmax_warp_forwardIdddLi7ELb0ELb1ELi32EEEvPT0_PKT_iiiPKbib
	.p2align	8
	.type	_ZN12_GLOBAL__N_120softmax_warp_forwardIdddLi7ELb0ELb1ELi32EEEvPT0_PKT_iiiPKbib,@function
_ZN12_GLOBAL__N_120softmax_warp_forwardIdddLi7ELb0ELb1ELi32EEEvPT0_PKT_iiiPKbib: ; @_ZN12_GLOBAL__N_120softmax_warp_forwardIdddLi7ELb0ELb1ELi32EEEvPT0_PKT_iiiPKbib
; %bb.0:
	s_load_dwordx2 s[0:1], s[4:5], 0x28
	s_load_dword s2, s[4:5], 0x3c
	s_load_dwordx4 s[12:15], s[4:5], 0x10
	v_bfe_u32 v1, v0, 10, 10
	v_and_b32_e32 v2, 0x3ff, v0
	s_waitcnt lgkmcnt(0)
	s_bitcmp1_b32 s1, 0
	s_cselect_b64 s[20:21], -1, 0
	s_lshr_b32 s2, s2, 16
	s_mul_i32 s6, s6, s2
	v_add_lshl_u32 v3, s6, v1, 1
	v_mul_lo_u32 v6, v3, s13
	v_add_u32_e32 v4, v6, v2
	v_ashrrev_i32_e32 v5, 31, v4
	s_bitcmp0_b32 s1, 0
	v_pk_mov_b32 v[0:1], v[4:5], v[4:5] op_sel:[0,1]
	s_cbranch_scc1 .LBB687_2
; %bb.1:
	s_abs_i32 s1, s0
	v_cvt_f32_u32_e32 v0, s1
	v_xor_b32_e32 v1, s0, v6
	v_sub_u32_e32 v7, 0, v6
	s_sub_i32 s0, 0, s1
	v_rcp_iflag_f32_e32 v0, v0
	v_max_i32_e32 v6, v6, v7
	v_ashrrev_i32_e32 v1, 31, v1
	v_mul_f32_e32 v0, 0x4f7ffffe, v0
	v_cvt_u32_f32_e32 v0, v0
	v_mul_lo_u32 v7, s0, v0
	v_mul_hi_u32 v7, v0, v7
	v_add_u32_e32 v0, v0, v7
	v_mul_hi_u32 v0, v6, v0
	v_mul_lo_u32 v7, v0, s1
	v_sub_u32_e32 v6, v6, v7
	v_add_u32_e32 v8, 1, v0
	v_cmp_le_u32_e32 vcc, s1, v6
	v_subrev_u32_e32 v7, s1, v6
	v_cndmask_b32_e32 v0, v0, v8, vcc
	v_cndmask_b32_e32 v6, v6, v7, vcc
	v_add_u32_e32 v7, 1, v0
	v_cmp_le_u32_e32 vcc, s1, v6
	v_cndmask_b32_e32 v0, v0, v7, vcc
	v_xor_b32_e32 v0, v0, v1
	v_sub_u32_e32 v0, v0, v1
	v_mad_u64_u32 v[0:1], s[0:1], v0, s13, v[2:3]
	v_ashrrev_i32_e32 v1, 31, v0
.LBB687_2:
	s_load_dwordx4 s[16:19], s[4:5], 0x0
	v_lshlrev_b64 v[10:11], 3, v[4:5]
	v_sub_u32_e32 v34, s12, v3
	v_mov_b32_e32 v26, 0
	v_cmp_gt_i32_e64 s[6:7], s14, v2
	s_waitcnt lgkmcnt(0)
	v_mov_b32_e32 v3, s19
	v_add_co_u32_e32 v4, vcc, s18, v10
	v_addc_co_u32_e32 v5, vcc, v3, v11, vcc
	v_cmp_lt_i32_e32 vcc, 0, v34
	v_mov_b32_e32 v27, 0xfff00000
	s_and_b64 s[36:37], vcc, s[6:7]
	v_pk_mov_b32 v[8:9], v[26:27], v[26:27] op_sel:[0,1]
	s_and_saveexec_b64 s[0:1], s[36:37]
	s_cbranch_execz .LBB687_4
; %bb.3:
	global_load_dwordx2 v[8:9], v[4:5], off
.LBB687_4:
	s_or_b64 exec, exec, s[0:1]
	v_add_u32_e32 v3, 32, v2
	v_cmp_gt_i32_e64 s[8:9], s14, v3
	s_and_b64 s[34:35], vcc, s[8:9]
	s_and_saveexec_b64 s[0:1], s[34:35]
	s_cbranch_execz .LBB687_6
; %bb.5:
	global_load_dwordx2 v[26:27], v[4:5], off offset:256
.LBB687_6:
	s_or_b64 exec, exec, s[0:1]
	v_add_u32_e32 v3, 64, v2
	v_mov_b32_e32 v22, 0
	v_cmp_gt_i32_e64 s[2:3], s14, v3
	v_mov_b32_e32 v23, 0xfff00000
	s_and_b64 s[30:31], vcc, s[2:3]
	v_pk_mov_b32 v[24:25], v[22:23], v[22:23] op_sel:[0,1]
	s_and_saveexec_b64 s[0:1], s[30:31]
	s_cbranch_execz .LBB687_8
; %bb.7:
	global_load_dwordx2 v[24:25], v[4:5], off offset:512
.LBB687_8:
	s_or_b64 exec, exec, s[0:1]
	v_add_u32_e32 v2, 0x60, v2
	v_cmp_gt_i32_e64 s[0:1], s14, v2
	s_and_b64 s[28:29], vcc, s[0:1]
	s_and_saveexec_b64 s[10:11], s[28:29]
	s_cbranch_execz .LBB687_10
; %bb.9:
	global_load_dwordx2 v[22:23], v[4:5], off offset:768
.LBB687_10:
	s_or_b64 exec, exec, s[10:11]
	v_mov_b32_e32 v18, 0
	v_cmp_lt_i32_e64 s[10:11], 1, v34
	v_mov_b32_e32 v19, 0xfff00000
	s_and_b64 s[26:27], s[10:11], s[6:7]
	v_pk_mov_b32 v[2:3], v[18:19], v[18:19] op_sel:[0,1]
	s_and_saveexec_b64 s[18:19], s[26:27]
	s_cbranch_execz .LBB687_12
; %bb.11:
	s_mov_b32 s15, 0
	s_lshl_b64 s[12:13], s[14:15], 3
	v_mov_b32_e32 v3, s13
	v_add_co_u32_e64 v2, s[12:13], s12, v4
	v_addc_co_u32_e64 v3, s[12:13], v5, v3, s[12:13]
	global_load_dwordx2 v[2:3], v[2:3], off
.LBB687_12:
	s_or_b64 exec, exec, s[18:19]
	s_and_b64 s[24:25], s[10:11], s[8:9]
	s_and_saveexec_b64 s[18:19], s[24:25]
	s_cbranch_execz .LBB687_14
; %bb.13:
	s_mov_b32 s15, 0
	s_lshl_b64 s[12:13], s[14:15], 3
	v_mov_b32_e32 v7, s13
	v_add_co_u32_e64 v6, s[12:13], s12, v4
	v_addc_co_u32_e64 v7, s[12:13], v5, v7, s[12:13]
	global_load_dwordx2 v[18:19], v[6:7], off offset:256
.LBB687_14:
	s_or_b64 exec, exec, s[18:19]
	v_mov_b32_e32 v12, 0
	v_mov_b32_e32 v13, 0xfff00000
	s_and_b64 s[18:19], s[10:11], s[2:3]
	v_pk_mov_b32 v[16:17], v[12:13], v[12:13] op_sel:[0,1]
	s_and_saveexec_b64 s[22:23], s[18:19]
	s_cbranch_execz .LBB687_16
; %bb.15:
	s_mov_b32 s15, 0
	s_lshl_b64 s[12:13], s[14:15], 3
	v_mov_b32_e32 v7, s13
	v_add_co_u32_e64 v6, s[12:13], s12, v4
	v_addc_co_u32_e64 v7, s[12:13], v5, v7, s[12:13]
	global_load_dwordx2 v[16:17], v[6:7], off offset:512
.LBB687_16:
	s_or_b64 exec, exec, s[22:23]
	s_and_b64 s[12:13], s[10:11], s[0:1]
	s_and_saveexec_b64 s[22:23], s[12:13]
	s_cbranch_execz .LBB687_18
; %bb.17:
	s_mov_b32 s15, 0
	s_lshl_b64 s[10:11], s[14:15], 3
	v_mov_b32_e32 v6, s11
	v_add_co_u32_e64 v4, s[10:11], s10, v4
	v_addc_co_u32_e64 v5, s[10:11], v5, v6, s[10:11]
	global_load_dwordx2 v[12:13], v[4:5], off offset:768
.LBB687_18:
	s_or_b64 exec, exec, s[22:23]
	s_load_dwordx2 s[4:5], s[4:5], 0x20
	s_mov_b64 s[10:11], 0
	s_waitcnt lgkmcnt(0)
	v_mov_b32_e32 v4, s5
	v_add_co_u32_e64 v14, s[4:5], s4, v0
	v_addc_co_u32_e64 v15, s[4:5], v4, v1, s[4:5]
	s_waitcnt vmcnt(0)
	v_pk_mov_b32 v[4:5], v[8:9], v[8:9] op_sel:[0,1]
	v_pk_mov_b32 v[6:7], v[10:11], v[10:11] op_sel:[0,1]
	s_and_saveexec_b64 s[22:23], s[36:37]
	s_cbranch_execnz .LBB687_22
; %bb.19:
	s_or_b64 exec, exec, s[22:23]
	s_and_saveexec_b64 s[22:23], s[34:35]
	s_cbranch_execnz .LBB687_23
.LBB687_20:
	s_or_b64 exec, exec, s[22:23]
	s_and_saveexec_b64 s[22:23], s[30:31]
	s_cbranch_execnz .LBB687_26
.LBB687_21:
	s_or_b64 exec, exec, s[22:23]
	s_and_saveexec_b64 s[22:23], s[28:29]
	s_cbranch_execnz .LBB687_29
	s_branch .LBB687_32
.LBB687_22:
	global_load_ubyte v0, v[14:15], off
	v_pk_mov_b32 v[4:5], v[8:9], v[8:9] op_sel:[0,1]
	v_pk_mov_b32 v[6:7], v[10:11], v[10:11] op_sel:[0,1]
	s_waitcnt vmcnt(0)
	v_and_b32_e32 v0, 1, v0
	v_cmp_eq_u32_e64 s[4:5], 1, v0
	s_xor_b64 s[4:5], s[4:5], -1
	s_and_b64 s[10:11], s[4:5], exec
	s_or_b64 exec, exec, s[22:23]
	s_and_saveexec_b64 s[22:23], s[34:35]
	s_cbranch_execz .LBB687_20
.LBB687_23:
	global_load_ubyte v0, v[14:15], off offset:32
	s_waitcnt vmcnt(0)
	v_and_b32_e32 v0, 1, v0
	v_cmp_eq_u32_e64 s[4:5], 1, v0
	s_xor_b64 s[40:41], s[4:5], -1
	s_mov_b64 s[4:5], s[10:11]
	s_and_saveexec_b64 s[38:39], s[40:41]
; %bb.24:
	v_cmp_gt_f64_e64 s[4:5], v[4:5], v[26:27]
	s_and_b64 s[4:5], s[10:11], s[4:5]
	v_cndmask_b32_e64 v5, v27, v5, s[4:5]
	v_cndmask_b32_e64 v4, v26, v4, s[4:5]
	s_or_b64 s[4:5], s[10:11], exec
; %bb.25:
	s_or_b64 exec, exec, s[38:39]
	s_andn2_b64 s[10:11], s[10:11], exec
	s_and_b64 s[4:5], s[4:5], exec
	s_or_b64 s[10:11], s[10:11], s[4:5]
	s_or_b64 exec, exec, s[22:23]
	s_and_saveexec_b64 s[22:23], s[30:31]
	s_cbranch_execz .LBB687_21
.LBB687_26:
	global_load_ubyte v0, v[14:15], off offset:64
	s_waitcnt vmcnt(0)
	v_and_b32_e32 v0, 1, v0
	v_cmp_eq_u32_e64 s[4:5], 1, v0
	s_xor_b64 s[40:41], s[4:5], -1
	s_mov_b64 s[4:5], s[10:11]
	s_and_saveexec_b64 s[38:39], s[40:41]
; %bb.27:
	v_cmp_gt_f64_e64 s[4:5], v[4:5], v[24:25]
	s_and_b64 s[4:5], s[10:11], s[4:5]
	v_cndmask_b32_e64 v5, v25, v5, s[4:5]
	v_cndmask_b32_e64 v4, v24, v4, s[4:5]
	s_or_b64 s[4:5], s[10:11], exec
; %bb.28:
	s_or_b64 exec, exec, s[38:39]
	s_andn2_b64 s[10:11], s[10:11], exec
	s_and_b64 s[4:5], s[4:5], exec
	s_or_b64 s[10:11], s[10:11], s[4:5]
	s_or_b64 exec, exec, s[22:23]
	s_and_saveexec_b64 s[22:23], s[28:29]
	s_cbranch_execz .LBB687_32
.LBB687_29:
	global_load_ubyte v0, v[14:15], off offset:96
	s_waitcnt vmcnt(0)
	v_and_b32_e32 v0, 1, v0
	v_cmp_eq_u32_e64 s[4:5], 1, v0
	s_xor_b64 s[40:41], s[4:5], -1
	s_mov_b64 s[4:5], s[10:11]
	s_and_saveexec_b64 s[38:39], s[40:41]
; %bb.30:
	v_cmp_gt_f64_e64 s[4:5], v[4:5], v[22:23]
	s_and_b64 s[4:5], s[10:11], s[4:5]
	v_cndmask_b32_e64 v5, v23, v5, s[4:5]
	v_cndmask_b32_e64 v4, v22, v4, s[4:5]
	s_or_b64 s[4:5], s[10:11], exec
; %bb.31:
	s_or_b64 exec, exec, s[38:39]
	s_andn2_b64 s[10:11], s[10:11], exec
	s_and_b64 s[4:5], s[4:5], exec
	s_or_b64 s[10:11], s[10:11], s[4:5]
.LBB687_32:
	s_or_b64 exec, exec, s[22:23]
	v_mov_b32_e32 v0, 0xfff00000
	v_cndmask_b32_e64 v1, v0, v5, s[10:11]
	v_cndmask_b32_e64 v0, 0, v4, s[10:11]
	s_and_b64 s[4:5], s[20:21], exec
	v_pk_mov_b32 v[6:7], v[2:3], v[2:3] op_sel:[0,1]
	s_cselect_b32 s15, 0, s14
	s_mov_b64 s[10:11], 0
	v_pk_mov_b32 v[4:5], v[0:1], v[0:1] op_sel:[0,1]
	s_and_saveexec_b64 s[20:21], s[26:27]
	s_cbranch_execnz .LBB687_36
; %bb.33:
	s_or_b64 exec, exec, s[20:21]
	s_and_saveexec_b64 s[20:21], s[24:25]
	s_cbranch_execnz .LBB687_37
.LBB687_34:
	s_or_b64 exec, exec, s[20:21]
	s_and_saveexec_b64 s[20:21], s[18:19]
	s_cbranch_execnz .LBB687_40
.LBB687_35:
	s_or_b64 exec, exec, s[20:21]
	s_and_saveexec_b64 s[20:21], s[12:13]
	s_cbranch_execnz .LBB687_43
	s_branch .LBB687_46
.LBB687_36:
	s_ashr_i32 s4, s15, 31
	v_mov_b32_e32 v5, s4
	v_add_co_u32_e64 v4, s[4:5], s15, v14
	v_addc_co_u32_e64 v5, s[4:5], v15, v5, s[4:5]
	global_load_ubyte v4, v[4:5], off
	s_waitcnt vmcnt(0)
	v_and_b32_e32 v4, 1, v4
	v_cmp_eq_u32_e64 s[4:5], 1, v4
	s_xor_b64 s[4:5], s[4:5], -1
	v_pk_mov_b32 v[6:7], v[2:3], v[2:3] op_sel:[0,1]
	s_and_b64 s[10:11], s[4:5], exec
	v_pk_mov_b32 v[4:5], v[0:1], v[0:1] op_sel:[0,1]
	s_or_b64 exec, exec, s[20:21]
	s_and_saveexec_b64 s[20:21], s[24:25]
	s_cbranch_execz .LBB687_34
.LBB687_37:
	s_ashr_i32 s4, s15, 31
	v_mov_b32_e32 v1, s4
	v_add_co_u32_e64 v0, s[4:5], s15, v14
	v_addc_co_u32_e64 v1, s[4:5], v15, v1, s[4:5]
	global_load_ubyte v0, v[0:1], off offset:32
	s_waitcnt vmcnt(0)
	v_and_b32_e32 v0, 1, v0
	v_cmp_eq_u32_e64 s[4:5], 1, v0
	s_xor_b64 s[38:39], s[4:5], -1
	s_mov_b64 s[4:5], s[10:11]
	s_and_saveexec_b64 s[22:23], s[38:39]
; %bb.38:
	v_cmp_gt_f64_e64 s[4:5], v[6:7], v[18:19]
	s_and_b64 s[4:5], s[10:11], s[4:5]
	v_cndmask_b32_e64 v7, v19, v7, s[4:5]
	v_cndmask_b32_e64 v6, v18, v6, s[4:5]
	s_or_b64 s[4:5], s[10:11], exec
; %bb.39:
	s_or_b64 exec, exec, s[22:23]
	s_andn2_b64 s[10:11], s[10:11], exec
	s_and_b64 s[4:5], s[4:5], exec
	s_or_b64 s[10:11], s[10:11], s[4:5]
	s_or_b64 exec, exec, s[20:21]
	s_and_saveexec_b64 s[20:21], s[18:19]
	s_cbranch_execz .LBB687_35
.LBB687_40:
	s_ashr_i32 s4, s15, 31
	v_mov_b32_e32 v1, s4
	v_add_co_u32_e64 v0, s[4:5], s15, v14
	v_addc_co_u32_e64 v1, s[4:5], v15, v1, s[4:5]
	global_load_ubyte v0, v[0:1], off offset:64
	s_waitcnt vmcnt(0)
	v_and_b32_e32 v0, 1, v0
	v_cmp_eq_u32_e64 s[4:5], 1, v0
	s_xor_b64 s[38:39], s[4:5], -1
	s_mov_b64 s[4:5], s[10:11]
	s_and_saveexec_b64 s[22:23], s[38:39]
; %bb.41:
	v_cmp_gt_f64_e64 s[4:5], v[6:7], v[16:17]
	s_and_b64 s[4:5], s[10:11], s[4:5]
	v_cndmask_b32_e64 v7, v17, v7, s[4:5]
	v_cndmask_b32_e64 v6, v16, v6, s[4:5]
	s_or_b64 s[4:5], s[10:11], exec
; %bb.42:
	s_or_b64 exec, exec, s[22:23]
	s_andn2_b64 s[10:11], s[10:11], exec
	s_and_b64 s[4:5], s[4:5], exec
	s_or_b64 s[10:11], s[10:11], s[4:5]
	s_or_b64 exec, exec, s[20:21]
	s_and_saveexec_b64 s[20:21], s[12:13]
	s_cbranch_execz .LBB687_46
.LBB687_43:
	s_ashr_i32 s4, s15, 31
	v_mov_b32_e32 v1, s4
	v_add_co_u32_e64 v0, s[4:5], s15, v14
	v_addc_co_u32_e64 v1, s[4:5], v15, v1, s[4:5]
	global_load_ubyte v0, v[0:1], off offset:96
	s_waitcnt vmcnt(0)
	v_and_b32_e32 v0, 1, v0
	v_cmp_eq_u32_e64 s[4:5], 1, v0
	s_xor_b64 s[38:39], s[4:5], -1
	s_mov_b64 s[4:5], s[10:11]
	s_and_saveexec_b64 s[22:23], s[38:39]
; %bb.44:
	v_cmp_gt_f64_e64 s[4:5], v[6:7], v[12:13]
	s_and_b64 s[4:5], s[10:11], s[4:5]
	v_cndmask_b32_e64 v7, v13, v7, s[4:5]
	v_cndmask_b32_e64 v6, v12, v6, s[4:5]
	s_or_b64 s[4:5], s[10:11], exec
; %bb.45:
	s_or_b64 exec, exec, s[22:23]
	s_andn2_b64 s[10:11], s[10:11], exec
	s_and_b64 s[4:5], s[4:5], exec
	s_or_b64 s[10:11], s[10:11], s[4:5]
.LBB687_46:
	s_or_b64 exec, exec, s[20:21]
	v_mbcnt_lo_u32_b32 v0, -1, 0
	v_mbcnt_hi_u32_b32 v28, -1, v0
	v_and_b32_e32 v0, 0x60, v28
	v_add_u32_e32 v29, 32, v0
	v_xor_b32_e32 v0, 16, v28
	v_cmp_lt_i32_e64 s[4:5], v0, v29
	v_cndmask_b32_e64 v0, v28, v0, s[4:5]
	v_lshlrev_b32_e32 v35, 2, v0
	ds_bpermute_b32 v0, v35, v4
	ds_bpermute_b32 v1, v35, v5
	v_mov_b32_e32 v20, 0xfff00000
	v_cndmask_b32_e64 v7, v20, v7, s[10:11]
	v_xor_b32_e32 v20, 8, v28
	v_cndmask_b32_e64 v6, 0, v6, s[10:11]
	s_waitcnt lgkmcnt(0)
	v_cmp_lt_f64_e64 s[4:5], v[4:5], v[0:1]
	v_cndmask_b32_e64 v1, v5, v1, s[4:5]
	v_cndmask_b32_e64 v0, v4, v0, s[4:5]
	v_cmp_lt_i32_e64 s[4:5], v20, v29
	v_cndmask_b32_e64 v20, v28, v20, s[4:5]
	ds_bpermute_b32 v4, v35, v6
	ds_bpermute_b32 v5, v35, v7
	v_lshlrev_b32_e32 v36, 2, v20
	ds_bpermute_b32 v20, v36, v0
	ds_bpermute_b32 v21, v36, v1
	s_mov_b32 s20, 0
	s_waitcnt lgkmcnt(2)
	v_cmp_lt_f64_e64 s[4:5], v[6:7], v[4:5]
	v_cndmask_b32_e64 v5, v7, v5, s[4:5]
	v_cndmask_b32_e64 v4, v6, v4, s[4:5]
	s_waitcnt lgkmcnt(0)
	v_cmp_lt_f64_e64 s[4:5], v[0:1], v[20:21]
	v_cndmask_b32_e64 v0, v0, v20, s[4:5]
	v_xor_b32_e32 v20, 4, v28
	v_cndmask_b32_e64 v1, v1, v21, s[4:5]
	v_cmp_lt_i32_e64 s[4:5], v20, v29
	v_cndmask_b32_e64 v20, v28, v20, s[4:5]
	ds_bpermute_b32 v6, v36, v4
	ds_bpermute_b32 v7, v36, v5
	v_lshlrev_b32_e32 v37, 2, v20
	ds_bpermute_b32 v20, v37, v0
	ds_bpermute_b32 v21, v37, v1
	s_mov_b32 s21, s20
	s_waitcnt lgkmcnt(2)
	v_cmp_lt_f64_e64 s[4:5], v[4:5], v[6:7]
	v_cndmask_b32_e64 v5, v5, v7, s[4:5]
	v_cndmask_b32_e64 v4, v4, v6, s[4:5]
	s_waitcnt lgkmcnt(0)
	v_cmp_lt_f64_e64 s[4:5], v[0:1], v[20:21]
	v_cndmask_b32_e64 v0, v0, v20, s[4:5]
	v_xor_b32_e32 v20, 2, v28
	v_cndmask_b32_e64 v1, v1, v21, s[4:5]
	v_cmp_lt_i32_e64 s[4:5], v20, v29
	v_cndmask_b32_e64 v20, v28, v20, s[4:5]
	ds_bpermute_b32 v6, v37, v4
	ds_bpermute_b32 v7, v37, v5
	v_lshlrev_b32_e32 v38, 2, v20
	ds_bpermute_b32 v20, v38, v0
	ds_bpermute_b32 v21, v38, v1
	s_mov_b32 s22, s20
	s_waitcnt lgkmcnt(2)
	v_cmp_lt_f64_e64 s[4:5], v[4:5], v[6:7]
	v_cndmask_b32_e64 v5, v5, v7, s[4:5]
	v_cndmask_b32_e64 v4, v4, v6, s[4:5]
	s_waitcnt lgkmcnt(0)
	v_cmp_lt_f64_e64 s[4:5], v[0:1], v[20:21]
	v_cndmask_b32_e64 v0, v0, v20, s[4:5]
	ds_bpermute_b32 v6, v38, v4
	ds_bpermute_b32 v7, v38, v5
	v_xor_b32_e32 v20, 1, v28
	v_cndmask_b32_e64 v1, v1, v21, s[4:5]
	v_cmp_lt_i32_e64 s[4:5], v20, v29
	v_cndmask_b32_e64 v20, v28, v20, s[4:5]
	v_lshlrev_b32_e32 v39, 2, v20
	ds_bpermute_b32 v20, v39, v0
	ds_bpermute_b32 v21, v39, v1
	s_waitcnt lgkmcnt(2)
	v_cmp_lt_f64_e64 s[4:5], v[4:5], v[6:7]
	v_cndmask_b32_e64 v29, v5, v7, s[4:5]
	v_cndmask_b32_e64 v28, v4, v6, s[4:5]
	ds_bpermute_b32 v30, v39, v28
	ds_bpermute_b32 v31, v39, v29
	s_waitcnt lgkmcnt(2)
	v_cmp_lt_f64_e64 s[4:5], v[0:1], v[20:21]
	v_cndmask_b32_e64 v33, v1, v21, s[4:5]
	v_cndmask_b32_e64 v32, v0, v20, s[4:5]
	s_mov_b32 s23, s20
	v_pk_mov_b32 v[0:1], 0, 0
	v_pk_mov_b32 v[4:5], s[20:21], s[20:21] op_sel:[0,1]
	v_pk_mov_b32 v[6:7], s[22:23], s[22:23] op_sel:[0,1]
	;; [unrolled: 1-line block ×3, first 2 shown]
	s_and_saveexec_b64 s[38:39], s[36:37]
	s_cbranch_execz .LBB687_50
; %bb.47:
	global_load_ubyte v20, v[14:15], off
	v_pk_mov_b32 v[4:5], s[20:21], s[20:21] op_sel:[0,1]
	v_pk_mov_b32 v[6:7], s[22:23], s[22:23] op_sel:[0,1]
	s_waitcnt vmcnt(0)
	v_and_b32_e32 v20, 1, v20
	v_cmp_eq_u32_e64 s[4:5], 1, v20
	s_xor_b64 s[4:5], s[4:5], -1
	v_pk_mov_b32 v[20:21], 0, 0
	s_and_saveexec_b64 s[20:21], s[4:5]
	s_cbranch_execz .LBB687_49
; %bb.48:
	s_mov_b32 s4, 0x652b82fe
	v_add_f64 v[4:5], v[8:9], -v[32:33]
	s_mov_b32 s5, 0x3ff71547
	v_mul_f64 v[6:7], v[4:5], s[4:5]
	s_mov_b32 s4, 0xfefa39ef
	v_rndne_f64_e32 v[6:7], v[6:7]
	s_mov_b32 s5, 0xbfe62e42
	v_fma_f64 v[8:9], s[4:5], v[6:7], v[4:5]
	s_mov_b32 s4, 0x3b39803f
	s_mov_b32 s5, 0xbc7abc9e
	v_fmac_f64_e32 v[8:9], s[4:5], v[6:7]
	s_mov_b32 s4, 0x6a5dcb37
	v_mov_b32_e32 v20, 0xfca7ab0c
	v_mov_b32_e32 v21, 0x3e928af3
	s_mov_b32 s5, 0x3e5ade15
	v_fmac_f64_e32 v[20:21], s[4:5], v[8:9]
	v_mov_b32_e32 v40, 0x623fde64
	v_mov_b32_e32 v41, 0x3ec71dee
	v_fmac_f64_e32 v[40:41], v[8:9], v[20:21]
	v_mov_b32_e32 v20, 0x7c89e6b0
	v_mov_b32_e32 v21, 0x3efa0199
	;; [unrolled: 3-line block ×8, first 2 shown]
	v_fmac_f64_e32 v[20:21], v[8:9], v[40:41]
	v_fma_f64 v[20:21], v[8:9], v[20:21], 1.0
	s_mov_b32 s4, 0
	s_mov_b32 s10, 0
	v_fma_f64 v[8:9], v[8:9], v[20:21], 1.0
	v_cvt_i32_f64_e32 v6, v[6:7]
	s_mov_b32 s5, 0x40900000
	s_mov_b32 s11, 0xc090cc00
	v_ldexp_f64 v[8:9], v[8:9], v6
	v_mov_b32_e32 v6, 0x7ff00000
	v_cmp_nlt_f64_e64 s[4:5], s[4:5], v[4:5]
	v_cmp_ngt_f64_e64 s[10:11], s[10:11], v[4:5]
	v_cndmask_b32_e64 v7, v6, v9, s[4:5]
	s_and_b64 s[4:5], s[10:11], s[4:5]
	v_mov_b32_e32 v6, 0
	v_cndmask_b32_e64 v21, 0, v7, s[10:11]
	v_cndmask_b32_e64 v20, 0, v8, s[4:5]
	v_add_f64 v[4:5], v[20:21], 0
	v_mov_b32_e32 v7, v6
.LBB687_49:
	s_or_b64 exec, exec, s[20:21]
.LBB687_50:
	s_or_b64 exec, exec, s[38:39]
	s_and_saveexec_b64 s[20:21], s[34:35]
	s_cbranch_execz .LBB687_54
; %bb.51:
	global_load_ubyte v0, v[14:15], off offset:32
	s_waitcnt vmcnt(0)
	v_and_b32_e32 v0, 1, v0
	v_cmp_eq_u32_e64 s[4:5], 1, v0
	s_xor_b64 s[4:5], s[4:5], -1
	v_pk_mov_b32 v[0:1], 0, 0
	s_and_saveexec_b64 s[22:23], s[4:5]
	s_cbranch_execz .LBB687_53
; %bb.52:
	s_mov_b32 s4, 0x652b82fe
	v_add_f64 v[0:1], v[26:27], -v[32:33]
	s_mov_b32 s5, 0x3ff71547
	v_mul_f64 v[8:9], v[0:1], s[4:5]
	s_mov_b32 s4, 0xfefa39ef
	v_rndne_f64_e32 v[8:9], v[8:9]
	s_mov_b32 s5, 0xbfe62e42
	v_fma_f64 v[26:27], s[4:5], v[8:9], v[0:1]
	s_mov_b32 s4, 0x3b39803f
	s_mov_b32 s5, 0xbc7abc9e
	v_fmac_f64_e32 v[26:27], s[4:5], v[8:9]
	s_mov_b32 s4, 0x6a5dcb37
	v_mov_b32_e32 v40, 0xfca7ab0c
	v_mov_b32_e32 v41, 0x3e928af3
	s_mov_b32 s5, 0x3e5ade15
	v_fmac_f64_e32 v[40:41], s[4:5], v[26:27]
	v_mov_b32_e32 v42, 0x623fde64
	v_mov_b32_e32 v43, 0x3ec71dee
	v_fmac_f64_e32 v[42:43], v[26:27], v[40:41]
	v_mov_b32_e32 v40, 0x7c89e6b0
	v_mov_b32_e32 v41, 0x3efa0199
	;; [unrolled: 3-line block ×8, first 2 shown]
	v_fmac_f64_e32 v[40:41], v[26:27], v[42:43]
	v_fma_f64 v[40:41], v[26:27], v[40:41], 1.0
	s_mov_b32 s4, 0
	s_mov_b32 s10, 0
	v_fma_f64 v[26:27], v[26:27], v[40:41], 1.0
	v_cvt_i32_f64_e32 v8, v[8:9]
	s_mov_b32 s5, 0x40900000
	s_mov_b32 s11, 0xc090cc00
	v_ldexp_f64 v[8:9], v[26:27], v8
	v_mov_b32_e32 v26, 0x7ff00000
	v_cmp_nlt_f64_e64 s[4:5], s[4:5], v[0:1]
	v_cmp_ngt_f64_e64 s[10:11], s[10:11], v[0:1]
	v_cndmask_b32_e64 v9, v26, v9, s[4:5]
	s_and_b64 s[4:5], s[10:11], s[4:5]
	v_cndmask_b32_e64 v1, 0, v9, s[10:11]
	v_cndmask_b32_e64 v0, 0, v8, s[4:5]
	v_add_f64 v[4:5], v[4:5], v[0:1]
.LBB687_53:
	s_or_b64 exec, exec, s[22:23]
.LBB687_54:
	s_or_b64 exec, exec, s[20:21]
	v_pk_mov_b32 v[8:9], 0, 0
	v_pk_mov_b32 v[26:27], v[8:9], v[8:9] op_sel:[0,1]
	s_and_saveexec_b64 s[20:21], s[30:31]
	s_cbranch_execz .LBB687_58
; %bb.55:
	global_load_ubyte v26, v[14:15], off offset:64
	s_waitcnt vmcnt(0)
	v_and_b32_e32 v26, 1, v26
	v_cmp_eq_u32_e64 s[4:5], 1, v26
	s_xor_b64 s[4:5], s[4:5], -1
	v_pk_mov_b32 v[26:27], 0, 0
	s_and_saveexec_b64 s[22:23], s[4:5]
	s_cbranch_execz .LBB687_57
; %bb.56:
	s_mov_b32 s4, 0x652b82fe
	v_add_f64 v[24:25], v[24:25], -v[32:33]
	s_mov_b32 s5, 0x3ff71547
	v_mul_f64 v[26:27], v[24:25], s[4:5]
	s_mov_b32 s4, 0xfefa39ef
	v_rndne_f64_e32 v[26:27], v[26:27]
	s_mov_b32 s5, 0xbfe62e42
	v_fma_f64 v[40:41], s[4:5], v[26:27], v[24:25]
	s_mov_b32 s4, 0x3b39803f
	s_mov_b32 s5, 0xbc7abc9e
	v_fmac_f64_e32 v[40:41], s[4:5], v[26:27]
	s_mov_b32 s4, 0x6a5dcb37
	v_mov_b32_e32 v42, 0xfca7ab0c
	v_mov_b32_e32 v43, 0x3e928af3
	s_mov_b32 s5, 0x3e5ade15
	v_fmac_f64_e32 v[42:43], s[4:5], v[40:41]
	v_mov_b32_e32 v44, 0x623fde64
	v_mov_b32_e32 v45, 0x3ec71dee
	v_fmac_f64_e32 v[44:45], v[40:41], v[42:43]
	v_mov_b32_e32 v42, 0x7c89e6b0
	v_mov_b32_e32 v43, 0x3efa0199
	v_fmac_f64_e32 v[42:43], v[40:41], v[44:45]
	v_mov_b32_e32 v44, 0x14761f6e
	v_mov_b32_e32 v45, 0x3f2a01a0
	v_fmac_f64_e32 v[44:45], v[40:41], v[42:43]
	v_mov_b32_e32 v42, 0x1852b7b0
	v_mov_b32_e32 v43, 0x3f56c16c
	v_fmac_f64_e32 v[42:43], v[40:41], v[44:45]
	v_mov_b32_e32 v44, 0x11122322
	v_mov_b32_e32 v45, 0x3f811111
	v_fmac_f64_e32 v[44:45], v[40:41], v[42:43]
	v_mov_b32_e32 v42, 0x555502a1
	v_mov_b32_e32 v43, 0x3fa55555
	v_fmac_f64_e32 v[42:43], v[40:41], v[44:45]
	v_mov_b32_e32 v44, 0x55555511
	v_mov_b32_e32 v45, 0x3fc55555
	v_fmac_f64_e32 v[44:45], v[40:41], v[42:43]
	v_mov_b32_e32 v42, 11
	v_mov_b32_e32 v43, 0x3fe00000
	v_fmac_f64_e32 v[42:43], v[40:41], v[44:45]
	v_fma_f64 v[42:43], v[40:41], v[42:43], 1.0
	s_mov_b32 s4, 0
	s_mov_b32 s10, 0
	v_fma_f64 v[40:41], v[40:41], v[42:43], 1.0
	v_cvt_i32_f64_e32 v26, v[26:27]
	s_mov_b32 s5, 0x40900000
	s_mov_b32 s11, 0xc090cc00
	v_ldexp_f64 v[26:27], v[40:41], v26
	v_mov_b32_e32 v40, 0x7ff00000
	v_cmp_nlt_f64_e64 s[4:5], s[4:5], v[24:25]
	v_cmp_ngt_f64_e64 s[10:11], s[10:11], v[24:25]
	v_cndmask_b32_e64 v27, v40, v27, s[4:5]
	s_and_b64 s[4:5], s[10:11], s[4:5]
	v_cndmask_b32_e64 v27, 0, v27, s[10:11]
	v_cndmask_b32_e64 v26, 0, v26, s[4:5]
	v_add_f64 v[4:5], v[4:5], v[26:27]
.LBB687_57:
	s_or_b64 exec, exec, s[22:23]
.LBB687_58:
	s_or_b64 exec, exec, s[20:21]
	s_and_saveexec_b64 s[20:21], s[28:29]
	s_cbranch_execz .LBB687_62
; %bb.59:
	global_load_ubyte v8, v[14:15], off offset:96
	s_waitcnt vmcnt(0)
	v_and_b32_e32 v8, 1, v8
	v_cmp_eq_u32_e64 s[4:5], 1, v8
	s_xor_b64 s[4:5], s[4:5], -1
	v_pk_mov_b32 v[8:9], 0, 0
	s_and_saveexec_b64 s[22:23], s[4:5]
	s_cbranch_execz .LBB687_61
; %bb.60:
	s_mov_b32 s4, 0x652b82fe
	v_add_f64 v[8:9], v[22:23], -v[32:33]
	s_mov_b32 s5, 0x3ff71547
	v_mul_f64 v[22:23], v[8:9], s[4:5]
	s_mov_b32 s4, 0xfefa39ef
	v_rndne_f64_e32 v[22:23], v[22:23]
	s_mov_b32 s5, 0xbfe62e42
	v_fma_f64 v[24:25], s[4:5], v[22:23], v[8:9]
	s_mov_b32 s4, 0x3b39803f
	s_mov_b32 s5, 0xbc7abc9e
	v_fmac_f64_e32 v[24:25], s[4:5], v[22:23]
	s_mov_b32 s4, 0x6a5dcb37
	v_mov_b32_e32 v32, 0xfca7ab0c
	v_mov_b32_e32 v33, 0x3e928af3
	s_mov_b32 s5, 0x3e5ade15
	v_fmac_f64_e32 v[32:33], s[4:5], v[24:25]
	v_mov_b32_e32 v40, 0x623fde64
	v_mov_b32_e32 v41, 0x3ec71dee
	v_fmac_f64_e32 v[40:41], v[24:25], v[32:33]
	v_mov_b32_e32 v32, 0x7c89e6b0
	v_mov_b32_e32 v33, 0x3efa0199
	;; [unrolled: 3-line block ×8, first 2 shown]
	v_fmac_f64_e32 v[32:33], v[24:25], v[40:41]
	v_fma_f64 v[32:33], v[24:25], v[32:33], 1.0
	s_mov_b32 s4, 0
	s_mov_b32 s10, 0
	v_fma_f64 v[24:25], v[24:25], v[32:33], 1.0
	v_cvt_i32_f64_e32 v22, v[22:23]
	s_mov_b32 s5, 0x40900000
	s_mov_b32 s11, 0xc090cc00
	v_ldexp_f64 v[22:23], v[24:25], v22
	v_mov_b32_e32 v24, 0x7ff00000
	v_cmp_nlt_f64_e64 s[4:5], s[4:5], v[8:9]
	v_cmp_ngt_f64_e64 s[10:11], s[10:11], v[8:9]
	v_cndmask_b32_e64 v23, v24, v23, s[4:5]
	s_and_b64 s[4:5], s[10:11], s[4:5]
	v_cndmask_b32_e64 v9, 0, v23, s[10:11]
	v_cndmask_b32_e64 v8, 0, v22, s[4:5]
	v_add_f64 v[4:5], v[4:5], v[8:9]
.LBB687_61:
	s_or_b64 exec, exec, s[22:23]
.LBB687_62:
	s_or_b64 exec, exec, s[20:21]
	s_waitcnt lgkmcnt(0)
	v_cmp_lt_f64_e64 s[4:5], v[28:29], v[30:31]
	v_pk_mov_b32 v[22:23], 0, 0
	v_cndmask_b32_e64 v29, v29, v31, s[4:5]
	v_cndmask_b32_e64 v28, v28, v30, s[4:5]
	v_pk_mov_b32 v[24:25], v[22:23], v[22:23] op_sel:[0,1]
	s_and_saveexec_b64 s[20:21], s[26:27]
	s_cbranch_execz .LBB687_66
; %bb.63:
	s_ashr_i32 s4, s15, 31
	v_mov_b32_e32 v25, s4
	v_add_co_u32_e64 v24, s[4:5], s15, v14
	v_addc_co_u32_e64 v25, s[4:5], v15, v25, s[4:5]
	global_load_ubyte v24, v[24:25], off
	s_waitcnt vmcnt(0)
	v_and_b32_e32 v24, 1, v24
	v_cmp_eq_u32_e64 s[4:5], 1, v24
	s_xor_b64 s[4:5], s[4:5], -1
	v_pk_mov_b32 v[24:25], 0, 0
	s_and_saveexec_b64 s[22:23], s[4:5]
	s_cbranch_execz .LBB687_65
; %bb.64:
	s_mov_b32 s4, 0x652b82fe
	v_add_f64 v[2:3], v[2:3], -v[28:29]
	s_mov_b32 s5, 0x3ff71547
	v_mul_f64 v[24:25], v[2:3], s[4:5]
	s_mov_b32 s4, 0xfefa39ef
	v_rndne_f64_e32 v[24:25], v[24:25]
	s_mov_b32 s5, 0xbfe62e42
	v_fma_f64 v[30:31], s[4:5], v[24:25], v[2:3]
	s_mov_b32 s4, 0x3b39803f
	s_mov_b32 s5, 0xbc7abc9e
	v_fmac_f64_e32 v[30:31], s[4:5], v[24:25]
	s_mov_b32 s4, 0x6a5dcb37
	v_mov_b32_e32 v32, 0xfca7ab0c
	v_mov_b32_e32 v33, 0x3e928af3
	s_mov_b32 s5, 0x3e5ade15
	v_fmac_f64_e32 v[32:33], s[4:5], v[30:31]
	v_mov_b32_e32 v40, 0x623fde64
	v_mov_b32_e32 v41, 0x3ec71dee
	v_fmac_f64_e32 v[40:41], v[30:31], v[32:33]
	v_mov_b32_e32 v32, 0x7c89e6b0
	v_mov_b32_e32 v33, 0x3efa0199
	v_fmac_f64_e32 v[32:33], v[30:31], v[40:41]
	v_mov_b32_e32 v40, 0x14761f6e
	v_mov_b32_e32 v41, 0x3f2a01a0
	v_fmac_f64_e32 v[40:41], v[30:31], v[32:33]
	v_mov_b32_e32 v32, 0x1852b7b0
	v_mov_b32_e32 v33, 0x3f56c16c
	v_fmac_f64_e32 v[32:33], v[30:31], v[40:41]
	v_mov_b32_e32 v40, 0x11122322
	v_mov_b32_e32 v41, 0x3f811111
	v_fmac_f64_e32 v[40:41], v[30:31], v[32:33]
	v_mov_b32_e32 v32, 0x555502a1
	v_mov_b32_e32 v33, 0x3fa55555
	v_fmac_f64_e32 v[32:33], v[30:31], v[40:41]
	v_mov_b32_e32 v40, 0x55555511
	v_mov_b32_e32 v41, 0x3fc55555
	v_fmac_f64_e32 v[40:41], v[30:31], v[32:33]
	v_mov_b32_e32 v32, 11
	v_mov_b32_e32 v33, 0x3fe00000
	v_fmac_f64_e32 v[32:33], v[30:31], v[40:41]
	v_fma_f64 v[32:33], v[30:31], v[32:33], 1.0
	s_mov_b32 s4, 0
	s_mov_b32 s10, 0
	v_fma_f64 v[30:31], v[30:31], v[32:33], 1.0
	v_cvt_i32_f64_e32 v24, v[24:25]
	s_mov_b32 s5, 0x40900000
	s_mov_b32 s11, 0xc090cc00
	v_ldexp_f64 v[24:25], v[30:31], v24
	v_mov_b32_e32 v30, 0x7ff00000
	v_cmp_nlt_f64_e64 s[4:5], s[4:5], v[2:3]
	v_cmp_ngt_f64_e64 s[10:11], s[10:11], v[2:3]
	v_cndmask_b32_e64 v25, v30, v25, s[4:5]
	s_and_b64 s[4:5], s[10:11], s[4:5]
	v_cndmask_b32_e64 v25, 0, v25, s[10:11]
	v_cndmask_b32_e64 v24, 0, v24, s[4:5]
	v_add_f64 v[6:7], v[6:7], v[24:25]
.LBB687_65:
	s_or_b64 exec, exec, s[22:23]
.LBB687_66:
	s_or_b64 exec, exec, s[20:21]
	s_and_saveexec_b64 s[20:21], s[24:25]
	s_cbranch_execz .LBB687_70
; %bb.67:
	s_ashr_i32 s4, s15, 31
	v_mov_b32_e32 v3, s4
	v_add_co_u32_e64 v2, s[4:5], s15, v14
	v_addc_co_u32_e64 v3, s[4:5], v15, v3, s[4:5]
	global_load_ubyte v2, v[2:3], off offset:32
	v_pk_mov_b32 v[22:23], 0, 0
	s_waitcnt vmcnt(0)
	v_and_b32_e32 v2, 1, v2
	v_cmp_eq_u32_e64 s[4:5], 1, v2
	s_xor_b64 s[4:5], s[4:5], -1
	s_and_saveexec_b64 s[22:23], s[4:5]
	s_cbranch_execz .LBB687_69
; %bb.68:
	s_mov_b32 s4, 0x652b82fe
	v_add_f64 v[2:3], v[18:19], -v[28:29]
	s_mov_b32 s5, 0x3ff71547
	v_mul_f64 v[18:19], v[2:3], s[4:5]
	s_mov_b32 s4, 0xfefa39ef
	v_rndne_f64_e32 v[18:19], v[18:19]
	s_mov_b32 s5, 0xbfe62e42
	v_fma_f64 v[22:23], s[4:5], v[18:19], v[2:3]
	s_mov_b32 s4, 0x3b39803f
	s_mov_b32 s5, 0xbc7abc9e
	v_fmac_f64_e32 v[22:23], s[4:5], v[18:19]
	s_mov_b32 s4, 0x6a5dcb37
	v_mov_b32_e32 v30, 0xfca7ab0c
	v_mov_b32_e32 v31, 0x3e928af3
	s_mov_b32 s5, 0x3e5ade15
	v_fmac_f64_e32 v[30:31], s[4:5], v[22:23]
	v_mov_b32_e32 v32, 0x623fde64
	v_mov_b32_e32 v33, 0x3ec71dee
	v_fmac_f64_e32 v[32:33], v[22:23], v[30:31]
	v_mov_b32_e32 v30, 0x7c89e6b0
	v_mov_b32_e32 v31, 0x3efa0199
	;; [unrolled: 3-line block ×8, first 2 shown]
	v_fmac_f64_e32 v[30:31], v[22:23], v[32:33]
	v_fma_f64 v[30:31], v[22:23], v[30:31], 1.0
	s_mov_b32 s4, 0
	s_mov_b32 s10, 0
	v_fma_f64 v[22:23], v[22:23], v[30:31], 1.0
	v_cvt_i32_f64_e32 v18, v[18:19]
	s_mov_b32 s5, 0x40900000
	s_mov_b32 s11, 0xc090cc00
	v_ldexp_f64 v[18:19], v[22:23], v18
	v_mov_b32_e32 v22, 0x7ff00000
	v_cmp_nlt_f64_e64 s[4:5], s[4:5], v[2:3]
	v_cmp_ngt_f64_e64 s[10:11], s[10:11], v[2:3]
	v_cndmask_b32_e64 v19, v22, v19, s[4:5]
	s_and_b64 s[4:5], s[10:11], s[4:5]
	v_cndmask_b32_e64 v23, 0, v19, s[10:11]
	v_cndmask_b32_e64 v22, 0, v18, s[4:5]
	v_add_f64 v[6:7], v[6:7], v[22:23]
.LBB687_69:
	s_or_b64 exec, exec, s[22:23]
.LBB687_70:
	s_or_b64 exec, exec, s[20:21]
	v_pk_mov_b32 v[2:3], 0, 0
	v_pk_mov_b32 v[18:19], v[2:3], v[2:3] op_sel:[0,1]
	s_and_saveexec_b64 s[20:21], s[18:19]
	s_cbranch_execz .LBB687_74
; %bb.71:
	s_ashr_i32 s4, s15, 31
	v_mov_b32_e32 v19, s4
	v_add_co_u32_e64 v18, s[4:5], s15, v14
	v_addc_co_u32_e64 v19, s[4:5], v15, v19, s[4:5]
	global_load_ubyte v18, v[18:19], off offset:64
	s_waitcnt vmcnt(0)
	v_and_b32_e32 v18, 1, v18
	v_cmp_eq_u32_e64 s[4:5], 1, v18
	s_xor_b64 s[4:5], s[4:5], -1
	v_pk_mov_b32 v[18:19], 0, 0
	s_and_saveexec_b64 s[18:19], s[4:5]
	s_cbranch_execz .LBB687_73
; %bb.72:
	s_mov_b32 s4, 0x652b82fe
	v_add_f64 v[16:17], v[16:17], -v[28:29]
	s_mov_b32 s5, 0x3ff71547
	v_mul_f64 v[18:19], v[16:17], s[4:5]
	s_mov_b32 s4, 0xfefa39ef
	v_rndne_f64_e32 v[18:19], v[18:19]
	s_mov_b32 s5, 0xbfe62e42
	v_fma_f64 v[30:31], s[4:5], v[18:19], v[16:17]
	s_mov_b32 s4, 0x3b39803f
	s_mov_b32 s5, 0xbc7abc9e
	v_fmac_f64_e32 v[30:31], s[4:5], v[18:19]
	s_mov_b32 s4, 0x6a5dcb37
	v_mov_b32_e32 v32, 0xfca7ab0c
	v_mov_b32_e32 v33, 0x3e928af3
	s_mov_b32 s5, 0x3e5ade15
	v_fmac_f64_e32 v[32:33], s[4:5], v[30:31]
	v_mov_b32_e32 v40, 0x623fde64
	v_mov_b32_e32 v41, 0x3ec71dee
	v_fmac_f64_e32 v[40:41], v[30:31], v[32:33]
	v_mov_b32_e32 v32, 0x7c89e6b0
	v_mov_b32_e32 v33, 0x3efa0199
	;; [unrolled: 3-line block ×8, first 2 shown]
	v_fmac_f64_e32 v[32:33], v[30:31], v[40:41]
	v_fma_f64 v[32:33], v[30:31], v[32:33], 1.0
	s_mov_b32 s4, 0
	s_mov_b32 s10, 0
	v_fma_f64 v[30:31], v[30:31], v[32:33], 1.0
	v_cvt_i32_f64_e32 v18, v[18:19]
	s_mov_b32 s5, 0x40900000
	s_mov_b32 s11, 0xc090cc00
	v_ldexp_f64 v[18:19], v[30:31], v18
	v_mov_b32_e32 v30, 0x7ff00000
	v_cmp_nlt_f64_e64 s[4:5], s[4:5], v[16:17]
	v_cmp_ngt_f64_e64 s[10:11], s[10:11], v[16:17]
	v_cndmask_b32_e64 v19, v30, v19, s[4:5]
	s_and_b64 s[4:5], s[10:11], s[4:5]
	v_cndmask_b32_e64 v19, 0, v19, s[10:11]
	v_cndmask_b32_e64 v18, 0, v18, s[4:5]
	v_add_f64 v[6:7], v[6:7], v[18:19]
.LBB687_73:
	s_or_b64 exec, exec, s[18:19]
.LBB687_74:
	s_or_b64 exec, exec, s[20:21]
	s_and_saveexec_b64 s[18:19], s[12:13]
	s_cbranch_execz .LBB687_78
; %bb.75:
	s_ashr_i32 s4, s15, 31
	v_mov_b32_e32 v3, s4
	v_add_co_u32_e64 v2, s[4:5], s15, v14
	v_addc_co_u32_e64 v3, s[4:5], v15, v3, s[4:5]
	global_load_ubyte v2, v[2:3], off offset:96
	s_waitcnt vmcnt(0)
	v_and_b32_e32 v2, 1, v2
	v_cmp_eq_u32_e64 s[4:5], 1, v2
	s_xor_b64 s[4:5], s[4:5], -1
	v_pk_mov_b32 v[2:3], 0, 0
	s_and_saveexec_b64 s[12:13], s[4:5]
	s_cbranch_execz .LBB687_77
; %bb.76:
	s_mov_b32 s4, 0x652b82fe
	v_add_f64 v[2:3], v[12:13], -v[28:29]
	s_mov_b32 s5, 0x3ff71547
	v_mul_f64 v[12:13], v[2:3], s[4:5]
	s_mov_b32 s4, 0xfefa39ef
	v_rndne_f64_e32 v[12:13], v[12:13]
	s_mov_b32 s5, 0xbfe62e42
	v_fma_f64 v[14:15], s[4:5], v[12:13], v[2:3]
	s_mov_b32 s4, 0x3b39803f
	s_mov_b32 s5, 0xbc7abc9e
	v_fmac_f64_e32 v[14:15], s[4:5], v[12:13]
	s_mov_b32 s4, 0x6a5dcb37
	v_mov_b32_e32 v16, 0xfca7ab0c
	v_mov_b32_e32 v17, 0x3e928af3
	s_mov_b32 s5, 0x3e5ade15
	v_fmac_f64_e32 v[16:17], s[4:5], v[14:15]
	v_mov_b32_e32 v28, 0x623fde64
	v_mov_b32_e32 v29, 0x3ec71dee
	v_fmac_f64_e32 v[28:29], v[14:15], v[16:17]
	v_mov_b32_e32 v16, 0x7c89e6b0
	v_mov_b32_e32 v17, 0x3efa0199
	;; [unrolled: 3-line block ×8, first 2 shown]
	v_fmac_f64_e32 v[16:17], v[14:15], v[28:29]
	v_fma_f64 v[16:17], v[14:15], v[16:17], 1.0
	s_mov_b32 s4, 0
	s_mov_b32 s10, 0
	v_fma_f64 v[14:15], v[14:15], v[16:17], 1.0
	v_cvt_i32_f64_e32 v12, v[12:13]
	s_mov_b32 s5, 0x40900000
	s_mov_b32 s11, 0xc090cc00
	v_ldexp_f64 v[12:13], v[14:15], v12
	v_mov_b32_e32 v14, 0x7ff00000
	v_cmp_nlt_f64_e64 s[4:5], s[4:5], v[2:3]
	v_cmp_ngt_f64_e64 s[10:11], s[10:11], v[2:3]
	v_cndmask_b32_e64 v13, v14, v13, s[4:5]
	s_and_b64 s[4:5], s[10:11], s[4:5]
	v_cndmask_b32_e64 v3, 0, v13, s[10:11]
	v_cndmask_b32_e64 v2, 0, v12, s[4:5]
	v_add_f64 v[6:7], v[6:7], v[2:3]
.LBB687_77:
	s_or_b64 exec, exec, s[12:13]
.LBB687_78:
	s_or_b64 exec, exec, s[18:19]
	ds_bpermute_b32 v12, v35, v4
	ds_bpermute_b32 v13, v35, v5
	;; [unrolled: 1-line block ×4, first 2 shown]
	s_waitcnt lgkmcnt(2)
	v_add_f64 v[4:5], v[4:5], v[12:13]
	ds_bpermute_b32 v12, v36, v4
	s_waitcnt lgkmcnt(1)
	v_add_f64 v[6:7], v[6:7], v[14:15]
	ds_bpermute_b32 v13, v36, v5
	ds_bpermute_b32 v14, v36, v6
	ds_bpermute_b32 v15, v36, v7
	s_waitcnt lgkmcnt(2)
	v_add_f64 v[4:5], v[4:5], v[12:13]
	ds_bpermute_b32 v12, v37, v4
	s_waitcnt lgkmcnt(1)
	v_add_f64 v[6:7], v[6:7], v[14:15]
	ds_bpermute_b32 v13, v37, v5
	ds_bpermute_b32 v14, v37, v6
	ds_bpermute_b32 v15, v37, v7
	;; [unrolled: 8-line block ×3, first 2 shown]
	s_waitcnt lgkmcnt(2)
	v_add_f64 v[14:15], v[4:5], v[12:13]
	s_waitcnt lgkmcnt(0)
	v_add_f64 v[6:7], v[6:7], v[16:17]
	ds_bpermute_b32 v16, v39, v14
	ds_bpermute_b32 v17, v39, v15
	;; [unrolled: 1-line block ×4, first 2 shown]
	s_and_saveexec_b64 s[4:5], vcc
	s_cbranch_execz .LBB687_90
; %bb.79:
	v_mov_b32_e32 v5, s17
	v_add_co_u32_e32 v4, vcc, s16, v10
	v_addc_co_u32_e32 v5, vcc, v5, v11, vcc
	s_and_saveexec_b64 s[10:11], s[6:7]
	s_cbranch_execz .LBB687_84
; %bb.80:
	s_waitcnt lgkmcnt(2)
	v_add_f64 v[10:11], v[14:15], v[16:17]
	v_div_scale_f64 v[14:15], s[4:5], v[10:11], v[10:11], v[20:21]
	v_rcp_f64_e32 v[16:17], v[14:15]
	v_div_scale_f64 v[28:29], vcc, v[20:21], v[10:11], v[20:21]
	v_cmp_eq_f64_e64 s[4:5], 0, v[10:11]
	v_fma_f64 v[30:31], -v[14:15], v[16:17], 1.0
	v_fmac_f64_e32 v[16:17], v[16:17], v[30:31]
	v_fma_f64 v[30:31], -v[14:15], v[16:17], 1.0
	v_fmac_f64_e32 v[16:17], v[16:17], v[30:31]
	v_mul_f64 v[30:31], v[28:29], v[16:17]
	v_fma_f64 v[14:15], -v[14:15], v[30:31], v[28:29]
	v_div_fmas_f64 v[14:15], v[14:15], v[16:17], v[30:31]
	v_div_fixup_f64 v[16:17], v[14:15], v[10:11], v[20:21]
	v_mov_b32_e32 v14, 0x7ff80000
	v_cndmask_b32_e64 v17, v17, v14, s[4:5]
	v_cndmask_b32_e64 v16, v16, 0, s[4:5]
	global_store_dwordx2 v[4:5], v[16:17], off
	s_and_b64 exec, exec, s[8:9]
	s_cbranch_execz .LBB687_84
; %bb.81:
	v_div_scale_f64 v[16:17], s[12:13], v[10:11], v[10:11], v[0:1]
	v_rcp_f64_e32 v[20:21], v[16:17]
	v_div_scale_f64 v[28:29], vcc, v[0:1], v[10:11], v[0:1]
	v_fma_f64 v[30:31], -v[16:17], v[20:21], 1.0
	v_fmac_f64_e32 v[20:21], v[20:21], v[30:31]
	v_fma_f64 v[30:31], -v[16:17], v[20:21], 1.0
	v_fmac_f64_e32 v[20:21], v[20:21], v[30:31]
	v_mul_f64 v[30:31], v[28:29], v[20:21]
	v_fma_f64 v[16:17], -v[16:17], v[30:31], v[28:29]
	v_div_fmas_f64 v[16:17], v[16:17], v[20:21], v[30:31]
	v_div_fixup_f64 v[0:1], v[16:17], v[10:11], v[0:1]
	v_cndmask_b32_e64 v1, v1, v14, s[4:5]
	v_cndmask_b32_e64 v0, v0, 0, s[4:5]
	global_store_dwordx2 v[4:5], v[0:1], off offset:256
	s_and_b64 exec, exec, s[2:3]
	s_cbranch_execz .LBB687_84
; %bb.82:
	v_div_scale_f64 v[0:1], s[12:13], v[10:11], v[10:11], v[26:27]
	v_rcp_f64_e32 v[14:15], v[0:1]
	v_div_scale_f64 v[16:17], vcc, v[26:27], v[10:11], v[26:27]
	v_fma_f64 v[20:21], -v[0:1], v[14:15], 1.0
	v_fmac_f64_e32 v[14:15], v[14:15], v[20:21]
	v_fma_f64 v[20:21], -v[0:1], v[14:15], 1.0
	v_fmac_f64_e32 v[14:15], v[14:15], v[20:21]
	v_mul_f64 v[20:21], v[16:17], v[14:15]
	v_fma_f64 v[0:1], -v[0:1], v[20:21], v[16:17]
	v_div_fmas_f64 v[0:1], v[0:1], v[14:15], v[20:21]
	v_div_fixup_f64 v[14:15], v[0:1], v[10:11], v[26:27]
	v_mov_b32_e32 v0, 0x7ff80000
	v_cndmask_b32_e64 v15, v15, v0, s[4:5]
	v_cndmask_b32_e64 v14, v14, 0, s[4:5]
	global_store_dwordx2 v[4:5], v[14:15], off offset:512
	s_and_b64 exec, exec, s[0:1]
	s_cbranch_execz .LBB687_84
; %bb.83:
	v_div_scale_f64 v[14:15], s[12:13], v[10:11], v[10:11], v[8:9]
	v_rcp_f64_e32 v[16:17], v[14:15]
	v_div_scale_f64 v[20:21], vcc, v[8:9], v[10:11], v[8:9]
	v_fma_f64 v[26:27], -v[14:15], v[16:17], 1.0
	v_fmac_f64_e32 v[16:17], v[16:17], v[26:27]
	v_fma_f64 v[26:27], -v[14:15], v[16:17], 1.0
	v_fmac_f64_e32 v[16:17], v[16:17], v[26:27]
	v_mul_f64 v[26:27], v[20:21], v[16:17]
	v_fma_f64 v[14:15], -v[14:15], v[26:27], v[20:21]
	v_div_fmas_f64 v[14:15], v[14:15], v[16:17], v[26:27]
	v_div_fixup_f64 v[8:9], v[14:15], v[10:11], v[8:9]
	v_cndmask_b32_e64 v1, v9, v0, s[4:5]
	v_cndmask_b32_e64 v0, v8, 0, s[4:5]
	global_store_dwordx2 v[4:5], v[0:1], off offset:768
.LBB687_84:
	s_or_b64 exec, exec, s[10:11]
	v_cmp_ne_u32_e32 vcc, 1, v34
	s_and_b64 exec, exec, vcc
	s_cbranch_execz .LBB687_90
; %bb.85:
	s_and_b64 exec, exec, s[6:7]
	s_cbranch_execz .LBB687_90
; %bb.86:
	s_waitcnt lgkmcnt(0)
	v_add_f64 v[0:1], v[6:7], v[12:13]
	v_div_scale_f64 v[6:7], s[4:5], v[0:1], v[0:1], v[24:25]
	v_rcp_f64_e32 v[8:9], v[6:7]
	v_div_scale_f64 v[10:11], vcc, v[24:25], v[0:1], v[24:25]
	s_ashr_i32 s15, s14, 31
	v_fma_f64 v[12:13], -v[6:7], v[8:9], 1.0
	v_fmac_f64_e32 v[8:9], v[8:9], v[12:13]
	v_fma_f64 v[12:13], -v[6:7], v[8:9], 1.0
	v_fmac_f64_e32 v[8:9], v[8:9], v[12:13]
	v_mul_f64 v[12:13], v[10:11], v[8:9]
	v_fma_f64 v[6:7], -v[6:7], v[12:13], v[10:11]
	v_div_fmas_f64 v[6:7], v[6:7], v[8:9], v[12:13]
	s_lshl_b64 s[4:5], s[14:15], 3
	v_div_fixup_f64 v[8:9], v[6:7], v[0:1], v[24:25]
	v_mov_b32_e32 v6, s5
	v_add_co_u32_e32 v4, vcc, s4, v4
	v_addc_co_u32_e32 v5, vcc, v5, v6, vcc
	v_mov_b32_e32 v6, 0x7ff80000
	v_cmp_eq_f64_e64 s[4:5], 0, v[0:1]
	v_cndmask_b32_e64 v9, v9, v6, s[4:5]
	v_cndmask_b32_e64 v8, v8, 0, s[4:5]
	global_store_dwordx2 v[4:5], v[8:9], off
	s_and_b64 exec, exec, s[8:9]
	s_cbranch_execz .LBB687_90
; %bb.87:
	v_div_scale_f64 v[8:9], s[6:7], v[0:1], v[0:1], v[22:23]
	v_rcp_f64_e32 v[10:11], v[8:9]
	v_div_scale_f64 v[12:13], vcc, v[22:23], v[0:1], v[22:23]
	v_fma_f64 v[14:15], -v[8:9], v[10:11], 1.0
	v_fmac_f64_e32 v[10:11], v[10:11], v[14:15]
	v_fma_f64 v[14:15], -v[8:9], v[10:11], 1.0
	v_fmac_f64_e32 v[10:11], v[10:11], v[14:15]
	v_mul_f64 v[14:15], v[12:13], v[10:11]
	v_fma_f64 v[8:9], -v[8:9], v[14:15], v[12:13]
	v_div_fmas_f64 v[8:9], v[8:9], v[10:11], v[14:15]
	v_div_fixup_f64 v[8:9], v[8:9], v[0:1], v[22:23]
	v_cndmask_b32_e64 v7, v9, v6, s[4:5]
	v_cndmask_b32_e64 v6, v8, 0, s[4:5]
	global_store_dwordx2 v[4:5], v[6:7], off offset:256
	s_and_b64 exec, exec, s[2:3]
	s_cbranch_execz .LBB687_90
; %bb.88:
	v_div_scale_f64 v[6:7], s[2:3], v[0:1], v[0:1], v[18:19]
	v_rcp_f64_e32 v[8:9], v[6:7]
	v_div_scale_f64 v[10:11], vcc, v[18:19], v[0:1], v[18:19]
	v_fma_f64 v[12:13], -v[6:7], v[8:9], 1.0
	v_fmac_f64_e32 v[8:9], v[8:9], v[12:13]
	v_fma_f64 v[12:13], -v[6:7], v[8:9], 1.0
	v_fmac_f64_e32 v[8:9], v[8:9], v[12:13]
	v_mul_f64 v[12:13], v[10:11], v[8:9]
	v_fma_f64 v[6:7], -v[6:7], v[12:13], v[10:11]
	v_div_fmas_f64 v[6:7], v[6:7], v[8:9], v[12:13]
	v_div_fixup_f64 v[8:9], v[6:7], v[0:1], v[18:19]
	v_mov_b32_e32 v6, 0x7ff80000
	v_cndmask_b32_e64 v9, v9, v6, s[4:5]
	v_cndmask_b32_e64 v8, v8, 0, s[4:5]
	global_store_dwordx2 v[4:5], v[8:9], off offset:512
	s_and_b64 exec, exec, s[0:1]
	s_cbranch_execz .LBB687_90
; %bb.89:
	v_div_scale_f64 v[8:9], s[0:1], v[0:1], v[0:1], v[2:3]
	v_rcp_f64_e32 v[10:11], v[8:9]
	v_div_scale_f64 v[12:13], vcc, v[2:3], v[0:1], v[2:3]
	v_fma_f64 v[14:15], -v[8:9], v[10:11], 1.0
	v_fmac_f64_e32 v[10:11], v[10:11], v[14:15]
	v_fma_f64 v[14:15], -v[8:9], v[10:11], 1.0
	v_fmac_f64_e32 v[10:11], v[10:11], v[14:15]
	v_mul_f64 v[14:15], v[12:13], v[10:11]
	v_fma_f64 v[8:9], -v[8:9], v[14:15], v[12:13]
	v_div_fmas_f64 v[8:9], v[8:9], v[10:11], v[14:15]
	v_div_fixup_f64 v[0:1], v[8:9], v[0:1], v[2:3]
	v_cndmask_b32_e64 v1, v1, v6, s[4:5]
	v_cndmask_b32_e64 v0, v0, 0, s[4:5]
	global_store_dwordx2 v[4:5], v[0:1], off offset:768
.LBB687_90:
	s_endpgm
	.section	.rodata,"a",@progbits
	.p2align	6, 0x0
	.amdhsa_kernel _ZN12_GLOBAL__N_120softmax_warp_forwardIdddLi7ELb0ELb1ELi32EEEvPT0_PKT_iiiPKbib
		.amdhsa_group_segment_fixed_size 0
		.amdhsa_private_segment_fixed_size 0
		.amdhsa_kernarg_size 304
		.amdhsa_user_sgpr_count 6
		.amdhsa_user_sgpr_private_segment_buffer 1
		.amdhsa_user_sgpr_dispatch_ptr 0
		.amdhsa_user_sgpr_queue_ptr 0
		.amdhsa_user_sgpr_kernarg_segment_ptr 1
		.amdhsa_user_sgpr_dispatch_id 0
		.amdhsa_user_sgpr_flat_scratch_init 0
		.amdhsa_user_sgpr_kernarg_preload_length 0
		.amdhsa_user_sgpr_kernarg_preload_offset 0
		.amdhsa_user_sgpr_private_segment_size 0
		.amdhsa_uses_dynamic_stack 0
		.amdhsa_system_sgpr_private_segment_wavefront_offset 0
		.amdhsa_system_sgpr_workgroup_id_x 1
		.amdhsa_system_sgpr_workgroup_id_y 0
		.amdhsa_system_sgpr_workgroup_id_z 0
		.amdhsa_system_sgpr_workgroup_info 0
		.amdhsa_system_vgpr_workitem_id 1
		.amdhsa_next_free_vgpr 46
		.amdhsa_next_free_sgpr 42
		.amdhsa_accum_offset 48
		.amdhsa_reserve_vcc 1
		.amdhsa_reserve_flat_scratch 0
		.amdhsa_float_round_mode_32 0
		.amdhsa_float_round_mode_16_64 0
		.amdhsa_float_denorm_mode_32 3
		.amdhsa_float_denorm_mode_16_64 3
		.amdhsa_dx10_clamp 1
		.amdhsa_ieee_mode 1
		.amdhsa_fp16_overflow 0
		.amdhsa_tg_split 0
		.amdhsa_exception_fp_ieee_invalid_op 0
		.amdhsa_exception_fp_denorm_src 0
		.amdhsa_exception_fp_ieee_div_zero 0
		.amdhsa_exception_fp_ieee_overflow 0
		.amdhsa_exception_fp_ieee_underflow 0
		.amdhsa_exception_fp_ieee_inexact 0
		.amdhsa_exception_int_div_zero 0
	.end_amdhsa_kernel
	.section	.text._ZN12_GLOBAL__N_120softmax_warp_forwardIdddLi7ELb0ELb1ELi32EEEvPT0_PKT_iiiPKbib,"axG",@progbits,_ZN12_GLOBAL__N_120softmax_warp_forwardIdddLi7ELb0ELb1ELi32EEEvPT0_PKT_iiiPKbib,comdat
.Lfunc_end687:
	.size	_ZN12_GLOBAL__N_120softmax_warp_forwardIdddLi7ELb0ELb1ELi32EEEvPT0_PKT_iiiPKbib, .Lfunc_end687-_ZN12_GLOBAL__N_120softmax_warp_forwardIdddLi7ELb0ELb1ELi32EEEvPT0_PKT_iiiPKbib
                                        ; -- End function
	.section	.AMDGPU.csdata,"",@progbits
; Kernel info:
; codeLenInByte = 7328
; NumSgprs: 46
; NumVgprs: 46
; NumAgprs: 0
; TotalNumVgprs: 46
; ScratchSize: 0
; MemoryBound: 0
; FloatMode: 240
; IeeeMode: 1
; LDSByteSize: 0 bytes/workgroup (compile time only)
; SGPRBlocks: 5
; VGPRBlocks: 5
; NumSGPRsForWavesPerEU: 46
; NumVGPRsForWavesPerEU: 46
; AccumOffset: 48
; Occupancy: 8
; WaveLimiterHint : 0
; COMPUTE_PGM_RSRC2:SCRATCH_EN: 0
; COMPUTE_PGM_RSRC2:USER_SGPR: 6
; COMPUTE_PGM_RSRC2:TRAP_HANDLER: 0
; COMPUTE_PGM_RSRC2:TGID_X_EN: 1
; COMPUTE_PGM_RSRC2:TGID_Y_EN: 0
; COMPUTE_PGM_RSRC2:TGID_Z_EN: 0
; COMPUTE_PGM_RSRC2:TIDIG_COMP_CNT: 1
; COMPUTE_PGM_RSRC3_GFX90A:ACCUM_OFFSET: 11
; COMPUTE_PGM_RSRC3_GFX90A:TG_SPLIT: 0
	.section	.text._ZN12_GLOBAL__N_120softmax_warp_forwardIdddLi8ELb0ELb1ELi64EEEvPT0_PKT_iiiPKbib,"axG",@progbits,_ZN12_GLOBAL__N_120softmax_warp_forwardIdddLi8ELb0ELb1ELi64EEEvPT0_PKT_iiiPKbib,comdat
	.globl	_ZN12_GLOBAL__N_120softmax_warp_forwardIdddLi8ELb0ELb1ELi64EEEvPT0_PKT_iiiPKbib ; -- Begin function _ZN12_GLOBAL__N_120softmax_warp_forwardIdddLi8ELb0ELb1ELi64EEEvPT0_PKT_iiiPKbib
	.p2align	8
	.type	_ZN12_GLOBAL__N_120softmax_warp_forwardIdddLi8ELb0ELb1ELi64EEEvPT0_PKT_iiiPKbib,@function
_ZN12_GLOBAL__N_120softmax_warp_forwardIdddLi8ELb0ELb1ELi64EEEvPT0_PKT_iiiPKbib: ; @_ZN12_GLOBAL__N_120softmax_warp_forwardIdddLi8ELb0ELb1ELi64EEEvPT0_PKT_iiiPKbib
; %bb.0:
	s_load_dword s2, s[4:5], 0x3c
	s_load_dwordx4 s[8:11], s[4:5], 0x10
	s_load_dwordx2 s[0:1], s[4:5], 0x28
	v_bfe_u32 v1, v0, 10, 10
	v_and_b32_e32 v4, 0x3ff, v0
	s_waitcnt lgkmcnt(0)
	s_lshr_b32 s2, s2, 16
	s_mul_i32 s6, s6, s2
	v_add_u32_e32 v2, s6, v1
	v_mul_lo_u32 v3, v2, s9
	v_add_u32_e32 v0, v3, v4
	v_ashrrev_i32_e32 v1, 31, v0
	s_bitcmp0_b32 s1, 0
	v_pk_mov_b32 v[6:7], v[0:1], v[0:1] op_sel:[0,1]
	s_cbranch_scc1 .LBB688_2
; %bb.1:
	s_abs_i32 s1, s0
	v_cvt_f32_u32_e32 v5, s1
	v_xor_b32_e32 v6, s0, v3
	v_sub_u32_e32 v7, 0, v3
	s_sub_i32 s0, 0, s1
	v_rcp_iflag_f32_e32 v5, v5
	v_max_i32_e32 v3, v3, v7
	v_ashrrev_i32_e32 v6, 31, v6
	v_mul_f32_e32 v5, 0x4f7ffffe, v5
	v_cvt_u32_f32_e32 v5, v5
	v_mul_lo_u32 v7, s0, v5
	v_mul_hi_u32 v7, v5, v7
	v_add_u32_e32 v5, v5, v7
	v_mul_hi_u32 v5, v3, v5
	v_mul_lo_u32 v7, v5, s1
	v_sub_u32_e32 v3, v3, v7
	v_add_u32_e32 v8, 1, v5
	v_cmp_le_u32_e32 vcc, s1, v3
	v_subrev_u32_e32 v7, s1, v3
	v_cndmask_b32_e32 v5, v5, v8, vcc
	v_cndmask_b32_e32 v3, v3, v7, vcc
	v_add_u32_e32 v7, 1, v5
	v_cmp_le_u32_e32 vcc, s1, v3
	v_cndmask_b32_e32 v3, v5, v7, vcc
	v_xor_b32_e32 v3, v3, v6
	v_sub_u32_e32 v3, v3, v6
	v_mad_u64_u32 v[6:7], s[0:1], v3, s9, v[4:5]
	v_ashrrev_i32_e32 v7, 31, v6
.LBB688_2:
	s_load_dwordx4 s[12:15], s[4:5], 0x0
	v_lshlrev_b64 v[0:1], 3, v[0:1]
	v_sub_u32_e32 v20, s8, v2
	v_mov_b32_e32 v12, 0
	v_cmp_lt_i32_e64 s[8:9], 0, v20
	s_waitcnt lgkmcnt(0)
	v_mov_b32_e32 v2, s15
	v_add_co_u32_e32 v10, vcc, s14, v0
	v_addc_co_u32_e32 v11, vcc, v2, v1, vcc
	v_cmp_gt_i32_e32 vcc, s10, v4
	v_mov_b32_e32 v13, 0xfff00000
	s_and_b64 s[18:19], s[8:9], vcc
	v_pk_mov_b32 v[18:19], v[12:13], v[12:13] op_sel:[0,1]
	s_and_saveexec_b64 s[0:1], s[18:19]
	s_cbranch_execz .LBB688_4
; %bb.3:
	global_load_dwordx2 v[18:19], v[10:11], off
.LBB688_4:
	s_or_b64 exec, exec, s[0:1]
	v_add_u32_e32 v2, 64, v4
	v_cmp_gt_i32_e64 s[6:7], s10, v2
	s_and_b64 s[16:17], s[8:9], s[6:7]
	s_and_saveexec_b64 s[0:1], s[16:17]
	s_cbranch_execz .LBB688_6
; %bb.5:
	global_load_dwordx2 v[12:13], v[10:11], off offset:512
.LBB688_6:
	s_or_b64 exec, exec, s[0:1]
	v_add_u32_e32 v2, 0x80, v4
	v_cmp_gt_i32_e64 s[2:3], s10, v2
	v_mov_b32_e32 v2, 0
	v_mov_b32_e32 v3, 0xfff00000
	s_and_b64 s[14:15], s[8:9], s[2:3]
	v_pk_mov_b32 v[8:9], v[2:3], v[2:3] op_sel:[0,1]
	s_and_saveexec_b64 s[0:1], s[14:15]
	s_cbranch_execz .LBB688_8
; %bb.7:
	global_load_dwordx2 v[8:9], v[10:11], off offset:1024
.LBB688_8:
	s_or_b64 exec, exec, s[0:1]
	v_add_u32_e32 v4, 0xc0, v4
	v_cmp_gt_i32_e64 s[0:1], s10, v4
	s_and_b64 s[10:11], s[8:9], s[0:1]
	s_and_saveexec_b64 s[8:9], s[10:11]
	s_cbranch_execz .LBB688_10
; %bb.9:
	global_load_dwordx2 v[2:3], v[10:11], off offset:1536
.LBB688_10:
	s_or_b64 exec, exec, s[8:9]
	s_load_dwordx2 s[4:5], s[4:5], 0x20
	s_mov_b64 s[8:9], 0
	s_waitcnt lgkmcnt(0)
	v_mov_b32_e32 v5, s5
	v_add_co_u32_e64 v4, s[4:5], s4, v6
	v_addc_co_u32_e64 v5, s[4:5], v5, v7, s[4:5]
	s_and_saveexec_b64 s[20:21], s[18:19]
	s_cbranch_execnz .LBB688_14
; %bb.11:
	s_or_b64 exec, exec, s[20:21]
	s_waitcnt vmcnt(0)
	v_pk_mov_b32 v[6:7], v[18:19], v[18:19] op_sel:[0,1]
	s_and_saveexec_b64 s[20:21], s[16:17]
	s_cbranch_execnz .LBB688_15
.LBB688_12:
	s_or_b64 exec, exec, s[20:21]
	s_and_saveexec_b64 s[20:21], s[14:15]
	s_cbranch_execnz .LBB688_18
.LBB688_13:
	s_or_b64 exec, exec, s[20:21]
	s_and_saveexec_b64 s[20:21], s[10:11]
	s_cbranch_execnz .LBB688_21
	s_branch .LBB688_24
.LBB688_14:
	global_load_ubyte v6, v[4:5], off
	s_waitcnt vmcnt(0)
	v_and_b32_e32 v6, 1, v6
	v_cmp_eq_u32_e64 s[4:5], 1, v6
	s_xor_b64 s[4:5], s[4:5], -1
	s_and_b64 s[8:9], s[4:5], exec
	s_or_b64 exec, exec, s[20:21]
	v_pk_mov_b32 v[6:7], v[18:19], v[18:19] op_sel:[0,1]
	s_and_saveexec_b64 s[20:21], s[16:17]
	s_cbranch_execz .LBB688_12
.LBB688_15:
	global_load_ubyte v6, v[4:5], off offset:64
	s_mov_b64 s[22:23], s[8:9]
	s_waitcnt vmcnt(0)
	v_and_b32_e32 v6, 1, v6
	v_cmp_eq_u32_e64 s[4:5], 1, v6
	s_xor_b64 s[4:5], s[4:5], -1
	v_pk_mov_b32 v[6:7], v[18:19], v[18:19] op_sel:[0,1]
	s_and_saveexec_b64 s[24:25], s[4:5]
; %bb.16:
	v_cmp_gt_f64_e64 s[4:5], v[18:19], v[12:13]
	s_and_b64 s[4:5], s[8:9], s[4:5]
	v_cndmask_b32_e64 v7, v13, v19, s[4:5]
	v_cndmask_b32_e64 v6, v12, v18, s[4:5]
	s_or_b64 s[22:23], s[8:9], exec
; %bb.17:
	s_or_b64 exec, exec, s[24:25]
	s_andn2_b64 s[4:5], s[8:9], exec
	s_and_b64 s[8:9], s[22:23], exec
	s_or_b64 s[8:9], s[4:5], s[8:9]
	s_or_b64 exec, exec, s[20:21]
	s_and_saveexec_b64 s[20:21], s[14:15]
	s_cbranch_execz .LBB688_13
.LBB688_18:
	global_load_ubyte v10, v[4:5], off offset:128
	s_waitcnt vmcnt(0)
	v_and_b32_e32 v10, 1, v10
	v_cmp_eq_u32_e64 s[4:5], 1, v10
	s_xor_b64 s[24:25], s[4:5], -1
	s_mov_b64 s[4:5], s[8:9]
	s_and_saveexec_b64 s[22:23], s[24:25]
; %bb.19:
	v_cmp_gt_f64_e64 s[4:5], v[6:7], v[8:9]
	s_and_b64 s[4:5], s[8:9], s[4:5]
	v_cndmask_b32_e64 v7, v9, v7, s[4:5]
	v_cndmask_b32_e64 v6, v8, v6, s[4:5]
	s_or_b64 s[4:5], s[8:9], exec
; %bb.20:
	s_or_b64 exec, exec, s[22:23]
	s_andn2_b64 s[8:9], s[8:9], exec
	s_and_b64 s[4:5], s[4:5], exec
	s_or_b64 s[8:9], s[8:9], s[4:5]
	s_or_b64 exec, exec, s[20:21]
	s_and_saveexec_b64 s[20:21], s[10:11]
	s_cbranch_execz .LBB688_24
.LBB688_21:
	global_load_ubyte v10, v[4:5], off offset:192
	s_waitcnt vmcnt(0)
	v_and_b32_e32 v10, 1, v10
	v_cmp_eq_u32_e64 s[4:5], 1, v10
	s_xor_b64 s[24:25], s[4:5], -1
	s_mov_b64 s[4:5], s[8:9]
	s_and_saveexec_b64 s[22:23], s[24:25]
; %bb.22:
	v_cmp_gt_f64_e64 s[4:5], v[6:7], v[2:3]
	s_and_b64 s[4:5], s[8:9], s[4:5]
	v_cndmask_b32_e64 v7, v3, v7, s[4:5]
	v_cndmask_b32_e64 v6, v2, v6, s[4:5]
	s_or_b64 s[4:5], s[8:9], exec
; %bb.23:
	s_or_b64 exec, exec, s[22:23]
	s_andn2_b64 s[8:9], s[8:9], exec
	s_and_b64 s[4:5], s[4:5], exec
	s_or_b64 s[8:9], s[8:9], s[4:5]
.LBB688_24:
	s_or_b64 exec, exec, s[20:21]
	v_mov_b32_e32 v10, 0xfff00000
	v_cndmask_b32_e64 v7, v10, v7, s[8:9]
	v_mbcnt_lo_u32_b32 v10, -1, 0
	v_mbcnt_hi_u32_b32 v14, -1, v10
	v_and_b32_e32 v10, 64, v14
	v_add_u32_e32 v15, 64, v10
	v_xor_b32_e32 v10, 32, v14
	v_cmp_lt_i32_e64 s[4:5], v10, v15
	v_cndmask_b32_e64 v10, v14, v10, s[4:5]
	v_cndmask_b32_e64 v6, 0, v6, s[8:9]
	v_lshlrev_b32_e32 v21, 2, v10
	ds_bpermute_b32 v10, v21, v6
	ds_bpermute_b32 v11, v21, v7
	s_waitcnt lgkmcnt(0)
	v_cmp_lt_f64_e64 s[4:5], v[6:7], v[10:11]
	v_cndmask_b32_e64 v6, v6, v10, s[4:5]
	v_xor_b32_e32 v10, 16, v14
	v_cndmask_b32_e64 v7, v7, v11, s[4:5]
	v_cmp_lt_i32_e64 s[4:5], v10, v15
	v_cndmask_b32_e64 v10, v14, v10, s[4:5]
	v_lshlrev_b32_e32 v22, 2, v10
	ds_bpermute_b32 v10, v22, v6
	ds_bpermute_b32 v11, v22, v7
	s_waitcnt lgkmcnt(0)
	v_cmp_lt_f64_e64 s[4:5], v[6:7], v[10:11]
	v_cndmask_b32_e64 v6, v6, v10, s[4:5]
	v_xor_b32_e32 v10, 8, v14
	v_cndmask_b32_e64 v7, v7, v11, s[4:5]
	v_cmp_lt_i32_e64 s[4:5], v10, v15
	;; [unrolled: 10-line block ×5, first 2 shown]
	v_cndmask_b32_e64 v10, v14, v10, s[4:5]
	v_lshlrev_b32_e32 v26, 2, v10
	ds_bpermute_b32 v10, v26, v6
	ds_bpermute_b32 v11, v26, v7
	s_waitcnt lgkmcnt(0)
	v_cmp_lt_f64_e64 s[4:5], v[6:7], v[10:11]
	v_cndmask_b32_e64 v17, v7, v11, s[4:5]
	v_cndmask_b32_e64 v16, v6, v10, s[4:5]
	v_pk_mov_b32 v[6:7], 0, 0
	v_pk_mov_b32 v[10:11], v[6:7], v[6:7] op_sel:[0,1]
	v_pk_mov_b32 v[14:15], v[6:7], v[6:7] op_sel:[0,1]
	s_and_saveexec_b64 s[20:21], s[18:19]
	s_cbranch_execnz .LBB688_28
; %bb.25:
	s_or_b64 exec, exec, s[20:21]
	v_pk_mov_b32 v[18:19], v[6:7], v[6:7] op_sel:[0,1]
	s_and_saveexec_b64 s[18:19], s[16:17]
	s_cbranch_execnz .LBB688_31
.LBB688_26:
	s_or_b64 exec, exec, s[18:19]
	s_and_saveexec_b64 s[16:17], s[14:15]
	s_cbranch_execnz .LBB688_34
.LBB688_27:
	s_or_b64 exec, exec, s[16:17]
	v_pk_mov_b32 v[8:9], 0, 0
	s_and_saveexec_b64 s[14:15], s[10:11]
	s_cbranch_execnz .LBB688_37
	s_branch .LBB688_40
.LBB688_28:
	global_load_ubyte v10, v[4:5], off
	v_pk_mov_b32 v[14:15], 0, 0
	s_waitcnt vmcnt(0)
	v_and_b32_e32 v10, 1, v10
	v_cmp_eq_u32_e64 s[4:5], 1, v10
	s_xor_b64 s[4:5], s[4:5], -1
	v_pk_mov_b32 v[10:11], v[14:15], v[14:15] op_sel:[0,1]
	s_and_saveexec_b64 s[18:19], s[4:5]
	s_cbranch_execz .LBB688_30
; %bb.29:
	s_mov_b32 s4, 0x652b82fe
	v_add_f64 v[10:11], v[18:19], -v[16:17]
	s_mov_b32 s5, 0x3ff71547
	v_mul_f64 v[14:15], v[10:11], s[4:5]
	s_mov_b32 s4, 0xfefa39ef
	v_rndne_f64_e32 v[14:15], v[14:15]
	s_mov_b32 s5, 0xbfe62e42
	v_fma_f64 v[18:19], s[4:5], v[14:15], v[10:11]
	s_mov_b32 s4, 0x3b39803f
	s_mov_b32 s5, 0xbc7abc9e
	v_fmac_f64_e32 v[18:19], s[4:5], v[14:15]
	s_mov_b32 s4, 0x6a5dcb37
	v_mov_b32_e32 v28, 0xfca7ab0c
	v_mov_b32_e32 v29, 0x3e928af3
	s_mov_b32 s5, 0x3e5ade15
	v_fmac_f64_e32 v[28:29], s[4:5], v[18:19]
	v_mov_b32_e32 v30, 0x623fde64
	v_mov_b32_e32 v31, 0x3ec71dee
	v_fmac_f64_e32 v[30:31], v[18:19], v[28:29]
	v_mov_b32_e32 v28, 0x7c89e6b0
	v_mov_b32_e32 v29, 0x3efa0199
	;; [unrolled: 3-line block ×8, first 2 shown]
	v_fmac_f64_e32 v[28:29], v[18:19], v[30:31]
	v_fma_f64 v[28:29], v[18:19], v[28:29], 1.0
	s_mov_b32 s4, 0
	s_mov_b32 s8, 0
	v_fma_f64 v[18:19], v[18:19], v[28:29], 1.0
	v_cvt_i32_f64_e32 v14, v[14:15]
	s_mov_b32 s5, 0x40900000
	s_mov_b32 s9, 0xc090cc00
	v_ldexp_f64 v[14:15], v[18:19], v14
	v_mov_b32_e32 v18, 0x7ff00000
	v_cmp_nlt_f64_e64 s[4:5], s[4:5], v[10:11]
	v_cmp_ngt_f64_e64 s[8:9], s[8:9], v[10:11]
	v_cndmask_b32_e64 v15, v18, v15, s[4:5]
	s_and_b64 s[4:5], s[8:9], s[4:5]
	v_cndmask_b32_e64 v11, 0, v15, s[8:9]
	v_cndmask_b32_e64 v10, 0, v14, s[4:5]
	v_add_f64 v[14:15], v[10:11], 0
.LBB688_30:
	s_or_b64 exec, exec, s[18:19]
	s_or_b64 exec, exec, s[20:21]
	v_pk_mov_b32 v[18:19], v[6:7], v[6:7] op_sel:[0,1]
	s_and_saveexec_b64 s[18:19], s[16:17]
	s_cbranch_execz .LBB688_26
.LBB688_31:
	global_load_ubyte v18, v[4:5], off offset:64
	s_waitcnt vmcnt(0)
	v_and_b32_e32 v18, 1, v18
	v_cmp_eq_u32_e64 s[4:5], 1, v18
	s_xor_b64 s[4:5], s[4:5], -1
	v_pk_mov_b32 v[18:19], 0, 0
	s_and_saveexec_b64 s[16:17], s[4:5]
	s_cbranch_execz .LBB688_33
; %bb.32:
	s_mov_b32 s4, 0x652b82fe
	v_add_f64 v[12:13], v[12:13], -v[16:17]
	s_mov_b32 s5, 0x3ff71547
	v_mul_f64 v[18:19], v[12:13], s[4:5]
	s_mov_b32 s4, 0xfefa39ef
	v_rndne_f64_e32 v[18:19], v[18:19]
	s_mov_b32 s5, 0xbfe62e42
	v_fma_f64 v[28:29], s[4:5], v[18:19], v[12:13]
	s_mov_b32 s4, 0x3b39803f
	s_mov_b32 s5, 0xbc7abc9e
	v_fmac_f64_e32 v[28:29], s[4:5], v[18:19]
	s_mov_b32 s4, 0x6a5dcb37
	v_mov_b32_e32 v30, 0xfca7ab0c
	v_mov_b32_e32 v31, 0x3e928af3
	s_mov_b32 s5, 0x3e5ade15
	v_fmac_f64_e32 v[30:31], s[4:5], v[28:29]
	v_mov_b32_e32 v32, 0x623fde64
	v_mov_b32_e32 v33, 0x3ec71dee
	v_fmac_f64_e32 v[32:33], v[28:29], v[30:31]
	v_mov_b32_e32 v30, 0x7c89e6b0
	v_mov_b32_e32 v31, 0x3efa0199
	;; [unrolled: 3-line block ×8, first 2 shown]
	v_fmac_f64_e32 v[30:31], v[28:29], v[32:33]
	v_fma_f64 v[30:31], v[28:29], v[30:31], 1.0
	s_mov_b32 s4, 0
	s_mov_b32 s8, 0
	v_fma_f64 v[28:29], v[28:29], v[30:31], 1.0
	v_cvt_i32_f64_e32 v18, v[18:19]
	s_mov_b32 s5, 0x40900000
	s_mov_b32 s9, 0xc090cc00
	v_ldexp_f64 v[18:19], v[28:29], v18
	v_mov_b32_e32 v27, 0x7ff00000
	v_cmp_nlt_f64_e64 s[4:5], s[4:5], v[12:13]
	v_cmp_ngt_f64_e64 s[8:9], s[8:9], v[12:13]
	v_cndmask_b32_e64 v19, v27, v19, s[4:5]
	s_and_b64 s[4:5], s[8:9], s[4:5]
	v_cndmask_b32_e64 v19, 0, v19, s[8:9]
	v_cndmask_b32_e64 v18, 0, v18, s[4:5]
	v_add_f64 v[14:15], v[14:15], v[18:19]
.LBB688_33:
	s_or_b64 exec, exec, s[16:17]
	s_or_b64 exec, exec, s[18:19]
	s_and_saveexec_b64 s[16:17], s[14:15]
	s_cbranch_execz .LBB688_27
.LBB688_34:
	global_load_ubyte v6, v[4:5], off offset:128
	s_waitcnt vmcnt(0)
	v_and_b32_e32 v6, 1, v6
	v_cmp_eq_u32_e64 s[4:5], 1, v6
	s_xor_b64 s[4:5], s[4:5], -1
	v_pk_mov_b32 v[6:7], 0, 0
	s_and_saveexec_b64 s[14:15], s[4:5]
	s_cbranch_execz .LBB688_36
; %bb.35:
	s_mov_b32 s4, 0x652b82fe
	v_add_f64 v[6:7], v[8:9], -v[16:17]
	s_mov_b32 s5, 0x3ff71547
	v_mul_f64 v[8:9], v[6:7], s[4:5]
	s_mov_b32 s4, 0xfefa39ef
	v_rndne_f64_e32 v[8:9], v[8:9]
	s_mov_b32 s5, 0xbfe62e42
	v_fma_f64 v[12:13], s[4:5], v[8:9], v[6:7]
	s_mov_b32 s4, 0x3b39803f
	s_mov_b32 s5, 0xbc7abc9e
	v_fmac_f64_e32 v[12:13], s[4:5], v[8:9]
	s_mov_b32 s4, 0x6a5dcb37
	v_mov_b32_e32 v28, 0xfca7ab0c
	v_mov_b32_e32 v29, 0x3e928af3
	s_mov_b32 s5, 0x3e5ade15
	v_fmac_f64_e32 v[28:29], s[4:5], v[12:13]
	v_mov_b32_e32 v30, 0x623fde64
	v_mov_b32_e32 v31, 0x3ec71dee
	v_fmac_f64_e32 v[30:31], v[12:13], v[28:29]
	v_mov_b32_e32 v28, 0x7c89e6b0
	v_mov_b32_e32 v29, 0x3efa0199
	;; [unrolled: 3-line block ×8, first 2 shown]
	v_fmac_f64_e32 v[28:29], v[12:13], v[30:31]
	v_fma_f64 v[28:29], v[12:13], v[28:29], 1.0
	s_mov_b32 s4, 0
	s_mov_b32 s8, 0
	v_fma_f64 v[12:13], v[12:13], v[28:29], 1.0
	v_cvt_i32_f64_e32 v8, v[8:9]
	s_mov_b32 s5, 0x40900000
	s_mov_b32 s9, 0xc090cc00
	v_ldexp_f64 v[8:9], v[12:13], v8
	v_mov_b32_e32 v12, 0x7ff00000
	v_cmp_nlt_f64_e64 s[4:5], s[4:5], v[6:7]
	v_cmp_ngt_f64_e64 s[8:9], s[8:9], v[6:7]
	v_cndmask_b32_e64 v9, v12, v9, s[4:5]
	s_and_b64 s[4:5], s[8:9], s[4:5]
	v_cndmask_b32_e64 v7, 0, v9, s[8:9]
	v_cndmask_b32_e64 v6, 0, v8, s[4:5]
	v_add_f64 v[14:15], v[14:15], v[6:7]
.LBB688_36:
	s_or_b64 exec, exec, s[14:15]
	s_or_b64 exec, exec, s[16:17]
	v_pk_mov_b32 v[8:9], 0, 0
	s_and_saveexec_b64 s[14:15], s[10:11]
	s_cbranch_execz .LBB688_40
.LBB688_37:
	global_load_ubyte v4, v[4:5], off offset:192
	v_pk_mov_b32 v[8:9], 0, 0
	s_waitcnt vmcnt(0)
	v_and_b32_e32 v4, 1, v4
	v_cmp_eq_u32_e64 s[4:5], 1, v4
	s_xor_b64 s[4:5], s[4:5], -1
	s_and_saveexec_b64 s[10:11], s[4:5]
	s_cbranch_execz .LBB688_39
; %bb.38:
	s_mov_b32 s4, 0x652b82fe
	v_add_f64 v[2:3], v[2:3], -v[16:17]
	s_mov_b32 s5, 0x3ff71547
	v_mul_f64 v[4:5], v[2:3], s[4:5]
	s_mov_b32 s4, 0xfefa39ef
	v_rndne_f64_e32 v[4:5], v[4:5]
	s_mov_b32 s5, 0xbfe62e42
	v_fma_f64 v[8:9], s[4:5], v[4:5], v[2:3]
	s_mov_b32 s4, 0x3b39803f
	s_mov_b32 s5, 0xbc7abc9e
	v_fmac_f64_e32 v[8:9], s[4:5], v[4:5]
	s_mov_b32 s4, 0x6a5dcb37
	v_mov_b32_e32 v12, 0xfca7ab0c
	v_mov_b32_e32 v13, 0x3e928af3
	s_mov_b32 s5, 0x3e5ade15
	v_fmac_f64_e32 v[12:13], s[4:5], v[8:9]
	v_mov_b32_e32 v16, 0x623fde64
	v_mov_b32_e32 v17, 0x3ec71dee
	v_fmac_f64_e32 v[16:17], v[8:9], v[12:13]
	v_mov_b32_e32 v12, 0x7c89e6b0
	v_mov_b32_e32 v13, 0x3efa0199
	;; [unrolled: 3-line block ×8, first 2 shown]
	v_fmac_f64_e32 v[12:13], v[8:9], v[16:17]
	v_fma_f64 v[12:13], v[8:9], v[12:13], 1.0
	s_mov_b32 s4, 0
	s_mov_b32 s8, 0
	v_fma_f64 v[8:9], v[8:9], v[12:13], 1.0
	v_cvt_i32_f64_e32 v4, v[4:5]
	s_mov_b32 s5, 0x40900000
	s_mov_b32 s9, 0xc090cc00
	v_ldexp_f64 v[4:5], v[8:9], v4
	v_mov_b32_e32 v8, 0x7ff00000
	v_cmp_nlt_f64_e64 s[4:5], s[4:5], v[2:3]
	v_cmp_ngt_f64_e64 s[8:9], s[8:9], v[2:3]
	v_cndmask_b32_e64 v5, v8, v5, s[4:5]
	s_and_b64 s[4:5], s[8:9], s[4:5]
	v_cndmask_b32_e64 v9, 0, v5, s[8:9]
	v_cndmask_b32_e64 v8, 0, v4, s[4:5]
	v_add_f64 v[14:15], v[14:15], v[8:9]
.LBB688_39:
	s_or_b64 exec, exec, s[10:11]
.LBB688_40:
	s_or_b64 exec, exec, s[14:15]
	ds_bpermute_b32 v2, v21, v14
	ds_bpermute_b32 v3, v21, v15
	v_cmp_lt_i32_e64 s[4:5], 0, v20
	s_waitcnt lgkmcnt(0)
	v_add_f64 v[2:3], v[14:15], v[2:3]
	ds_bpermute_b32 v4, v22, v2
	ds_bpermute_b32 v5, v22, v3
	s_waitcnt lgkmcnt(0)
	v_add_f64 v[2:3], v[2:3], v[4:5]
	ds_bpermute_b32 v4, v23, v2
	ds_bpermute_b32 v5, v23, v3
	;; [unrolled: 4-line block ×5, first 2 shown]
	s_and_saveexec_b64 s[8:9], s[4:5]
	s_cbranch_execz .LBB688_46
; %bb.41:
	s_and_b64 exec, exec, vcc
	s_cbranch_execz .LBB688_46
; %bb.42:
	s_waitcnt lgkmcnt(0)
	v_add_f64 v[2:3], v[2:3], v[4:5]
	v_div_scale_f64 v[4:5], s[4:5], v[2:3], v[2:3], v[10:11]
	v_rcp_f64_e32 v[12:13], v[4:5]
	v_mov_b32_e32 v14, s13
	v_add_co_u32_e32 v0, vcc, s12, v0
	v_addc_co_u32_e32 v1, vcc, v14, v1, vcc
	v_fma_f64 v[14:15], -v[4:5], v[12:13], 1.0
	v_fmac_f64_e32 v[12:13], v[12:13], v[14:15]
	v_fma_f64 v[14:15], -v[4:5], v[12:13], 1.0
	v_fmac_f64_e32 v[12:13], v[12:13], v[14:15]
	v_div_scale_f64 v[14:15], vcc, v[10:11], v[2:3], v[10:11]
	v_mul_f64 v[16:17], v[14:15], v[12:13]
	v_fma_f64 v[4:5], -v[4:5], v[16:17], v[14:15]
	v_cmp_eq_f64_e64 s[4:5], 0, v[2:3]
	s_nop 0
	v_div_fmas_f64 v[4:5], v[4:5], v[12:13], v[16:17]
	v_div_fixup_f64 v[10:11], v[4:5], v[2:3], v[10:11]
	v_mov_b32_e32 v4, 0x7ff80000
	v_cndmask_b32_e64 v11, v11, v4, s[4:5]
	v_cndmask_b32_e64 v10, v10, 0, s[4:5]
	global_store_dwordx2 v[0:1], v[10:11], off
	s_and_b64 exec, exec, s[6:7]
	s_cbranch_execz .LBB688_46
; %bb.43:
	v_div_scale_f64 v[10:11], s[6:7], v[2:3], v[2:3], v[18:19]
	v_rcp_f64_e32 v[12:13], v[10:11]
	v_div_scale_f64 v[14:15], vcc, v[18:19], v[2:3], v[18:19]
	v_fma_f64 v[16:17], -v[10:11], v[12:13], 1.0
	v_fmac_f64_e32 v[12:13], v[12:13], v[16:17]
	v_fma_f64 v[16:17], -v[10:11], v[12:13], 1.0
	v_fmac_f64_e32 v[12:13], v[12:13], v[16:17]
	v_mul_f64 v[16:17], v[14:15], v[12:13]
	v_fma_f64 v[10:11], -v[10:11], v[16:17], v[14:15]
	v_div_fmas_f64 v[10:11], v[10:11], v[12:13], v[16:17]
	v_div_fixup_f64 v[10:11], v[10:11], v[2:3], v[18:19]
	v_cndmask_b32_e64 v5, v11, v4, s[4:5]
	v_cndmask_b32_e64 v4, v10, 0, s[4:5]
	global_store_dwordx2 v[0:1], v[4:5], off offset:512
	s_and_b64 exec, exec, s[2:3]
	s_cbranch_execz .LBB688_46
; %bb.44:
	v_div_scale_f64 v[4:5], s[2:3], v[2:3], v[2:3], v[6:7]
	v_rcp_f64_e32 v[10:11], v[4:5]
	v_div_scale_f64 v[12:13], vcc, v[6:7], v[2:3], v[6:7]
	v_fma_f64 v[14:15], -v[4:5], v[10:11], 1.0
	v_fmac_f64_e32 v[10:11], v[10:11], v[14:15]
	v_fma_f64 v[14:15], -v[4:5], v[10:11], 1.0
	v_fmac_f64_e32 v[10:11], v[10:11], v[14:15]
	v_mul_f64 v[14:15], v[12:13], v[10:11]
	v_fma_f64 v[4:5], -v[4:5], v[14:15], v[12:13]
	v_div_fmas_f64 v[4:5], v[4:5], v[10:11], v[14:15]
	v_div_fixup_f64 v[6:7], v[4:5], v[2:3], v[6:7]
	v_mov_b32_e32 v4, 0x7ff80000
	v_cndmask_b32_e64 v7, v7, v4, s[4:5]
	v_cndmask_b32_e64 v6, v6, 0, s[4:5]
	global_store_dwordx2 v[0:1], v[6:7], off offset:1024
	s_and_b64 exec, exec, s[0:1]
	s_cbranch_execz .LBB688_46
; %bb.45:
	v_div_scale_f64 v[6:7], s[0:1], v[2:3], v[2:3], v[8:9]
	v_rcp_f64_e32 v[10:11], v[6:7]
	v_div_scale_f64 v[12:13], vcc, v[8:9], v[2:3], v[8:9]
	v_fma_f64 v[14:15], -v[6:7], v[10:11], 1.0
	v_fmac_f64_e32 v[10:11], v[10:11], v[14:15]
	v_fma_f64 v[14:15], -v[6:7], v[10:11], 1.0
	v_fmac_f64_e32 v[10:11], v[10:11], v[14:15]
	v_mul_f64 v[14:15], v[12:13], v[10:11]
	v_fma_f64 v[6:7], -v[6:7], v[14:15], v[12:13]
	v_div_fmas_f64 v[6:7], v[6:7], v[10:11], v[14:15]
	v_div_fixup_f64 v[2:3], v[6:7], v[2:3], v[8:9]
	v_cndmask_b32_e64 v3, v3, v4, s[4:5]
	v_cndmask_b32_e64 v2, v2, 0, s[4:5]
	global_store_dwordx2 v[0:1], v[2:3], off offset:1536
.LBB688_46:
	s_endpgm
	.section	.rodata,"a",@progbits
	.p2align	6, 0x0
	.amdhsa_kernel _ZN12_GLOBAL__N_120softmax_warp_forwardIdddLi8ELb0ELb1ELi64EEEvPT0_PKT_iiiPKbib
		.amdhsa_group_segment_fixed_size 0
		.amdhsa_private_segment_fixed_size 0
		.amdhsa_kernarg_size 304
		.amdhsa_user_sgpr_count 6
		.amdhsa_user_sgpr_private_segment_buffer 1
		.amdhsa_user_sgpr_dispatch_ptr 0
		.amdhsa_user_sgpr_queue_ptr 0
		.amdhsa_user_sgpr_kernarg_segment_ptr 1
		.amdhsa_user_sgpr_dispatch_id 0
		.amdhsa_user_sgpr_flat_scratch_init 0
		.amdhsa_user_sgpr_kernarg_preload_length 0
		.amdhsa_user_sgpr_kernarg_preload_offset 0
		.amdhsa_user_sgpr_private_segment_size 0
		.amdhsa_uses_dynamic_stack 0
		.amdhsa_system_sgpr_private_segment_wavefront_offset 0
		.amdhsa_system_sgpr_workgroup_id_x 1
		.amdhsa_system_sgpr_workgroup_id_y 0
		.amdhsa_system_sgpr_workgroup_id_z 0
		.amdhsa_system_sgpr_workgroup_info 0
		.amdhsa_system_vgpr_workitem_id 1
		.amdhsa_next_free_vgpr 34
		.amdhsa_next_free_sgpr 26
		.amdhsa_accum_offset 36
		.amdhsa_reserve_vcc 1
		.amdhsa_reserve_flat_scratch 0
		.amdhsa_float_round_mode_32 0
		.amdhsa_float_round_mode_16_64 0
		.amdhsa_float_denorm_mode_32 3
		.amdhsa_float_denorm_mode_16_64 3
		.amdhsa_dx10_clamp 1
		.amdhsa_ieee_mode 1
		.amdhsa_fp16_overflow 0
		.amdhsa_tg_split 0
		.amdhsa_exception_fp_ieee_invalid_op 0
		.amdhsa_exception_fp_denorm_src 0
		.amdhsa_exception_fp_ieee_div_zero 0
		.amdhsa_exception_fp_ieee_overflow 0
		.amdhsa_exception_fp_ieee_underflow 0
		.amdhsa_exception_fp_ieee_inexact 0
		.amdhsa_exception_int_div_zero 0
	.end_amdhsa_kernel
	.section	.text._ZN12_GLOBAL__N_120softmax_warp_forwardIdddLi8ELb0ELb1ELi64EEEvPT0_PKT_iiiPKbib,"axG",@progbits,_ZN12_GLOBAL__N_120softmax_warp_forwardIdddLi8ELb0ELb1ELi64EEEvPT0_PKT_iiiPKbib,comdat
.Lfunc_end688:
	.size	_ZN12_GLOBAL__N_120softmax_warp_forwardIdddLi8ELb0ELb1ELi64EEEvPT0_PKT_iiiPKbib, .Lfunc_end688-_ZN12_GLOBAL__N_120softmax_warp_forwardIdddLi8ELb0ELb1ELi64EEEvPT0_PKT_iiiPKbib
                                        ; -- End function
	.section	.AMDGPU.csdata,"",@progbits
; Kernel info:
; codeLenInByte = 3884
; NumSgprs: 30
; NumVgprs: 34
; NumAgprs: 0
; TotalNumVgprs: 34
; ScratchSize: 0
; MemoryBound: 0
; FloatMode: 240
; IeeeMode: 1
; LDSByteSize: 0 bytes/workgroup (compile time only)
; SGPRBlocks: 3
; VGPRBlocks: 4
; NumSGPRsForWavesPerEU: 30
; NumVGPRsForWavesPerEU: 34
; AccumOffset: 36
; Occupancy: 8
; WaveLimiterHint : 0
; COMPUTE_PGM_RSRC2:SCRATCH_EN: 0
; COMPUTE_PGM_RSRC2:USER_SGPR: 6
; COMPUTE_PGM_RSRC2:TRAP_HANDLER: 0
; COMPUTE_PGM_RSRC2:TGID_X_EN: 1
; COMPUTE_PGM_RSRC2:TGID_Y_EN: 0
; COMPUTE_PGM_RSRC2:TGID_Z_EN: 0
; COMPUTE_PGM_RSRC2:TIDIG_COMP_CNT: 1
; COMPUTE_PGM_RSRC3_GFX90A:ACCUM_OFFSET: 8
; COMPUTE_PGM_RSRC3_GFX90A:TG_SPLIT: 0
	.section	.text._ZN12_GLOBAL__N_120softmax_warp_forwardIdddLi8ELb0ELb1ELi32EEEvPT0_PKT_iiiPKbib,"axG",@progbits,_ZN12_GLOBAL__N_120softmax_warp_forwardIdddLi8ELb0ELb1ELi32EEEvPT0_PKT_iiiPKbib,comdat
	.globl	_ZN12_GLOBAL__N_120softmax_warp_forwardIdddLi8ELb0ELb1ELi32EEEvPT0_PKT_iiiPKbib ; -- Begin function _ZN12_GLOBAL__N_120softmax_warp_forwardIdddLi8ELb0ELb1ELi32EEEvPT0_PKT_iiiPKbib
	.p2align	8
	.type	_ZN12_GLOBAL__N_120softmax_warp_forwardIdddLi8ELb0ELb1ELi32EEEvPT0_PKT_iiiPKbib,@function
_ZN12_GLOBAL__N_120softmax_warp_forwardIdddLi8ELb0ELb1ELi32EEEvPT0_PKT_iiiPKbib: ; @_ZN12_GLOBAL__N_120softmax_warp_forwardIdddLi8ELb0ELb1ELi32EEEvPT0_PKT_iiiPKbib
; %bb.0:
	s_load_dword s2, s[4:5], 0x3c
	s_load_dwordx4 s[16:19], s[4:5], 0x10
	s_load_dwordx2 s[0:1], s[4:5], 0x28
	v_bfe_u32 v1, v0, 10, 10
	v_and_b32_e32 v4, 0x3ff, v0
	s_waitcnt lgkmcnt(0)
	s_lshr_b32 s2, s2, 16
	s_mul_i32 s6, s6, s2
	v_add_u32_e32 v2, s6, v1
	v_mul_lo_u32 v3, v2, s17
	v_add_u32_e32 v0, v3, v4
	v_ashrrev_i32_e32 v1, 31, v0
	s_bitcmp0_b32 s1, 0
	v_pk_mov_b32 v[10:11], v[0:1], v[0:1] op_sel:[0,1]
	s_cbranch_scc1 .LBB689_2
; %bb.1:
	s_abs_i32 s1, s0
	v_cvt_f32_u32_e32 v5, s1
	v_xor_b32_e32 v6, s0, v3
	v_sub_u32_e32 v7, 0, v3
	s_sub_i32 s0, 0, s1
	v_rcp_iflag_f32_e32 v5, v5
	v_max_i32_e32 v3, v3, v7
	v_ashrrev_i32_e32 v6, 31, v6
	v_mul_f32_e32 v5, 0x4f7ffffe, v5
	v_cvt_u32_f32_e32 v5, v5
	v_mul_lo_u32 v7, s0, v5
	v_mul_hi_u32 v7, v5, v7
	v_add_u32_e32 v5, v5, v7
	v_mul_hi_u32 v5, v3, v5
	v_mul_lo_u32 v7, v5, s1
	v_sub_u32_e32 v3, v3, v7
	v_add_u32_e32 v8, 1, v5
	v_cmp_le_u32_e32 vcc, s1, v3
	v_subrev_u32_e32 v7, s1, v3
	v_cndmask_b32_e32 v5, v5, v8, vcc
	v_cndmask_b32_e32 v3, v3, v7, vcc
	v_add_u32_e32 v7, 1, v5
	v_cmp_le_u32_e32 vcc, s1, v3
	v_cndmask_b32_e32 v3, v5, v7, vcc
	v_xor_b32_e32 v3, v3, v6
	v_sub_u32_e32 v3, v3, v6
	v_mad_u64_u32 v[10:11], s[0:1], v3, s17, v[4:5]
	v_ashrrev_i32_e32 v11, 31, v10
.LBB689_2:
	s_load_dwordx4 s[20:23], s[4:5], 0x0
	v_lshlrev_b64 v[0:1], 3, v[0:1]
	v_sub_u32_e32 v28, s16, v2
	v_mov_b32_e32 v26, 0
	v_cmp_lt_i32_e64 s[14:15], 0, v28
	s_waitcnt lgkmcnt(0)
	v_mov_b32_e32 v2, s23
	v_add_co_u32_e32 v12, vcc, s22, v0
	v_addc_co_u32_e32 v13, vcc, v2, v1, vcc
	v_cmp_gt_i32_e32 vcc, s18, v4
	v_mov_b32_e32 v27, 0xfff00000
	s_and_b64 s[36:37], s[14:15], vcc
	v_pk_mov_b32 v[20:21], v[26:27], v[26:27] op_sel:[0,1]
	s_and_saveexec_b64 s[0:1], s[36:37]
	s_cbranch_execz .LBB689_4
; %bb.3:
	global_load_dwordx2 v[20:21], v[12:13], off
.LBB689_4:
	s_or_b64 exec, exec, s[0:1]
	v_add_u32_e32 v2, 32, v4
	v_cmp_gt_i32_e64 s[12:13], s18, v2
	s_and_b64 s[34:35], s[14:15], s[12:13]
	s_and_saveexec_b64 s[0:1], s[34:35]
	s_cbranch_execz .LBB689_6
; %bb.5:
	global_load_dwordx2 v[26:27], v[12:13], off offset:256
.LBB689_6:
	s_or_b64 exec, exec, s[0:1]
	v_add_u32_e32 v2, 64, v4
	v_mov_b32_e32 v22, 0
	v_cmp_gt_i32_e64 s[10:11], s18, v2
	v_mov_b32_e32 v23, 0xfff00000
	s_and_b64 s[30:31], s[14:15], s[10:11]
	v_pk_mov_b32 v[24:25], v[22:23], v[22:23] op_sel:[0,1]
	s_and_saveexec_b64 s[0:1], s[30:31]
	s_cbranch_execz .LBB689_8
; %bb.7:
	global_load_dwordx2 v[24:25], v[12:13], off offset:512
.LBB689_8:
	s_or_b64 exec, exec, s[0:1]
	v_add_u32_e32 v2, 0x60, v4
	v_cmp_gt_i32_e64 s[8:9], s18, v2
	s_and_b64 s[28:29], s[14:15], s[8:9]
	s_and_saveexec_b64 s[0:1], s[28:29]
	s_cbranch_execz .LBB689_10
; %bb.9:
	global_load_dwordx2 v[22:23], v[12:13], off offset:768
.LBB689_10:
	s_or_b64 exec, exec, s[0:1]
	v_add_u32_e32 v2, 0x80, v4
	v_mov_b32_e32 v8, 0
	v_cmp_gt_i32_e64 s[6:7], s18, v2
	v_mov_b32_e32 v9, 0xfff00000
	s_and_b64 s[26:27], s[14:15], s[6:7]
	v_pk_mov_b32 v[14:15], v[8:9], v[8:9] op_sel:[0,1]
	s_and_saveexec_b64 s[0:1], s[26:27]
	s_cbranch_execz .LBB689_12
; %bb.11:
	global_load_dwordx2 v[14:15], v[12:13], off offset:1024
.LBB689_12:
	s_or_b64 exec, exec, s[0:1]
	v_add_u32_e32 v2, 0xa0, v4
	v_cmp_gt_i32_e64 s[16:17], s18, v2
	s_and_b64 s[24:25], s[14:15], s[16:17]
	s_and_saveexec_b64 s[0:1], s[24:25]
	s_cbranch_execz .LBB689_14
; %bb.13:
	global_load_dwordx2 v[8:9], v[12:13], off offset:1280
.LBB689_14:
	s_or_b64 exec, exec, s[0:1]
	v_add_u32_e32 v2, 0xc0, v4
	v_cmp_gt_i32_e64 s[2:3], s18, v2
	v_mov_b32_e32 v2, 0
	v_mov_b32_e32 v3, 0xfff00000
	s_and_b64 s[22:23], s[14:15], s[2:3]
	v_pk_mov_b32 v[6:7], v[2:3], v[2:3] op_sel:[0,1]
	s_and_saveexec_b64 s[0:1], s[22:23]
	s_cbranch_execz .LBB689_16
; %bb.15:
	global_load_dwordx2 v[6:7], v[12:13], off offset:1536
.LBB689_16:
	s_or_b64 exec, exec, s[0:1]
	v_add_u32_e32 v4, 0xe0, v4
	v_cmp_gt_i32_e64 s[0:1], s18, v4
	s_and_b64 s[18:19], s[14:15], s[0:1]
	s_and_saveexec_b64 s[14:15], s[18:19]
	s_cbranch_execz .LBB689_18
; %bb.17:
	global_load_dwordx2 v[2:3], v[12:13], off offset:1792
.LBB689_18:
	s_or_b64 exec, exec, s[14:15]
	s_load_dwordx2 s[4:5], s[4:5], 0x20
	s_mov_b64 s[14:15], 0
	s_waitcnt lgkmcnt(0)
	v_mov_b32_e32 v5, s5
	v_add_co_u32_e64 v4, s[4:5], s4, v10
	v_addc_co_u32_e64 v5, s[4:5], v5, v11, s[4:5]
	s_and_saveexec_b64 s[38:39], s[36:37]
	s_cbranch_execnz .LBB689_26
; %bb.19:
	s_or_b64 exec, exec, s[38:39]
	s_waitcnt vmcnt(0)
	v_pk_mov_b32 v[10:11], v[20:21], v[20:21] op_sel:[0,1]
	s_and_saveexec_b64 s[38:39], s[34:35]
	s_cbranch_execnz .LBB689_27
.LBB689_20:
	s_or_b64 exec, exec, s[38:39]
	s_and_saveexec_b64 s[38:39], s[30:31]
	s_cbranch_execnz .LBB689_30
.LBB689_21:
	s_or_b64 exec, exec, s[38:39]
	s_and_saveexec_b64 s[38:39], s[28:29]
	s_cbranch_execnz .LBB689_33
.LBB689_22:
	s_or_b64 exec, exec, s[38:39]
	s_and_saveexec_b64 s[38:39], s[26:27]
	s_cbranch_execnz .LBB689_36
.LBB689_23:
	s_or_b64 exec, exec, s[38:39]
	s_and_saveexec_b64 s[38:39], s[24:25]
	s_cbranch_execnz .LBB689_39
.LBB689_24:
	s_or_b64 exec, exec, s[38:39]
	s_and_saveexec_b64 s[38:39], s[22:23]
	s_cbranch_execnz .LBB689_42
.LBB689_25:
	s_or_b64 exec, exec, s[38:39]
	s_and_saveexec_b64 s[38:39], s[18:19]
	s_cbranch_execnz .LBB689_45
	s_branch .LBB689_48
.LBB689_26:
	global_load_ubyte v10, v[4:5], off
	s_waitcnt vmcnt(0)
	v_and_b32_e32 v10, 1, v10
	v_cmp_eq_u32_e64 s[4:5], 1, v10
	s_xor_b64 s[4:5], s[4:5], -1
	s_and_b64 s[14:15], s[4:5], exec
	s_or_b64 exec, exec, s[38:39]
	v_pk_mov_b32 v[10:11], v[20:21], v[20:21] op_sel:[0,1]
	s_and_saveexec_b64 s[38:39], s[34:35]
	s_cbranch_execz .LBB689_20
.LBB689_27:
	global_load_ubyte v10, v[4:5], off offset:32
	s_mov_b64 s[40:41], s[14:15]
	s_waitcnt vmcnt(0)
	v_and_b32_e32 v10, 1, v10
	v_cmp_eq_u32_e64 s[4:5], 1, v10
	s_xor_b64 s[4:5], s[4:5], -1
	v_pk_mov_b32 v[10:11], v[20:21], v[20:21] op_sel:[0,1]
	s_and_saveexec_b64 s[42:43], s[4:5]
; %bb.28:
	v_cmp_gt_f64_e64 s[4:5], v[20:21], v[26:27]
	s_and_b64 s[4:5], s[14:15], s[4:5]
	v_cndmask_b32_e64 v11, v27, v21, s[4:5]
	v_cndmask_b32_e64 v10, v26, v20, s[4:5]
	s_or_b64 s[40:41], s[14:15], exec
; %bb.29:
	s_or_b64 exec, exec, s[42:43]
	s_andn2_b64 s[4:5], s[14:15], exec
	s_and_b64 s[14:15], s[40:41], exec
	s_or_b64 s[14:15], s[4:5], s[14:15]
	s_or_b64 exec, exec, s[38:39]
	s_and_saveexec_b64 s[38:39], s[30:31]
	s_cbranch_execz .LBB689_21
.LBB689_30:
	global_load_ubyte v12, v[4:5], off offset:64
	s_waitcnt vmcnt(0)
	v_and_b32_e32 v12, 1, v12
	v_cmp_eq_u32_e64 s[4:5], 1, v12
	s_xor_b64 s[42:43], s[4:5], -1
	s_mov_b64 s[4:5], s[14:15]
	s_and_saveexec_b64 s[40:41], s[42:43]
; %bb.31:
	v_cmp_gt_f64_e64 s[4:5], v[10:11], v[24:25]
	s_and_b64 s[4:5], s[14:15], s[4:5]
	v_cndmask_b32_e64 v11, v25, v11, s[4:5]
	v_cndmask_b32_e64 v10, v24, v10, s[4:5]
	s_or_b64 s[4:5], s[14:15], exec
; %bb.32:
	s_or_b64 exec, exec, s[40:41]
	s_andn2_b64 s[14:15], s[14:15], exec
	s_and_b64 s[4:5], s[4:5], exec
	s_or_b64 s[14:15], s[14:15], s[4:5]
	s_or_b64 exec, exec, s[38:39]
	s_and_saveexec_b64 s[38:39], s[28:29]
	s_cbranch_execz .LBB689_22
.LBB689_33:
	global_load_ubyte v12, v[4:5], off offset:96
	s_waitcnt vmcnt(0)
	v_and_b32_e32 v12, 1, v12
	v_cmp_eq_u32_e64 s[4:5], 1, v12
	s_xor_b64 s[42:43], s[4:5], -1
	s_mov_b64 s[4:5], s[14:15]
	s_and_saveexec_b64 s[40:41], s[42:43]
; %bb.34:
	v_cmp_gt_f64_e64 s[4:5], v[10:11], v[22:23]
	s_and_b64 s[4:5], s[14:15], s[4:5]
	v_cndmask_b32_e64 v11, v23, v11, s[4:5]
	v_cndmask_b32_e64 v10, v22, v10, s[4:5]
	s_or_b64 s[4:5], s[14:15], exec
; %bb.35:
	s_or_b64 exec, exec, s[40:41]
	s_andn2_b64 s[14:15], s[14:15], exec
	s_and_b64 s[4:5], s[4:5], exec
	s_or_b64 s[14:15], s[14:15], s[4:5]
	s_or_b64 exec, exec, s[38:39]
	s_and_saveexec_b64 s[38:39], s[26:27]
	s_cbranch_execz .LBB689_23
.LBB689_36:
	global_load_ubyte v12, v[4:5], off offset:128
	s_waitcnt vmcnt(0)
	v_and_b32_e32 v12, 1, v12
	v_cmp_eq_u32_e64 s[4:5], 1, v12
	s_xor_b64 s[42:43], s[4:5], -1
	s_mov_b64 s[4:5], s[14:15]
	s_and_saveexec_b64 s[40:41], s[42:43]
; %bb.37:
	v_cmp_gt_f64_e64 s[4:5], v[10:11], v[14:15]
	s_and_b64 s[4:5], s[14:15], s[4:5]
	v_cndmask_b32_e64 v11, v15, v11, s[4:5]
	v_cndmask_b32_e64 v10, v14, v10, s[4:5]
	s_or_b64 s[4:5], s[14:15], exec
; %bb.38:
	s_or_b64 exec, exec, s[40:41]
	s_andn2_b64 s[14:15], s[14:15], exec
	s_and_b64 s[4:5], s[4:5], exec
	s_or_b64 s[14:15], s[14:15], s[4:5]
	s_or_b64 exec, exec, s[38:39]
	s_and_saveexec_b64 s[38:39], s[24:25]
	s_cbranch_execz .LBB689_24
.LBB689_39:
	global_load_ubyte v12, v[4:5], off offset:160
	s_waitcnt vmcnt(0)
	v_and_b32_e32 v12, 1, v12
	v_cmp_eq_u32_e64 s[4:5], 1, v12
	s_xor_b64 s[42:43], s[4:5], -1
	s_mov_b64 s[4:5], s[14:15]
	s_and_saveexec_b64 s[40:41], s[42:43]
; %bb.40:
	v_cmp_gt_f64_e64 s[4:5], v[10:11], v[8:9]
	s_and_b64 s[4:5], s[14:15], s[4:5]
	v_cndmask_b32_e64 v11, v9, v11, s[4:5]
	v_cndmask_b32_e64 v10, v8, v10, s[4:5]
	s_or_b64 s[4:5], s[14:15], exec
; %bb.41:
	s_or_b64 exec, exec, s[40:41]
	s_andn2_b64 s[14:15], s[14:15], exec
	s_and_b64 s[4:5], s[4:5], exec
	s_or_b64 s[14:15], s[14:15], s[4:5]
	s_or_b64 exec, exec, s[38:39]
	s_and_saveexec_b64 s[38:39], s[22:23]
	s_cbranch_execz .LBB689_25
.LBB689_42:
	global_load_ubyte v12, v[4:5], off offset:192
	s_waitcnt vmcnt(0)
	v_and_b32_e32 v12, 1, v12
	v_cmp_eq_u32_e64 s[4:5], 1, v12
	s_xor_b64 s[42:43], s[4:5], -1
	s_mov_b64 s[4:5], s[14:15]
	s_and_saveexec_b64 s[40:41], s[42:43]
; %bb.43:
	v_cmp_gt_f64_e64 s[4:5], v[10:11], v[6:7]
	s_and_b64 s[4:5], s[14:15], s[4:5]
	v_cndmask_b32_e64 v11, v7, v11, s[4:5]
	v_cndmask_b32_e64 v10, v6, v10, s[4:5]
	s_or_b64 s[4:5], s[14:15], exec
; %bb.44:
	s_or_b64 exec, exec, s[40:41]
	s_andn2_b64 s[14:15], s[14:15], exec
	s_and_b64 s[4:5], s[4:5], exec
	s_or_b64 s[14:15], s[14:15], s[4:5]
	s_or_b64 exec, exec, s[38:39]
	s_and_saveexec_b64 s[38:39], s[18:19]
	s_cbranch_execz .LBB689_48
.LBB689_45:
	global_load_ubyte v12, v[4:5], off offset:224
	s_waitcnt vmcnt(0)
	v_and_b32_e32 v12, 1, v12
	v_cmp_eq_u32_e64 s[4:5], 1, v12
	s_xor_b64 s[42:43], s[4:5], -1
	s_mov_b64 s[4:5], s[14:15]
	s_and_saveexec_b64 s[40:41], s[42:43]
; %bb.46:
	v_cmp_gt_f64_e64 s[4:5], v[10:11], v[2:3]
	s_and_b64 s[4:5], s[14:15], s[4:5]
	v_cndmask_b32_e64 v11, v3, v11, s[4:5]
	v_cndmask_b32_e64 v10, v2, v10, s[4:5]
	s_or_b64 s[4:5], s[14:15], exec
; %bb.47:
	s_or_b64 exec, exec, s[40:41]
	s_andn2_b64 s[14:15], s[14:15], exec
	s_and_b64 s[4:5], s[4:5], exec
	s_or_b64 s[14:15], s[14:15], s[4:5]
.LBB689_48:
	s_or_b64 exec, exec, s[38:39]
	v_mov_b32_e32 v12, 0xfff00000
	v_cndmask_b32_e64 v11, v12, v11, s[14:15]
	v_mbcnt_lo_u32_b32 v12, -1, 0
	v_mbcnt_hi_u32_b32 v16, -1, v12
	v_and_b32_e32 v12, 0x60, v16
	v_add_u32_e32 v17, 32, v12
	v_xor_b32_e32 v12, 16, v16
	v_cmp_lt_i32_e64 s[4:5], v12, v17
	v_cndmask_b32_e64 v12, v16, v12, s[4:5]
	v_cndmask_b32_e64 v10, 0, v10, s[14:15]
	v_lshlrev_b32_e32 v29, 2, v12
	ds_bpermute_b32 v12, v29, v10
	ds_bpermute_b32 v13, v29, v11
	s_waitcnt lgkmcnt(0)
	v_cmp_lt_f64_e64 s[4:5], v[10:11], v[12:13]
	v_cndmask_b32_e64 v10, v10, v12, s[4:5]
	v_xor_b32_e32 v12, 8, v16
	v_cndmask_b32_e64 v11, v11, v13, s[4:5]
	v_cmp_lt_i32_e64 s[4:5], v12, v17
	v_cndmask_b32_e64 v12, v16, v12, s[4:5]
	v_lshlrev_b32_e32 v30, 2, v12
	ds_bpermute_b32 v12, v30, v10
	ds_bpermute_b32 v13, v30, v11
	s_waitcnt lgkmcnt(0)
	v_cmp_lt_f64_e64 s[4:5], v[10:11], v[12:13]
	v_cndmask_b32_e64 v10, v10, v12, s[4:5]
	v_xor_b32_e32 v12, 4, v16
	v_cndmask_b32_e64 v11, v11, v13, s[4:5]
	v_cmp_lt_i32_e64 s[4:5], v12, v17
	;; [unrolled: 10-line block ×4, first 2 shown]
	v_cndmask_b32_e64 v12, v16, v12, s[4:5]
	v_lshlrev_b32_e32 v33, 2, v12
	ds_bpermute_b32 v12, v33, v10
	ds_bpermute_b32 v13, v33, v11
	s_waitcnt lgkmcnt(0)
	v_cmp_lt_f64_e64 s[4:5], v[10:11], v[12:13]
	v_cndmask_b32_e64 v19, v11, v13, s[4:5]
	v_cndmask_b32_e64 v18, v10, v12, s[4:5]
	v_pk_mov_b32 v[10:11], 0, 0
	v_pk_mov_b32 v[12:13], v[10:11], v[10:11] op_sel:[0,1]
	v_pk_mov_b32 v[16:17], v[10:11], v[10:11] op_sel:[0,1]
	s_and_saveexec_b64 s[38:39], s[36:37]
	s_cbranch_execnz .LBB689_51
; %bb.49:
	s_or_b64 exec, exec, s[38:39]
	v_pk_mov_b32 v[20:21], v[10:11], v[10:11] op_sel:[0,1]
	s_and_saveexec_b64 s[36:37], s[34:35]
	s_cbranch_execnz .LBB689_54
.LBB689_50:
	s_or_b64 exec, exec, s[36:37]
	s_and_saveexec_b64 s[34:35], s[30:31]
	s_cbranch_execnz .LBB689_57
	s_branch .LBB689_60
.LBB689_51:
	global_load_ubyte v12, v[4:5], off
	v_pk_mov_b32 v[16:17], 0, 0
	s_waitcnt vmcnt(0)
	v_and_b32_e32 v12, 1, v12
	v_cmp_eq_u32_e64 s[4:5], 1, v12
	s_xor_b64 s[4:5], s[4:5], -1
	v_pk_mov_b32 v[12:13], v[16:17], v[16:17] op_sel:[0,1]
	s_and_saveexec_b64 s[36:37], s[4:5]
	s_cbranch_execz .LBB689_53
; %bb.52:
	s_mov_b32 s4, 0x652b82fe
	v_add_f64 v[12:13], v[20:21], -v[18:19]
	s_mov_b32 s5, 0x3ff71547
	v_mul_f64 v[16:17], v[12:13], s[4:5]
	s_mov_b32 s4, 0xfefa39ef
	v_rndne_f64_e32 v[16:17], v[16:17]
	s_mov_b32 s5, 0xbfe62e42
	v_fma_f64 v[20:21], s[4:5], v[16:17], v[12:13]
	s_mov_b32 s4, 0x3b39803f
	s_mov_b32 s5, 0xbc7abc9e
	v_fmac_f64_e32 v[20:21], s[4:5], v[16:17]
	s_mov_b32 s4, 0x6a5dcb37
	v_mov_b32_e32 v34, 0xfca7ab0c
	v_mov_b32_e32 v35, 0x3e928af3
	s_mov_b32 s5, 0x3e5ade15
	v_fmac_f64_e32 v[34:35], s[4:5], v[20:21]
	v_mov_b32_e32 v36, 0x623fde64
	v_mov_b32_e32 v37, 0x3ec71dee
	v_fmac_f64_e32 v[36:37], v[20:21], v[34:35]
	v_mov_b32_e32 v34, 0x7c89e6b0
	v_mov_b32_e32 v35, 0x3efa0199
	;; [unrolled: 3-line block ×8, first 2 shown]
	v_fmac_f64_e32 v[34:35], v[20:21], v[36:37]
	v_fma_f64 v[34:35], v[20:21], v[34:35], 1.0
	s_mov_b32 s4, 0
	s_mov_b32 s14, 0
	v_fma_f64 v[20:21], v[20:21], v[34:35], 1.0
	v_cvt_i32_f64_e32 v16, v[16:17]
	s_mov_b32 s5, 0x40900000
	s_mov_b32 s15, 0xc090cc00
	v_ldexp_f64 v[16:17], v[20:21], v16
	v_mov_b32_e32 v20, 0x7ff00000
	v_cmp_nlt_f64_e64 s[4:5], s[4:5], v[12:13]
	v_cmp_ngt_f64_e64 s[14:15], s[14:15], v[12:13]
	v_cndmask_b32_e64 v17, v20, v17, s[4:5]
	s_and_b64 s[4:5], s[14:15], s[4:5]
	v_cndmask_b32_e64 v13, 0, v17, s[14:15]
	v_cndmask_b32_e64 v12, 0, v16, s[4:5]
	v_add_f64 v[16:17], v[12:13], 0
.LBB689_53:
	s_or_b64 exec, exec, s[36:37]
	s_or_b64 exec, exec, s[38:39]
	v_pk_mov_b32 v[20:21], v[10:11], v[10:11] op_sel:[0,1]
	s_and_saveexec_b64 s[36:37], s[34:35]
	s_cbranch_execz .LBB689_50
.LBB689_54:
	global_load_ubyte v20, v[4:5], off offset:32
	s_waitcnt vmcnt(0)
	v_and_b32_e32 v20, 1, v20
	v_cmp_eq_u32_e64 s[4:5], 1, v20
	s_xor_b64 s[4:5], s[4:5], -1
	v_pk_mov_b32 v[20:21], 0, 0
	s_and_saveexec_b64 s[34:35], s[4:5]
	s_cbranch_execz .LBB689_56
; %bb.55:
	s_mov_b32 s4, 0x652b82fe
	v_add_f64 v[20:21], v[26:27], -v[18:19]
	s_mov_b32 s5, 0x3ff71547
	v_mul_f64 v[26:27], v[20:21], s[4:5]
	s_mov_b32 s4, 0xfefa39ef
	v_rndne_f64_e32 v[26:27], v[26:27]
	s_mov_b32 s5, 0xbfe62e42
	v_fma_f64 v[34:35], s[4:5], v[26:27], v[20:21]
	s_mov_b32 s4, 0x3b39803f
	s_mov_b32 s5, 0xbc7abc9e
	v_fmac_f64_e32 v[34:35], s[4:5], v[26:27]
	s_mov_b32 s4, 0x6a5dcb37
	v_mov_b32_e32 v36, 0xfca7ab0c
	v_mov_b32_e32 v37, 0x3e928af3
	s_mov_b32 s5, 0x3e5ade15
	v_fmac_f64_e32 v[36:37], s[4:5], v[34:35]
	v_mov_b32_e32 v38, 0x623fde64
	v_mov_b32_e32 v39, 0x3ec71dee
	v_fmac_f64_e32 v[38:39], v[34:35], v[36:37]
	v_mov_b32_e32 v36, 0x7c89e6b0
	v_mov_b32_e32 v37, 0x3efa0199
	;; [unrolled: 3-line block ×8, first 2 shown]
	v_fmac_f64_e32 v[36:37], v[34:35], v[38:39]
	v_fma_f64 v[36:37], v[34:35], v[36:37], 1.0
	s_mov_b32 s4, 0
	s_mov_b32 s14, 0
	v_fma_f64 v[34:35], v[34:35], v[36:37], 1.0
	v_cvt_i32_f64_e32 v26, v[26:27]
	s_mov_b32 s5, 0x40900000
	s_mov_b32 s15, 0xc090cc00
	v_ldexp_f64 v[26:27], v[34:35], v26
	v_mov_b32_e32 v34, 0x7ff00000
	v_cmp_nlt_f64_e64 s[4:5], s[4:5], v[20:21]
	v_cmp_ngt_f64_e64 s[14:15], s[14:15], v[20:21]
	v_cndmask_b32_e64 v27, v34, v27, s[4:5]
	s_and_b64 s[4:5], s[14:15], s[4:5]
	v_cndmask_b32_e64 v21, 0, v27, s[14:15]
	v_cndmask_b32_e64 v20, 0, v26, s[4:5]
	v_add_f64 v[16:17], v[16:17], v[20:21]
.LBB689_56:
	s_or_b64 exec, exec, s[34:35]
	s_or_b64 exec, exec, s[36:37]
	s_and_saveexec_b64 s[34:35], s[30:31]
	s_cbranch_execz .LBB689_60
.LBB689_57:
	global_load_ubyte v10, v[4:5], off offset:64
	s_waitcnt vmcnt(0)
	v_and_b32_e32 v10, 1, v10
	v_cmp_eq_u32_e64 s[4:5], 1, v10
	s_xor_b64 s[4:5], s[4:5], -1
	v_pk_mov_b32 v[10:11], 0, 0
	s_and_saveexec_b64 s[30:31], s[4:5]
	s_cbranch_execz .LBB689_59
; %bb.58:
	s_mov_b32 s4, 0x652b82fe
	v_add_f64 v[10:11], v[24:25], -v[18:19]
	s_mov_b32 s5, 0x3ff71547
	v_mul_f64 v[24:25], v[10:11], s[4:5]
	s_mov_b32 s4, 0xfefa39ef
	v_rndne_f64_e32 v[24:25], v[24:25]
	s_mov_b32 s5, 0xbfe62e42
	v_fma_f64 v[26:27], s[4:5], v[24:25], v[10:11]
	s_mov_b32 s4, 0x3b39803f
	s_mov_b32 s5, 0xbc7abc9e
	v_fmac_f64_e32 v[26:27], s[4:5], v[24:25]
	s_mov_b32 s4, 0x6a5dcb37
	v_mov_b32_e32 v34, 0xfca7ab0c
	v_mov_b32_e32 v35, 0x3e928af3
	s_mov_b32 s5, 0x3e5ade15
	v_fmac_f64_e32 v[34:35], s[4:5], v[26:27]
	v_mov_b32_e32 v36, 0x623fde64
	v_mov_b32_e32 v37, 0x3ec71dee
	v_fmac_f64_e32 v[36:37], v[26:27], v[34:35]
	v_mov_b32_e32 v34, 0x7c89e6b0
	v_mov_b32_e32 v35, 0x3efa0199
	;; [unrolled: 3-line block ×8, first 2 shown]
	v_fmac_f64_e32 v[34:35], v[26:27], v[36:37]
	v_fma_f64 v[34:35], v[26:27], v[34:35], 1.0
	s_mov_b32 s4, 0
	s_mov_b32 s14, 0
	v_fma_f64 v[26:27], v[26:27], v[34:35], 1.0
	v_cvt_i32_f64_e32 v24, v[24:25]
	s_mov_b32 s5, 0x40900000
	s_mov_b32 s15, 0xc090cc00
	v_ldexp_f64 v[24:25], v[26:27], v24
	v_mov_b32_e32 v26, 0x7ff00000
	v_cmp_nlt_f64_e64 s[4:5], s[4:5], v[10:11]
	v_cmp_ngt_f64_e64 s[14:15], s[14:15], v[10:11]
	v_cndmask_b32_e64 v25, v26, v25, s[4:5]
	s_and_b64 s[4:5], s[14:15], s[4:5]
	v_cndmask_b32_e64 v11, 0, v25, s[14:15]
	v_cndmask_b32_e64 v10, 0, v24, s[4:5]
	v_add_f64 v[16:17], v[16:17], v[10:11]
.LBB689_59:
	s_or_b64 exec, exec, s[30:31]
.LBB689_60:
	s_or_b64 exec, exec, s[34:35]
	v_pk_mov_b32 v[24:25], 0, 0
	v_pk_mov_b32 v[26:27], v[24:25], v[24:25] op_sel:[0,1]
	s_and_saveexec_b64 s[30:31], s[28:29]
	s_cbranch_execz .LBB689_64
; %bb.61:
	global_load_ubyte v26, v[4:5], off offset:96
	s_waitcnt vmcnt(0)
	v_and_b32_e32 v26, 1, v26
	v_cmp_eq_u32_e64 s[4:5], 1, v26
	s_xor_b64 s[4:5], s[4:5], -1
	v_pk_mov_b32 v[26:27], 0, 0
	s_and_saveexec_b64 s[28:29], s[4:5]
	s_cbranch_execz .LBB689_63
; %bb.62:
	s_mov_b32 s4, 0x652b82fe
	v_add_f64 v[22:23], v[22:23], -v[18:19]
	s_mov_b32 s5, 0x3ff71547
	v_mul_f64 v[26:27], v[22:23], s[4:5]
	s_mov_b32 s4, 0xfefa39ef
	v_rndne_f64_e32 v[26:27], v[26:27]
	s_mov_b32 s5, 0xbfe62e42
	v_fma_f64 v[34:35], s[4:5], v[26:27], v[22:23]
	s_mov_b32 s4, 0x3b39803f
	s_mov_b32 s5, 0xbc7abc9e
	v_fmac_f64_e32 v[34:35], s[4:5], v[26:27]
	s_mov_b32 s4, 0x6a5dcb37
	v_mov_b32_e32 v36, 0xfca7ab0c
	v_mov_b32_e32 v37, 0x3e928af3
	s_mov_b32 s5, 0x3e5ade15
	v_fmac_f64_e32 v[36:37], s[4:5], v[34:35]
	v_mov_b32_e32 v38, 0x623fde64
	v_mov_b32_e32 v39, 0x3ec71dee
	v_fmac_f64_e32 v[38:39], v[34:35], v[36:37]
	v_mov_b32_e32 v36, 0x7c89e6b0
	v_mov_b32_e32 v37, 0x3efa0199
	;; [unrolled: 3-line block ×8, first 2 shown]
	v_fmac_f64_e32 v[36:37], v[34:35], v[38:39]
	v_fma_f64 v[36:37], v[34:35], v[36:37], 1.0
	s_mov_b32 s4, 0
	s_mov_b32 s14, 0
	v_fma_f64 v[34:35], v[34:35], v[36:37], 1.0
	v_cvt_i32_f64_e32 v26, v[26:27]
	s_mov_b32 s5, 0x40900000
	s_mov_b32 s15, 0xc090cc00
	v_ldexp_f64 v[26:27], v[34:35], v26
	v_mov_b32_e32 v34, 0x7ff00000
	v_cmp_nlt_f64_e64 s[4:5], s[4:5], v[22:23]
	v_cmp_ngt_f64_e64 s[14:15], s[14:15], v[22:23]
	v_cndmask_b32_e64 v27, v34, v27, s[4:5]
	s_and_b64 s[4:5], s[14:15], s[4:5]
	v_cndmask_b32_e64 v27, 0, v27, s[14:15]
	v_cndmask_b32_e64 v26, 0, v26, s[4:5]
	v_add_f64 v[16:17], v[16:17], v[26:27]
.LBB689_63:
	s_or_b64 exec, exec, s[28:29]
.LBB689_64:
	s_or_b64 exec, exec, s[30:31]
	s_and_saveexec_b64 s[28:29], s[26:27]
	s_cbranch_execz .LBB689_68
; %bb.65:
	global_load_ubyte v22, v[4:5], off offset:128
	v_pk_mov_b32 v[24:25], 0, 0
	s_waitcnt vmcnt(0)
	v_and_b32_e32 v22, 1, v22
	v_cmp_eq_u32_e64 s[4:5], 1, v22
	s_xor_b64 s[4:5], s[4:5], -1
	s_and_saveexec_b64 s[26:27], s[4:5]
	s_cbranch_execz .LBB689_67
; %bb.66:
	s_mov_b32 s4, 0x652b82fe
	v_add_f64 v[14:15], v[14:15], -v[18:19]
	s_mov_b32 s5, 0x3ff71547
	v_mul_f64 v[22:23], v[14:15], s[4:5]
	s_mov_b32 s4, 0xfefa39ef
	v_rndne_f64_e32 v[22:23], v[22:23]
	s_mov_b32 s5, 0xbfe62e42
	v_fma_f64 v[24:25], s[4:5], v[22:23], v[14:15]
	s_mov_b32 s4, 0x3b39803f
	s_mov_b32 s5, 0xbc7abc9e
	v_fmac_f64_e32 v[24:25], s[4:5], v[22:23]
	s_mov_b32 s4, 0x6a5dcb37
	v_mov_b32_e32 v34, 0xfca7ab0c
	v_mov_b32_e32 v35, 0x3e928af3
	s_mov_b32 s5, 0x3e5ade15
	v_fmac_f64_e32 v[34:35], s[4:5], v[24:25]
	v_mov_b32_e32 v36, 0x623fde64
	v_mov_b32_e32 v37, 0x3ec71dee
	v_fmac_f64_e32 v[36:37], v[24:25], v[34:35]
	v_mov_b32_e32 v34, 0x7c89e6b0
	v_mov_b32_e32 v35, 0x3efa0199
	;; [unrolled: 3-line block ×8, first 2 shown]
	v_fmac_f64_e32 v[34:35], v[24:25], v[36:37]
	v_fma_f64 v[34:35], v[24:25], v[34:35], 1.0
	s_mov_b32 s4, 0
	s_mov_b32 s14, 0
	v_fma_f64 v[24:25], v[24:25], v[34:35], 1.0
	v_cvt_i32_f64_e32 v22, v[22:23]
	s_mov_b32 s5, 0x40900000
	s_mov_b32 s15, 0xc090cc00
	v_ldexp_f64 v[22:23], v[24:25], v22
	v_mov_b32_e32 v24, 0x7ff00000
	v_cmp_nlt_f64_e64 s[4:5], s[4:5], v[14:15]
	v_cmp_ngt_f64_e64 s[14:15], s[14:15], v[14:15]
	v_cndmask_b32_e64 v23, v24, v23, s[4:5]
	s_and_b64 s[4:5], s[14:15], s[4:5]
	v_cndmask_b32_e64 v25, 0, v23, s[14:15]
	v_cndmask_b32_e64 v24, 0, v22, s[4:5]
	v_add_f64 v[16:17], v[16:17], v[24:25]
.LBB689_67:
	s_or_b64 exec, exec, s[26:27]
.LBB689_68:
	s_or_b64 exec, exec, s[28:29]
	v_pk_mov_b32 v[14:15], 0, 0
	v_pk_mov_b32 v[22:23], v[14:15], v[14:15] op_sel:[0,1]
	s_and_saveexec_b64 s[26:27], s[24:25]
	s_cbranch_execnz .LBB689_71
; %bb.69:
	s_or_b64 exec, exec, s[26:27]
	s_and_saveexec_b64 s[24:25], s[22:23]
	s_cbranch_execnz .LBB689_74
.LBB689_70:
	s_or_b64 exec, exec, s[24:25]
	v_pk_mov_b32 v[6:7], 0, 0
	s_and_saveexec_b64 s[22:23], s[18:19]
	s_cbranch_execnz .LBB689_77
	s_branch .LBB689_80
.LBB689_71:
	global_load_ubyte v22, v[4:5], off offset:160
	s_waitcnt vmcnt(0)
	v_and_b32_e32 v22, 1, v22
	v_cmp_eq_u32_e64 s[4:5], 1, v22
	s_xor_b64 s[4:5], s[4:5], -1
	v_pk_mov_b32 v[22:23], 0, 0
	s_and_saveexec_b64 s[24:25], s[4:5]
	s_cbranch_execz .LBB689_73
; %bb.72:
	s_mov_b32 s4, 0x652b82fe
	v_add_f64 v[8:9], v[8:9], -v[18:19]
	s_mov_b32 s5, 0x3ff71547
	v_mul_f64 v[22:23], v[8:9], s[4:5]
	s_mov_b32 s4, 0xfefa39ef
	v_rndne_f64_e32 v[22:23], v[22:23]
	s_mov_b32 s5, 0xbfe62e42
	v_fma_f64 v[34:35], s[4:5], v[22:23], v[8:9]
	s_mov_b32 s4, 0x3b39803f
	s_mov_b32 s5, 0xbc7abc9e
	v_fmac_f64_e32 v[34:35], s[4:5], v[22:23]
	s_mov_b32 s4, 0x6a5dcb37
	v_mov_b32_e32 v36, 0xfca7ab0c
	v_mov_b32_e32 v37, 0x3e928af3
	s_mov_b32 s5, 0x3e5ade15
	v_fmac_f64_e32 v[36:37], s[4:5], v[34:35]
	v_mov_b32_e32 v38, 0x623fde64
	v_mov_b32_e32 v39, 0x3ec71dee
	v_fmac_f64_e32 v[38:39], v[34:35], v[36:37]
	v_mov_b32_e32 v36, 0x7c89e6b0
	v_mov_b32_e32 v37, 0x3efa0199
	;; [unrolled: 3-line block ×8, first 2 shown]
	v_fmac_f64_e32 v[36:37], v[34:35], v[38:39]
	v_fma_f64 v[36:37], v[34:35], v[36:37], 1.0
	s_mov_b32 s4, 0
	s_mov_b32 s14, 0
	v_fma_f64 v[34:35], v[34:35], v[36:37], 1.0
	v_cvt_i32_f64_e32 v22, v[22:23]
	s_mov_b32 s5, 0x40900000
	s_mov_b32 s15, 0xc090cc00
	v_ldexp_f64 v[22:23], v[34:35], v22
	v_mov_b32_e32 v34, 0x7ff00000
	v_cmp_nlt_f64_e64 s[4:5], s[4:5], v[8:9]
	v_cmp_ngt_f64_e64 s[14:15], s[14:15], v[8:9]
	v_cndmask_b32_e64 v23, v34, v23, s[4:5]
	s_and_b64 s[4:5], s[14:15], s[4:5]
	v_cndmask_b32_e64 v23, 0, v23, s[14:15]
	v_cndmask_b32_e64 v22, 0, v22, s[4:5]
	v_add_f64 v[16:17], v[16:17], v[22:23]
.LBB689_73:
	s_or_b64 exec, exec, s[24:25]
	s_or_b64 exec, exec, s[26:27]
	s_and_saveexec_b64 s[24:25], s[22:23]
	s_cbranch_execz .LBB689_70
.LBB689_74:
	global_load_ubyte v8, v[4:5], off offset:192
	v_pk_mov_b32 v[14:15], 0, 0
	s_waitcnt vmcnt(0)
	v_and_b32_e32 v8, 1, v8
	v_cmp_eq_u32_e64 s[4:5], 1, v8
	s_xor_b64 s[4:5], s[4:5], -1
	s_and_saveexec_b64 s[22:23], s[4:5]
	s_cbranch_execz .LBB689_76
; %bb.75:
	s_mov_b32 s4, 0x652b82fe
	v_add_f64 v[6:7], v[6:7], -v[18:19]
	s_mov_b32 s5, 0x3ff71547
	v_mul_f64 v[8:9], v[6:7], s[4:5]
	s_mov_b32 s4, 0xfefa39ef
	v_rndne_f64_e32 v[8:9], v[8:9]
	s_mov_b32 s5, 0xbfe62e42
	v_fma_f64 v[14:15], s[4:5], v[8:9], v[6:7]
	s_mov_b32 s4, 0x3b39803f
	s_mov_b32 s5, 0xbc7abc9e
	v_fmac_f64_e32 v[14:15], s[4:5], v[8:9]
	s_mov_b32 s4, 0x6a5dcb37
	v_mov_b32_e32 v34, 0xfca7ab0c
	v_mov_b32_e32 v35, 0x3e928af3
	s_mov_b32 s5, 0x3e5ade15
	v_fmac_f64_e32 v[34:35], s[4:5], v[14:15]
	v_mov_b32_e32 v36, 0x623fde64
	v_mov_b32_e32 v37, 0x3ec71dee
	v_fmac_f64_e32 v[36:37], v[14:15], v[34:35]
	v_mov_b32_e32 v34, 0x7c89e6b0
	v_mov_b32_e32 v35, 0x3efa0199
	;; [unrolled: 3-line block ×8, first 2 shown]
	v_fmac_f64_e32 v[34:35], v[14:15], v[36:37]
	v_fma_f64 v[34:35], v[14:15], v[34:35], 1.0
	s_mov_b32 s4, 0
	s_mov_b32 s14, 0
	v_fma_f64 v[14:15], v[14:15], v[34:35], 1.0
	v_cvt_i32_f64_e32 v8, v[8:9]
	s_mov_b32 s5, 0x40900000
	s_mov_b32 s15, 0xc090cc00
	v_ldexp_f64 v[8:9], v[14:15], v8
	v_mov_b32_e32 v14, 0x7ff00000
	v_cmp_nlt_f64_e64 s[4:5], s[4:5], v[6:7]
	v_cmp_ngt_f64_e64 s[14:15], s[14:15], v[6:7]
	v_cndmask_b32_e64 v9, v14, v9, s[4:5]
	s_and_b64 s[4:5], s[14:15], s[4:5]
	v_cndmask_b32_e64 v15, 0, v9, s[14:15]
	v_cndmask_b32_e64 v14, 0, v8, s[4:5]
	v_add_f64 v[16:17], v[16:17], v[14:15]
.LBB689_76:
	s_or_b64 exec, exec, s[22:23]
	s_or_b64 exec, exec, s[24:25]
	v_pk_mov_b32 v[6:7], 0, 0
	s_and_saveexec_b64 s[22:23], s[18:19]
	s_cbranch_execz .LBB689_80
.LBB689_77:
	global_load_ubyte v4, v[4:5], off offset:224
	v_pk_mov_b32 v[6:7], 0, 0
	s_waitcnt vmcnt(0)
	v_and_b32_e32 v4, 1, v4
	v_cmp_eq_u32_e64 s[4:5], 1, v4
	s_xor_b64 s[4:5], s[4:5], -1
	s_and_saveexec_b64 s[18:19], s[4:5]
	s_cbranch_execz .LBB689_79
; %bb.78:
	s_mov_b32 s4, 0x652b82fe
	v_add_f64 v[2:3], v[2:3], -v[18:19]
	s_mov_b32 s5, 0x3ff71547
	v_mul_f64 v[4:5], v[2:3], s[4:5]
	s_mov_b32 s4, 0xfefa39ef
	v_rndne_f64_e32 v[4:5], v[4:5]
	s_mov_b32 s5, 0xbfe62e42
	v_fma_f64 v[6:7], s[4:5], v[4:5], v[2:3]
	s_mov_b32 s4, 0x3b39803f
	s_mov_b32 s5, 0xbc7abc9e
	v_fmac_f64_e32 v[6:7], s[4:5], v[4:5]
	s_mov_b32 s4, 0x6a5dcb37
	v_mov_b32_e32 v8, 0xfca7ab0c
	v_mov_b32_e32 v9, 0x3e928af3
	s_mov_b32 s5, 0x3e5ade15
	v_fmac_f64_e32 v[8:9], s[4:5], v[6:7]
	v_mov_b32_e32 v18, 0x623fde64
	v_mov_b32_e32 v19, 0x3ec71dee
	v_fmac_f64_e32 v[18:19], v[6:7], v[8:9]
	v_mov_b32_e32 v8, 0x7c89e6b0
	v_mov_b32_e32 v9, 0x3efa0199
	;; [unrolled: 3-line block ×8, first 2 shown]
	v_fmac_f64_e32 v[8:9], v[6:7], v[18:19]
	v_fma_f64 v[8:9], v[6:7], v[8:9], 1.0
	s_mov_b32 s4, 0
	s_mov_b32 s14, 0
	v_fma_f64 v[6:7], v[6:7], v[8:9], 1.0
	v_cvt_i32_f64_e32 v4, v[4:5]
	s_mov_b32 s5, 0x40900000
	s_mov_b32 s15, 0xc090cc00
	v_ldexp_f64 v[4:5], v[6:7], v4
	v_mov_b32_e32 v6, 0x7ff00000
	v_cmp_nlt_f64_e64 s[4:5], s[4:5], v[2:3]
	v_cmp_ngt_f64_e64 s[14:15], s[14:15], v[2:3]
	v_cndmask_b32_e64 v5, v6, v5, s[4:5]
	s_and_b64 s[4:5], s[14:15], s[4:5]
	v_cndmask_b32_e64 v7, 0, v5, s[14:15]
	v_cndmask_b32_e64 v6, 0, v4, s[4:5]
	v_add_f64 v[16:17], v[16:17], v[6:7]
.LBB689_79:
	s_or_b64 exec, exec, s[18:19]
.LBB689_80:
	s_or_b64 exec, exec, s[22:23]
	ds_bpermute_b32 v2, v29, v16
	ds_bpermute_b32 v3, v29, v17
	v_cmp_lt_i32_e64 s[4:5], 0, v28
	s_waitcnt lgkmcnt(0)
	v_add_f64 v[2:3], v[16:17], v[2:3]
	ds_bpermute_b32 v4, v30, v2
	ds_bpermute_b32 v5, v30, v3
	s_waitcnt lgkmcnt(0)
	v_add_f64 v[2:3], v[2:3], v[4:5]
	ds_bpermute_b32 v4, v31, v2
	ds_bpermute_b32 v5, v31, v3
	;; [unrolled: 4-line block ×4, first 2 shown]
	s_and_saveexec_b64 s[14:15], s[4:5]
	s_cbranch_execz .LBB689_90
; %bb.81:
	s_and_b64 exec, exec, vcc
	s_cbranch_execz .LBB689_90
; %bb.82:
	s_waitcnt lgkmcnt(0)
	v_add_f64 v[2:3], v[2:3], v[4:5]
	v_div_scale_f64 v[4:5], s[4:5], v[2:3], v[2:3], v[12:13]
	v_rcp_f64_e32 v[8:9], v[4:5]
	v_mov_b32_e32 v16, s21
	v_add_co_u32_e32 v0, vcc, s20, v0
	v_addc_co_u32_e32 v1, vcc, v16, v1, vcc
	v_fma_f64 v[16:17], -v[4:5], v[8:9], 1.0
	v_fmac_f64_e32 v[8:9], v[8:9], v[16:17]
	v_fma_f64 v[16:17], -v[4:5], v[8:9], 1.0
	v_fmac_f64_e32 v[8:9], v[8:9], v[16:17]
	v_div_scale_f64 v[16:17], vcc, v[12:13], v[2:3], v[12:13]
	v_mul_f64 v[18:19], v[16:17], v[8:9]
	v_fma_f64 v[4:5], -v[4:5], v[18:19], v[16:17]
	v_cmp_eq_f64_e64 s[14:15], 0, v[2:3]
	s_nop 0
	v_div_fmas_f64 v[4:5], v[4:5], v[8:9], v[18:19]
	v_div_fixup_f64 v[8:9], v[4:5], v[2:3], v[12:13]
	v_mov_b32_e32 v4, 0x7ff80000
	v_cndmask_b32_e64 v9, v9, v4, s[14:15]
	v_cndmask_b32_e64 v8, v8, 0, s[14:15]
	global_store_dwordx2 v[0:1], v[8:9], off
	s_and_b64 exec, exec, s[12:13]
	s_cbranch_execz .LBB689_90
; %bb.83:
	v_div_scale_f64 v[8:9], s[4:5], v[2:3], v[2:3], v[20:21]
	v_rcp_f64_e32 v[12:13], v[8:9]
	v_div_scale_f64 v[16:17], vcc, v[20:21], v[2:3], v[20:21]
	v_fma_f64 v[18:19], -v[8:9], v[12:13], 1.0
	v_fmac_f64_e32 v[12:13], v[12:13], v[18:19]
	v_fma_f64 v[18:19], -v[8:9], v[12:13], 1.0
	v_fmac_f64_e32 v[12:13], v[12:13], v[18:19]
	v_mul_f64 v[18:19], v[16:17], v[12:13]
	v_fma_f64 v[8:9], -v[8:9], v[18:19], v[16:17]
	v_div_fmas_f64 v[8:9], v[8:9], v[12:13], v[18:19]
	v_div_fixup_f64 v[8:9], v[8:9], v[2:3], v[20:21]
	v_cndmask_b32_e64 v5, v9, v4, s[14:15]
	v_cndmask_b32_e64 v4, v8, 0, s[14:15]
	global_store_dwordx2 v[0:1], v[4:5], off offset:256
	s_and_b64 exec, exec, s[10:11]
	s_cbranch_execz .LBB689_90
; %bb.84:
	v_div_scale_f64 v[4:5], s[4:5], v[2:3], v[2:3], v[10:11]
	v_rcp_f64_e32 v[8:9], v[4:5]
	v_div_scale_f64 v[12:13], vcc, v[10:11], v[2:3], v[10:11]
	v_fma_f64 v[16:17], -v[4:5], v[8:9], 1.0
	v_fmac_f64_e32 v[8:9], v[8:9], v[16:17]
	v_fma_f64 v[16:17], -v[4:5], v[8:9], 1.0
	v_fmac_f64_e32 v[8:9], v[8:9], v[16:17]
	v_mul_f64 v[16:17], v[12:13], v[8:9]
	v_fma_f64 v[4:5], -v[4:5], v[16:17], v[12:13]
	v_div_fmas_f64 v[4:5], v[4:5], v[8:9], v[16:17]
	v_div_fixup_f64 v[8:9], v[4:5], v[2:3], v[10:11]
	v_mov_b32_e32 v4, 0x7ff80000
	v_cndmask_b32_e64 v9, v9, v4, s[14:15]
	v_cndmask_b32_e64 v8, v8, 0, s[14:15]
	global_store_dwordx2 v[0:1], v[8:9], off offset:512
	s_and_b64 exec, exec, s[8:9]
	s_cbranch_execz .LBB689_90
; %bb.85:
	v_div_scale_f64 v[8:9], s[4:5], v[2:3], v[2:3], v[26:27]
	v_rcp_f64_e32 v[10:11], v[8:9]
	v_div_scale_f64 v[12:13], vcc, v[26:27], v[2:3], v[26:27]
	v_fma_f64 v[16:17], -v[8:9], v[10:11], 1.0
	v_fmac_f64_e32 v[10:11], v[10:11], v[16:17]
	v_fma_f64 v[16:17], -v[8:9], v[10:11], 1.0
	v_fmac_f64_e32 v[10:11], v[10:11], v[16:17]
	v_mul_f64 v[16:17], v[12:13], v[10:11]
	v_fma_f64 v[8:9], -v[8:9], v[16:17], v[12:13]
	v_div_fmas_f64 v[8:9], v[8:9], v[10:11], v[16:17]
	v_div_fixup_f64 v[8:9], v[8:9], v[2:3], v[26:27]
	v_cndmask_b32_e64 v5, v9, v4, s[14:15]
	v_cndmask_b32_e64 v4, v8, 0, s[14:15]
	global_store_dwordx2 v[0:1], v[4:5], off offset:768
	s_and_b64 exec, exec, s[6:7]
	s_cbranch_execz .LBB689_90
; %bb.86:
	v_div_scale_f64 v[4:5], s[4:5], v[2:3], v[2:3], v[24:25]
	v_rcp_f64_e32 v[8:9], v[4:5]
	v_div_scale_f64 v[10:11], vcc, v[24:25], v[2:3], v[24:25]
	v_fma_f64 v[12:13], -v[4:5], v[8:9], 1.0
	v_fmac_f64_e32 v[8:9], v[8:9], v[12:13]
	v_fma_f64 v[12:13], -v[4:5], v[8:9], 1.0
	v_fmac_f64_e32 v[8:9], v[8:9], v[12:13]
	v_mul_f64 v[12:13], v[10:11], v[8:9]
	v_fma_f64 v[4:5], -v[4:5], v[12:13], v[10:11]
	v_div_fmas_f64 v[4:5], v[4:5], v[8:9], v[12:13]
	v_div_fixup_f64 v[8:9], v[4:5], v[2:3], v[24:25]
	v_mov_b32_e32 v4, 0x7ff80000
	v_cndmask_b32_e64 v9, v9, v4, s[14:15]
	v_cndmask_b32_e64 v8, v8, 0, s[14:15]
	global_store_dwordx2 v[0:1], v[8:9], off offset:1024
	;; [unrolled: 35-line block ×3, first 2 shown]
	s_and_b64 exec, exec, s[0:1]
	s_cbranch_execz .LBB689_90
; %bb.89:
	v_div_scale_f64 v[8:9], s[0:1], v[2:3], v[2:3], v[6:7]
	v_rcp_f64_e32 v[10:11], v[8:9]
	v_div_scale_f64 v[12:13], vcc, v[6:7], v[2:3], v[6:7]
	v_fma_f64 v[14:15], -v[8:9], v[10:11], 1.0
	v_fmac_f64_e32 v[10:11], v[10:11], v[14:15]
	v_fma_f64 v[14:15], -v[8:9], v[10:11], 1.0
	v_fmac_f64_e32 v[10:11], v[10:11], v[14:15]
	v_mul_f64 v[14:15], v[12:13], v[10:11]
	v_fma_f64 v[8:9], -v[8:9], v[14:15], v[12:13]
	v_div_fmas_f64 v[8:9], v[8:9], v[10:11], v[14:15]
	v_div_fixup_f64 v[2:3], v[8:9], v[2:3], v[6:7]
	v_cndmask_b32_e64 v3, v3, v4, s[14:15]
	v_cndmask_b32_e64 v2, v2, 0, s[14:15]
	global_store_dwordx2 v[0:1], v[2:3], off offset:1792
.LBB689_90:
	s_endpgm
	.section	.rodata,"a",@progbits
	.p2align	6, 0x0
	.amdhsa_kernel _ZN12_GLOBAL__N_120softmax_warp_forwardIdddLi8ELb0ELb1ELi32EEEvPT0_PKT_iiiPKbib
		.amdhsa_group_segment_fixed_size 0
		.amdhsa_private_segment_fixed_size 0
		.amdhsa_kernarg_size 304
		.amdhsa_user_sgpr_count 6
		.amdhsa_user_sgpr_private_segment_buffer 1
		.amdhsa_user_sgpr_dispatch_ptr 0
		.amdhsa_user_sgpr_queue_ptr 0
		.amdhsa_user_sgpr_kernarg_segment_ptr 1
		.amdhsa_user_sgpr_dispatch_id 0
		.amdhsa_user_sgpr_flat_scratch_init 0
		.amdhsa_user_sgpr_kernarg_preload_length 0
		.amdhsa_user_sgpr_kernarg_preload_offset 0
		.amdhsa_user_sgpr_private_segment_size 0
		.amdhsa_uses_dynamic_stack 0
		.amdhsa_system_sgpr_private_segment_wavefront_offset 0
		.amdhsa_system_sgpr_workgroup_id_x 1
		.amdhsa_system_sgpr_workgroup_id_y 0
		.amdhsa_system_sgpr_workgroup_id_z 0
		.amdhsa_system_sgpr_workgroup_info 0
		.amdhsa_system_vgpr_workitem_id 1
		.amdhsa_next_free_vgpr 40
		.amdhsa_next_free_sgpr 44
		.amdhsa_accum_offset 40
		.amdhsa_reserve_vcc 1
		.amdhsa_reserve_flat_scratch 0
		.amdhsa_float_round_mode_32 0
		.amdhsa_float_round_mode_16_64 0
		.amdhsa_float_denorm_mode_32 3
		.amdhsa_float_denorm_mode_16_64 3
		.amdhsa_dx10_clamp 1
		.amdhsa_ieee_mode 1
		.amdhsa_fp16_overflow 0
		.amdhsa_tg_split 0
		.amdhsa_exception_fp_ieee_invalid_op 0
		.amdhsa_exception_fp_denorm_src 0
		.amdhsa_exception_fp_ieee_div_zero 0
		.amdhsa_exception_fp_ieee_overflow 0
		.amdhsa_exception_fp_ieee_underflow 0
		.amdhsa_exception_fp_ieee_inexact 0
		.amdhsa_exception_int_div_zero 0
	.end_amdhsa_kernel
	.section	.text._ZN12_GLOBAL__N_120softmax_warp_forwardIdddLi8ELb0ELb1ELi32EEEvPT0_PKT_iiiPKbib,"axG",@progbits,_ZN12_GLOBAL__N_120softmax_warp_forwardIdddLi8ELb0ELb1ELi32EEEvPT0_PKT_iiiPKbib,comdat
.Lfunc_end689:
	.size	_ZN12_GLOBAL__N_120softmax_warp_forwardIdddLi8ELb0ELb1ELi32EEEvPT0_PKT_iiiPKbib, .Lfunc_end689-_ZN12_GLOBAL__N_120softmax_warp_forwardIdddLi8ELb0ELb1ELi32EEEvPT0_PKT_iiiPKbib
                                        ; -- End function
	.section	.AMDGPU.csdata,"",@progbits
; Kernel info:
; codeLenInByte = 6692
; NumSgprs: 48
; NumVgprs: 40
; NumAgprs: 0
; TotalNumVgprs: 40
; ScratchSize: 0
; MemoryBound: 0
; FloatMode: 240
; IeeeMode: 1
; LDSByteSize: 0 bytes/workgroup (compile time only)
; SGPRBlocks: 5
; VGPRBlocks: 4
; NumSGPRsForWavesPerEU: 48
; NumVGPRsForWavesPerEU: 40
; AccumOffset: 40
; Occupancy: 8
; WaveLimiterHint : 0
; COMPUTE_PGM_RSRC2:SCRATCH_EN: 0
; COMPUTE_PGM_RSRC2:USER_SGPR: 6
; COMPUTE_PGM_RSRC2:TRAP_HANDLER: 0
; COMPUTE_PGM_RSRC2:TGID_X_EN: 1
; COMPUTE_PGM_RSRC2:TGID_Y_EN: 0
; COMPUTE_PGM_RSRC2:TGID_Z_EN: 0
; COMPUTE_PGM_RSRC2:TIDIG_COMP_CNT: 1
; COMPUTE_PGM_RSRC3_GFX90A:ACCUM_OFFSET: 9
; COMPUTE_PGM_RSRC3_GFX90A:TG_SPLIT: 0
	.section	.text._ZN12_GLOBAL__N_120softmax_warp_forwardIdddLi9ELb0ELb1ELi64EEEvPT0_PKT_iiiPKbib,"axG",@progbits,_ZN12_GLOBAL__N_120softmax_warp_forwardIdddLi9ELb0ELb1ELi64EEEvPT0_PKT_iiiPKbib,comdat
	.globl	_ZN12_GLOBAL__N_120softmax_warp_forwardIdddLi9ELb0ELb1ELi64EEEvPT0_PKT_iiiPKbib ; -- Begin function _ZN12_GLOBAL__N_120softmax_warp_forwardIdddLi9ELb0ELb1ELi64EEEvPT0_PKT_iiiPKbib
	.p2align	8
	.type	_ZN12_GLOBAL__N_120softmax_warp_forwardIdddLi9ELb0ELb1ELi64EEEvPT0_PKT_iiiPKbib,@function
_ZN12_GLOBAL__N_120softmax_warp_forwardIdddLi9ELb0ELb1ELi64EEEvPT0_PKT_iiiPKbib: ; @_ZN12_GLOBAL__N_120softmax_warp_forwardIdddLi9ELb0ELb1ELi64EEEvPT0_PKT_iiiPKbib
; %bb.0:
	s_load_dword s2, s[4:5], 0x3c
	s_load_dwordx4 s[16:19], s[4:5], 0x10
	s_load_dwordx2 s[0:1], s[4:5], 0x28
	v_bfe_u32 v1, v0, 10, 10
	v_and_b32_e32 v4, 0x3ff, v0
	s_waitcnt lgkmcnt(0)
	s_lshr_b32 s2, s2, 16
	s_mul_i32 s6, s6, s2
	v_add_u32_e32 v2, s6, v1
	v_mul_lo_u32 v3, v2, s17
	v_add_u32_e32 v0, v3, v4
	v_ashrrev_i32_e32 v1, 31, v0
	s_bitcmp0_b32 s1, 0
	v_pk_mov_b32 v[10:11], v[0:1], v[0:1] op_sel:[0,1]
	s_cbranch_scc1 .LBB690_2
; %bb.1:
	s_abs_i32 s1, s0
	v_cvt_f32_u32_e32 v5, s1
	v_xor_b32_e32 v6, s0, v3
	v_sub_u32_e32 v7, 0, v3
	s_sub_i32 s0, 0, s1
	v_rcp_iflag_f32_e32 v5, v5
	v_max_i32_e32 v3, v3, v7
	v_ashrrev_i32_e32 v6, 31, v6
	v_mul_f32_e32 v5, 0x4f7ffffe, v5
	v_cvt_u32_f32_e32 v5, v5
	v_mul_lo_u32 v7, s0, v5
	v_mul_hi_u32 v7, v5, v7
	v_add_u32_e32 v5, v5, v7
	v_mul_hi_u32 v5, v3, v5
	v_mul_lo_u32 v7, v5, s1
	v_sub_u32_e32 v3, v3, v7
	v_add_u32_e32 v8, 1, v5
	v_cmp_le_u32_e32 vcc, s1, v3
	v_subrev_u32_e32 v7, s1, v3
	v_cndmask_b32_e32 v5, v5, v8, vcc
	v_cndmask_b32_e32 v3, v3, v7, vcc
	v_add_u32_e32 v7, 1, v5
	v_cmp_le_u32_e32 vcc, s1, v3
	v_cndmask_b32_e32 v3, v5, v7, vcc
	v_xor_b32_e32 v3, v3, v6
	v_sub_u32_e32 v3, v3, v6
	v_mad_u64_u32 v[10:11], s[0:1], v3, s17, v[4:5]
	v_ashrrev_i32_e32 v11, 31, v10
.LBB690_2:
	s_load_dwordx4 s[20:23], s[4:5], 0x0
	v_lshlrev_b64 v[0:1], 3, v[0:1]
	v_sub_u32_e32 v28, s16, v2
	v_mov_b32_e32 v26, 0
	v_cmp_lt_i32_e64 s[14:15], 0, v28
	s_waitcnt lgkmcnt(0)
	v_mov_b32_e32 v2, s23
	v_add_co_u32_e32 v14, vcc, s22, v0
	v_addc_co_u32_e32 v15, vcc, v2, v1, vcc
	v_cmp_gt_i32_e32 vcc, s18, v4
	v_mov_b32_e32 v27, 0xfff00000
	s_and_b64 s[36:37], s[14:15], vcc
	v_pk_mov_b32 v[22:23], v[26:27], v[26:27] op_sel:[0,1]
	s_and_saveexec_b64 s[0:1], s[36:37]
	s_cbranch_execz .LBB690_4
; %bb.3:
	global_load_dwordx2 v[22:23], v[14:15], off
.LBB690_4:
	s_or_b64 exec, exec, s[0:1]
	v_add_u32_e32 v2, 64, v4
	v_cmp_gt_i32_e64 s[12:13], s18, v2
	s_and_b64 s[34:35], s[14:15], s[12:13]
	s_and_saveexec_b64 s[0:1], s[34:35]
	s_cbranch_execz .LBB690_6
; %bb.5:
	global_load_dwordx2 v[26:27], v[14:15], off offset:512
.LBB690_6:
	s_or_b64 exec, exec, s[0:1]
	v_add_u32_e32 v2, 0x80, v4
	v_mov_b32_e32 v20, 0
	v_cmp_gt_i32_e64 s[10:11], s18, v2
	v_mov_b32_e32 v21, 0xfff00000
	s_and_b64 s[30:31], s[14:15], s[10:11]
	v_pk_mov_b32 v[24:25], v[20:21], v[20:21] op_sel:[0,1]
	s_and_saveexec_b64 s[0:1], s[30:31]
	s_cbranch_execz .LBB690_8
; %bb.7:
	global_load_dwordx2 v[24:25], v[14:15], off offset:1024
.LBB690_8:
	s_or_b64 exec, exec, s[0:1]
	v_add_u32_e32 v2, 0xc0, v4
	v_cmp_gt_i32_e64 s[8:9], s18, v2
	s_and_b64 s[28:29], s[14:15], s[8:9]
	s_and_saveexec_b64 s[0:1], s[28:29]
	s_cbranch_execz .LBB690_10
; %bb.9:
	global_load_dwordx2 v[20:21], v[14:15], off offset:1536
.LBB690_10:
	s_or_b64 exec, exec, s[0:1]
	v_add_u32_e32 v2, 0x100, v4
	v_mov_b32_e32 v8, 0
	v_cmp_gt_i32_e64 s[6:7], s18, v2
	v_mov_b32_e32 v9, 0xfff00000
	s_and_b64 s[26:27], s[14:15], s[6:7]
	v_pk_mov_b32 v[12:13], v[8:9], v[8:9] op_sel:[0,1]
	s_and_saveexec_b64 s[0:1], s[26:27]
	s_cbranch_execz .LBB690_12
; %bb.11:
	global_load_dwordx2 v[12:13], v[14:15], off offset:2048
.LBB690_12:
	s_or_b64 exec, exec, s[0:1]
	v_add_u32_e32 v2, 0x140, v4
	v_cmp_gt_i32_e64 s[16:17], s18, v2
	s_and_b64 s[24:25], s[14:15], s[16:17]
	s_and_saveexec_b64 s[0:1], s[24:25]
	s_cbranch_execz .LBB690_14
; %bb.13:
	global_load_dwordx2 v[8:9], v[14:15], off offset:2560
.LBB690_14:
	s_or_b64 exec, exec, s[0:1]
	v_add_u32_e32 v2, 0x180, v4
	v_cmp_gt_i32_e64 s[2:3], s18, v2
	v_mov_b32_e32 v2, 0
	v_mov_b32_e32 v3, 0xfff00000
	s_and_b64 s[22:23], s[14:15], s[2:3]
	v_pk_mov_b32 v[6:7], v[2:3], v[2:3] op_sel:[0,1]
	s_and_saveexec_b64 s[0:1], s[22:23]
	s_cbranch_execz .LBB690_16
; %bb.15:
	global_load_dwordx2 v[6:7], v[14:15], off offset:3072
.LBB690_16:
	s_or_b64 exec, exec, s[0:1]
	v_add_u32_e32 v4, 0x1c0, v4
	v_cmp_gt_i32_e64 s[0:1], s18, v4
	s_and_b64 s[18:19], s[14:15], s[0:1]
	s_and_saveexec_b64 s[14:15], s[18:19]
	s_cbranch_execz .LBB690_18
; %bb.17:
	global_load_dwordx2 v[2:3], v[14:15], off offset:3584
.LBB690_18:
	s_or_b64 exec, exec, s[14:15]
	s_load_dwordx2 s[4:5], s[4:5], 0x20
	s_mov_b64 s[14:15], 0
	s_waitcnt lgkmcnt(0)
	v_mov_b32_e32 v5, s5
	v_add_co_u32_e64 v4, s[4:5], s4, v10
	v_addc_co_u32_e64 v5, s[4:5], v5, v11, s[4:5]
	s_and_saveexec_b64 s[38:39], s[36:37]
	s_cbranch_execnz .LBB690_26
; %bb.19:
	s_or_b64 exec, exec, s[38:39]
	s_waitcnt vmcnt(0)
	v_pk_mov_b32 v[10:11], v[22:23], v[22:23] op_sel:[0,1]
	s_and_saveexec_b64 s[38:39], s[34:35]
	s_cbranch_execnz .LBB690_27
.LBB690_20:
	s_or_b64 exec, exec, s[38:39]
	s_and_saveexec_b64 s[38:39], s[30:31]
	s_cbranch_execnz .LBB690_30
.LBB690_21:
	s_or_b64 exec, exec, s[38:39]
	s_and_saveexec_b64 s[38:39], s[28:29]
	s_cbranch_execnz .LBB690_33
.LBB690_22:
	s_or_b64 exec, exec, s[38:39]
	s_and_saveexec_b64 s[38:39], s[26:27]
	s_cbranch_execnz .LBB690_36
.LBB690_23:
	s_or_b64 exec, exec, s[38:39]
	s_and_saveexec_b64 s[38:39], s[24:25]
	s_cbranch_execnz .LBB690_39
.LBB690_24:
	s_or_b64 exec, exec, s[38:39]
	s_and_saveexec_b64 s[38:39], s[22:23]
	s_cbranch_execnz .LBB690_42
.LBB690_25:
	s_or_b64 exec, exec, s[38:39]
	s_and_saveexec_b64 s[38:39], s[18:19]
	s_cbranch_execnz .LBB690_45
	s_branch .LBB690_48
.LBB690_26:
	global_load_ubyte v10, v[4:5], off
	s_waitcnt vmcnt(0)
	v_and_b32_e32 v10, 1, v10
	v_cmp_eq_u32_e64 s[4:5], 1, v10
	s_xor_b64 s[4:5], s[4:5], -1
	s_and_b64 s[14:15], s[4:5], exec
	s_or_b64 exec, exec, s[38:39]
	v_pk_mov_b32 v[10:11], v[22:23], v[22:23] op_sel:[0,1]
	s_and_saveexec_b64 s[38:39], s[34:35]
	s_cbranch_execz .LBB690_20
.LBB690_27:
	global_load_ubyte v10, v[4:5], off offset:64
	s_mov_b64 s[40:41], s[14:15]
	s_waitcnt vmcnt(0)
	v_and_b32_e32 v10, 1, v10
	v_cmp_eq_u32_e64 s[4:5], 1, v10
	s_xor_b64 s[4:5], s[4:5], -1
	v_pk_mov_b32 v[10:11], v[22:23], v[22:23] op_sel:[0,1]
	s_and_saveexec_b64 s[42:43], s[4:5]
; %bb.28:
	v_cmp_gt_f64_e64 s[4:5], v[22:23], v[26:27]
	s_and_b64 s[4:5], s[14:15], s[4:5]
	v_cndmask_b32_e64 v11, v27, v23, s[4:5]
	v_cndmask_b32_e64 v10, v26, v22, s[4:5]
	s_or_b64 s[40:41], s[14:15], exec
; %bb.29:
	s_or_b64 exec, exec, s[42:43]
	s_andn2_b64 s[4:5], s[14:15], exec
	s_and_b64 s[14:15], s[40:41], exec
	s_or_b64 s[14:15], s[4:5], s[14:15]
	s_or_b64 exec, exec, s[38:39]
	s_and_saveexec_b64 s[38:39], s[30:31]
	s_cbranch_execz .LBB690_21
.LBB690_30:
	global_load_ubyte v14, v[4:5], off offset:128
	s_waitcnt vmcnt(0)
	v_and_b32_e32 v14, 1, v14
	v_cmp_eq_u32_e64 s[4:5], 1, v14
	s_xor_b64 s[42:43], s[4:5], -1
	s_mov_b64 s[4:5], s[14:15]
	s_and_saveexec_b64 s[40:41], s[42:43]
; %bb.31:
	v_cmp_gt_f64_e64 s[4:5], v[10:11], v[24:25]
	s_and_b64 s[4:5], s[14:15], s[4:5]
	v_cndmask_b32_e64 v11, v25, v11, s[4:5]
	v_cndmask_b32_e64 v10, v24, v10, s[4:5]
	s_or_b64 s[4:5], s[14:15], exec
; %bb.32:
	s_or_b64 exec, exec, s[40:41]
	s_andn2_b64 s[14:15], s[14:15], exec
	s_and_b64 s[4:5], s[4:5], exec
	s_or_b64 s[14:15], s[14:15], s[4:5]
	s_or_b64 exec, exec, s[38:39]
	s_and_saveexec_b64 s[38:39], s[28:29]
	s_cbranch_execz .LBB690_22
.LBB690_33:
	global_load_ubyte v14, v[4:5], off offset:192
	s_waitcnt vmcnt(0)
	v_and_b32_e32 v14, 1, v14
	v_cmp_eq_u32_e64 s[4:5], 1, v14
	s_xor_b64 s[42:43], s[4:5], -1
	s_mov_b64 s[4:5], s[14:15]
	s_and_saveexec_b64 s[40:41], s[42:43]
; %bb.34:
	v_cmp_gt_f64_e64 s[4:5], v[10:11], v[20:21]
	s_and_b64 s[4:5], s[14:15], s[4:5]
	v_cndmask_b32_e64 v11, v21, v11, s[4:5]
	v_cndmask_b32_e64 v10, v20, v10, s[4:5]
	s_or_b64 s[4:5], s[14:15], exec
; %bb.35:
	s_or_b64 exec, exec, s[40:41]
	s_andn2_b64 s[14:15], s[14:15], exec
	s_and_b64 s[4:5], s[4:5], exec
	s_or_b64 s[14:15], s[14:15], s[4:5]
	s_or_b64 exec, exec, s[38:39]
	s_and_saveexec_b64 s[38:39], s[26:27]
	s_cbranch_execz .LBB690_23
.LBB690_36:
	global_load_ubyte v14, v[4:5], off offset:256
	s_waitcnt vmcnt(0)
	v_and_b32_e32 v14, 1, v14
	v_cmp_eq_u32_e64 s[4:5], 1, v14
	s_xor_b64 s[42:43], s[4:5], -1
	s_mov_b64 s[4:5], s[14:15]
	s_and_saveexec_b64 s[40:41], s[42:43]
; %bb.37:
	v_cmp_gt_f64_e64 s[4:5], v[10:11], v[12:13]
	s_and_b64 s[4:5], s[14:15], s[4:5]
	v_cndmask_b32_e64 v11, v13, v11, s[4:5]
	v_cndmask_b32_e64 v10, v12, v10, s[4:5]
	s_or_b64 s[4:5], s[14:15], exec
; %bb.38:
	s_or_b64 exec, exec, s[40:41]
	s_andn2_b64 s[14:15], s[14:15], exec
	s_and_b64 s[4:5], s[4:5], exec
	s_or_b64 s[14:15], s[14:15], s[4:5]
	s_or_b64 exec, exec, s[38:39]
	s_and_saveexec_b64 s[38:39], s[24:25]
	s_cbranch_execz .LBB690_24
.LBB690_39:
	global_load_ubyte v14, v[4:5], off offset:320
	s_waitcnt vmcnt(0)
	v_and_b32_e32 v14, 1, v14
	v_cmp_eq_u32_e64 s[4:5], 1, v14
	s_xor_b64 s[42:43], s[4:5], -1
	s_mov_b64 s[4:5], s[14:15]
	s_and_saveexec_b64 s[40:41], s[42:43]
; %bb.40:
	v_cmp_gt_f64_e64 s[4:5], v[10:11], v[8:9]
	s_and_b64 s[4:5], s[14:15], s[4:5]
	v_cndmask_b32_e64 v11, v9, v11, s[4:5]
	v_cndmask_b32_e64 v10, v8, v10, s[4:5]
	s_or_b64 s[4:5], s[14:15], exec
; %bb.41:
	s_or_b64 exec, exec, s[40:41]
	s_andn2_b64 s[14:15], s[14:15], exec
	s_and_b64 s[4:5], s[4:5], exec
	s_or_b64 s[14:15], s[14:15], s[4:5]
	s_or_b64 exec, exec, s[38:39]
	s_and_saveexec_b64 s[38:39], s[22:23]
	s_cbranch_execz .LBB690_25
.LBB690_42:
	global_load_ubyte v14, v[4:5], off offset:384
	s_waitcnt vmcnt(0)
	v_and_b32_e32 v14, 1, v14
	v_cmp_eq_u32_e64 s[4:5], 1, v14
	s_xor_b64 s[42:43], s[4:5], -1
	s_mov_b64 s[4:5], s[14:15]
	s_and_saveexec_b64 s[40:41], s[42:43]
; %bb.43:
	v_cmp_gt_f64_e64 s[4:5], v[10:11], v[6:7]
	s_and_b64 s[4:5], s[14:15], s[4:5]
	v_cndmask_b32_e64 v11, v7, v11, s[4:5]
	v_cndmask_b32_e64 v10, v6, v10, s[4:5]
	s_or_b64 s[4:5], s[14:15], exec
; %bb.44:
	s_or_b64 exec, exec, s[40:41]
	s_andn2_b64 s[14:15], s[14:15], exec
	s_and_b64 s[4:5], s[4:5], exec
	s_or_b64 s[14:15], s[14:15], s[4:5]
	s_or_b64 exec, exec, s[38:39]
	s_and_saveexec_b64 s[38:39], s[18:19]
	s_cbranch_execz .LBB690_48
.LBB690_45:
	global_load_ubyte v14, v[4:5], off offset:448
	s_waitcnt vmcnt(0)
	v_and_b32_e32 v14, 1, v14
	v_cmp_eq_u32_e64 s[4:5], 1, v14
	s_xor_b64 s[42:43], s[4:5], -1
	s_mov_b64 s[4:5], s[14:15]
	s_and_saveexec_b64 s[40:41], s[42:43]
; %bb.46:
	v_cmp_gt_f64_e64 s[4:5], v[10:11], v[2:3]
	s_and_b64 s[4:5], s[14:15], s[4:5]
	v_cndmask_b32_e64 v11, v3, v11, s[4:5]
	v_cndmask_b32_e64 v10, v2, v10, s[4:5]
	s_or_b64 s[4:5], s[14:15], exec
; %bb.47:
	s_or_b64 exec, exec, s[40:41]
	s_andn2_b64 s[14:15], s[14:15], exec
	s_and_b64 s[4:5], s[4:5], exec
	s_or_b64 s[14:15], s[14:15], s[4:5]
.LBB690_48:
	s_or_b64 exec, exec, s[38:39]
	v_mov_b32_e32 v14, 0xfff00000
	v_cndmask_b32_e64 v11, v14, v11, s[14:15]
	v_mbcnt_lo_u32_b32 v14, -1, 0
	v_mbcnt_hi_u32_b32 v16, -1, v14
	v_and_b32_e32 v14, 64, v16
	v_add_u32_e32 v17, 64, v14
	v_xor_b32_e32 v14, 32, v16
	v_cmp_lt_i32_e64 s[4:5], v14, v17
	v_cndmask_b32_e64 v14, v16, v14, s[4:5]
	v_cndmask_b32_e64 v10, 0, v10, s[14:15]
	v_lshlrev_b32_e32 v29, 2, v14
	ds_bpermute_b32 v14, v29, v10
	ds_bpermute_b32 v15, v29, v11
	s_waitcnt lgkmcnt(0)
	v_cmp_lt_f64_e64 s[4:5], v[10:11], v[14:15]
	v_cndmask_b32_e64 v10, v10, v14, s[4:5]
	v_xor_b32_e32 v14, 16, v16
	v_cndmask_b32_e64 v11, v11, v15, s[4:5]
	v_cmp_lt_i32_e64 s[4:5], v14, v17
	v_cndmask_b32_e64 v14, v16, v14, s[4:5]
	v_lshlrev_b32_e32 v30, 2, v14
	ds_bpermute_b32 v14, v30, v10
	ds_bpermute_b32 v15, v30, v11
	s_waitcnt lgkmcnt(0)
	v_cmp_lt_f64_e64 s[4:5], v[10:11], v[14:15]
	v_cndmask_b32_e64 v10, v10, v14, s[4:5]
	v_xor_b32_e32 v14, 8, v16
	v_cndmask_b32_e64 v11, v11, v15, s[4:5]
	v_cmp_lt_i32_e64 s[4:5], v14, v17
	;; [unrolled: 10-line block ×5, first 2 shown]
	v_cndmask_b32_e64 v14, v16, v14, s[4:5]
	v_lshlrev_b32_e32 v34, 2, v14
	ds_bpermute_b32 v14, v34, v10
	ds_bpermute_b32 v15, v34, v11
	s_waitcnt lgkmcnt(0)
	v_cmp_lt_f64_e64 s[4:5], v[10:11], v[14:15]
	v_cndmask_b32_e64 v19, v11, v15, s[4:5]
	v_cndmask_b32_e64 v18, v10, v14, s[4:5]
	v_pk_mov_b32 v[10:11], 0, 0
	v_pk_mov_b32 v[14:15], v[10:11], v[10:11] op_sel:[0,1]
	v_pk_mov_b32 v[16:17], v[10:11], v[10:11] op_sel:[0,1]
	s_and_saveexec_b64 s[38:39], s[36:37]
	s_cbranch_execnz .LBB690_51
; %bb.49:
	s_or_b64 exec, exec, s[38:39]
	v_pk_mov_b32 v[22:23], v[10:11], v[10:11] op_sel:[0,1]
	s_and_saveexec_b64 s[36:37], s[34:35]
	s_cbranch_execnz .LBB690_54
.LBB690_50:
	s_or_b64 exec, exec, s[36:37]
	s_and_saveexec_b64 s[34:35], s[30:31]
	s_cbranch_execnz .LBB690_57
	s_branch .LBB690_60
.LBB690_51:
	global_load_ubyte v14, v[4:5], off
	v_pk_mov_b32 v[16:17], 0, 0
	s_waitcnt vmcnt(0)
	v_and_b32_e32 v14, 1, v14
	v_cmp_eq_u32_e64 s[4:5], 1, v14
	s_xor_b64 s[4:5], s[4:5], -1
	v_pk_mov_b32 v[14:15], v[16:17], v[16:17] op_sel:[0,1]
	s_and_saveexec_b64 s[36:37], s[4:5]
	s_cbranch_execz .LBB690_53
; %bb.52:
	s_mov_b32 s4, 0x652b82fe
	v_add_f64 v[14:15], v[22:23], -v[18:19]
	s_mov_b32 s5, 0x3ff71547
	v_mul_f64 v[16:17], v[14:15], s[4:5]
	s_mov_b32 s4, 0xfefa39ef
	v_rndne_f64_e32 v[16:17], v[16:17]
	s_mov_b32 s5, 0xbfe62e42
	v_fma_f64 v[22:23], s[4:5], v[16:17], v[14:15]
	s_mov_b32 s4, 0x3b39803f
	s_mov_b32 s5, 0xbc7abc9e
	v_fmac_f64_e32 v[22:23], s[4:5], v[16:17]
	s_mov_b32 s4, 0x6a5dcb37
	v_mov_b32_e32 v36, 0xfca7ab0c
	v_mov_b32_e32 v37, 0x3e928af3
	s_mov_b32 s5, 0x3e5ade15
	v_fmac_f64_e32 v[36:37], s[4:5], v[22:23]
	v_mov_b32_e32 v38, 0x623fde64
	v_mov_b32_e32 v39, 0x3ec71dee
	v_fmac_f64_e32 v[38:39], v[22:23], v[36:37]
	v_mov_b32_e32 v36, 0x7c89e6b0
	v_mov_b32_e32 v37, 0x3efa0199
	;; [unrolled: 3-line block ×8, first 2 shown]
	v_fmac_f64_e32 v[36:37], v[22:23], v[38:39]
	v_fma_f64 v[36:37], v[22:23], v[36:37], 1.0
	s_mov_b32 s4, 0
	s_mov_b32 s14, 0
	v_fma_f64 v[22:23], v[22:23], v[36:37], 1.0
	v_cvt_i32_f64_e32 v16, v[16:17]
	s_mov_b32 s5, 0x40900000
	s_mov_b32 s15, 0xc090cc00
	v_ldexp_f64 v[16:17], v[22:23], v16
	v_mov_b32_e32 v22, 0x7ff00000
	v_cmp_nlt_f64_e64 s[4:5], s[4:5], v[14:15]
	v_cmp_ngt_f64_e64 s[14:15], s[14:15], v[14:15]
	v_cndmask_b32_e64 v17, v22, v17, s[4:5]
	s_and_b64 s[4:5], s[14:15], s[4:5]
	v_cndmask_b32_e64 v15, 0, v17, s[14:15]
	v_cndmask_b32_e64 v14, 0, v16, s[4:5]
	v_add_f64 v[16:17], v[14:15], 0
.LBB690_53:
	s_or_b64 exec, exec, s[36:37]
	s_or_b64 exec, exec, s[38:39]
	v_pk_mov_b32 v[22:23], v[10:11], v[10:11] op_sel:[0,1]
	s_and_saveexec_b64 s[36:37], s[34:35]
	s_cbranch_execz .LBB690_50
.LBB690_54:
	global_load_ubyte v22, v[4:5], off offset:64
	s_waitcnt vmcnt(0)
	v_and_b32_e32 v22, 1, v22
	v_cmp_eq_u32_e64 s[4:5], 1, v22
	s_xor_b64 s[4:5], s[4:5], -1
	v_pk_mov_b32 v[22:23], 0, 0
	s_and_saveexec_b64 s[34:35], s[4:5]
	s_cbranch_execz .LBB690_56
; %bb.55:
	s_mov_b32 s4, 0x652b82fe
	v_add_f64 v[22:23], v[26:27], -v[18:19]
	s_mov_b32 s5, 0x3ff71547
	v_mul_f64 v[26:27], v[22:23], s[4:5]
	s_mov_b32 s4, 0xfefa39ef
	v_rndne_f64_e32 v[26:27], v[26:27]
	s_mov_b32 s5, 0xbfe62e42
	v_fma_f64 v[36:37], s[4:5], v[26:27], v[22:23]
	s_mov_b32 s4, 0x3b39803f
	s_mov_b32 s5, 0xbc7abc9e
	v_fmac_f64_e32 v[36:37], s[4:5], v[26:27]
	s_mov_b32 s4, 0x6a5dcb37
	v_mov_b32_e32 v38, 0xfca7ab0c
	v_mov_b32_e32 v39, 0x3e928af3
	s_mov_b32 s5, 0x3e5ade15
	v_fmac_f64_e32 v[38:39], s[4:5], v[36:37]
	v_mov_b32_e32 v40, 0x623fde64
	v_mov_b32_e32 v41, 0x3ec71dee
	v_fmac_f64_e32 v[40:41], v[36:37], v[38:39]
	v_mov_b32_e32 v38, 0x7c89e6b0
	v_mov_b32_e32 v39, 0x3efa0199
	;; [unrolled: 3-line block ×8, first 2 shown]
	v_fmac_f64_e32 v[38:39], v[36:37], v[40:41]
	v_fma_f64 v[38:39], v[36:37], v[38:39], 1.0
	s_mov_b32 s4, 0
	s_mov_b32 s14, 0
	v_fma_f64 v[36:37], v[36:37], v[38:39], 1.0
	v_cvt_i32_f64_e32 v26, v[26:27]
	s_mov_b32 s5, 0x40900000
	s_mov_b32 s15, 0xc090cc00
	v_ldexp_f64 v[26:27], v[36:37], v26
	v_mov_b32_e32 v35, 0x7ff00000
	v_cmp_nlt_f64_e64 s[4:5], s[4:5], v[22:23]
	v_cmp_ngt_f64_e64 s[14:15], s[14:15], v[22:23]
	v_cndmask_b32_e64 v27, v35, v27, s[4:5]
	s_and_b64 s[4:5], s[14:15], s[4:5]
	v_cndmask_b32_e64 v23, 0, v27, s[14:15]
	v_cndmask_b32_e64 v22, 0, v26, s[4:5]
	v_add_f64 v[16:17], v[16:17], v[22:23]
.LBB690_56:
	s_or_b64 exec, exec, s[34:35]
	s_or_b64 exec, exec, s[36:37]
	s_and_saveexec_b64 s[34:35], s[30:31]
	s_cbranch_execz .LBB690_60
.LBB690_57:
	global_load_ubyte v10, v[4:5], off offset:128
	s_waitcnt vmcnt(0)
	v_and_b32_e32 v10, 1, v10
	v_cmp_eq_u32_e64 s[4:5], 1, v10
	s_xor_b64 s[4:5], s[4:5], -1
	v_pk_mov_b32 v[10:11], 0, 0
	s_and_saveexec_b64 s[30:31], s[4:5]
	s_cbranch_execz .LBB690_59
; %bb.58:
	s_mov_b32 s4, 0x652b82fe
	v_add_f64 v[10:11], v[24:25], -v[18:19]
	s_mov_b32 s5, 0x3ff71547
	v_mul_f64 v[24:25], v[10:11], s[4:5]
	s_mov_b32 s4, 0xfefa39ef
	v_rndne_f64_e32 v[24:25], v[24:25]
	s_mov_b32 s5, 0xbfe62e42
	v_fma_f64 v[26:27], s[4:5], v[24:25], v[10:11]
	s_mov_b32 s4, 0x3b39803f
	s_mov_b32 s5, 0xbc7abc9e
	v_fmac_f64_e32 v[26:27], s[4:5], v[24:25]
	s_mov_b32 s4, 0x6a5dcb37
	v_mov_b32_e32 v36, 0xfca7ab0c
	v_mov_b32_e32 v37, 0x3e928af3
	s_mov_b32 s5, 0x3e5ade15
	v_fmac_f64_e32 v[36:37], s[4:5], v[26:27]
	v_mov_b32_e32 v38, 0x623fde64
	v_mov_b32_e32 v39, 0x3ec71dee
	v_fmac_f64_e32 v[38:39], v[26:27], v[36:37]
	v_mov_b32_e32 v36, 0x7c89e6b0
	v_mov_b32_e32 v37, 0x3efa0199
	;; [unrolled: 3-line block ×8, first 2 shown]
	v_fmac_f64_e32 v[36:37], v[26:27], v[38:39]
	v_fma_f64 v[36:37], v[26:27], v[36:37], 1.0
	s_mov_b32 s4, 0
	s_mov_b32 s14, 0
	v_fma_f64 v[26:27], v[26:27], v[36:37], 1.0
	v_cvt_i32_f64_e32 v24, v[24:25]
	s_mov_b32 s5, 0x40900000
	s_mov_b32 s15, 0xc090cc00
	v_ldexp_f64 v[24:25], v[26:27], v24
	v_mov_b32_e32 v26, 0x7ff00000
	v_cmp_nlt_f64_e64 s[4:5], s[4:5], v[10:11]
	v_cmp_ngt_f64_e64 s[14:15], s[14:15], v[10:11]
	v_cndmask_b32_e64 v25, v26, v25, s[4:5]
	s_and_b64 s[4:5], s[14:15], s[4:5]
	v_cndmask_b32_e64 v11, 0, v25, s[14:15]
	v_cndmask_b32_e64 v10, 0, v24, s[4:5]
	v_add_f64 v[16:17], v[16:17], v[10:11]
.LBB690_59:
	s_or_b64 exec, exec, s[30:31]
.LBB690_60:
	s_or_b64 exec, exec, s[34:35]
	v_pk_mov_b32 v[24:25], 0, 0
	v_pk_mov_b32 v[26:27], v[24:25], v[24:25] op_sel:[0,1]
	s_and_saveexec_b64 s[30:31], s[28:29]
	s_cbranch_execz .LBB690_64
; %bb.61:
	global_load_ubyte v26, v[4:5], off offset:192
	s_waitcnt vmcnt(0)
	v_and_b32_e32 v26, 1, v26
	v_cmp_eq_u32_e64 s[4:5], 1, v26
	s_xor_b64 s[4:5], s[4:5], -1
	v_pk_mov_b32 v[26:27], 0, 0
	s_and_saveexec_b64 s[28:29], s[4:5]
	s_cbranch_execz .LBB690_63
; %bb.62:
	s_mov_b32 s4, 0x652b82fe
	v_add_f64 v[20:21], v[20:21], -v[18:19]
	s_mov_b32 s5, 0x3ff71547
	v_mul_f64 v[26:27], v[20:21], s[4:5]
	s_mov_b32 s4, 0xfefa39ef
	v_rndne_f64_e32 v[26:27], v[26:27]
	s_mov_b32 s5, 0xbfe62e42
	v_fma_f64 v[36:37], s[4:5], v[26:27], v[20:21]
	s_mov_b32 s4, 0x3b39803f
	s_mov_b32 s5, 0xbc7abc9e
	v_fmac_f64_e32 v[36:37], s[4:5], v[26:27]
	s_mov_b32 s4, 0x6a5dcb37
	v_mov_b32_e32 v38, 0xfca7ab0c
	v_mov_b32_e32 v39, 0x3e928af3
	s_mov_b32 s5, 0x3e5ade15
	v_fmac_f64_e32 v[38:39], s[4:5], v[36:37]
	v_mov_b32_e32 v40, 0x623fde64
	v_mov_b32_e32 v41, 0x3ec71dee
	v_fmac_f64_e32 v[40:41], v[36:37], v[38:39]
	v_mov_b32_e32 v38, 0x7c89e6b0
	v_mov_b32_e32 v39, 0x3efa0199
	v_fmac_f64_e32 v[38:39], v[36:37], v[40:41]
	v_mov_b32_e32 v40, 0x14761f6e
	v_mov_b32_e32 v41, 0x3f2a01a0
	v_fmac_f64_e32 v[40:41], v[36:37], v[38:39]
	v_mov_b32_e32 v38, 0x1852b7b0
	v_mov_b32_e32 v39, 0x3f56c16c
	v_fmac_f64_e32 v[38:39], v[36:37], v[40:41]
	v_mov_b32_e32 v40, 0x11122322
	v_mov_b32_e32 v41, 0x3f811111
	v_fmac_f64_e32 v[40:41], v[36:37], v[38:39]
	v_mov_b32_e32 v38, 0x555502a1
	v_mov_b32_e32 v39, 0x3fa55555
	v_fmac_f64_e32 v[38:39], v[36:37], v[40:41]
	v_mov_b32_e32 v40, 0x55555511
	v_mov_b32_e32 v41, 0x3fc55555
	v_fmac_f64_e32 v[40:41], v[36:37], v[38:39]
	v_mov_b32_e32 v38, 11
	v_mov_b32_e32 v39, 0x3fe00000
	v_fmac_f64_e32 v[38:39], v[36:37], v[40:41]
	v_fma_f64 v[38:39], v[36:37], v[38:39], 1.0
	s_mov_b32 s4, 0
	s_mov_b32 s14, 0
	v_fma_f64 v[36:37], v[36:37], v[38:39], 1.0
	v_cvt_i32_f64_e32 v26, v[26:27]
	s_mov_b32 s5, 0x40900000
	s_mov_b32 s15, 0xc090cc00
	v_ldexp_f64 v[26:27], v[36:37], v26
	v_mov_b32_e32 v35, 0x7ff00000
	v_cmp_nlt_f64_e64 s[4:5], s[4:5], v[20:21]
	v_cmp_ngt_f64_e64 s[14:15], s[14:15], v[20:21]
	v_cndmask_b32_e64 v27, v35, v27, s[4:5]
	s_and_b64 s[4:5], s[14:15], s[4:5]
	v_cndmask_b32_e64 v27, 0, v27, s[14:15]
	v_cndmask_b32_e64 v26, 0, v26, s[4:5]
	v_add_f64 v[16:17], v[16:17], v[26:27]
.LBB690_63:
	s_or_b64 exec, exec, s[28:29]
.LBB690_64:
	s_or_b64 exec, exec, s[30:31]
	s_and_saveexec_b64 s[28:29], s[26:27]
	s_cbranch_execz .LBB690_68
; %bb.65:
	global_load_ubyte v20, v[4:5], off offset:256
	v_pk_mov_b32 v[24:25], 0, 0
	s_waitcnt vmcnt(0)
	v_and_b32_e32 v20, 1, v20
	v_cmp_eq_u32_e64 s[4:5], 1, v20
	s_xor_b64 s[4:5], s[4:5], -1
	s_and_saveexec_b64 s[26:27], s[4:5]
	s_cbranch_execz .LBB690_67
; %bb.66:
	s_mov_b32 s4, 0x652b82fe
	v_add_f64 v[12:13], v[12:13], -v[18:19]
	s_mov_b32 s5, 0x3ff71547
	v_mul_f64 v[20:21], v[12:13], s[4:5]
	s_mov_b32 s4, 0xfefa39ef
	v_rndne_f64_e32 v[20:21], v[20:21]
	s_mov_b32 s5, 0xbfe62e42
	v_fma_f64 v[24:25], s[4:5], v[20:21], v[12:13]
	s_mov_b32 s4, 0x3b39803f
	s_mov_b32 s5, 0xbc7abc9e
	v_fmac_f64_e32 v[24:25], s[4:5], v[20:21]
	s_mov_b32 s4, 0x6a5dcb37
	v_mov_b32_e32 v36, 0xfca7ab0c
	v_mov_b32_e32 v37, 0x3e928af3
	s_mov_b32 s5, 0x3e5ade15
	v_fmac_f64_e32 v[36:37], s[4:5], v[24:25]
	v_mov_b32_e32 v38, 0x623fde64
	v_mov_b32_e32 v39, 0x3ec71dee
	v_fmac_f64_e32 v[38:39], v[24:25], v[36:37]
	v_mov_b32_e32 v36, 0x7c89e6b0
	v_mov_b32_e32 v37, 0x3efa0199
	;; [unrolled: 3-line block ×8, first 2 shown]
	v_fmac_f64_e32 v[36:37], v[24:25], v[38:39]
	v_fma_f64 v[36:37], v[24:25], v[36:37], 1.0
	s_mov_b32 s4, 0
	s_mov_b32 s14, 0
	v_fma_f64 v[24:25], v[24:25], v[36:37], 1.0
	v_cvt_i32_f64_e32 v20, v[20:21]
	s_mov_b32 s5, 0x40900000
	s_mov_b32 s15, 0xc090cc00
	v_ldexp_f64 v[20:21], v[24:25], v20
	v_mov_b32_e32 v24, 0x7ff00000
	v_cmp_nlt_f64_e64 s[4:5], s[4:5], v[12:13]
	v_cmp_ngt_f64_e64 s[14:15], s[14:15], v[12:13]
	v_cndmask_b32_e64 v21, v24, v21, s[4:5]
	s_and_b64 s[4:5], s[14:15], s[4:5]
	v_cndmask_b32_e64 v25, 0, v21, s[14:15]
	v_cndmask_b32_e64 v24, 0, v20, s[4:5]
	v_add_f64 v[16:17], v[16:17], v[24:25]
.LBB690_67:
	s_or_b64 exec, exec, s[26:27]
.LBB690_68:
	s_or_b64 exec, exec, s[28:29]
	v_pk_mov_b32 v[12:13], 0, 0
	v_pk_mov_b32 v[20:21], v[12:13], v[12:13] op_sel:[0,1]
	s_and_saveexec_b64 s[26:27], s[24:25]
	s_cbranch_execnz .LBB690_71
; %bb.69:
	s_or_b64 exec, exec, s[26:27]
	s_and_saveexec_b64 s[24:25], s[22:23]
	s_cbranch_execnz .LBB690_74
.LBB690_70:
	s_or_b64 exec, exec, s[24:25]
	v_pk_mov_b32 v[6:7], 0, 0
	s_and_saveexec_b64 s[22:23], s[18:19]
	s_cbranch_execnz .LBB690_77
	s_branch .LBB690_80
.LBB690_71:
	global_load_ubyte v20, v[4:5], off offset:320
	s_waitcnt vmcnt(0)
	v_and_b32_e32 v20, 1, v20
	v_cmp_eq_u32_e64 s[4:5], 1, v20
	s_xor_b64 s[4:5], s[4:5], -1
	v_pk_mov_b32 v[20:21], 0, 0
	s_and_saveexec_b64 s[24:25], s[4:5]
	s_cbranch_execz .LBB690_73
; %bb.72:
	s_mov_b32 s4, 0x652b82fe
	v_add_f64 v[8:9], v[8:9], -v[18:19]
	s_mov_b32 s5, 0x3ff71547
	v_mul_f64 v[20:21], v[8:9], s[4:5]
	s_mov_b32 s4, 0xfefa39ef
	v_rndne_f64_e32 v[20:21], v[20:21]
	s_mov_b32 s5, 0xbfe62e42
	v_fma_f64 v[36:37], s[4:5], v[20:21], v[8:9]
	s_mov_b32 s4, 0x3b39803f
	s_mov_b32 s5, 0xbc7abc9e
	v_fmac_f64_e32 v[36:37], s[4:5], v[20:21]
	s_mov_b32 s4, 0x6a5dcb37
	v_mov_b32_e32 v38, 0xfca7ab0c
	v_mov_b32_e32 v39, 0x3e928af3
	s_mov_b32 s5, 0x3e5ade15
	v_fmac_f64_e32 v[38:39], s[4:5], v[36:37]
	v_mov_b32_e32 v40, 0x623fde64
	v_mov_b32_e32 v41, 0x3ec71dee
	v_fmac_f64_e32 v[40:41], v[36:37], v[38:39]
	v_mov_b32_e32 v38, 0x7c89e6b0
	v_mov_b32_e32 v39, 0x3efa0199
	;; [unrolled: 3-line block ×8, first 2 shown]
	v_fmac_f64_e32 v[38:39], v[36:37], v[40:41]
	v_fma_f64 v[38:39], v[36:37], v[38:39], 1.0
	s_mov_b32 s4, 0
	s_mov_b32 s14, 0
	v_fma_f64 v[36:37], v[36:37], v[38:39], 1.0
	v_cvt_i32_f64_e32 v20, v[20:21]
	s_mov_b32 s5, 0x40900000
	s_mov_b32 s15, 0xc090cc00
	v_ldexp_f64 v[20:21], v[36:37], v20
	v_mov_b32_e32 v35, 0x7ff00000
	v_cmp_nlt_f64_e64 s[4:5], s[4:5], v[8:9]
	v_cmp_ngt_f64_e64 s[14:15], s[14:15], v[8:9]
	v_cndmask_b32_e64 v21, v35, v21, s[4:5]
	s_and_b64 s[4:5], s[14:15], s[4:5]
	v_cndmask_b32_e64 v21, 0, v21, s[14:15]
	v_cndmask_b32_e64 v20, 0, v20, s[4:5]
	v_add_f64 v[16:17], v[16:17], v[20:21]
.LBB690_73:
	s_or_b64 exec, exec, s[24:25]
	s_or_b64 exec, exec, s[26:27]
	s_and_saveexec_b64 s[24:25], s[22:23]
	s_cbranch_execz .LBB690_70
.LBB690_74:
	global_load_ubyte v8, v[4:5], off offset:384
	v_pk_mov_b32 v[12:13], 0, 0
	s_waitcnt vmcnt(0)
	v_and_b32_e32 v8, 1, v8
	v_cmp_eq_u32_e64 s[4:5], 1, v8
	s_xor_b64 s[4:5], s[4:5], -1
	s_and_saveexec_b64 s[22:23], s[4:5]
	s_cbranch_execz .LBB690_76
; %bb.75:
	s_mov_b32 s4, 0x652b82fe
	v_add_f64 v[6:7], v[6:7], -v[18:19]
	s_mov_b32 s5, 0x3ff71547
	v_mul_f64 v[8:9], v[6:7], s[4:5]
	s_mov_b32 s4, 0xfefa39ef
	v_rndne_f64_e32 v[8:9], v[8:9]
	s_mov_b32 s5, 0xbfe62e42
	v_fma_f64 v[12:13], s[4:5], v[8:9], v[6:7]
	s_mov_b32 s4, 0x3b39803f
	s_mov_b32 s5, 0xbc7abc9e
	v_fmac_f64_e32 v[12:13], s[4:5], v[8:9]
	s_mov_b32 s4, 0x6a5dcb37
	v_mov_b32_e32 v36, 0xfca7ab0c
	v_mov_b32_e32 v37, 0x3e928af3
	s_mov_b32 s5, 0x3e5ade15
	v_fmac_f64_e32 v[36:37], s[4:5], v[12:13]
	v_mov_b32_e32 v38, 0x623fde64
	v_mov_b32_e32 v39, 0x3ec71dee
	v_fmac_f64_e32 v[38:39], v[12:13], v[36:37]
	v_mov_b32_e32 v36, 0x7c89e6b0
	v_mov_b32_e32 v37, 0x3efa0199
	;; [unrolled: 3-line block ×8, first 2 shown]
	v_fmac_f64_e32 v[36:37], v[12:13], v[38:39]
	v_fma_f64 v[36:37], v[12:13], v[36:37], 1.0
	s_mov_b32 s4, 0
	s_mov_b32 s14, 0
	v_fma_f64 v[12:13], v[12:13], v[36:37], 1.0
	v_cvt_i32_f64_e32 v8, v[8:9]
	s_mov_b32 s5, 0x40900000
	s_mov_b32 s15, 0xc090cc00
	v_ldexp_f64 v[8:9], v[12:13], v8
	v_mov_b32_e32 v12, 0x7ff00000
	v_cmp_nlt_f64_e64 s[4:5], s[4:5], v[6:7]
	v_cmp_ngt_f64_e64 s[14:15], s[14:15], v[6:7]
	v_cndmask_b32_e64 v9, v12, v9, s[4:5]
	s_and_b64 s[4:5], s[14:15], s[4:5]
	v_cndmask_b32_e64 v13, 0, v9, s[14:15]
	v_cndmask_b32_e64 v12, 0, v8, s[4:5]
	v_add_f64 v[16:17], v[16:17], v[12:13]
.LBB690_76:
	s_or_b64 exec, exec, s[22:23]
	s_or_b64 exec, exec, s[24:25]
	v_pk_mov_b32 v[6:7], 0, 0
	s_and_saveexec_b64 s[22:23], s[18:19]
	s_cbranch_execz .LBB690_80
.LBB690_77:
	global_load_ubyte v4, v[4:5], off offset:448
	v_pk_mov_b32 v[6:7], 0, 0
	s_waitcnt vmcnt(0)
	v_and_b32_e32 v4, 1, v4
	v_cmp_eq_u32_e64 s[4:5], 1, v4
	s_xor_b64 s[4:5], s[4:5], -1
	s_and_saveexec_b64 s[18:19], s[4:5]
	s_cbranch_execz .LBB690_79
; %bb.78:
	s_mov_b32 s4, 0x652b82fe
	v_add_f64 v[2:3], v[2:3], -v[18:19]
	s_mov_b32 s5, 0x3ff71547
	v_mul_f64 v[4:5], v[2:3], s[4:5]
	s_mov_b32 s4, 0xfefa39ef
	v_rndne_f64_e32 v[4:5], v[4:5]
	s_mov_b32 s5, 0xbfe62e42
	v_fma_f64 v[6:7], s[4:5], v[4:5], v[2:3]
	s_mov_b32 s4, 0x3b39803f
	s_mov_b32 s5, 0xbc7abc9e
	v_fmac_f64_e32 v[6:7], s[4:5], v[4:5]
	s_mov_b32 s4, 0x6a5dcb37
	v_mov_b32_e32 v8, 0xfca7ab0c
	v_mov_b32_e32 v9, 0x3e928af3
	s_mov_b32 s5, 0x3e5ade15
	v_fmac_f64_e32 v[8:9], s[4:5], v[6:7]
	v_mov_b32_e32 v18, 0x623fde64
	v_mov_b32_e32 v19, 0x3ec71dee
	v_fmac_f64_e32 v[18:19], v[6:7], v[8:9]
	v_mov_b32_e32 v8, 0x7c89e6b0
	v_mov_b32_e32 v9, 0x3efa0199
	;; [unrolled: 3-line block ×8, first 2 shown]
	v_fmac_f64_e32 v[8:9], v[6:7], v[18:19]
	v_fma_f64 v[8:9], v[6:7], v[8:9], 1.0
	s_mov_b32 s4, 0
	s_mov_b32 s14, 0
	v_fma_f64 v[6:7], v[6:7], v[8:9], 1.0
	v_cvt_i32_f64_e32 v4, v[4:5]
	s_mov_b32 s5, 0x40900000
	s_mov_b32 s15, 0xc090cc00
	v_ldexp_f64 v[4:5], v[6:7], v4
	v_mov_b32_e32 v6, 0x7ff00000
	v_cmp_nlt_f64_e64 s[4:5], s[4:5], v[2:3]
	v_cmp_ngt_f64_e64 s[14:15], s[14:15], v[2:3]
	v_cndmask_b32_e64 v5, v6, v5, s[4:5]
	s_and_b64 s[4:5], s[14:15], s[4:5]
	v_cndmask_b32_e64 v7, 0, v5, s[14:15]
	v_cndmask_b32_e64 v6, 0, v4, s[4:5]
	v_add_f64 v[16:17], v[16:17], v[6:7]
.LBB690_79:
	s_or_b64 exec, exec, s[18:19]
.LBB690_80:
	s_or_b64 exec, exec, s[22:23]
	ds_bpermute_b32 v2, v29, v16
	ds_bpermute_b32 v3, v29, v17
	v_cmp_lt_i32_e64 s[4:5], 0, v28
	s_waitcnt lgkmcnt(0)
	v_add_f64 v[2:3], v[16:17], v[2:3]
	ds_bpermute_b32 v4, v30, v2
	ds_bpermute_b32 v5, v30, v3
	s_waitcnt lgkmcnt(0)
	v_add_f64 v[2:3], v[2:3], v[4:5]
	ds_bpermute_b32 v4, v31, v2
	ds_bpermute_b32 v5, v31, v3
	s_waitcnt lgkmcnt(0)
	v_add_f64 v[2:3], v[2:3], v[4:5]
	ds_bpermute_b32 v4, v32, v2
	ds_bpermute_b32 v5, v32, v3
	s_waitcnt lgkmcnt(0)
	v_add_f64 v[2:3], v[2:3], v[4:5]
	ds_bpermute_b32 v4, v33, v2
	ds_bpermute_b32 v5, v33, v3
	s_waitcnt lgkmcnt(0)
	v_add_f64 v[2:3], v[2:3], v[4:5]
	ds_bpermute_b32 v4, v34, v2
	ds_bpermute_b32 v5, v34, v3
	s_and_saveexec_b64 s[14:15], s[4:5]
	s_cbranch_execz .LBB690_90
; %bb.81:
	s_and_b64 exec, exec, vcc
	s_cbranch_execz .LBB690_90
; %bb.82:
	s_waitcnt lgkmcnt(0)
	v_add_f64 v[2:3], v[2:3], v[4:5]
	v_div_scale_f64 v[4:5], s[4:5], v[2:3], v[2:3], v[14:15]
	v_rcp_f64_e32 v[8:9], v[4:5]
	v_mov_b32_e32 v16, s21
	v_add_co_u32_e32 v0, vcc, s20, v0
	v_addc_co_u32_e32 v1, vcc, v16, v1, vcc
	v_fma_f64 v[16:17], -v[4:5], v[8:9], 1.0
	v_fmac_f64_e32 v[8:9], v[8:9], v[16:17]
	v_fma_f64 v[16:17], -v[4:5], v[8:9], 1.0
	v_fmac_f64_e32 v[8:9], v[8:9], v[16:17]
	v_div_scale_f64 v[16:17], vcc, v[14:15], v[2:3], v[14:15]
	v_mul_f64 v[18:19], v[16:17], v[8:9]
	v_fma_f64 v[4:5], -v[4:5], v[18:19], v[16:17]
	v_cmp_eq_f64_e64 s[14:15], 0, v[2:3]
	s_nop 0
	v_div_fmas_f64 v[4:5], v[4:5], v[8:9], v[18:19]
	v_div_fixup_f64 v[8:9], v[4:5], v[2:3], v[14:15]
	v_mov_b32_e32 v4, 0x7ff80000
	v_cndmask_b32_e64 v9, v9, v4, s[14:15]
	v_cndmask_b32_e64 v8, v8, 0, s[14:15]
	global_store_dwordx2 v[0:1], v[8:9], off
	s_and_b64 exec, exec, s[12:13]
	s_cbranch_execz .LBB690_90
; %bb.83:
	v_div_scale_f64 v[8:9], s[4:5], v[2:3], v[2:3], v[22:23]
	v_rcp_f64_e32 v[14:15], v[8:9]
	v_div_scale_f64 v[16:17], vcc, v[22:23], v[2:3], v[22:23]
	v_fma_f64 v[18:19], -v[8:9], v[14:15], 1.0
	v_fmac_f64_e32 v[14:15], v[14:15], v[18:19]
	v_fma_f64 v[18:19], -v[8:9], v[14:15], 1.0
	v_fmac_f64_e32 v[14:15], v[14:15], v[18:19]
	v_mul_f64 v[18:19], v[16:17], v[14:15]
	v_fma_f64 v[8:9], -v[8:9], v[18:19], v[16:17]
	v_div_fmas_f64 v[8:9], v[8:9], v[14:15], v[18:19]
	v_div_fixup_f64 v[8:9], v[8:9], v[2:3], v[22:23]
	v_cndmask_b32_e64 v5, v9, v4, s[14:15]
	v_cndmask_b32_e64 v4, v8, 0, s[14:15]
	global_store_dwordx2 v[0:1], v[4:5], off offset:512
	s_and_b64 exec, exec, s[10:11]
	s_cbranch_execz .LBB690_90
; %bb.84:
	v_div_scale_f64 v[4:5], s[4:5], v[2:3], v[2:3], v[10:11]
	v_rcp_f64_e32 v[8:9], v[4:5]
	v_div_scale_f64 v[14:15], vcc, v[10:11], v[2:3], v[10:11]
	v_fma_f64 v[16:17], -v[4:5], v[8:9], 1.0
	v_fmac_f64_e32 v[8:9], v[8:9], v[16:17]
	v_fma_f64 v[16:17], -v[4:5], v[8:9], 1.0
	v_fmac_f64_e32 v[8:9], v[8:9], v[16:17]
	v_mul_f64 v[16:17], v[14:15], v[8:9]
	v_fma_f64 v[4:5], -v[4:5], v[16:17], v[14:15]
	v_div_fmas_f64 v[4:5], v[4:5], v[8:9], v[16:17]
	v_div_fixup_f64 v[8:9], v[4:5], v[2:3], v[10:11]
	v_mov_b32_e32 v4, 0x7ff80000
	v_cndmask_b32_e64 v9, v9, v4, s[14:15]
	v_cndmask_b32_e64 v8, v8, 0, s[14:15]
	global_store_dwordx2 v[0:1], v[8:9], off offset:1024
	s_and_b64 exec, exec, s[8:9]
	s_cbranch_execz .LBB690_90
; %bb.85:
	v_div_scale_f64 v[8:9], s[4:5], v[2:3], v[2:3], v[26:27]
	v_rcp_f64_e32 v[10:11], v[8:9]
	v_div_scale_f64 v[14:15], vcc, v[26:27], v[2:3], v[26:27]
	v_fma_f64 v[16:17], -v[8:9], v[10:11], 1.0
	v_fmac_f64_e32 v[10:11], v[10:11], v[16:17]
	v_fma_f64 v[16:17], -v[8:9], v[10:11], 1.0
	v_fmac_f64_e32 v[10:11], v[10:11], v[16:17]
	v_mul_f64 v[16:17], v[14:15], v[10:11]
	v_fma_f64 v[8:9], -v[8:9], v[16:17], v[14:15]
	v_div_fmas_f64 v[8:9], v[8:9], v[10:11], v[16:17]
	v_div_fixup_f64 v[8:9], v[8:9], v[2:3], v[26:27]
	v_cndmask_b32_e64 v5, v9, v4, s[14:15]
	v_cndmask_b32_e64 v4, v8, 0, s[14:15]
	global_store_dwordx2 v[0:1], v[4:5], off offset:1536
	s_and_b64 exec, exec, s[6:7]
	s_cbranch_execz .LBB690_90
; %bb.86:
	v_div_scale_f64 v[4:5], s[4:5], v[2:3], v[2:3], v[24:25]
	v_rcp_f64_e32 v[8:9], v[4:5]
	v_div_scale_f64 v[10:11], vcc, v[24:25], v[2:3], v[24:25]
	v_fma_f64 v[14:15], -v[4:5], v[8:9], 1.0
	v_fmac_f64_e32 v[8:9], v[8:9], v[14:15]
	v_fma_f64 v[14:15], -v[4:5], v[8:9], 1.0
	v_fmac_f64_e32 v[8:9], v[8:9], v[14:15]
	v_mul_f64 v[14:15], v[10:11], v[8:9]
	v_fma_f64 v[4:5], -v[4:5], v[14:15], v[10:11]
	v_div_fmas_f64 v[4:5], v[4:5], v[8:9], v[14:15]
	v_div_fixup_f64 v[8:9], v[4:5], v[2:3], v[24:25]
	v_mov_b32_e32 v4, 0x7ff80000
	v_cndmask_b32_e64 v9, v9, v4, s[14:15]
	v_cndmask_b32_e64 v8, v8, 0, s[14:15]
	global_store_dwordx2 v[0:1], v[8:9], off offset:2048
	;; [unrolled: 35-line block ×3, first 2 shown]
	s_and_b64 exec, exec, s[0:1]
	s_cbranch_execz .LBB690_90
; %bb.89:
	v_div_scale_f64 v[8:9], s[0:1], v[2:3], v[2:3], v[6:7]
	v_rcp_f64_e32 v[10:11], v[8:9]
	v_div_scale_f64 v[12:13], vcc, v[6:7], v[2:3], v[6:7]
	v_fma_f64 v[14:15], -v[8:9], v[10:11], 1.0
	v_fmac_f64_e32 v[10:11], v[10:11], v[14:15]
	v_fma_f64 v[14:15], -v[8:9], v[10:11], 1.0
	v_fmac_f64_e32 v[10:11], v[10:11], v[14:15]
	v_mul_f64 v[14:15], v[12:13], v[10:11]
	v_fma_f64 v[8:9], -v[8:9], v[14:15], v[12:13]
	v_div_fmas_f64 v[8:9], v[8:9], v[10:11], v[14:15]
	v_div_fixup_f64 v[2:3], v[8:9], v[2:3], v[6:7]
	v_cndmask_b32_e64 v3, v3, v4, s[14:15]
	v_cndmask_b32_e64 v2, v2, 0, s[14:15]
	global_store_dwordx2 v[0:1], v[2:3], off offset:3584
.LBB690_90:
	s_endpgm
	.section	.rodata,"a",@progbits
	.p2align	6, 0x0
	.amdhsa_kernel _ZN12_GLOBAL__N_120softmax_warp_forwardIdddLi9ELb0ELb1ELi64EEEvPT0_PKT_iiiPKbib
		.amdhsa_group_segment_fixed_size 0
		.amdhsa_private_segment_fixed_size 0
		.amdhsa_kernarg_size 304
		.amdhsa_user_sgpr_count 6
		.amdhsa_user_sgpr_private_segment_buffer 1
		.amdhsa_user_sgpr_dispatch_ptr 0
		.amdhsa_user_sgpr_queue_ptr 0
		.amdhsa_user_sgpr_kernarg_segment_ptr 1
		.amdhsa_user_sgpr_dispatch_id 0
		.amdhsa_user_sgpr_flat_scratch_init 0
		.amdhsa_user_sgpr_kernarg_preload_length 0
		.amdhsa_user_sgpr_kernarg_preload_offset 0
		.amdhsa_user_sgpr_private_segment_size 0
		.amdhsa_uses_dynamic_stack 0
		.amdhsa_system_sgpr_private_segment_wavefront_offset 0
		.amdhsa_system_sgpr_workgroup_id_x 1
		.amdhsa_system_sgpr_workgroup_id_y 0
		.amdhsa_system_sgpr_workgroup_id_z 0
		.amdhsa_system_sgpr_workgroup_info 0
		.amdhsa_system_vgpr_workitem_id 1
		.amdhsa_next_free_vgpr 42
		.amdhsa_next_free_sgpr 44
		.amdhsa_accum_offset 44
		.amdhsa_reserve_vcc 1
		.amdhsa_reserve_flat_scratch 0
		.amdhsa_float_round_mode_32 0
		.amdhsa_float_round_mode_16_64 0
		.amdhsa_float_denorm_mode_32 3
		.amdhsa_float_denorm_mode_16_64 3
		.amdhsa_dx10_clamp 1
		.amdhsa_ieee_mode 1
		.amdhsa_fp16_overflow 0
		.amdhsa_tg_split 0
		.amdhsa_exception_fp_ieee_invalid_op 0
		.amdhsa_exception_fp_denorm_src 0
		.amdhsa_exception_fp_ieee_div_zero 0
		.amdhsa_exception_fp_ieee_overflow 0
		.amdhsa_exception_fp_ieee_underflow 0
		.amdhsa_exception_fp_ieee_inexact 0
		.amdhsa_exception_int_div_zero 0
	.end_amdhsa_kernel
	.section	.text._ZN12_GLOBAL__N_120softmax_warp_forwardIdddLi9ELb0ELb1ELi64EEEvPT0_PKT_iiiPKbib,"axG",@progbits,_ZN12_GLOBAL__N_120softmax_warp_forwardIdddLi9ELb0ELb1ELi64EEEvPT0_PKT_iiiPKbib,comdat
.Lfunc_end690:
	.size	_ZN12_GLOBAL__N_120softmax_warp_forwardIdddLi9ELb0ELb1ELi64EEEvPT0_PKT_iiiPKbib, .Lfunc_end690-_ZN12_GLOBAL__N_120softmax_warp_forwardIdddLi9ELb0ELb1ELi64EEEvPT0_PKT_iiiPKbib
                                        ; -- End function
	.section	.AMDGPU.csdata,"",@progbits
; Kernel info:
; codeLenInByte = 6788
; NumSgprs: 48
; NumVgprs: 42
; NumAgprs: 0
; TotalNumVgprs: 42
; ScratchSize: 0
; MemoryBound: 0
; FloatMode: 240
; IeeeMode: 1
; LDSByteSize: 0 bytes/workgroup (compile time only)
; SGPRBlocks: 5
; VGPRBlocks: 5
; NumSGPRsForWavesPerEU: 48
; NumVGPRsForWavesPerEU: 42
; AccumOffset: 44
; Occupancy: 8
; WaveLimiterHint : 0
; COMPUTE_PGM_RSRC2:SCRATCH_EN: 0
; COMPUTE_PGM_RSRC2:USER_SGPR: 6
; COMPUTE_PGM_RSRC2:TRAP_HANDLER: 0
; COMPUTE_PGM_RSRC2:TGID_X_EN: 1
; COMPUTE_PGM_RSRC2:TGID_Y_EN: 0
; COMPUTE_PGM_RSRC2:TGID_Z_EN: 0
; COMPUTE_PGM_RSRC2:TIDIG_COMP_CNT: 1
; COMPUTE_PGM_RSRC3_GFX90A:ACCUM_OFFSET: 10
; COMPUTE_PGM_RSRC3_GFX90A:TG_SPLIT: 0
	.section	.text._ZN12_GLOBAL__N_120softmax_warp_forwardIdddLi9ELb0ELb1ELi32EEEvPT0_PKT_iiiPKbib,"axG",@progbits,_ZN12_GLOBAL__N_120softmax_warp_forwardIdddLi9ELb0ELb1ELi32EEEvPT0_PKT_iiiPKbib,comdat
	.globl	_ZN12_GLOBAL__N_120softmax_warp_forwardIdddLi9ELb0ELb1ELi32EEEvPT0_PKT_iiiPKbib ; -- Begin function _ZN12_GLOBAL__N_120softmax_warp_forwardIdddLi9ELb0ELb1ELi32EEEvPT0_PKT_iiiPKbib
	.p2align	8
	.type	_ZN12_GLOBAL__N_120softmax_warp_forwardIdddLi9ELb0ELb1ELi32EEEvPT0_PKT_iiiPKbib,@function
_ZN12_GLOBAL__N_120softmax_warp_forwardIdddLi9ELb0ELb1ELi32EEEvPT0_PKT_iiiPKbib: ; @_ZN12_GLOBAL__N_120softmax_warp_forwardIdddLi9ELb0ELb1ELi32EEEvPT0_PKT_iiiPKbib
; %bb.0:
	s_load_dword s2, s[4:5], 0x3c
	s_load_dwordx4 s[40:43], s[4:5], 0x10
	s_load_dwordx2 s[0:1], s[4:5], 0x28
	v_bfe_u32 v1, v0, 10, 10
	v_and_b32_e32 v4, 0x3ff, v0
	s_waitcnt lgkmcnt(0)
	s_lshr_b32 s2, s2, 16
	s_mul_i32 s6, s6, s2
	v_add_u32_e32 v2, s6, v1
	v_mul_lo_u32 v3, v2, s41
	v_add_u32_e32 v0, v3, v4
	v_ashrrev_i32_e32 v1, 31, v0
	s_bitcmp0_b32 s1, 0
	v_pk_mov_b32 v[16:17], v[0:1], v[0:1] op_sel:[0,1]
	s_cbranch_scc1 .LBB691_2
; %bb.1:
	s_abs_i32 s1, s0
	v_cvt_f32_u32_e32 v5, s1
	v_xor_b32_e32 v6, s0, v3
	v_sub_u32_e32 v7, 0, v3
	s_sub_i32 s0, 0, s1
	v_rcp_iflag_f32_e32 v5, v5
	v_max_i32_e32 v3, v3, v7
	v_ashrrev_i32_e32 v6, 31, v6
	v_mul_f32_e32 v5, 0x4f7ffffe, v5
	v_cvt_u32_f32_e32 v5, v5
	v_mul_lo_u32 v7, s0, v5
	v_mul_hi_u32 v7, v5, v7
	v_add_u32_e32 v5, v5, v7
	v_mul_hi_u32 v5, v3, v5
	v_mul_lo_u32 v7, v5, s1
	v_sub_u32_e32 v3, v3, v7
	v_add_u32_e32 v8, 1, v5
	v_cmp_le_u32_e32 vcc, s1, v3
	v_subrev_u32_e32 v7, s1, v3
	v_cndmask_b32_e32 v5, v5, v8, vcc
	v_cndmask_b32_e32 v3, v3, v7, vcc
	v_add_u32_e32 v7, 1, v5
	v_cmp_le_u32_e32 vcc, s1, v3
	v_cndmask_b32_e32 v3, v5, v7, vcc
	v_xor_b32_e32 v3, v3, v6
	v_sub_u32_e32 v3, v3, v6
	v_mad_u64_u32 v[16:17], s[0:1], v3, s41, v[4:5]
	v_ashrrev_i32_e32 v17, 31, v16
.LBB691_2:
	s_load_dwordx4 s[36:39], s[4:5], 0x0
	v_lshlrev_b64 v[0:1], 3, v[0:1]
	v_sub_u32_e32 v44, s40, v2
	v_mov_b32_e32 v34, 0
	v_cmp_lt_i32_e64 s[30:31], 0, v44
	s_waitcnt lgkmcnt(0)
	v_mov_b32_e32 v2, s39
	v_add_co_u32_e32 v20, vcc, s38, v0
	v_addc_co_u32_e32 v21, vcc, v2, v1, vcc
	v_cmp_gt_i32_e32 vcc, s42, v4
	v_mov_b32_e32 v35, 0xfff00000
	s_and_b64 s[70:71], s[30:31], vcc
	v_pk_mov_b32 v[26:27], v[34:35], v[34:35] op_sel:[0,1]
	s_and_saveexec_b64 s[0:1], s[70:71]
	s_cbranch_execz .LBB691_4
; %bb.3:
	global_load_dwordx2 v[26:27], v[20:21], off
.LBB691_4:
	s_or_b64 exec, exec, s[0:1]
	v_add_u32_e32 v2, 32, v4
	v_cmp_gt_i32_e64 s[28:29], s42, v2
	s_and_b64 s[68:69], s[30:31], s[28:29]
	s_and_saveexec_b64 s[0:1], s[68:69]
	s_cbranch_execz .LBB691_6
; %bb.5:
	global_load_dwordx2 v[34:35], v[20:21], off offset:256
.LBB691_6:
	s_or_b64 exec, exec, s[0:1]
	v_add_u32_e32 v2, 64, v4
	v_mov_b32_e32 v42, 0
	v_cmp_gt_i32_e64 s[26:27], s42, v2
	v_mov_b32_e32 v43, 0xfff00000
	s_and_b64 s[66:67], s[30:31], s[26:27]
	v_pk_mov_b32 v[32:33], v[42:43], v[42:43] op_sel:[0,1]
	s_and_saveexec_b64 s[0:1], s[66:67]
	s_cbranch_execz .LBB691_8
; %bb.7:
	global_load_dwordx2 v[32:33], v[20:21], off offset:512
.LBB691_8:
	s_or_b64 exec, exec, s[0:1]
	v_add_u32_e32 v2, 0x60, v4
	v_cmp_gt_i32_e64 s[24:25], s42, v2
	s_and_b64 s[64:65], s[30:31], s[24:25]
	s_and_saveexec_b64 s[0:1], s[64:65]
	s_cbranch_execz .LBB691_10
; %bb.9:
	global_load_dwordx2 v[42:43], v[20:21], off offset:768
.LBB691_10:
	s_or_b64 exec, exec, s[0:1]
	v_add_u32_e32 v2, 0x80, v4
	v_mov_b32_e32 v38, 0
	v_cmp_gt_i32_e64 s[22:23], s42, v2
	v_mov_b32_e32 v39, 0xfff00000
	s_and_b64 s[62:63], s[30:31], s[22:23]
	v_pk_mov_b32 v[40:41], v[38:39], v[38:39] op_sel:[0,1]
	s_and_saveexec_b64 s[0:1], s[62:63]
	s_cbranch_execz .LBB691_12
; %bb.11:
	global_load_dwordx2 v[40:41], v[20:21], off offset:1024
.LBB691_12:
	;; [unrolled: 21-line block ×6, first 2 shown]
	s_or_b64 exec, exec, s[0:1]
	v_add_u32_e32 v2, 0x1a0, v4
	v_cmp_gt_i32_e64 s[34:35], s42, v2
	s_and_b64 s[44:45], s[30:31], s[34:35]
	s_and_saveexec_b64 s[0:1], s[44:45]
	s_cbranch_execz .LBB691_30
; %bb.29:
	global_load_dwordx2 v[8:9], v[20:21], off offset:3328
.LBB691_30:
	s_or_b64 exec, exec, s[0:1]
	v_add_u32_e32 v2, 0x1c0, v4
	v_cmp_gt_i32_e64 s[2:3], s42, v2
	v_mov_b32_e32 v2, 0
	v_mov_b32_e32 v3, 0xfff00000
	s_and_b64 s[40:41], s[30:31], s[2:3]
	v_pk_mov_b32 v[6:7], v[2:3], v[2:3] op_sel:[0,1]
	s_and_saveexec_b64 s[0:1], s[40:41]
	s_cbranch_execz .LBB691_32
; %bb.31:
	global_load_dwordx2 v[6:7], v[20:21], off offset:3584
.LBB691_32:
	s_or_b64 exec, exec, s[0:1]
	v_add_u32_e32 v4, 0x1e0, v4
	v_cmp_gt_i32_e64 s[0:1], s42, v4
	s_and_b64 s[38:39], s[30:31], s[0:1]
	s_and_saveexec_b64 s[30:31], s[38:39]
	s_cbranch_execz .LBB691_34
; %bb.33:
	global_load_dwordx2 v[2:3], v[20:21], off offset:3840
.LBB691_34:
	s_or_b64 exec, exec, s[30:31]
	s_load_dwordx2 s[4:5], s[4:5], 0x20
	s_mov_b64 s[30:31], 0
	s_waitcnt lgkmcnt(0)
	v_mov_b32_e32 v5, s5
	v_add_co_u32_e64 v4, s[4:5], s4, v16
	v_addc_co_u32_e64 v5, s[4:5], v5, v17, s[4:5]
	s_and_saveexec_b64 s[42:43], s[70:71]
	s_cbranch_execnz .LBB691_50
; %bb.35:
	s_or_b64 exec, exec, s[42:43]
	s_waitcnt vmcnt(0)
	v_pk_mov_b32 v[16:17], v[26:27], v[26:27] op_sel:[0,1]
	s_and_saveexec_b64 s[42:43], s[68:69]
	s_cbranch_execnz .LBB691_51
.LBB691_36:
	s_or_b64 exec, exec, s[42:43]
	s_and_saveexec_b64 s[42:43], s[66:67]
	s_cbranch_execnz .LBB691_54
.LBB691_37:
	s_or_b64 exec, exec, s[42:43]
	s_and_saveexec_b64 s[42:43], s[64:65]
	s_cbranch_execnz .LBB691_57
.LBB691_38:
	s_or_b64 exec, exec, s[42:43]
	s_and_saveexec_b64 s[42:43], s[62:63]
	s_cbranch_execnz .LBB691_60
.LBB691_39:
	s_or_b64 exec, exec, s[42:43]
	s_and_saveexec_b64 s[42:43], s[60:61]
	s_cbranch_execnz .LBB691_63
.LBB691_40:
	s_or_b64 exec, exec, s[42:43]
	s_and_saveexec_b64 s[42:43], s[58:59]
	s_cbranch_execnz .LBB691_66
.LBB691_41:
	s_or_b64 exec, exec, s[42:43]
	s_and_saveexec_b64 s[42:43], s[56:57]
	s_cbranch_execnz .LBB691_69
.LBB691_42:
	s_or_b64 exec, exec, s[42:43]
	s_and_saveexec_b64 s[42:43], s[54:55]
	s_cbranch_execnz .LBB691_72
.LBB691_43:
	s_or_b64 exec, exec, s[42:43]
	s_and_saveexec_b64 s[42:43], s[52:53]
	s_cbranch_execnz .LBB691_75
.LBB691_44:
	s_or_b64 exec, exec, s[42:43]
	s_and_saveexec_b64 s[42:43], s[50:51]
	s_cbranch_execnz .LBB691_78
.LBB691_45:
	s_or_b64 exec, exec, s[42:43]
	s_and_saveexec_b64 s[42:43], s[48:49]
	s_cbranch_execnz .LBB691_81
.LBB691_46:
	s_or_b64 exec, exec, s[42:43]
	s_and_saveexec_b64 s[42:43], s[46:47]
	s_cbranch_execnz .LBB691_84
.LBB691_47:
	s_or_b64 exec, exec, s[42:43]
	s_and_saveexec_b64 s[42:43], s[44:45]
	s_cbranch_execnz .LBB691_87
.LBB691_48:
	s_or_b64 exec, exec, s[42:43]
	s_and_saveexec_b64 s[42:43], s[40:41]
	s_cbranch_execnz .LBB691_90
.LBB691_49:
	s_or_b64 exec, exec, s[42:43]
	s_and_saveexec_b64 s[42:43], s[38:39]
	s_cbranch_execnz .LBB691_93
	s_branch .LBB691_96
.LBB691_50:
	global_load_ubyte v16, v[4:5], off
	s_waitcnt vmcnt(0)
	v_and_b32_e32 v16, 1, v16
	v_cmp_eq_u32_e64 s[4:5], 1, v16
	s_xor_b64 s[4:5], s[4:5], -1
	s_and_b64 s[30:31], s[4:5], exec
	s_or_b64 exec, exec, s[42:43]
	v_pk_mov_b32 v[16:17], v[26:27], v[26:27] op_sel:[0,1]
	s_and_saveexec_b64 s[42:43], s[68:69]
	s_cbranch_execz .LBB691_36
.LBB691_51:
	global_load_ubyte v16, v[4:5], off offset:32
	s_mov_b64 s[72:73], s[30:31]
	s_waitcnt vmcnt(0)
	v_and_b32_e32 v16, 1, v16
	v_cmp_eq_u32_e64 s[4:5], 1, v16
	s_xor_b64 s[4:5], s[4:5], -1
	v_pk_mov_b32 v[16:17], v[26:27], v[26:27] op_sel:[0,1]
	s_and_saveexec_b64 s[74:75], s[4:5]
; %bb.52:
	v_cmp_gt_f64_e64 s[4:5], v[26:27], v[34:35]
	s_and_b64 s[4:5], s[30:31], s[4:5]
	v_cndmask_b32_e64 v17, v35, v27, s[4:5]
	v_cndmask_b32_e64 v16, v34, v26, s[4:5]
	s_or_b64 s[72:73], s[30:31], exec
; %bb.53:
	s_or_b64 exec, exec, s[74:75]
	s_andn2_b64 s[4:5], s[30:31], exec
	s_and_b64 s[30:31], s[72:73], exec
	s_or_b64 s[30:31], s[4:5], s[30:31]
	s_or_b64 exec, exec, s[42:43]
	s_and_saveexec_b64 s[42:43], s[66:67]
	s_cbranch_execz .LBB691_37
.LBB691_54:
	global_load_ubyte v20, v[4:5], off offset:64
	s_waitcnt vmcnt(0)
	v_and_b32_e32 v20, 1, v20
	v_cmp_eq_u32_e64 s[4:5], 1, v20
	s_xor_b64 s[74:75], s[4:5], -1
	s_mov_b64 s[4:5], s[30:31]
	s_and_saveexec_b64 s[72:73], s[74:75]
; %bb.55:
	v_cmp_gt_f64_e64 s[4:5], v[16:17], v[32:33]
	s_and_b64 s[4:5], s[30:31], s[4:5]
	v_cndmask_b32_e64 v17, v33, v17, s[4:5]
	v_cndmask_b32_e64 v16, v32, v16, s[4:5]
	s_or_b64 s[4:5], s[30:31], exec
; %bb.56:
	s_or_b64 exec, exec, s[72:73]
	s_andn2_b64 s[30:31], s[30:31], exec
	s_and_b64 s[4:5], s[4:5], exec
	s_or_b64 s[30:31], s[30:31], s[4:5]
	s_or_b64 exec, exec, s[42:43]
	s_and_saveexec_b64 s[42:43], s[64:65]
	s_cbranch_execz .LBB691_38
.LBB691_57:
	global_load_ubyte v20, v[4:5], off offset:96
	s_waitcnt vmcnt(0)
	v_and_b32_e32 v20, 1, v20
	v_cmp_eq_u32_e64 s[4:5], 1, v20
	s_xor_b64 s[74:75], s[4:5], -1
	s_mov_b64 s[4:5], s[30:31]
	s_and_saveexec_b64 s[72:73], s[74:75]
; %bb.58:
	v_cmp_gt_f64_e64 s[4:5], v[16:17], v[42:43]
	s_and_b64 s[4:5], s[30:31], s[4:5]
	v_cndmask_b32_e64 v17, v43, v17, s[4:5]
	v_cndmask_b32_e64 v16, v42, v16, s[4:5]
	s_or_b64 s[4:5], s[30:31], exec
; %bb.59:
	s_or_b64 exec, exec, s[72:73]
	s_andn2_b64 s[30:31], s[30:31], exec
	s_and_b64 s[4:5], s[4:5], exec
	s_or_b64 s[30:31], s[30:31], s[4:5]
	s_or_b64 exec, exec, s[42:43]
	s_and_saveexec_b64 s[42:43], s[62:63]
	s_cbranch_execz .LBB691_39
.LBB691_60:
	global_load_ubyte v20, v[4:5], off offset:128
	s_waitcnt vmcnt(0)
	v_and_b32_e32 v20, 1, v20
	v_cmp_eq_u32_e64 s[4:5], 1, v20
	s_xor_b64 s[74:75], s[4:5], -1
	s_mov_b64 s[4:5], s[30:31]
	s_and_saveexec_b64 s[72:73], s[74:75]
; %bb.61:
	v_cmp_gt_f64_e64 s[4:5], v[16:17], v[40:41]
	s_and_b64 s[4:5], s[30:31], s[4:5]
	v_cndmask_b32_e64 v17, v41, v17, s[4:5]
	v_cndmask_b32_e64 v16, v40, v16, s[4:5]
	s_or_b64 s[4:5], s[30:31], exec
; %bb.62:
	s_or_b64 exec, exec, s[72:73]
	s_andn2_b64 s[30:31], s[30:31], exec
	s_and_b64 s[4:5], s[4:5], exec
	s_or_b64 s[30:31], s[30:31], s[4:5]
	s_or_b64 exec, exec, s[42:43]
	s_and_saveexec_b64 s[42:43], s[60:61]
	s_cbranch_execz .LBB691_40
.LBB691_63:
	global_load_ubyte v20, v[4:5], off offset:160
	s_waitcnt vmcnt(0)
	v_and_b32_e32 v20, 1, v20
	v_cmp_eq_u32_e64 s[4:5], 1, v20
	s_xor_b64 s[74:75], s[4:5], -1
	s_mov_b64 s[4:5], s[30:31]
	s_and_saveexec_b64 s[72:73], s[74:75]
; %bb.64:
	v_cmp_gt_f64_e64 s[4:5], v[16:17], v[38:39]
	s_and_b64 s[4:5], s[30:31], s[4:5]
	v_cndmask_b32_e64 v17, v39, v17, s[4:5]
	v_cndmask_b32_e64 v16, v38, v16, s[4:5]
	s_or_b64 s[4:5], s[30:31], exec
; %bb.65:
	s_or_b64 exec, exec, s[72:73]
	s_andn2_b64 s[30:31], s[30:31], exec
	s_and_b64 s[4:5], s[4:5], exec
	s_or_b64 s[30:31], s[30:31], s[4:5]
	s_or_b64 exec, exec, s[42:43]
	s_and_saveexec_b64 s[42:43], s[58:59]
	s_cbranch_execz .LBB691_41
.LBB691_66:
	global_load_ubyte v20, v[4:5], off offset:192
	s_waitcnt vmcnt(0)
	v_and_b32_e32 v20, 1, v20
	v_cmp_eq_u32_e64 s[4:5], 1, v20
	s_xor_b64 s[74:75], s[4:5], -1
	s_mov_b64 s[4:5], s[30:31]
	s_and_saveexec_b64 s[72:73], s[74:75]
; %bb.67:
	v_cmp_gt_f64_e64 s[4:5], v[16:17], v[36:37]
	s_and_b64 s[4:5], s[30:31], s[4:5]
	v_cndmask_b32_e64 v17, v37, v17, s[4:5]
	v_cndmask_b32_e64 v16, v36, v16, s[4:5]
	s_or_b64 s[4:5], s[30:31], exec
; %bb.68:
	s_or_b64 exec, exec, s[72:73]
	s_andn2_b64 s[30:31], s[30:31], exec
	s_and_b64 s[4:5], s[4:5], exec
	s_or_b64 s[30:31], s[30:31], s[4:5]
	s_or_b64 exec, exec, s[42:43]
	s_and_saveexec_b64 s[42:43], s[56:57]
	s_cbranch_execz .LBB691_42
.LBB691_69:
	global_load_ubyte v20, v[4:5], off offset:224
	s_waitcnt vmcnt(0)
	v_and_b32_e32 v20, 1, v20
	v_cmp_eq_u32_e64 s[4:5], 1, v20
	s_xor_b64 s[74:75], s[4:5], -1
	s_mov_b64 s[4:5], s[30:31]
	s_and_saveexec_b64 s[72:73], s[74:75]
; %bb.70:
	v_cmp_gt_f64_e64 s[4:5], v[16:17], v[30:31]
	s_and_b64 s[4:5], s[30:31], s[4:5]
	v_cndmask_b32_e64 v17, v31, v17, s[4:5]
	v_cndmask_b32_e64 v16, v30, v16, s[4:5]
	s_or_b64 s[4:5], s[30:31], exec
; %bb.71:
	s_or_b64 exec, exec, s[72:73]
	s_andn2_b64 s[30:31], s[30:31], exec
	s_and_b64 s[4:5], s[4:5], exec
	s_or_b64 s[30:31], s[30:31], s[4:5]
	s_or_b64 exec, exec, s[42:43]
	s_and_saveexec_b64 s[42:43], s[54:55]
	s_cbranch_execz .LBB691_43
.LBB691_72:
	global_load_ubyte v20, v[4:5], off offset:256
	s_waitcnt vmcnt(0)
	v_and_b32_e32 v20, 1, v20
	v_cmp_eq_u32_e64 s[4:5], 1, v20
	s_xor_b64 s[74:75], s[4:5], -1
	s_mov_b64 s[4:5], s[30:31]
	s_and_saveexec_b64 s[72:73], s[74:75]
; %bb.73:
	v_cmp_gt_f64_e64 s[4:5], v[16:17], v[28:29]
	s_and_b64 s[4:5], s[30:31], s[4:5]
	v_cndmask_b32_e64 v17, v29, v17, s[4:5]
	v_cndmask_b32_e64 v16, v28, v16, s[4:5]
	s_or_b64 s[4:5], s[30:31], exec
; %bb.74:
	s_or_b64 exec, exec, s[72:73]
	s_andn2_b64 s[30:31], s[30:31], exec
	s_and_b64 s[4:5], s[4:5], exec
	s_or_b64 s[30:31], s[30:31], s[4:5]
	s_or_b64 exec, exec, s[42:43]
	s_and_saveexec_b64 s[42:43], s[52:53]
	s_cbranch_execz .LBB691_44
.LBB691_75:
	global_load_ubyte v20, v[4:5], off offset:288
	s_waitcnt vmcnt(0)
	v_and_b32_e32 v20, 1, v20
	v_cmp_eq_u32_e64 s[4:5], 1, v20
	s_xor_b64 s[74:75], s[4:5], -1
	s_mov_b64 s[4:5], s[30:31]
	s_and_saveexec_b64 s[72:73], s[74:75]
; %bb.76:
	v_cmp_gt_f64_e64 s[4:5], v[16:17], v[18:19]
	s_and_b64 s[4:5], s[30:31], s[4:5]
	v_cndmask_b32_e64 v17, v19, v17, s[4:5]
	v_cndmask_b32_e64 v16, v18, v16, s[4:5]
	s_or_b64 s[4:5], s[30:31], exec
; %bb.77:
	s_or_b64 exec, exec, s[72:73]
	s_andn2_b64 s[30:31], s[30:31], exec
	s_and_b64 s[4:5], s[4:5], exec
	s_or_b64 s[30:31], s[30:31], s[4:5]
	s_or_b64 exec, exec, s[42:43]
	s_and_saveexec_b64 s[42:43], s[50:51]
	s_cbranch_execz .LBB691_45
.LBB691_78:
	global_load_ubyte v20, v[4:5], off offset:320
	s_waitcnt vmcnt(0)
	v_and_b32_e32 v20, 1, v20
	v_cmp_eq_u32_e64 s[4:5], 1, v20
	s_xor_b64 s[74:75], s[4:5], -1
	s_mov_b64 s[4:5], s[30:31]
	s_and_saveexec_b64 s[72:73], s[74:75]
; %bb.79:
	v_cmp_gt_f64_e64 s[4:5], v[16:17], v[14:15]
	s_and_b64 s[4:5], s[30:31], s[4:5]
	v_cndmask_b32_e64 v17, v15, v17, s[4:5]
	v_cndmask_b32_e64 v16, v14, v16, s[4:5]
	s_or_b64 s[4:5], s[30:31], exec
; %bb.80:
	s_or_b64 exec, exec, s[72:73]
	s_andn2_b64 s[30:31], s[30:31], exec
	s_and_b64 s[4:5], s[4:5], exec
	s_or_b64 s[30:31], s[30:31], s[4:5]
	s_or_b64 exec, exec, s[42:43]
	s_and_saveexec_b64 s[42:43], s[48:49]
	s_cbranch_execz .LBB691_46
.LBB691_81:
	global_load_ubyte v20, v[4:5], off offset:352
	s_waitcnt vmcnt(0)
	v_and_b32_e32 v20, 1, v20
	v_cmp_eq_u32_e64 s[4:5], 1, v20
	s_xor_b64 s[74:75], s[4:5], -1
	s_mov_b64 s[4:5], s[30:31]
	s_and_saveexec_b64 s[72:73], s[74:75]
; %bb.82:
	v_cmp_gt_f64_e64 s[4:5], v[16:17], v[12:13]
	s_and_b64 s[4:5], s[30:31], s[4:5]
	v_cndmask_b32_e64 v17, v13, v17, s[4:5]
	v_cndmask_b32_e64 v16, v12, v16, s[4:5]
	s_or_b64 s[4:5], s[30:31], exec
; %bb.83:
	s_or_b64 exec, exec, s[72:73]
	s_andn2_b64 s[30:31], s[30:31], exec
	s_and_b64 s[4:5], s[4:5], exec
	s_or_b64 s[30:31], s[30:31], s[4:5]
	s_or_b64 exec, exec, s[42:43]
	s_and_saveexec_b64 s[42:43], s[46:47]
	s_cbranch_execz .LBB691_47
.LBB691_84:
	global_load_ubyte v20, v[4:5], off offset:384
	s_waitcnt vmcnt(0)
	v_and_b32_e32 v20, 1, v20
	v_cmp_eq_u32_e64 s[4:5], 1, v20
	s_xor_b64 s[74:75], s[4:5], -1
	s_mov_b64 s[4:5], s[30:31]
	s_and_saveexec_b64 s[72:73], s[74:75]
; %bb.85:
	v_cmp_gt_f64_e64 s[4:5], v[16:17], v[10:11]
	s_and_b64 s[4:5], s[30:31], s[4:5]
	v_cndmask_b32_e64 v17, v11, v17, s[4:5]
	v_cndmask_b32_e64 v16, v10, v16, s[4:5]
	s_or_b64 s[4:5], s[30:31], exec
; %bb.86:
	s_or_b64 exec, exec, s[72:73]
	s_andn2_b64 s[30:31], s[30:31], exec
	s_and_b64 s[4:5], s[4:5], exec
	s_or_b64 s[30:31], s[30:31], s[4:5]
	s_or_b64 exec, exec, s[42:43]
	s_and_saveexec_b64 s[42:43], s[44:45]
	s_cbranch_execz .LBB691_48
.LBB691_87:
	global_load_ubyte v20, v[4:5], off offset:416
	s_waitcnt vmcnt(0)
	v_and_b32_e32 v20, 1, v20
	v_cmp_eq_u32_e64 s[4:5], 1, v20
	s_xor_b64 s[74:75], s[4:5], -1
	s_mov_b64 s[4:5], s[30:31]
	s_and_saveexec_b64 s[72:73], s[74:75]
; %bb.88:
	v_cmp_gt_f64_e64 s[4:5], v[16:17], v[8:9]
	s_and_b64 s[4:5], s[30:31], s[4:5]
	v_cndmask_b32_e64 v17, v9, v17, s[4:5]
	v_cndmask_b32_e64 v16, v8, v16, s[4:5]
	s_or_b64 s[4:5], s[30:31], exec
; %bb.89:
	s_or_b64 exec, exec, s[72:73]
	s_andn2_b64 s[30:31], s[30:31], exec
	s_and_b64 s[4:5], s[4:5], exec
	s_or_b64 s[30:31], s[30:31], s[4:5]
	s_or_b64 exec, exec, s[42:43]
	s_and_saveexec_b64 s[42:43], s[40:41]
	s_cbranch_execz .LBB691_49
.LBB691_90:
	global_load_ubyte v20, v[4:5], off offset:448
	s_waitcnt vmcnt(0)
	v_and_b32_e32 v20, 1, v20
	v_cmp_eq_u32_e64 s[4:5], 1, v20
	s_xor_b64 s[74:75], s[4:5], -1
	s_mov_b64 s[4:5], s[30:31]
	s_and_saveexec_b64 s[72:73], s[74:75]
; %bb.91:
	v_cmp_gt_f64_e64 s[4:5], v[16:17], v[6:7]
	s_and_b64 s[4:5], s[30:31], s[4:5]
	v_cndmask_b32_e64 v17, v7, v17, s[4:5]
	v_cndmask_b32_e64 v16, v6, v16, s[4:5]
	s_or_b64 s[4:5], s[30:31], exec
; %bb.92:
	s_or_b64 exec, exec, s[72:73]
	s_andn2_b64 s[30:31], s[30:31], exec
	s_and_b64 s[4:5], s[4:5], exec
	s_or_b64 s[30:31], s[30:31], s[4:5]
	s_or_b64 exec, exec, s[42:43]
	s_and_saveexec_b64 s[42:43], s[38:39]
	s_cbranch_execz .LBB691_96
.LBB691_93:
	global_load_ubyte v20, v[4:5], off offset:480
	s_waitcnt vmcnt(0)
	v_and_b32_e32 v20, 1, v20
	v_cmp_eq_u32_e64 s[4:5], 1, v20
	s_xor_b64 s[74:75], s[4:5], -1
	s_mov_b64 s[4:5], s[30:31]
	s_and_saveexec_b64 s[72:73], s[74:75]
; %bb.94:
	v_cmp_gt_f64_e64 s[4:5], v[16:17], v[2:3]
	s_and_b64 s[4:5], s[30:31], s[4:5]
	v_cndmask_b32_e64 v17, v3, v17, s[4:5]
	v_cndmask_b32_e64 v16, v2, v16, s[4:5]
	s_or_b64 s[4:5], s[30:31], exec
; %bb.95:
	s_or_b64 exec, exec, s[72:73]
	s_andn2_b64 s[30:31], s[30:31], exec
	s_and_b64 s[4:5], s[4:5], exec
	s_or_b64 s[30:31], s[30:31], s[4:5]
.LBB691_96:
	s_or_b64 exec, exec, s[42:43]
	v_mov_b32_e32 v20, 0xfff00000
	v_cndmask_b32_e64 v17, v20, v17, s[30:31]
	v_mbcnt_lo_u32_b32 v20, -1, 0
	v_mbcnt_hi_u32_b32 v22, -1, v20
	v_and_b32_e32 v20, 0x60, v22
	v_add_u32_e32 v23, 32, v20
	v_xor_b32_e32 v20, 16, v22
	v_cmp_lt_i32_e64 s[4:5], v20, v23
	v_cndmask_b32_e64 v20, v22, v20, s[4:5]
	v_cndmask_b32_e64 v16, 0, v16, s[30:31]
	v_lshlrev_b32_e32 v45, 2, v20
	ds_bpermute_b32 v20, v45, v16
	ds_bpermute_b32 v21, v45, v17
	s_waitcnt lgkmcnt(0)
	v_cmp_lt_f64_e64 s[4:5], v[16:17], v[20:21]
	v_cndmask_b32_e64 v16, v16, v20, s[4:5]
	v_xor_b32_e32 v20, 8, v22
	v_cndmask_b32_e64 v17, v17, v21, s[4:5]
	v_cmp_lt_i32_e64 s[4:5], v20, v23
	v_cndmask_b32_e64 v20, v22, v20, s[4:5]
	v_lshlrev_b32_e32 v46, 2, v20
	ds_bpermute_b32 v20, v46, v16
	ds_bpermute_b32 v21, v46, v17
	s_waitcnt lgkmcnt(0)
	v_cmp_lt_f64_e64 s[4:5], v[16:17], v[20:21]
	v_cndmask_b32_e64 v16, v16, v20, s[4:5]
	v_xor_b32_e32 v20, 4, v22
	v_cndmask_b32_e64 v17, v17, v21, s[4:5]
	v_cmp_lt_i32_e64 s[4:5], v20, v23
	;; [unrolled: 10-line block ×4, first 2 shown]
	v_cndmask_b32_e64 v20, v22, v20, s[4:5]
	v_lshlrev_b32_e32 v49, 2, v20
	ds_bpermute_b32 v20, v49, v16
	ds_bpermute_b32 v21, v49, v17
	s_waitcnt lgkmcnt(0)
	v_cmp_lt_f64_e64 s[4:5], v[16:17], v[20:21]
	v_cndmask_b32_e64 v25, v17, v21, s[4:5]
	v_cndmask_b32_e64 v24, v16, v20, s[4:5]
	v_pk_mov_b32 v[16:17], 0, 0
	v_pk_mov_b32 v[20:21], v[16:17], v[16:17] op_sel:[0,1]
	v_pk_mov_b32 v[22:23], v[16:17], v[16:17] op_sel:[0,1]
	s_and_saveexec_b64 s[42:43], s[70:71]
	s_cbranch_execnz .LBB691_99
; %bb.97:
	s_or_b64 exec, exec, s[42:43]
	v_pk_mov_b32 v[26:27], v[16:17], v[16:17] op_sel:[0,1]
	s_and_saveexec_b64 s[42:43], s[68:69]
	s_cbranch_execnz .LBB691_102
.LBB691_98:
	s_or_b64 exec, exec, s[42:43]
	s_and_saveexec_b64 s[42:43], s[66:67]
	s_cbranch_execnz .LBB691_105
	s_branch .LBB691_108
.LBB691_99:
	global_load_ubyte v20, v[4:5], off
	v_pk_mov_b32 v[22:23], 0, 0
	s_waitcnt vmcnt(0)
	v_and_b32_e32 v20, 1, v20
	v_cmp_eq_u32_e64 s[4:5], 1, v20
	s_xor_b64 s[4:5], s[4:5], -1
	v_pk_mov_b32 v[20:21], v[22:23], v[22:23] op_sel:[0,1]
	s_and_saveexec_b64 s[70:71], s[4:5]
	s_cbranch_execz .LBB691_101
; %bb.100:
	s_mov_b32 s4, 0x652b82fe
	v_add_f64 v[20:21], v[26:27], -v[24:25]
	s_mov_b32 s5, 0x3ff71547
	v_mul_f64 v[22:23], v[20:21], s[4:5]
	s_mov_b32 s4, 0xfefa39ef
	v_rndne_f64_e32 v[22:23], v[22:23]
	s_mov_b32 s5, 0xbfe62e42
	v_fma_f64 v[26:27], s[4:5], v[22:23], v[20:21]
	s_mov_b32 s4, 0x3b39803f
	s_mov_b32 s5, 0xbc7abc9e
	v_fmac_f64_e32 v[26:27], s[4:5], v[22:23]
	s_mov_b32 s4, 0x6a5dcb37
	v_mov_b32_e32 v50, 0xfca7ab0c
	v_mov_b32_e32 v51, 0x3e928af3
	s_mov_b32 s5, 0x3e5ade15
	v_fmac_f64_e32 v[50:51], s[4:5], v[26:27]
	v_mov_b32_e32 v52, 0x623fde64
	v_mov_b32_e32 v53, 0x3ec71dee
	v_fmac_f64_e32 v[52:53], v[26:27], v[50:51]
	v_mov_b32_e32 v50, 0x7c89e6b0
	v_mov_b32_e32 v51, 0x3efa0199
	v_fmac_f64_e32 v[50:51], v[26:27], v[52:53]
	v_mov_b32_e32 v52, 0x14761f6e
	v_mov_b32_e32 v53, 0x3f2a01a0
	v_fmac_f64_e32 v[52:53], v[26:27], v[50:51]
	v_mov_b32_e32 v50, 0x1852b7b0
	v_mov_b32_e32 v51, 0x3f56c16c
	v_fmac_f64_e32 v[50:51], v[26:27], v[52:53]
	v_mov_b32_e32 v52, 0x11122322
	v_mov_b32_e32 v53, 0x3f811111
	v_fmac_f64_e32 v[52:53], v[26:27], v[50:51]
	v_mov_b32_e32 v50, 0x555502a1
	v_mov_b32_e32 v51, 0x3fa55555
	v_fmac_f64_e32 v[50:51], v[26:27], v[52:53]
	v_mov_b32_e32 v52, 0x55555511
	v_mov_b32_e32 v53, 0x3fc55555
	v_fmac_f64_e32 v[52:53], v[26:27], v[50:51]
	v_mov_b32_e32 v50, 11
	v_mov_b32_e32 v51, 0x3fe00000
	v_fmac_f64_e32 v[50:51], v[26:27], v[52:53]
	v_fma_f64 v[50:51], v[26:27], v[50:51], 1.0
	s_mov_b32 s4, 0
	s_mov_b32 s30, 0
	v_fma_f64 v[26:27], v[26:27], v[50:51], 1.0
	v_cvt_i32_f64_e32 v22, v[22:23]
	s_mov_b32 s5, 0x40900000
	s_mov_b32 s31, 0xc090cc00
	v_ldexp_f64 v[22:23], v[26:27], v22
	v_mov_b32_e32 v26, 0x7ff00000
	v_cmp_nlt_f64_e64 s[4:5], s[4:5], v[20:21]
	v_cmp_ngt_f64_e64 s[30:31], s[30:31], v[20:21]
	v_cndmask_b32_e64 v23, v26, v23, s[4:5]
	s_and_b64 s[4:5], s[30:31], s[4:5]
	v_cndmask_b32_e64 v21, 0, v23, s[30:31]
	v_cndmask_b32_e64 v20, 0, v22, s[4:5]
	v_add_f64 v[22:23], v[20:21], 0
.LBB691_101:
	s_or_b64 exec, exec, s[70:71]
	s_or_b64 exec, exec, s[42:43]
	v_pk_mov_b32 v[26:27], v[16:17], v[16:17] op_sel:[0,1]
	s_and_saveexec_b64 s[42:43], s[68:69]
	s_cbranch_execz .LBB691_98
.LBB691_102:
	global_load_ubyte v26, v[4:5], off offset:32
	s_waitcnt vmcnt(0)
	v_and_b32_e32 v26, 1, v26
	v_cmp_eq_u32_e64 s[4:5], 1, v26
	s_xor_b64 s[4:5], s[4:5], -1
	v_pk_mov_b32 v[26:27], 0, 0
	s_and_saveexec_b64 s[68:69], s[4:5]
	s_cbranch_execz .LBB691_104
; %bb.103:
	s_mov_b32 s4, 0x652b82fe
	v_add_f64 v[26:27], v[34:35], -v[24:25]
	s_mov_b32 s5, 0x3ff71547
	v_mul_f64 v[34:35], v[26:27], s[4:5]
	s_mov_b32 s4, 0xfefa39ef
	v_rndne_f64_e32 v[34:35], v[34:35]
	s_mov_b32 s5, 0xbfe62e42
	v_fma_f64 v[50:51], s[4:5], v[34:35], v[26:27]
	s_mov_b32 s4, 0x3b39803f
	s_mov_b32 s5, 0xbc7abc9e
	v_fmac_f64_e32 v[50:51], s[4:5], v[34:35]
	s_mov_b32 s4, 0x6a5dcb37
	v_mov_b32_e32 v52, 0xfca7ab0c
	v_mov_b32_e32 v53, 0x3e928af3
	s_mov_b32 s5, 0x3e5ade15
	v_fmac_f64_e32 v[52:53], s[4:5], v[50:51]
	v_mov_b32_e32 v54, 0x623fde64
	v_mov_b32_e32 v55, 0x3ec71dee
	v_fmac_f64_e32 v[54:55], v[50:51], v[52:53]
	v_mov_b32_e32 v52, 0x7c89e6b0
	v_mov_b32_e32 v53, 0x3efa0199
	v_fmac_f64_e32 v[52:53], v[50:51], v[54:55]
	v_mov_b32_e32 v54, 0x14761f6e
	v_mov_b32_e32 v55, 0x3f2a01a0
	v_fmac_f64_e32 v[54:55], v[50:51], v[52:53]
	v_mov_b32_e32 v52, 0x1852b7b0
	v_mov_b32_e32 v53, 0x3f56c16c
	v_fmac_f64_e32 v[52:53], v[50:51], v[54:55]
	v_mov_b32_e32 v54, 0x11122322
	v_mov_b32_e32 v55, 0x3f811111
	v_fmac_f64_e32 v[54:55], v[50:51], v[52:53]
	v_mov_b32_e32 v52, 0x555502a1
	v_mov_b32_e32 v53, 0x3fa55555
	v_fmac_f64_e32 v[52:53], v[50:51], v[54:55]
	v_mov_b32_e32 v54, 0x55555511
	v_mov_b32_e32 v55, 0x3fc55555
	v_fmac_f64_e32 v[54:55], v[50:51], v[52:53]
	v_mov_b32_e32 v52, 11
	v_mov_b32_e32 v53, 0x3fe00000
	v_fmac_f64_e32 v[52:53], v[50:51], v[54:55]
	v_fma_f64 v[52:53], v[50:51], v[52:53], 1.0
	s_mov_b32 s4, 0
	s_mov_b32 s30, 0
	v_fma_f64 v[50:51], v[50:51], v[52:53], 1.0
	v_cvt_i32_f64_e32 v34, v[34:35]
	s_mov_b32 s5, 0x40900000
	s_mov_b32 s31, 0xc090cc00
	v_ldexp_f64 v[34:35], v[50:51], v34
	v_mov_b32_e32 v50, 0x7ff00000
	v_cmp_nlt_f64_e64 s[4:5], s[4:5], v[26:27]
	v_cmp_ngt_f64_e64 s[30:31], s[30:31], v[26:27]
	v_cndmask_b32_e64 v35, v50, v35, s[4:5]
	s_and_b64 s[4:5], s[30:31], s[4:5]
	v_cndmask_b32_e64 v27, 0, v35, s[30:31]
	v_cndmask_b32_e64 v26, 0, v34, s[4:5]
	v_add_f64 v[22:23], v[22:23], v[26:27]
.LBB691_104:
	s_or_b64 exec, exec, s[68:69]
	s_or_b64 exec, exec, s[42:43]
	s_and_saveexec_b64 s[42:43], s[66:67]
	s_cbranch_execz .LBB691_108
.LBB691_105:
	global_load_ubyte v16, v[4:5], off offset:64
	s_waitcnt vmcnt(0)
	v_and_b32_e32 v16, 1, v16
	v_cmp_eq_u32_e64 s[4:5], 1, v16
	s_xor_b64 s[4:5], s[4:5], -1
	v_pk_mov_b32 v[16:17], 0, 0
	s_and_saveexec_b64 s[66:67], s[4:5]
	s_cbranch_execz .LBB691_107
; %bb.106:
	s_mov_b32 s4, 0x652b82fe
	v_add_f64 v[16:17], v[32:33], -v[24:25]
	s_mov_b32 s5, 0x3ff71547
	v_mul_f64 v[32:33], v[16:17], s[4:5]
	s_mov_b32 s4, 0xfefa39ef
	v_rndne_f64_e32 v[32:33], v[32:33]
	s_mov_b32 s5, 0xbfe62e42
	v_fma_f64 v[34:35], s[4:5], v[32:33], v[16:17]
	s_mov_b32 s4, 0x3b39803f
	s_mov_b32 s5, 0xbc7abc9e
	v_fmac_f64_e32 v[34:35], s[4:5], v[32:33]
	s_mov_b32 s4, 0x6a5dcb37
	v_mov_b32_e32 v50, 0xfca7ab0c
	v_mov_b32_e32 v51, 0x3e928af3
	s_mov_b32 s5, 0x3e5ade15
	v_fmac_f64_e32 v[50:51], s[4:5], v[34:35]
	v_mov_b32_e32 v52, 0x623fde64
	v_mov_b32_e32 v53, 0x3ec71dee
	v_fmac_f64_e32 v[52:53], v[34:35], v[50:51]
	v_mov_b32_e32 v50, 0x7c89e6b0
	v_mov_b32_e32 v51, 0x3efa0199
	;; [unrolled: 3-line block ×8, first 2 shown]
	v_fmac_f64_e32 v[50:51], v[34:35], v[52:53]
	v_fma_f64 v[50:51], v[34:35], v[50:51], 1.0
	s_mov_b32 s4, 0
	s_mov_b32 s30, 0
	v_fma_f64 v[34:35], v[34:35], v[50:51], 1.0
	v_cvt_i32_f64_e32 v32, v[32:33]
	s_mov_b32 s5, 0x40900000
	s_mov_b32 s31, 0xc090cc00
	v_ldexp_f64 v[32:33], v[34:35], v32
	v_mov_b32_e32 v34, 0x7ff00000
	v_cmp_nlt_f64_e64 s[4:5], s[4:5], v[16:17]
	v_cmp_ngt_f64_e64 s[30:31], s[30:31], v[16:17]
	v_cndmask_b32_e64 v33, v34, v33, s[4:5]
	s_and_b64 s[4:5], s[30:31], s[4:5]
	v_cndmask_b32_e64 v17, 0, v33, s[30:31]
	v_cndmask_b32_e64 v16, 0, v32, s[4:5]
	v_add_f64 v[22:23], v[22:23], v[16:17]
.LBB691_107:
	s_or_b64 exec, exec, s[66:67]
.LBB691_108:
	s_or_b64 exec, exec, s[42:43]
	v_pk_mov_b32 v[32:33], 0, 0
	v_pk_mov_b32 v[34:35], v[32:33], v[32:33] op_sel:[0,1]
	s_and_saveexec_b64 s[42:43], s[64:65]
	s_cbranch_execz .LBB691_112
; %bb.109:
	global_load_ubyte v34, v[4:5], off offset:96
	s_waitcnt vmcnt(0)
	v_and_b32_e32 v34, 1, v34
	v_cmp_eq_u32_e64 s[4:5], 1, v34
	s_xor_b64 s[4:5], s[4:5], -1
	v_pk_mov_b32 v[34:35], 0, 0
	s_and_saveexec_b64 s[64:65], s[4:5]
	s_cbranch_execz .LBB691_111
; %bb.110:
	s_mov_b32 s4, 0x652b82fe
	v_add_f64 v[34:35], v[42:43], -v[24:25]
	s_mov_b32 s5, 0x3ff71547
	v_mul_f64 v[42:43], v[34:35], s[4:5]
	s_mov_b32 s4, 0xfefa39ef
	v_rndne_f64_e32 v[42:43], v[42:43]
	s_mov_b32 s5, 0xbfe62e42
	v_fma_f64 v[50:51], s[4:5], v[42:43], v[34:35]
	s_mov_b32 s4, 0x3b39803f
	s_mov_b32 s5, 0xbc7abc9e
	v_fmac_f64_e32 v[50:51], s[4:5], v[42:43]
	s_mov_b32 s4, 0x6a5dcb37
	v_mov_b32_e32 v52, 0xfca7ab0c
	v_mov_b32_e32 v53, 0x3e928af3
	s_mov_b32 s5, 0x3e5ade15
	v_fmac_f64_e32 v[52:53], s[4:5], v[50:51]
	v_mov_b32_e32 v54, 0x623fde64
	v_mov_b32_e32 v55, 0x3ec71dee
	v_fmac_f64_e32 v[54:55], v[50:51], v[52:53]
	v_mov_b32_e32 v52, 0x7c89e6b0
	v_mov_b32_e32 v53, 0x3efa0199
	;; [unrolled: 3-line block ×8, first 2 shown]
	v_fmac_f64_e32 v[52:53], v[50:51], v[54:55]
	v_fma_f64 v[52:53], v[50:51], v[52:53], 1.0
	s_mov_b32 s4, 0
	s_mov_b32 s30, 0
	v_fma_f64 v[50:51], v[50:51], v[52:53], 1.0
	v_cvt_i32_f64_e32 v42, v[42:43]
	s_mov_b32 s5, 0x40900000
	s_mov_b32 s31, 0xc090cc00
	v_ldexp_f64 v[42:43], v[50:51], v42
	v_mov_b32_e32 v50, 0x7ff00000
	v_cmp_nlt_f64_e64 s[4:5], s[4:5], v[34:35]
	v_cmp_ngt_f64_e64 s[30:31], s[30:31], v[34:35]
	v_cndmask_b32_e64 v43, v50, v43, s[4:5]
	s_and_b64 s[4:5], s[30:31], s[4:5]
	v_cndmask_b32_e64 v35, 0, v43, s[30:31]
	v_cndmask_b32_e64 v34, 0, v42, s[4:5]
	v_add_f64 v[22:23], v[22:23], v[34:35]
.LBB691_111:
	s_or_b64 exec, exec, s[64:65]
.LBB691_112:
	s_or_b64 exec, exec, s[42:43]
	s_and_saveexec_b64 s[42:43], s[62:63]
	s_cbranch_execz .LBB691_116
; %bb.113:
	global_load_ubyte v32, v[4:5], off offset:128
	s_waitcnt vmcnt(0)
	v_and_b32_e32 v32, 1, v32
	v_cmp_eq_u32_e64 s[4:5], 1, v32
	s_xor_b64 s[4:5], s[4:5], -1
	v_pk_mov_b32 v[32:33], 0, 0
	s_and_saveexec_b64 s[62:63], s[4:5]
	s_cbranch_execz .LBB691_115
; %bb.114:
	s_mov_b32 s4, 0x652b82fe
	v_add_f64 v[32:33], v[40:41], -v[24:25]
	s_mov_b32 s5, 0x3ff71547
	v_mul_f64 v[40:41], v[32:33], s[4:5]
	s_mov_b32 s4, 0xfefa39ef
	v_rndne_f64_e32 v[40:41], v[40:41]
	s_mov_b32 s5, 0xbfe62e42
	v_fma_f64 v[42:43], s[4:5], v[40:41], v[32:33]
	s_mov_b32 s4, 0x3b39803f
	s_mov_b32 s5, 0xbc7abc9e
	v_fmac_f64_e32 v[42:43], s[4:5], v[40:41]
	s_mov_b32 s4, 0x6a5dcb37
	v_mov_b32_e32 v50, 0xfca7ab0c
	v_mov_b32_e32 v51, 0x3e928af3
	s_mov_b32 s5, 0x3e5ade15
	v_fmac_f64_e32 v[50:51], s[4:5], v[42:43]
	v_mov_b32_e32 v52, 0x623fde64
	v_mov_b32_e32 v53, 0x3ec71dee
	v_fmac_f64_e32 v[52:53], v[42:43], v[50:51]
	v_mov_b32_e32 v50, 0x7c89e6b0
	v_mov_b32_e32 v51, 0x3efa0199
	;; [unrolled: 3-line block ×8, first 2 shown]
	v_fmac_f64_e32 v[50:51], v[42:43], v[52:53]
	v_fma_f64 v[50:51], v[42:43], v[50:51], 1.0
	s_mov_b32 s4, 0
	s_mov_b32 s30, 0
	v_fma_f64 v[42:43], v[42:43], v[50:51], 1.0
	v_cvt_i32_f64_e32 v40, v[40:41]
	s_mov_b32 s5, 0x40900000
	s_mov_b32 s31, 0xc090cc00
	v_ldexp_f64 v[40:41], v[42:43], v40
	v_mov_b32_e32 v42, 0x7ff00000
	v_cmp_nlt_f64_e64 s[4:5], s[4:5], v[32:33]
	v_cmp_ngt_f64_e64 s[30:31], s[30:31], v[32:33]
	v_cndmask_b32_e64 v41, v42, v41, s[4:5]
	s_and_b64 s[4:5], s[30:31], s[4:5]
	v_cndmask_b32_e64 v33, 0, v41, s[30:31]
	v_cndmask_b32_e64 v32, 0, v40, s[4:5]
	v_add_f64 v[22:23], v[22:23], v[32:33]
.LBB691_115:
	s_or_b64 exec, exec, s[62:63]
.LBB691_116:
	s_or_b64 exec, exec, s[42:43]
	v_pk_mov_b32 v[40:41], 0, 0
	v_pk_mov_b32 v[42:43], v[40:41], v[40:41] op_sel:[0,1]
	s_and_saveexec_b64 s[42:43], s[60:61]
	s_cbranch_execz .LBB691_120
; %bb.117:
	global_load_ubyte v42, v[4:5], off offset:160
	s_waitcnt vmcnt(0)
	v_and_b32_e32 v42, 1, v42
	v_cmp_eq_u32_e64 s[4:5], 1, v42
	s_xor_b64 s[4:5], s[4:5], -1
	v_pk_mov_b32 v[42:43], 0, 0
	s_and_saveexec_b64 s[60:61], s[4:5]
	s_cbranch_execz .LBB691_119
; %bb.118:
	s_mov_b32 s4, 0x652b82fe
	v_add_f64 v[38:39], v[38:39], -v[24:25]
	s_mov_b32 s5, 0x3ff71547
	v_mul_f64 v[42:43], v[38:39], s[4:5]
	s_mov_b32 s4, 0xfefa39ef
	v_rndne_f64_e32 v[42:43], v[42:43]
	s_mov_b32 s5, 0xbfe62e42
	v_fma_f64 v[50:51], s[4:5], v[42:43], v[38:39]
	s_mov_b32 s4, 0x3b39803f
	s_mov_b32 s5, 0xbc7abc9e
	v_fmac_f64_e32 v[50:51], s[4:5], v[42:43]
	s_mov_b32 s4, 0x6a5dcb37
	v_mov_b32_e32 v52, 0xfca7ab0c
	v_mov_b32_e32 v53, 0x3e928af3
	s_mov_b32 s5, 0x3e5ade15
	v_fmac_f64_e32 v[52:53], s[4:5], v[50:51]
	v_mov_b32_e32 v54, 0x623fde64
	v_mov_b32_e32 v55, 0x3ec71dee
	v_fmac_f64_e32 v[54:55], v[50:51], v[52:53]
	v_mov_b32_e32 v52, 0x7c89e6b0
	v_mov_b32_e32 v53, 0x3efa0199
	;; [unrolled: 3-line block ×8, first 2 shown]
	v_fmac_f64_e32 v[52:53], v[50:51], v[54:55]
	v_fma_f64 v[52:53], v[50:51], v[52:53], 1.0
	s_mov_b32 s4, 0
	s_mov_b32 s30, 0
	v_fma_f64 v[50:51], v[50:51], v[52:53], 1.0
	v_cvt_i32_f64_e32 v42, v[42:43]
	s_mov_b32 s5, 0x40900000
	s_mov_b32 s31, 0xc090cc00
	v_ldexp_f64 v[42:43], v[50:51], v42
	v_mov_b32_e32 v50, 0x7ff00000
	v_cmp_nlt_f64_e64 s[4:5], s[4:5], v[38:39]
	v_cmp_ngt_f64_e64 s[30:31], s[30:31], v[38:39]
	v_cndmask_b32_e64 v43, v50, v43, s[4:5]
	s_and_b64 s[4:5], s[30:31], s[4:5]
	v_cndmask_b32_e64 v43, 0, v43, s[30:31]
	v_cndmask_b32_e64 v42, 0, v42, s[4:5]
	v_add_f64 v[22:23], v[22:23], v[42:43]
.LBB691_119:
	s_or_b64 exec, exec, s[60:61]
.LBB691_120:
	s_or_b64 exec, exec, s[42:43]
	s_and_saveexec_b64 s[42:43], s[58:59]
	s_cbranch_execz .LBB691_124
; %bb.121:
	global_load_ubyte v38, v[4:5], off offset:192
	v_pk_mov_b32 v[40:41], 0, 0
	s_waitcnt vmcnt(0)
	v_and_b32_e32 v38, 1, v38
	v_cmp_eq_u32_e64 s[4:5], 1, v38
	s_xor_b64 s[4:5], s[4:5], -1
	s_and_saveexec_b64 s[58:59], s[4:5]
	s_cbranch_execz .LBB691_123
; %bb.122:
	s_mov_b32 s4, 0x652b82fe
	v_add_f64 v[36:37], v[36:37], -v[24:25]
	s_mov_b32 s5, 0x3ff71547
	v_mul_f64 v[38:39], v[36:37], s[4:5]
	s_mov_b32 s4, 0xfefa39ef
	v_rndne_f64_e32 v[38:39], v[38:39]
	s_mov_b32 s5, 0xbfe62e42
	v_fma_f64 v[40:41], s[4:5], v[38:39], v[36:37]
	s_mov_b32 s4, 0x3b39803f
	s_mov_b32 s5, 0xbc7abc9e
	v_fmac_f64_e32 v[40:41], s[4:5], v[38:39]
	s_mov_b32 s4, 0x6a5dcb37
	v_mov_b32_e32 v50, 0xfca7ab0c
	v_mov_b32_e32 v51, 0x3e928af3
	s_mov_b32 s5, 0x3e5ade15
	v_fmac_f64_e32 v[50:51], s[4:5], v[40:41]
	v_mov_b32_e32 v52, 0x623fde64
	v_mov_b32_e32 v53, 0x3ec71dee
	v_fmac_f64_e32 v[52:53], v[40:41], v[50:51]
	v_mov_b32_e32 v50, 0x7c89e6b0
	v_mov_b32_e32 v51, 0x3efa0199
	;; [unrolled: 3-line block ×8, first 2 shown]
	v_fmac_f64_e32 v[50:51], v[40:41], v[52:53]
	v_fma_f64 v[50:51], v[40:41], v[50:51], 1.0
	s_mov_b32 s4, 0
	s_mov_b32 s30, 0
	v_fma_f64 v[40:41], v[40:41], v[50:51], 1.0
	v_cvt_i32_f64_e32 v38, v[38:39]
	s_mov_b32 s5, 0x40900000
	s_mov_b32 s31, 0xc090cc00
	v_ldexp_f64 v[38:39], v[40:41], v38
	v_mov_b32_e32 v40, 0x7ff00000
	v_cmp_nlt_f64_e64 s[4:5], s[4:5], v[36:37]
	v_cmp_ngt_f64_e64 s[30:31], s[30:31], v[36:37]
	v_cndmask_b32_e64 v39, v40, v39, s[4:5]
	s_and_b64 s[4:5], s[30:31], s[4:5]
	v_cndmask_b32_e64 v41, 0, v39, s[30:31]
	v_cndmask_b32_e64 v40, 0, v38, s[4:5]
	v_add_f64 v[22:23], v[22:23], v[40:41]
.LBB691_123:
	s_or_b64 exec, exec, s[58:59]
.LBB691_124:
	s_or_b64 exec, exec, s[42:43]
	v_pk_mov_b32 v[36:37], 0, 0
	v_pk_mov_b32 v[38:39], v[36:37], v[36:37] op_sel:[0,1]
	s_and_saveexec_b64 s[42:43], s[56:57]
	s_cbranch_execz .LBB691_128
; %bb.125:
	global_load_ubyte v38, v[4:5], off offset:224
	s_waitcnt vmcnt(0)
	v_and_b32_e32 v38, 1, v38
	v_cmp_eq_u32_e64 s[4:5], 1, v38
	s_xor_b64 s[4:5], s[4:5], -1
	v_pk_mov_b32 v[38:39], 0, 0
	s_and_saveexec_b64 s[56:57], s[4:5]
	s_cbranch_execz .LBB691_127
; %bb.126:
	s_mov_b32 s4, 0x652b82fe
	v_add_f64 v[30:31], v[30:31], -v[24:25]
	s_mov_b32 s5, 0x3ff71547
	v_mul_f64 v[38:39], v[30:31], s[4:5]
	s_mov_b32 s4, 0xfefa39ef
	v_rndne_f64_e32 v[38:39], v[38:39]
	s_mov_b32 s5, 0xbfe62e42
	v_fma_f64 v[50:51], s[4:5], v[38:39], v[30:31]
	s_mov_b32 s4, 0x3b39803f
	s_mov_b32 s5, 0xbc7abc9e
	v_fmac_f64_e32 v[50:51], s[4:5], v[38:39]
	s_mov_b32 s4, 0x6a5dcb37
	v_mov_b32_e32 v52, 0xfca7ab0c
	v_mov_b32_e32 v53, 0x3e928af3
	s_mov_b32 s5, 0x3e5ade15
	v_fmac_f64_e32 v[52:53], s[4:5], v[50:51]
	v_mov_b32_e32 v54, 0x623fde64
	v_mov_b32_e32 v55, 0x3ec71dee
	v_fmac_f64_e32 v[54:55], v[50:51], v[52:53]
	v_mov_b32_e32 v52, 0x7c89e6b0
	v_mov_b32_e32 v53, 0x3efa0199
	;; [unrolled: 3-line block ×8, first 2 shown]
	v_fmac_f64_e32 v[52:53], v[50:51], v[54:55]
	v_fma_f64 v[52:53], v[50:51], v[52:53], 1.0
	s_mov_b32 s4, 0
	s_mov_b32 s30, 0
	v_fma_f64 v[50:51], v[50:51], v[52:53], 1.0
	v_cvt_i32_f64_e32 v38, v[38:39]
	s_mov_b32 s5, 0x40900000
	s_mov_b32 s31, 0xc090cc00
	v_ldexp_f64 v[38:39], v[50:51], v38
	v_mov_b32_e32 v50, 0x7ff00000
	v_cmp_nlt_f64_e64 s[4:5], s[4:5], v[30:31]
	v_cmp_ngt_f64_e64 s[30:31], s[30:31], v[30:31]
	v_cndmask_b32_e64 v39, v50, v39, s[4:5]
	s_and_b64 s[4:5], s[30:31], s[4:5]
	v_cndmask_b32_e64 v39, 0, v39, s[30:31]
	v_cndmask_b32_e64 v38, 0, v38, s[4:5]
	v_add_f64 v[22:23], v[22:23], v[38:39]
.LBB691_127:
	s_or_b64 exec, exec, s[56:57]
.LBB691_128:
	s_or_b64 exec, exec, s[42:43]
	s_and_saveexec_b64 s[42:43], s[54:55]
	s_cbranch_execz .LBB691_132
; %bb.129:
	global_load_ubyte v30, v[4:5], off offset:256
	v_pk_mov_b32 v[36:37], 0, 0
	s_waitcnt vmcnt(0)
	v_and_b32_e32 v30, 1, v30
	v_cmp_eq_u32_e64 s[4:5], 1, v30
	s_xor_b64 s[4:5], s[4:5], -1
	s_and_saveexec_b64 s[54:55], s[4:5]
	s_cbranch_execz .LBB691_131
; %bb.130:
	s_mov_b32 s4, 0x652b82fe
	v_add_f64 v[28:29], v[28:29], -v[24:25]
	s_mov_b32 s5, 0x3ff71547
	v_mul_f64 v[30:31], v[28:29], s[4:5]
	s_mov_b32 s4, 0xfefa39ef
	v_rndne_f64_e32 v[30:31], v[30:31]
	s_mov_b32 s5, 0xbfe62e42
	v_fma_f64 v[36:37], s[4:5], v[30:31], v[28:29]
	s_mov_b32 s4, 0x3b39803f
	s_mov_b32 s5, 0xbc7abc9e
	v_fmac_f64_e32 v[36:37], s[4:5], v[30:31]
	s_mov_b32 s4, 0x6a5dcb37
	v_mov_b32_e32 v50, 0xfca7ab0c
	v_mov_b32_e32 v51, 0x3e928af3
	s_mov_b32 s5, 0x3e5ade15
	v_fmac_f64_e32 v[50:51], s[4:5], v[36:37]
	v_mov_b32_e32 v52, 0x623fde64
	v_mov_b32_e32 v53, 0x3ec71dee
	v_fmac_f64_e32 v[52:53], v[36:37], v[50:51]
	v_mov_b32_e32 v50, 0x7c89e6b0
	v_mov_b32_e32 v51, 0x3efa0199
	;; [unrolled: 3-line block ×8, first 2 shown]
	v_fmac_f64_e32 v[50:51], v[36:37], v[52:53]
	v_fma_f64 v[50:51], v[36:37], v[50:51], 1.0
	s_mov_b32 s4, 0
	s_mov_b32 s30, 0
	v_fma_f64 v[36:37], v[36:37], v[50:51], 1.0
	v_cvt_i32_f64_e32 v30, v[30:31]
	s_mov_b32 s5, 0x40900000
	s_mov_b32 s31, 0xc090cc00
	v_ldexp_f64 v[30:31], v[36:37], v30
	v_mov_b32_e32 v36, 0x7ff00000
	v_cmp_nlt_f64_e64 s[4:5], s[4:5], v[28:29]
	v_cmp_ngt_f64_e64 s[30:31], s[30:31], v[28:29]
	v_cndmask_b32_e64 v31, v36, v31, s[4:5]
	s_and_b64 s[4:5], s[30:31], s[4:5]
	v_cndmask_b32_e64 v37, 0, v31, s[30:31]
	v_cndmask_b32_e64 v36, 0, v30, s[4:5]
	v_add_f64 v[22:23], v[22:23], v[36:37]
.LBB691_131:
	s_or_b64 exec, exec, s[54:55]
.LBB691_132:
	s_or_b64 exec, exec, s[42:43]
	v_pk_mov_b32 v[28:29], 0, 0
	v_pk_mov_b32 v[30:31], v[28:29], v[28:29] op_sel:[0,1]
	s_and_saveexec_b64 s[42:43], s[52:53]
	s_cbranch_execz .LBB691_136
; %bb.133:
	global_load_ubyte v30, v[4:5], off offset:288
	s_waitcnt vmcnt(0)
	v_and_b32_e32 v30, 1, v30
	v_cmp_eq_u32_e64 s[4:5], 1, v30
	s_xor_b64 s[4:5], s[4:5], -1
	v_pk_mov_b32 v[30:31], 0, 0
	s_and_saveexec_b64 s[52:53], s[4:5]
	s_cbranch_execz .LBB691_135
; %bb.134:
	s_mov_b32 s4, 0x652b82fe
	v_add_f64 v[18:19], v[18:19], -v[24:25]
	s_mov_b32 s5, 0x3ff71547
	v_mul_f64 v[30:31], v[18:19], s[4:5]
	s_mov_b32 s4, 0xfefa39ef
	v_rndne_f64_e32 v[30:31], v[30:31]
	s_mov_b32 s5, 0xbfe62e42
	v_fma_f64 v[50:51], s[4:5], v[30:31], v[18:19]
	s_mov_b32 s4, 0x3b39803f
	s_mov_b32 s5, 0xbc7abc9e
	v_fmac_f64_e32 v[50:51], s[4:5], v[30:31]
	s_mov_b32 s4, 0x6a5dcb37
	v_mov_b32_e32 v52, 0xfca7ab0c
	v_mov_b32_e32 v53, 0x3e928af3
	s_mov_b32 s5, 0x3e5ade15
	v_fmac_f64_e32 v[52:53], s[4:5], v[50:51]
	v_mov_b32_e32 v54, 0x623fde64
	v_mov_b32_e32 v55, 0x3ec71dee
	v_fmac_f64_e32 v[54:55], v[50:51], v[52:53]
	v_mov_b32_e32 v52, 0x7c89e6b0
	v_mov_b32_e32 v53, 0x3efa0199
	;; [unrolled: 3-line block ×8, first 2 shown]
	v_fmac_f64_e32 v[52:53], v[50:51], v[54:55]
	v_fma_f64 v[52:53], v[50:51], v[52:53], 1.0
	s_mov_b32 s4, 0
	s_mov_b32 s30, 0
	v_fma_f64 v[50:51], v[50:51], v[52:53], 1.0
	v_cvt_i32_f64_e32 v30, v[30:31]
	s_mov_b32 s5, 0x40900000
	s_mov_b32 s31, 0xc090cc00
	v_ldexp_f64 v[30:31], v[50:51], v30
	v_mov_b32_e32 v50, 0x7ff00000
	v_cmp_nlt_f64_e64 s[4:5], s[4:5], v[18:19]
	v_cmp_ngt_f64_e64 s[30:31], s[30:31], v[18:19]
	v_cndmask_b32_e64 v31, v50, v31, s[4:5]
	s_and_b64 s[4:5], s[30:31], s[4:5]
	v_cndmask_b32_e64 v31, 0, v31, s[30:31]
	v_cndmask_b32_e64 v30, 0, v30, s[4:5]
	v_add_f64 v[22:23], v[22:23], v[30:31]
.LBB691_135:
	s_or_b64 exec, exec, s[52:53]
.LBB691_136:
	s_or_b64 exec, exec, s[42:43]
	s_and_saveexec_b64 s[42:43], s[50:51]
	s_cbranch_execz .LBB691_140
; %bb.137:
	global_load_ubyte v18, v[4:5], off offset:320
	v_pk_mov_b32 v[28:29], 0, 0
	s_waitcnt vmcnt(0)
	v_and_b32_e32 v18, 1, v18
	v_cmp_eq_u32_e64 s[4:5], 1, v18
	s_xor_b64 s[4:5], s[4:5], -1
	s_and_saveexec_b64 s[50:51], s[4:5]
	s_cbranch_execz .LBB691_139
; %bb.138:
	s_mov_b32 s4, 0x652b82fe
	v_add_f64 v[14:15], v[14:15], -v[24:25]
	s_mov_b32 s5, 0x3ff71547
	v_mul_f64 v[18:19], v[14:15], s[4:5]
	s_mov_b32 s4, 0xfefa39ef
	v_rndne_f64_e32 v[18:19], v[18:19]
	s_mov_b32 s5, 0xbfe62e42
	v_fma_f64 v[28:29], s[4:5], v[18:19], v[14:15]
	s_mov_b32 s4, 0x3b39803f
	s_mov_b32 s5, 0xbc7abc9e
	v_fmac_f64_e32 v[28:29], s[4:5], v[18:19]
	s_mov_b32 s4, 0x6a5dcb37
	v_mov_b32_e32 v50, 0xfca7ab0c
	v_mov_b32_e32 v51, 0x3e928af3
	s_mov_b32 s5, 0x3e5ade15
	v_fmac_f64_e32 v[50:51], s[4:5], v[28:29]
	v_mov_b32_e32 v52, 0x623fde64
	v_mov_b32_e32 v53, 0x3ec71dee
	v_fmac_f64_e32 v[52:53], v[28:29], v[50:51]
	v_mov_b32_e32 v50, 0x7c89e6b0
	v_mov_b32_e32 v51, 0x3efa0199
	;; [unrolled: 3-line block ×8, first 2 shown]
	v_fmac_f64_e32 v[50:51], v[28:29], v[52:53]
	v_fma_f64 v[50:51], v[28:29], v[50:51], 1.0
	s_mov_b32 s4, 0
	s_mov_b32 s30, 0
	v_fma_f64 v[28:29], v[28:29], v[50:51], 1.0
	v_cvt_i32_f64_e32 v18, v[18:19]
	s_mov_b32 s5, 0x40900000
	s_mov_b32 s31, 0xc090cc00
	v_ldexp_f64 v[18:19], v[28:29], v18
	v_mov_b32_e32 v28, 0x7ff00000
	v_cmp_nlt_f64_e64 s[4:5], s[4:5], v[14:15]
	v_cmp_ngt_f64_e64 s[30:31], s[30:31], v[14:15]
	v_cndmask_b32_e64 v19, v28, v19, s[4:5]
	s_and_b64 s[4:5], s[30:31], s[4:5]
	v_cndmask_b32_e64 v29, 0, v19, s[30:31]
	v_cndmask_b32_e64 v28, 0, v18, s[4:5]
	v_add_f64 v[22:23], v[22:23], v[28:29]
.LBB691_139:
	s_or_b64 exec, exec, s[50:51]
.LBB691_140:
	s_or_b64 exec, exec, s[42:43]
	v_pk_mov_b32 v[14:15], 0, 0
	v_pk_mov_b32 v[18:19], v[14:15], v[14:15] op_sel:[0,1]
	s_and_saveexec_b64 s[42:43], s[48:49]
	s_cbranch_execz .LBB691_144
; %bb.141:
	global_load_ubyte v18, v[4:5], off offset:352
	s_waitcnt vmcnt(0)
	v_and_b32_e32 v18, 1, v18
	v_cmp_eq_u32_e64 s[4:5], 1, v18
	s_xor_b64 s[4:5], s[4:5], -1
	v_pk_mov_b32 v[18:19], 0, 0
	s_and_saveexec_b64 s[48:49], s[4:5]
	s_cbranch_execz .LBB691_143
; %bb.142:
	s_mov_b32 s4, 0x652b82fe
	v_add_f64 v[12:13], v[12:13], -v[24:25]
	s_mov_b32 s5, 0x3ff71547
	v_mul_f64 v[18:19], v[12:13], s[4:5]
	s_mov_b32 s4, 0xfefa39ef
	v_rndne_f64_e32 v[18:19], v[18:19]
	s_mov_b32 s5, 0xbfe62e42
	v_fma_f64 v[50:51], s[4:5], v[18:19], v[12:13]
	s_mov_b32 s4, 0x3b39803f
	s_mov_b32 s5, 0xbc7abc9e
	v_fmac_f64_e32 v[50:51], s[4:5], v[18:19]
	s_mov_b32 s4, 0x6a5dcb37
	v_mov_b32_e32 v52, 0xfca7ab0c
	v_mov_b32_e32 v53, 0x3e928af3
	s_mov_b32 s5, 0x3e5ade15
	v_fmac_f64_e32 v[52:53], s[4:5], v[50:51]
	v_mov_b32_e32 v54, 0x623fde64
	v_mov_b32_e32 v55, 0x3ec71dee
	v_fmac_f64_e32 v[54:55], v[50:51], v[52:53]
	v_mov_b32_e32 v52, 0x7c89e6b0
	v_mov_b32_e32 v53, 0x3efa0199
	;; [unrolled: 3-line block ×8, first 2 shown]
	v_fmac_f64_e32 v[52:53], v[50:51], v[54:55]
	v_fma_f64 v[52:53], v[50:51], v[52:53], 1.0
	s_mov_b32 s4, 0
	s_mov_b32 s30, 0
	v_fma_f64 v[50:51], v[50:51], v[52:53], 1.0
	v_cvt_i32_f64_e32 v18, v[18:19]
	s_mov_b32 s5, 0x40900000
	s_mov_b32 s31, 0xc090cc00
	v_ldexp_f64 v[18:19], v[50:51], v18
	v_mov_b32_e32 v50, 0x7ff00000
	v_cmp_nlt_f64_e64 s[4:5], s[4:5], v[12:13]
	v_cmp_ngt_f64_e64 s[30:31], s[30:31], v[12:13]
	v_cndmask_b32_e64 v19, v50, v19, s[4:5]
	s_and_b64 s[4:5], s[30:31], s[4:5]
	v_cndmask_b32_e64 v19, 0, v19, s[30:31]
	v_cndmask_b32_e64 v18, 0, v18, s[4:5]
	v_add_f64 v[22:23], v[22:23], v[18:19]
.LBB691_143:
	s_or_b64 exec, exec, s[48:49]
.LBB691_144:
	s_or_b64 exec, exec, s[42:43]
	s_and_saveexec_b64 s[42:43], s[46:47]
	s_cbranch_execz .LBB691_148
; %bb.145:
	global_load_ubyte v12, v[4:5], off offset:384
	v_pk_mov_b32 v[14:15], 0, 0
	s_waitcnt vmcnt(0)
	v_and_b32_e32 v12, 1, v12
	v_cmp_eq_u32_e64 s[4:5], 1, v12
	s_xor_b64 s[4:5], s[4:5], -1
	s_and_saveexec_b64 s[46:47], s[4:5]
	s_cbranch_execz .LBB691_147
; %bb.146:
	s_mov_b32 s4, 0x652b82fe
	v_add_f64 v[10:11], v[10:11], -v[24:25]
	s_mov_b32 s5, 0x3ff71547
	v_mul_f64 v[12:13], v[10:11], s[4:5]
	s_mov_b32 s4, 0xfefa39ef
	v_rndne_f64_e32 v[12:13], v[12:13]
	s_mov_b32 s5, 0xbfe62e42
	v_fma_f64 v[14:15], s[4:5], v[12:13], v[10:11]
	s_mov_b32 s4, 0x3b39803f
	s_mov_b32 s5, 0xbc7abc9e
	v_fmac_f64_e32 v[14:15], s[4:5], v[12:13]
	s_mov_b32 s4, 0x6a5dcb37
	v_mov_b32_e32 v50, 0xfca7ab0c
	v_mov_b32_e32 v51, 0x3e928af3
	s_mov_b32 s5, 0x3e5ade15
	v_fmac_f64_e32 v[50:51], s[4:5], v[14:15]
	v_mov_b32_e32 v52, 0x623fde64
	v_mov_b32_e32 v53, 0x3ec71dee
	v_fmac_f64_e32 v[52:53], v[14:15], v[50:51]
	v_mov_b32_e32 v50, 0x7c89e6b0
	v_mov_b32_e32 v51, 0x3efa0199
	;; [unrolled: 3-line block ×8, first 2 shown]
	v_fmac_f64_e32 v[50:51], v[14:15], v[52:53]
	v_fma_f64 v[50:51], v[14:15], v[50:51], 1.0
	s_mov_b32 s4, 0
	s_mov_b32 s30, 0
	v_fma_f64 v[14:15], v[14:15], v[50:51], 1.0
	v_cvt_i32_f64_e32 v12, v[12:13]
	s_mov_b32 s5, 0x40900000
	s_mov_b32 s31, 0xc090cc00
	v_ldexp_f64 v[12:13], v[14:15], v12
	v_mov_b32_e32 v14, 0x7ff00000
	v_cmp_nlt_f64_e64 s[4:5], s[4:5], v[10:11]
	v_cmp_ngt_f64_e64 s[30:31], s[30:31], v[10:11]
	v_cndmask_b32_e64 v13, v14, v13, s[4:5]
	s_and_b64 s[4:5], s[30:31], s[4:5]
	v_cndmask_b32_e64 v15, 0, v13, s[30:31]
	v_cndmask_b32_e64 v14, 0, v12, s[4:5]
	v_add_f64 v[22:23], v[22:23], v[14:15]
.LBB691_147:
	s_or_b64 exec, exec, s[46:47]
.LBB691_148:
	s_or_b64 exec, exec, s[42:43]
	v_pk_mov_b32 v[10:11], 0, 0
	v_pk_mov_b32 v[12:13], v[10:11], v[10:11] op_sel:[0,1]
	s_and_saveexec_b64 s[42:43], s[44:45]
	s_cbranch_execnz .LBB691_151
; %bb.149:
	s_or_b64 exec, exec, s[42:43]
	s_and_saveexec_b64 s[42:43], s[40:41]
	s_cbranch_execnz .LBB691_154
.LBB691_150:
	s_or_b64 exec, exec, s[42:43]
	v_pk_mov_b32 v[6:7], 0, 0
	s_and_saveexec_b64 s[40:41], s[38:39]
	s_cbranch_execnz .LBB691_157
	s_branch .LBB691_160
.LBB691_151:
	global_load_ubyte v12, v[4:5], off offset:416
	s_waitcnt vmcnt(0)
	v_and_b32_e32 v12, 1, v12
	v_cmp_eq_u32_e64 s[4:5], 1, v12
	s_xor_b64 s[4:5], s[4:5], -1
	v_pk_mov_b32 v[12:13], 0, 0
	s_and_saveexec_b64 s[44:45], s[4:5]
	s_cbranch_execz .LBB691_153
; %bb.152:
	s_mov_b32 s4, 0x652b82fe
	v_add_f64 v[8:9], v[8:9], -v[24:25]
	s_mov_b32 s5, 0x3ff71547
	v_mul_f64 v[12:13], v[8:9], s[4:5]
	s_mov_b32 s4, 0xfefa39ef
	v_rndne_f64_e32 v[12:13], v[12:13]
	s_mov_b32 s5, 0xbfe62e42
	v_fma_f64 v[50:51], s[4:5], v[12:13], v[8:9]
	s_mov_b32 s4, 0x3b39803f
	s_mov_b32 s5, 0xbc7abc9e
	v_fmac_f64_e32 v[50:51], s[4:5], v[12:13]
	s_mov_b32 s4, 0x6a5dcb37
	v_mov_b32_e32 v52, 0xfca7ab0c
	v_mov_b32_e32 v53, 0x3e928af3
	s_mov_b32 s5, 0x3e5ade15
	v_fmac_f64_e32 v[52:53], s[4:5], v[50:51]
	v_mov_b32_e32 v54, 0x623fde64
	v_mov_b32_e32 v55, 0x3ec71dee
	v_fmac_f64_e32 v[54:55], v[50:51], v[52:53]
	v_mov_b32_e32 v52, 0x7c89e6b0
	v_mov_b32_e32 v53, 0x3efa0199
	;; [unrolled: 3-line block ×8, first 2 shown]
	v_fmac_f64_e32 v[52:53], v[50:51], v[54:55]
	v_fma_f64 v[52:53], v[50:51], v[52:53], 1.0
	s_mov_b32 s4, 0
	s_mov_b32 s30, 0
	v_fma_f64 v[50:51], v[50:51], v[52:53], 1.0
	v_cvt_i32_f64_e32 v12, v[12:13]
	s_mov_b32 s5, 0x40900000
	s_mov_b32 s31, 0xc090cc00
	v_ldexp_f64 v[12:13], v[50:51], v12
	v_mov_b32_e32 v50, 0x7ff00000
	v_cmp_nlt_f64_e64 s[4:5], s[4:5], v[8:9]
	v_cmp_ngt_f64_e64 s[30:31], s[30:31], v[8:9]
	v_cndmask_b32_e64 v13, v50, v13, s[4:5]
	s_and_b64 s[4:5], s[30:31], s[4:5]
	v_cndmask_b32_e64 v13, 0, v13, s[30:31]
	v_cndmask_b32_e64 v12, 0, v12, s[4:5]
	v_add_f64 v[22:23], v[22:23], v[12:13]
.LBB691_153:
	s_or_b64 exec, exec, s[44:45]
	s_or_b64 exec, exec, s[42:43]
	s_and_saveexec_b64 s[42:43], s[40:41]
	s_cbranch_execz .LBB691_150
.LBB691_154:
	global_load_ubyte v8, v[4:5], off offset:448
	v_pk_mov_b32 v[10:11], 0, 0
	s_waitcnt vmcnt(0)
	v_and_b32_e32 v8, 1, v8
	v_cmp_eq_u32_e64 s[4:5], 1, v8
	s_xor_b64 s[4:5], s[4:5], -1
	s_and_saveexec_b64 s[40:41], s[4:5]
	s_cbranch_execz .LBB691_156
; %bb.155:
	s_mov_b32 s4, 0x652b82fe
	v_add_f64 v[6:7], v[6:7], -v[24:25]
	s_mov_b32 s5, 0x3ff71547
	v_mul_f64 v[8:9], v[6:7], s[4:5]
	s_mov_b32 s4, 0xfefa39ef
	v_rndne_f64_e32 v[8:9], v[8:9]
	s_mov_b32 s5, 0xbfe62e42
	v_fma_f64 v[10:11], s[4:5], v[8:9], v[6:7]
	s_mov_b32 s4, 0x3b39803f
	s_mov_b32 s5, 0xbc7abc9e
	v_fmac_f64_e32 v[10:11], s[4:5], v[8:9]
	s_mov_b32 s4, 0x6a5dcb37
	v_mov_b32_e32 v50, 0xfca7ab0c
	v_mov_b32_e32 v51, 0x3e928af3
	s_mov_b32 s5, 0x3e5ade15
	v_fmac_f64_e32 v[50:51], s[4:5], v[10:11]
	v_mov_b32_e32 v52, 0x623fde64
	v_mov_b32_e32 v53, 0x3ec71dee
	v_fmac_f64_e32 v[52:53], v[10:11], v[50:51]
	v_mov_b32_e32 v50, 0x7c89e6b0
	v_mov_b32_e32 v51, 0x3efa0199
	v_fmac_f64_e32 v[50:51], v[10:11], v[52:53]
	v_mov_b32_e32 v52, 0x14761f6e
	v_mov_b32_e32 v53, 0x3f2a01a0
	v_fmac_f64_e32 v[52:53], v[10:11], v[50:51]
	v_mov_b32_e32 v50, 0x1852b7b0
	v_mov_b32_e32 v51, 0x3f56c16c
	v_fmac_f64_e32 v[50:51], v[10:11], v[52:53]
	v_mov_b32_e32 v52, 0x11122322
	v_mov_b32_e32 v53, 0x3f811111
	v_fmac_f64_e32 v[52:53], v[10:11], v[50:51]
	v_mov_b32_e32 v50, 0x555502a1
	v_mov_b32_e32 v51, 0x3fa55555
	v_fmac_f64_e32 v[50:51], v[10:11], v[52:53]
	v_mov_b32_e32 v52, 0x55555511
	v_mov_b32_e32 v53, 0x3fc55555
	v_fmac_f64_e32 v[52:53], v[10:11], v[50:51]
	v_mov_b32_e32 v50, 11
	v_mov_b32_e32 v51, 0x3fe00000
	v_fmac_f64_e32 v[50:51], v[10:11], v[52:53]
	v_fma_f64 v[50:51], v[10:11], v[50:51], 1.0
	s_mov_b32 s4, 0
	s_mov_b32 s30, 0
	v_fma_f64 v[10:11], v[10:11], v[50:51], 1.0
	v_cvt_i32_f64_e32 v8, v[8:9]
	s_mov_b32 s5, 0x40900000
	s_mov_b32 s31, 0xc090cc00
	v_ldexp_f64 v[8:9], v[10:11], v8
	v_mov_b32_e32 v10, 0x7ff00000
	v_cmp_nlt_f64_e64 s[4:5], s[4:5], v[6:7]
	v_cmp_ngt_f64_e64 s[30:31], s[30:31], v[6:7]
	v_cndmask_b32_e64 v9, v10, v9, s[4:5]
	s_and_b64 s[4:5], s[30:31], s[4:5]
	v_cndmask_b32_e64 v11, 0, v9, s[30:31]
	v_cndmask_b32_e64 v10, 0, v8, s[4:5]
	v_add_f64 v[22:23], v[22:23], v[10:11]
.LBB691_156:
	s_or_b64 exec, exec, s[40:41]
	s_or_b64 exec, exec, s[42:43]
	v_pk_mov_b32 v[6:7], 0, 0
	s_and_saveexec_b64 s[40:41], s[38:39]
	s_cbranch_execz .LBB691_160
.LBB691_157:
	global_load_ubyte v4, v[4:5], off offset:480
	v_pk_mov_b32 v[6:7], 0, 0
	s_waitcnt vmcnt(0)
	v_and_b32_e32 v4, 1, v4
	v_cmp_eq_u32_e64 s[4:5], 1, v4
	s_xor_b64 s[4:5], s[4:5], -1
	s_and_saveexec_b64 s[38:39], s[4:5]
	s_cbranch_execz .LBB691_159
; %bb.158:
	s_mov_b32 s4, 0x652b82fe
	v_add_f64 v[2:3], v[2:3], -v[24:25]
	s_mov_b32 s5, 0x3ff71547
	v_mul_f64 v[4:5], v[2:3], s[4:5]
	s_mov_b32 s4, 0xfefa39ef
	v_rndne_f64_e32 v[4:5], v[4:5]
	s_mov_b32 s5, 0xbfe62e42
	v_fma_f64 v[6:7], s[4:5], v[4:5], v[2:3]
	s_mov_b32 s4, 0x3b39803f
	s_mov_b32 s5, 0xbc7abc9e
	v_fmac_f64_e32 v[6:7], s[4:5], v[4:5]
	s_mov_b32 s4, 0x6a5dcb37
	v_mov_b32_e32 v8, 0xfca7ab0c
	v_mov_b32_e32 v9, 0x3e928af3
	s_mov_b32 s5, 0x3e5ade15
	v_fmac_f64_e32 v[8:9], s[4:5], v[6:7]
	v_mov_b32_e32 v24, 0x623fde64
	v_mov_b32_e32 v25, 0x3ec71dee
	v_fmac_f64_e32 v[24:25], v[6:7], v[8:9]
	v_mov_b32_e32 v8, 0x7c89e6b0
	v_mov_b32_e32 v9, 0x3efa0199
	;; [unrolled: 3-line block ×8, first 2 shown]
	v_fmac_f64_e32 v[8:9], v[6:7], v[24:25]
	v_fma_f64 v[8:9], v[6:7], v[8:9], 1.0
	s_mov_b32 s4, 0
	s_mov_b32 s30, 0
	v_fma_f64 v[6:7], v[6:7], v[8:9], 1.0
	v_cvt_i32_f64_e32 v4, v[4:5]
	s_mov_b32 s5, 0x40900000
	s_mov_b32 s31, 0xc090cc00
	v_ldexp_f64 v[4:5], v[6:7], v4
	v_mov_b32_e32 v6, 0x7ff00000
	v_cmp_nlt_f64_e64 s[4:5], s[4:5], v[2:3]
	v_cmp_ngt_f64_e64 s[30:31], s[30:31], v[2:3]
	v_cndmask_b32_e64 v5, v6, v5, s[4:5]
	s_and_b64 s[4:5], s[30:31], s[4:5]
	v_cndmask_b32_e64 v7, 0, v5, s[30:31]
	v_cndmask_b32_e64 v6, 0, v4, s[4:5]
	v_add_f64 v[22:23], v[22:23], v[6:7]
.LBB691_159:
	s_or_b64 exec, exec, s[38:39]
.LBB691_160:
	s_or_b64 exec, exec, s[40:41]
	ds_bpermute_b32 v2, v45, v22
	ds_bpermute_b32 v3, v45, v23
	v_cmp_lt_i32_e64 s[4:5], 0, v44
	s_waitcnt lgkmcnt(0)
	v_add_f64 v[2:3], v[22:23], v[2:3]
	ds_bpermute_b32 v4, v46, v2
	ds_bpermute_b32 v5, v46, v3
	s_waitcnt lgkmcnt(0)
	v_add_f64 v[2:3], v[2:3], v[4:5]
	ds_bpermute_b32 v4, v47, v2
	ds_bpermute_b32 v5, v47, v3
	;; [unrolled: 4-line block ×4, first 2 shown]
	s_and_saveexec_b64 s[30:31], s[4:5]
	s_cbranch_execz .LBB691_178
; %bb.161:
	s_and_b64 exec, exec, vcc
	s_cbranch_execz .LBB691_178
; %bb.162:
	s_waitcnt lgkmcnt(0)
	v_add_f64 v[2:3], v[2:3], v[4:5]
	v_div_scale_f64 v[4:5], s[4:5], v[2:3], v[2:3], v[20:21]
	v_rcp_f64_e32 v[8:9], v[4:5]
	v_mov_b32_e32 v22, s37
	v_add_co_u32_e32 v0, vcc, s36, v0
	v_addc_co_u32_e32 v1, vcc, v22, v1, vcc
	v_fma_f64 v[22:23], -v[4:5], v[8:9], 1.0
	v_fmac_f64_e32 v[8:9], v[8:9], v[22:23]
	v_fma_f64 v[22:23], -v[4:5], v[8:9], 1.0
	v_fmac_f64_e32 v[8:9], v[8:9], v[22:23]
	v_div_scale_f64 v[22:23], vcc, v[20:21], v[2:3], v[20:21]
	v_mul_f64 v[24:25], v[22:23], v[8:9]
	v_fma_f64 v[4:5], -v[4:5], v[24:25], v[22:23]
	v_cmp_eq_f64_e64 s[30:31], 0, v[2:3]
	s_nop 0
	v_div_fmas_f64 v[4:5], v[4:5], v[8:9], v[24:25]
	v_div_fixup_f64 v[8:9], v[4:5], v[2:3], v[20:21]
	v_mov_b32_e32 v4, 0x7ff80000
	v_cndmask_b32_e64 v9, v9, v4, s[30:31]
	v_cndmask_b32_e64 v8, v8, 0, s[30:31]
	global_store_dwordx2 v[0:1], v[8:9], off
	s_and_b64 exec, exec, s[28:29]
	s_cbranch_execz .LBB691_178
; %bb.163:
	v_div_scale_f64 v[8:9], s[4:5], v[2:3], v[2:3], v[26:27]
	v_rcp_f64_e32 v[20:21], v[8:9]
	v_div_scale_f64 v[22:23], vcc, v[26:27], v[2:3], v[26:27]
	v_fma_f64 v[24:25], -v[8:9], v[20:21], 1.0
	v_fmac_f64_e32 v[20:21], v[20:21], v[24:25]
	v_fma_f64 v[24:25], -v[8:9], v[20:21], 1.0
	v_fmac_f64_e32 v[20:21], v[20:21], v[24:25]
	v_mul_f64 v[24:25], v[22:23], v[20:21]
	v_fma_f64 v[8:9], -v[8:9], v[24:25], v[22:23]
	v_div_fmas_f64 v[8:9], v[8:9], v[20:21], v[24:25]
	v_div_fixup_f64 v[8:9], v[8:9], v[2:3], v[26:27]
	v_cndmask_b32_e64 v5, v9, v4, s[30:31]
	v_cndmask_b32_e64 v4, v8, 0, s[30:31]
	global_store_dwordx2 v[0:1], v[4:5], off offset:256
	s_and_b64 exec, exec, s[26:27]
	s_cbranch_execz .LBB691_178
; %bb.164:
	v_div_scale_f64 v[4:5], s[4:5], v[2:3], v[2:3], v[16:17]
	v_rcp_f64_e32 v[8:9], v[4:5]
	v_div_scale_f64 v[20:21], vcc, v[16:17], v[2:3], v[16:17]
	v_fma_f64 v[22:23], -v[4:5], v[8:9], 1.0
	v_fmac_f64_e32 v[8:9], v[8:9], v[22:23]
	v_fma_f64 v[22:23], -v[4:5], v[8:9], 1.0
	v_fmac_f64_e32 v[8:9], v[8:9], v[22:23]
	v_mul_f64 v[22:23], v[20:21], v[8:9]
	v_fma_f64 v[4:5], -v[4:5], v[22:23], v[20:21]
	v_div_fmas_f64 v[4:5], v[4:5], v[8:9], v[22:23]
	v_div_fixup_f64 v[8:9], v[4:5], v[2:3], v[16:17]
	v_mov_b32_e32 v4, 0x7ff80000
	v_cndmask_b32_e64 v9, v9, v4, s[30:31]
	v_cndmask_b32_e64 v8, v8, 0, s[30:31]
	global_store_dwordx2 v[0:1], v[8:9], off offset:512
	s_and_b64 exec, exec, s[24:25]
	s_cbranch_execz .LBB691_178
; %bb.165:
	v_div_scale_f64 v[8:9], s[4:5], v[2:3], v[2:3], v[34:35]
	v_rcp_f64_e32 v[16:17], v[8:9]
	v_div_scale_f64 v[20:21], vcc, v[34:35], v[2:3], v[34:35]
	v_fma_f64 v[22:23], -v[8:9], v[16:17], 1.0
	v_fmac_f64_e32 v[16:17], v[16:17], v[22:23]
	v_fma_f64 v[22:23], -v[8:9], v[16:17], 1.0
	v_fmac_f64_e32 v[16:17], v[16:17], v[22:23]
	v_mul_f64 v[22:23], v[20:21], v[16:17]
	v_fma_f64 v[8:9], -v[8:9], v[22:23], v[20:21]
	v_div_fmas_f64 v[8:9], v[8:9], v[16:17], v[22:23]
	v_div_fixup_f64 v[8:9], v[8:9], v[2:3], v[34:35]
	v_cndmask_b32_e64 v5, v9, v4, s[30:31]
	v_cndmask_b32_e64 v4, v8, 0, s[30:31]
	global_store_dwordx2 v[0:1], v[4:5], off offset:768
	s_and_b64 exec, exec, s[22:23]
	s_cbranch_execz .LBB691_178
; %bb.166:
	v_div_scale_f64 v[4:5], s[4:5], v[2:3], v[2:3], v[32:33]
	v_rcp_f64_e32 v[8:9], v[4:5]
	v_div_scale_f64 v[16:17], vcc, v[32:33], v[2:3], v[32:33]
	v_fma_f64 v[20:21], -v[4:5], v[8:9], 1.0
	v_fmac_f64_e32 v[8:9], v[8:9], v[20:21]
	v_fma_f64 v[20:21], -v[4:5], v[8:9], 1.0
	v_fmac_f64_e32 v[8:9], v[8:9], v[20:21]
	v_mul_f64 v[20:21], v[16:17], v[8:9]
	v_fma_f64 v[4:5], -v[4:5], v[20:21], v[16:17]
	v_div_fmas_f64 v[4:5], v[4:5], v[8:9], v[20:21]
	v_div_fixup_f64 v[8:9], v[4:5], v[2:3], v[32:33]
	v_mov_b32_e32 v4, 0x7ff80000
	v_cndmask_b32_e64 v9, v9, v4, s[30:31]
	v_cndmask_b32_e64 v8, v8, 0, s[30:31]
	global_store_dwordx2 v[0:1], v[8:9], off offset:1024
	;; [unrolled: 35-line block ×7, first 2 shown]
	s_and_b64 exec, exec, s[0:1]
	s_cbranch_execz .LBB691_178
; %bb.177:
	v_div_scale_f64 v[8:9], s[0:1], v[2:3], v[2:3], v[6:7]
	v_rcp_f64_e32 v[10:11], v[8:9]
	v_div_scale_f64 v[12:13], vcc, v[6:7], v[2:3], v[6:7]
	v_fma_f64 v[14:15], -v[8:9], v[10:11], 1.0
	v_fmac_f64_e32 v[10:11], v[10:11], v[14:15]
	v_fma_f64 v[14:15], -v[8:9], v[10:11], 1.0
	v_fmac_f64_e32 v[10:11], v[10:11], v[14:15]
	v_mul_f64 v[14:15], v[12:13], v[10:11]
	v_fma_f64 v[8:9], -v[8:9], v[14:15], v[12:13]
	v_div_fmas_f64 v[8:9], v[8:9], v[10:11], v[14:15]
	v_div_fixup_f64 v[2:3], v[8:9], v[2:3], v[6:7]
	v_cndmask_b32_e64 v3, v3, v4, s[30:31]
	v_cndmask_b32_e64 v2, v2, 0, s[30:31]
	global_store_dwordx2 v[0:1], v[2:3], off offset:3840
.LBB691_178:
	s_endpgm
	.section	.rodata,"a",@progbits
	.p2align	6, 0x0
	.amdhsa_kernel _ZN12_GLOBAL__N_120softmax_warp_forwardIdddLi9ELb0ELb1ELi32EEEvPT0_PKT_iiiPKbib
		.amdhsa_group_segment_fixed_size 0
		.amdhsa_private_segment_fixed_size 0
		.amdhsa_kernarg_size 304
		.amdhsa_user_sgpr_count 6
		.amdhsa_user_sgpr_private_segment_buffer 1
		.amdhsa_user_sgpr_dispatch_ptr 0
		.amdhsa_user_sgpr_queue_ptr 0
		.amdhsa_user_sgpr_kernarg_segment_ptr 1
		.amdhsa_user_sgpr_dispatch_id 0
		.amdhsa_user_sgpr_flat_scratch_init 0
		.amdhsa_user_sgpr_kernarg_preload_length 0
		.amdhsa_user_sgpr_kernarg_preload_offset 0
		.amdhsa_user_sgpr_private_segment_size 0
		.amdhsa_uses_dynamic_stack 0
		.amdhsa_system_sgpr_private_segment_wavefront_offset 0
		.amdhsa_system_sgpr_workgroup_id_x 1
		.amdhsa_system_sgpr_workgroup_id_y 0
		.amdhsa_system_sgpr_workgroup_id_z 0
		.amdhsa_system_sgpr_workgroup_info 0
		.amdhsa_system_vgpr_workitem_id 1
		.amdhsa_next_free_vgpr 56
		.amdhsa_next_free_sgpr 76
		.amdhsa_accum_offset 56
		.amdhsa_reserve_vcc 1
		.amdhsa_reserve_flat_scratch 0
		.amdhsa_float_round_mode_32 0
		.amdhsa_float_round_mode_16_64 0
		.amdhsa_float_denorm_mode_32 3
		.amdhsa_float_denorm_mode_16_64 3
		.amdhsa_dx10_clamp 1
		.amdhsa_ieee_mode 1
		.amdhsa_fp16_overflow 0
		.amdhsa_tg_split 0
		.amdhsa_exception_fp_ieee_invalid_op 0
		.amdhsa_exception_fp_denorm_src 0
		.amdhsa_exception_fp_ieee_div_zero 0
		.amdhsa_exception_fp_ieee_overflow 0
		.amdhsa_exception_fp_ieee_underflow 0
		.amdhsa_exception_fp_ieee_inexact 0
		.amdhsa_exception_int_div_zero 0
	.end_amdhsa_kernel
	.section	.text._ZN12_GLOBAL__N_120softmax_warp_forwardIdddLi9ELb0ELb1ELi32EEEvPT0_PKT_iiiPKbib,"axG",@progbits,_ZN12_GLOBAL__N_120softmax_warp_forwardIdddLi9ELb0ELb1ELi32EEEvPT0_PKT_iiiPKbib,comdat
.Lfunc_end691:
	.size	_ZN12_GLOBAL__N_120softmax_warp_forwardIdddLi9ELb0ELb1ELi32EEEvPT0_PKT_iiiPKbib, .Lfunc_end691-_ZN12_GLOBAL__N_120softmax_warp_forwardIdddLi9ELb0ELb1ELi32EEEvPT0_PKT_iiiPKbib
                                        ; -- End function
	.section	.AMDGPU.csdata,"",@progbits
; Kernel info:
; codeLenInByte = 12468
; NumSgprs: 80
; NumVgprs: 56
; NumAgprs: 0
; TotalNumVgprs: 56
; ScratchSize: 0
; MemoryBound: 0
; FloatMode: 240
; IeeeMode: 1
; LDSByteSize: 0 bytes/workgroup (compile time only)
; SGPRBlocks: 9
; VGPRBlocks: 6
; NumSGPRsForWavesPerEU: 80
; NumVGPRsForWavesPerEU: 56
; AccumOffset: 56
; Occupancy: 8
; WaveLimiterHint : 0
; COMPUTE_PGM_RSRC2:SCRATCH_EN: 0
; COMPUTE_PGM_RSRC2:USER_SGPR: 6
; COMPUTE_PGM_RSRC2:TRAP_HANDLER: 0
; COMPUTE_PGM_RSRC2:TGID_X_EN: 1
; COMPUTE_PGM_RSRC2:TGID_Y_EN: 0
; COMPUTE_PGM_RSRC2:TGID_Z_EN: 0
; COMPUTE_PGM_RSRC2:TIDIG_COMP_CNT: 1
; COMPUTE_PGM_RSRC3_GFX90A:ACCUM_OFFSET: 13
; COMPUTE_PGM_RSRC3_GFX90A:TG_SPLIT: 0
	.section	.text._ZN12_GLOBAL__N_120softmax_warp_forwardIdddLi10ELb0ELb1ELi64EEEvPT0_PKT_iiiPKbib,"axG",@progbits,_ZN12_GLOBAL__N_120softmax_warp_forwardIdddLi10ELb0ELb1ELi64EEEvPT0_PKT_iiiPKbib,comdat
	.globl	_ZN12_GLOBAL__N_120softmax_warp_forwardIdddLi10ELb0ELb1ELi64EEEvPT0_PKT_iiiPKbib ; -- Begin function _ZN12_GLOBAL__N_120softmax_warp_forwardIdddLi10ELb0ELb1ELi64EEEvPT0_PKT_iiiPKbib
	.p2align	8
	.type	_ZN12_GLOBAL__N_120softmax_warp_forwardIdddLi10ELb0ELb1ELi64EEEvPT0_PKT_iiiPKbib,@function
_ZN12_GLOBAL__N_120softmax_warp_forwardIdddLi10ELb0ELb1ELi64EEEvPT0_PKT_iiiPKbib: ; @_ZN12_GLOBAL__N_120softmax_warp_forwardIdddLi10ELb0ELb1ELi64EEEvPT0_PKT_iiiPKbib
; %bb.0:
	s_load_dword s2, s[4:5], 0x3c
	s_load_dwordx4 s[36:39], s[4:5], 0x10
	s_load_dwordx2 s[0:1], s[4:5], 0x28
	v_bfe_u32 v1, v0, 10, 10
	v_and_b32_e32 v4, 0x3ff, v0
	s_waitcnt lgkmcnt(0)
	s_lshr_b32 s2, s2, 16
	s_mul_i32 s6, s6, s2
	v_add_u32_e32 v2, s6, v1
	v_mul_lo_u32 v3, v2, s37
	v_add_u32_e32 v0, v3, v4
	v_ashrrev_i32_e32 v1, 31, v0
	s_bitcmp0_b32 s1, 0
	v_pk_mov_b32 v[16:17], v[0:1], v[0:1] op_sel:[0,1]
	s_cbranch_scc1 .LBB692_2
; %bb.1:
	s_abs_i32 s1, s0
	v_cvt_f32_u32_e32 v5, s1
	v_xor_b32_e32 v6, s0, v3
	v_sub_u32_e32 v7, 0, v3
	s_sub_i32 s0, 0, s1
	v_rcp_iflag_f32_e32 v5, v5
	v_max_i32_e32 v3, v3, v7
	v_ashrrev_i32_e32 v6, 31, v6
	v_mul_f32_e32 v5, 0x4f7ffffe, v5
	v_cvt_u32_f32_e32 v5, v5
	v_mul_lo_u32 v7, s0, v5
	v_mul_hi_u32 v7, v5, v7
	v_add_u32_e32 v5, v5, v7
	v_mul_hi_u32 v5, v3, v5
	v_mul_lo_u32 v7, v5, s1
	v_sub_u32_e32 v3, v3, v7
	v_add_u32_e32 v8, 1, v5
	v_cmp_le_u32_e32 vcc, s1, v3
	v_subrev_u32_e32 v7, s1, v3
	v_cndmask_b32_e32 v5, v5, v8, vcc
	v_cndmask_b32_e32 v3, v3, v7, vcc
	v_add_u32_e32 v7, 1, v5
	v_cmp_le_u32_e32 vcc, s1, v3
	v_cndmask_b32_e32 v3, v5, v7, vcc
	v_xor_b32_e32 v3, v3, v6
	v_sub_u32_e32 v3, v3, v6
	v_mad_u64_u32 v[16:17], s[0:1], v3, s37, v[4:5]
	v_ashrrev_i32_e32 v17, 31, v16
.LBB692_2:
	s_load_dwordx4 s[40:43], s[4:5], 0x0
	v_sub_u32_e32 v44, s36, v2
	v_lshlrev_b64 v[0:1], 3, v[0:1]
	v_mov_b32_e32 v34, 0
	v_cmp_lt_i32_e64 s[36:37], 0, v44
	s_waitcnt lgkmcnt(0)
	v_mov_b32_e32 v2, s43
	v_add_co_u32_e32 v20, vcc, s42, v0
	v_cmp_gt_i32_e64 s[30:31], s38, v4
	v_mov_b32_e32 v35, 0xfff00000
	v_addc_co_u32_e32 v21, vcc, v2, v1, vcc
	s_and_b64 s[70:71], s[36:37], s[30:31]
	v_pk_mov_b32 v[28:29], v[34:35], v[34:35] op_sel:[0,1]
	s_and_saveexec_b64 s[0:1], s[70:71]
	s_cbranch_execz .LBB692_4
; %bb.3:
	global_load_dwordx2 v[28:29], v[20:21], off
.LBB692_4:
	s_or_b64 exec, exec, s[0:1]
	v_add_u32_e32 v2, 64, v4
	v_cmp_gt_i32_e64 s[28:29], s38, v2
	s_and_b64 s[68:69], s[36:37], s[28:29]
	s_and_saveexec_b64 s[0:1], s[68:69]
	s_cbranch_execz .LBB692_6
; %bb.5:
	global_load_dwordx2 v[34:35], v[20:21], off offset:512
.LBB692_6:
	s_or_b64 exec, exec, s[0:1]
	v_add_u32_e32 v2, 0x80, v4
	v_mov_b32_e32 v42, 0
	v_cmp_gt_i32_e64 s[26:27], s38, v2
	v_mov_b32_e32 v43, 0xfff00000
	s_and_b64 s[66:67], s[36:37], s[26:27]
	v_pk_mov_b32 v[32:33], v[42:43], v[42:43] op_sel:[0,1]
	s_and_saveexec_b64 s[0:1], s[66:67]
	s_cbranch_execz .LBB692_8
; %bb.7:
	global_load_dwordx2 v[32:33], v[20:21], off offset:1024
.LBB692_8:
	s_or_b64 exec, exec, s[0:1]
	v_add_u32_e32 v2, 0xc0, v4
	v_cmp_gt_i32_e64 s[24:25], s38, v2
	s_and_b64 s[64:65], s[36:37], s[24:25]
	s_and_saveexec_b64 s[0:1], s[64:65]
	s_cbranch_execz .LBB692_10
; %bb.9:
	global_load_dwordx2 v[42:43], v[20:21], off offset:1536
.LBB692_10:
	s_or_b64 exec, exec, s[0:1]
	v_add_u32_e32 v2, 0x100, v4
	v_mov_b32_e32 v38, 0
	v_cmp_gt_i32_e64 s[22:23], s38, v2
	v_mov_b32_e32 v39, 0xfff00000
	s_and_b64 s[62:63], s[36:37], s[22:23]
	v_pk_mov_b32 v[40:41], v[38:39], v[38:39] op_sel:[0,1]
	s_and_saveexec_b64 s[0:1], s[62:63]
	s_cbranch_execz .LBB692_12
; %bb.11:
	global_load_dwordx2 v[40:41], v[20:21], off offset:2048
.LBB692_12:
	;; [unrolled: 21-line block ×3, first 2 shown]
	s_or_b64 exec, exec, s[0:1]
	v_add_u32_e32 v2, 0x1c0, v4
	v_cmp_gt_i32_e64 s[16:17], s38, v2
	s_and_b64 s[56:57], s[36:37], s[16:17]
	s_and_saveexec_b64 s[0:1], s[56:57]
	s_cbranch_execz .LBB692_18
; %bb.17:
	global_load_dwordx2 v[30:31], v[20:21], off offset:3584
.LBB692_18:
	s_or_b64 exec, exec, s[0:1]
	v_add_u32_e32 v2, 0x200, v4
	v_mov_b32_e32 v18, 0
	v_cmp_gt_i32_e64 s[14:15], s38, v2
	v_mov_b32_e32 v19, 0xfff00000
	s_and_b64 s[54:55], s[36:37], s[14:15]
	v_pk_mov_b32 v[26:27], v[18:19], v[18:19] op_sel:[0,1]
	s_and_saveexec_b64 s[0:1], s[54:55]
	s_cbranch_execz .LBB692_20
; %bb.19:
	v_add_co_u32_e32 v2, vcc, 0x1000, v20
	v_addc_co_u32_e32 v3, vcc, 0, v21, vcc
	global_load_dwordx2 v[26:27], v[2:3], off
.LBB692_20:
	s_or_b64 exec, exec, s[0:1]
	v_add_u32_e32 v2, 0x240, v4
	v_cmp_gt_i32_e64 s[12:13], s38, v2
	s_and_b64 s[52:53], s[36:37], s[12:13]
	s_and_saveexec_b64 s[0:1], s[52:53]
	s_cbranch_execz .LBB692_22
; %bb.21:
	v_add_co_u32_e32 v2, vcc, 0x1000, v20
	v_addc_co_u32_e32 v3, vcc, 0, v21, vcc
	global_load_dwordx2 v[18:19], v[2:3], off offset:512
.LBB692_22:
	s_or_b64 exec, exec, s[0:1]
	v_add_u32_e32 v2, 0x280, v4
	v_mov_b32_e32 v12, 0
	v_cmp_gt_i32_e64 s[10:11], s38, v2
	v_mov_b32_e32 v13, 0xfff00000
	s_and_b64 s[50:51], s[36:37], s[10:11]
	v_pk_mov_b32 v[14:15], v[12:13], v[12:13] op_sel:[0,1]
	s_and_saveexec_b64 s[0:1], s[50:51]
	s_cbranch_execz .LBB692_24
; %bb.23:
	v_add_co_u32_e32 v2, vcc, 0x1000, v20
	v_addc_co_u32_e32 v3, vcc, 0, v21, vcc
	global_load_dwordx2 v[14:15], v[2:3], off offset:1024
.LBB692_24:
	s_or_b64 exec, exec, s[0:1]
	v_add_u32_e32 v2, 0x2c0, v4
	v_cmp_gt_i32_e64 s[8:9], s38, v2
	s_and_b64 s[48:49], s[36:37], s[8:9]
	s_and_saveexec_b64 s[0:1], s[48:49]
	s_cbranch_execz .LBB692_26
; %bb.25:
	v_add_co_u32_e32 v2, vcc, 0x1000, v20
	v_addc_co_u32_e32 v3, vcc, 0, v21, vcc
	global_load_dwordx2 v[12:13], v[2:3], off offset:1536
.LBB692_26:
	s_or_b64 exec, exec, s[0:1]
	v_add_u32_e32 v2, 0x300, v4
	v_mov_b32_e32 v8, 0
	v_cmp_gt_i32_e64 s[6:7], s38, v2
	v_mov_b32_e32 v9, 0xfff00000
	s_and_b64 s[46:47], s[36:37], s[6:7]
	v_pk_mov_b32 v[10:11], v[8:9], v[8:9] op_sel:[0,1]
	s_and_saveexec_b64 s[0:1], s[46:47]
	s_cbranch_execz .LBB692_28
; %bb.27:
	v_add_co_u32_e32 v2, vcc, 0x1000, v20
	v_addc_co_u32_e32 v3, vcc, 0, v21, vcc
	global_load_dwordx2 v[10:11], v[2:3], off offset:2048
.LBB692_28:
	s_or_b64 exec, exec, s[0:1]
	v_add_u32_e32 v2, 0x340, v4
	v_cmp_gt_i32_e64 s[34:35], s38, v2
	s_and_b64 s[44:45], s[36:37], s[34:35]
	s_and_saveexec_b64 s[0:1], s[44:45]
	s_cbranch_execz .LBB692_30
; %bb.29:
	v_add_co_u32_e32 v2, vcc, 0x1000, v20
	v_addc_co_u32_e32 v3, vcc, 0, v21, vcc
	global_load_dwordx2 v[8:9], v[2:3], off offset:2560
.LBB692_30:
	s_or_b64 exec, exec, s[0:1]
	v_add_u32_e32 v2, 0x380, v4
	v_cmp_gt_i32_e64 s[2:3], s38, v2
	v_mov_b32_e32 v2, 0
	v_mov_b32_e32 v3, 0xfff00000
	s_and_b64 s[42:43], s[36:37], s[2:3]
	v_pk_mov_b32 v[6:7], v[2:3], v[2:3] op_sel:[0,1]
	s_and_saveexec_b64 s[0:1], s[42:43]
	s_cbranch_execz .LBB692_32
; %bb.31:
	v_add_co_u32_e32 v6, vcc, 0x1000, v20
	v_addc_co_u32_e32 v7, vcc, 0, v21, vcc
	global_load_dwordx2 v[6:7], v[6:7], off offset:3072
.LBB692_32:
	s_or_b64 exec, exec, s[0:1]
	v_add_u32_e32 v4, 0x3c0, v4
	v_cmp_gt_i32_e64 s[0:1], s38, v4
	s_and_b64 s[36:37], s[36:37], s[0:1]
	s_and_saveexec_b64 s[38:39], s[36:37]
	s_cbranch_execz .LBB692_34
; %bb.33:
	v_add_co_u32_e32 v2, vcc, 0x1000, v20
	v_addc_co_u32_e32 v3, vcc, 0, v21, vcc
	global_load_dwordx2 v[2:3], v[2:3], off offset:3584
.LBB692_34:
	s_or_b64 exec, exec, s[38:39]
	s_load_dwordx2 s[4:5], s[4:5], 0x20
	s_waitcnt lgkmcnt(0)
	v_mov_b32_e32 v5, s5
	v_add_co_u32_e32 v4, vcc, s4, v16
	v_addc_co_u32_e32 v5, vcc, v5, v17, vcc
	s_mov_b64 s[4:5], 0
	s_and_saveexec_b64 s[38:39], s[70:71]
	s_cbranch_execnz .LBB692_50
; %bb.35:
	s_or_b64 exec, exec, s[38:39]
	s_waitcnt vmcnt(0)
	v_pk_mov_b32 v[16:17], v[28:29], v[28:29] op_sel:[0,1]
	s_and_saveexec_b64 s[38:39], s[68:69]
	s_cbranch_execnz .LBB692_51
.LBB692_36:
	s_or_b64 exec, exec, s[38:39]
	s_and_saveexec_b64 s[38:39], s[66:67]
	s_cbranch_execnz .LBB692_54
.LBB692_37:
	s_or_b64 exec, exec, s[38:39]
	s_and_saveexec_b64 s[38:39], s[64:65]
	s_cbranch_execnz .LBB692_57
.LBB692_38:
	s_or_b64 exec, exec, s[38:39]
	s_and_saveexec_b64 s[38:39], s[62:63]
	s_cbranch_execnz .LBB692_60
.LBB692_39:
	s_or_b64 exec, exec, s[38:39]
	s_and_saveexec_b64 s[38:39], s[60:61]
	s_cbranch_execnz .LBB692_63
.LBB692_40:
	s_or_b64 exec, exec, s[38:39]
	s_and_saveexec_b64 s[38:39], s[58:59]
	s_cbranch_execnz .LBB692_66
.LBB692_41:
	s_or_b64 exec, exec, s[38:39]
	s_and_saveexec_b64 s[38:39], s[56:57]
	s_cbranch_execnz .LBB692_69
.LBB692_42:
	s_or_b64 exec, exec, s[38:39]
	s_and_saveexec_b64 s[38:39], s[54:55]
	s_cbranch_execnz .LBB692_72
.LBB692_43:
	s_or_b64 exec, exec, s[38:39]
	s_and_saveexec_b64 s[38:39], s[52:53]
	s_cbranch_execnz .LBB692_75
.LBB692_44:
	s_or_b64 exec, exec, s[38:39]
	s_and_saveexec_b64 s[38:39], s[50:51]
	s_cbranch_execnz .LBB692_78
.LBB692_45:
	s_or_b64 exec, exec, s[38:39]
	s_and_saveexec_b64 s[38:39], s[48:49]
	s_cbranch_execnz .LBB692_81
.LBB692_46:
	s_or_b64 exec, exec, s[38:39]
	s_and_saveexec_b64 s[38:39], s[46:47]
	s_cbranch_execnz .LBB692_84
.LBB692_47:
	s_or_b64 exec, exec, s[38:39]
	s_and_saveexec_b64 s[38:39], s[44:45]
	s_cbranch_execnz .LBB692_87
.LBB692_48:
	s_or_b64 exec, exec, s[38:39]
	s_and_saveexec_b64 s[38:39], s[42:43]
	s_cbranch_execnz .LBB692_90
.LBB692_49:
	s_or_b64 exec, exec, s[38:39]
	s_and_saveexec_b64 s[38:39], s[36:37]
	s_cbranch_execnz .LBB692_93
	s_branch .LBB692_96
.LBB692_50:
	global_load_ubyte v16, v[4:5], off
	s_waitcnt vmcnt(0)
	v_and_b32_e32 v16, 1, v16
	v_cmp_eq_u32_e32 vcc, 1, v16
	s_xor_b64 s[4:5], vcc, -1
	s_and_b64 s[4:5], s[4:5], exec
	s_or_b64 exec, exec, s[38:39]
	v_pk_mov_b32 v[16:17], v[28:29], v[28:29] op_sel:[0,1]
	s_and_saveexec_b64 s[38:39], s[68:69]
	s_cbranch_execz .LBB692_36
.LBB692_51:
	global_load_ubyte v16, v[4:5], off offset:64
	s_mov_b64 s[72:73], s[4:5]
	s_waitcnt vmcnt(0)
	v_and_b32_e32 v16, 1, v16
	v_cmp_eq_u32_e32 vcc, 1, v16
	s_xor_b64 s[76:77], vcc, -1
	v_pk_mov_b32 v[16:17], v[28:29], v[28:29] op_sel:[0,1]
	s_and_saveexec_b64 s[74:75], s[76:77]
; %bb.52:
	v_cmp_gt_f64_e32 vcc, v[28:29], v[34:35]
	s_and_b64 vcc, s[4:5], vcc
	v_cndmask_b32_e32 v17, v35, v29, vcc
	v_cndmask_b32_e32 v16, v34, v28, vcc
	s_or_b64 s[72:73], s[4:5], exec
; %bb.53:
	s_or_b64 exec, exec, s[74:75]
	s_andn2_b64 s[4:5], s[4:5], exec
	s_and_b64 s[72:73], s[72:73], exec
	s_or_b64 s[4:5], s[4:5], s[72:73]
	s_or_b64 exec, exec, s[38:39]
	s_and_saveexec_b64 s[38:39], s[66:67]
	s_cbranch_execz .LBB692_37
.LBB692_54:
	global_load_ubyte v20, v[4:5], off offset:128
	s_mov_b64 s[74:75], s[4:5]
	s_waitcnt vmcnt(0)
	v_and_b32_e32 v20, 1, v20
	v_cmp_eq_u32_e32 vcc, 1, v20
	s_xor_b64 s[76:77], vcc, -1
	s_and_saveexec_b64 s[72:73], s[76:77]
; %bb.55:
	v_cmp_gt_f64_e32 vcc, v[16:17], v[32:33]
	s_and_b64 vcc, s[4:5], vcc
	v_cndmask_b32_e32 v17, v33, v17, vcc
	v_cndmask_b32_e32 v16, v32, v16, vcc
	s_or_b64 s[74:75], s[4:5], exec
; %bb.56:
	s_or_b64 exec, exec, s[72:73]
	s_andn2_b64 s[4:5], s[4:5], exec
	s_and_b64 s[72:73], s[74:75], exec
	s_or_b64 s[4:5], s[4:5], s[72:73]
	s_or_b64 exec, exec, s[38:39]
	s_and_saveexec_b64 s[38:39], s[64:65]
	s_cbranch_execz .LBB692_38
.LBB692_57:
	global_load_ubyte v20, v[4:5], off offset:192
	s_mov_b64 s[74:75], s[4:5]
	s_waitcnt vmcnt(0)
	v_and_b32_e32 v20, 1, v20
	v_cmp_eq_u32_e32 vcc, 1, v20
	s_xor_b64 s[76:77], vcc, -1
	s_and_saveexec_b64 s[72:73], s[76:77]
; %bb.58:
	v_cmp_gt_f64_e32 vcc, v[16:17], v[42:43]
	s_and_b64 vcc, s[4:5], vcc
	v_cndmask_b32_e32 v17, v43, v17, vcc
	v_cndmask_b32_e32 v16, v42, v16, vcc
	s_or_b64 s[74:75], s[4:5], exec
; %bb.59:
	s_or_b64 exec, exec, s[72:73]
	s_andn2_b64 s[4:5], s[4:5], exec
	s_and_b64 s[72:73], s[74:75], exec
	s_or_b64 s[4:5], s[4:5], s[72:73]
	s_or_b64 exec, exec, s[38:39]
	s_and_saveexec_b64 s[38:39], s[62:63]
	s_cbranch_execz .LBB692_39
.LBB692_60:
	global_load_ubyte v20, v[4:5], off offset:256
	s_mov_b64 s[74:75], s[4:5]
	s_waitcnt vmcnt(0)
	v_and_b32_e32 v20, 1, v20
	v_cmp_eq_u32_e32 vcc, 1, v20
	s_xor_b64 s[76:77], vcc, -1
	s_and_saveexec_b64 s[72:73], s[76:77]
; %bb.61:
	v_cmp_gt_f64_e32 vcc, v[16:17], v[40:41]
	s_and_b64 vcc, s[4:5], vcc
	v_cndmask_b32_e32 v17, v41, v17, vcc
	v_cndmask_b32_e32 v16, v40, v16, vcc
	s_or_b64 s[74:75], s[4:5], exec
; %bb.62:
	s_or_b64 exec, exec, s[72:73]
	s_andn2_b64 s[4:5], s[4:5], exec
	s_and_b64 s[72:73], s[74:75], exec
	s_or_b64 s[4:5], s[4:5], s[72:73]
	s_or_b64 exec, exec, s[38:39]
	s_and_saveexec_b64 s[38:39], s[60:61]
	s_cbranch_execz .LBB692_40
.LBB692_63:
	global_load_ubyte v20, v[4:5], off offset:320
	s_mov_b64 s[74:75], s[4:5]
	s_waitcnt vmcnt(0)
	v_and_b32_e32 v20, 1, v20
	v_cmp_eq_u32_e32 vcc, 1, v20
	s_xor_b64 s[76:77], vcc, -1
	s_and_saveexec_b64 s[72:73], s[76:77]
; %bb.64:
	v_cmp_gt_f64_e32 vcc, v[16:17], v[38:39]
	s_and_b64 vcc, s[4:5], vcc
	v_cndmask_b32_e32 v17, v39, v17, vcc
	v_cndmask_b32_e32 v16, v38, v16, vcc
	s_or_b64 s[74:75], s[4:5], exec
; %bb.65:
	s_or_b64 exec, exec, s[72:73]
	s_andn2_b64 s[4:5], s[4:5], exec
	s_and_b64 s[72:73], s[74:75], exec
	s_or_b64 s[4:5], s[4:5], s[72:73]
	s_or_b64 exec, exec, s[38:39]
	s_and_saveexec_b64 s[38:39], s[58:59]
	s_cbranch_execz .LBB692_41
.LBB692_66:
	global_load_ubyte v20, v[4:5], off offset:384
	s_mov_b64 s[74:75], s[4:5]
	s_waitcnt vmcnt(0)
	v_and_b32_e32 v20, 1, v20
	v_cmp_eq_u32_e32 vcc, 1, v20
	s_xor_b64 s[76:77], vcc, -1
	s_and_saveexec_b64 s[72:73], s[76:77]
; %bb.67:
	v_cmp_gt_f64_e32 vcc, v[16:17], v[36:37]
	s_and_b64 vcc, s[4:5], vcc
	v_cndmask_b32_e32 v17, v37, v17, vcc
	v_cndmask_b32_e32 v16, v36, v16, vcc
	s_or_b64 s[74:75], s[4:5], exec
; %bb.68:
	s_or_b64 exec, exec, s[72:73]
	s_andn2_b64 s[4:5], s[4:5], exec
	s_and_b64 s[72:73], s[74:75], exec
	s_or_b64 s[4:5], s[4:5], s[72:73]
	s_or_b64 exec, exec, s[38:39]
	s_and_saveexec_b64 s[38:39], s[56:57]
	s_cbranch_execz .LBB692_42
.LBB692_69:
	global_load_ubyte v20, v[4:5], off offset:448
	s_mov_b64 s[74:75], s[4:5]
	s_waitcnt vmcnt(0)
	v_and_b32_e32 v20, 1, v20
	v_cmp_eq_u32_e32 vcc, 1, v20
	s_xor_b64 s[76:77], vcc, -1
	s_and_saveexec_b64 s[72:73], s[76:77]
; %bb.70:
	v_cmp_gt_f64_e32 vcc, v[16:17], v[30:31]
	s_and_b64 vcc, s[4:5], vcc
	v_cndmask_b32_e32 v17, v31, v17, vcc
	v_cndmask_b32_e32 v16, v30, v16, vcc
	s_or_b64 s[74:75], s[4:5], exec
; %bb.71:
	s_or_b64 exec, exec, s[72:73]
	s_andn2_b64 s[4:5], s[4:5], exec
	s_and_b64 s[72:73], s[74:75], exec
	s_or_b64 s[4:5], s[4:5], s[72:73]
	s_or_b64 exec, exec, s[38:39]
	s_and_saveexec_b64 s[38:39], s[54:55]
	s_cbranch_execz .LBB692_43
.LBB692_72:
	global_load_ubyte v20, v[4:5], off offset:512
	s_mov_b64 s[74:75], s[4:5]
	s_waitcnt vmcnt(0)
	v_and_b32_e32 v20, 1, v20
	v_cmp_eq_u32_e32 vcc, 1, v20
	s_xor_b64 s[76:77], vcc, -1
	s_and_saveexec_b64 s[72:73], s[76:77]
; %bb.73:
	v_cmp_gt_f64_e32 vcc, v[16:17], v[26:27]
	s_and_b64 vcc, s[4:5], vcc
	v_cndmask_b32_e32 v17, v27, v17, vcc
	v_cndmask_b32_e32 v16, v26, v16, vcc
	s_or_b64 s[74:75], s[4:5], exec
; %bb.74:
	s_or_b64 exec, exec, s[72:73]
	s_andn2_b64 s[4:5], s[4:5], exec
	s_and_b64 s[72:73], s[74:75], exec
	s_or_b64 s[4:5], s[4:5], s[72:73]
	s_or_b64 exec, exec, s[38:39]
	s_and_saveexec_b64 s[38:39], s[52:53]
	s_cbranch_execz .LBB692_44
.LBB692_75:
	global_load_ubyte v20, v[4:5], off offset:576
	s_mov_b64 s[74:75], s[4:5]
	s_waitcnt vmcnt(0)
	v_and_b32_e32 v20, 1, v20
	v_cmp_eq_u32_e32 vcc, 1, v20
	s_xor_b64 s[76:77], vcc, -1
	s_and_saveexec_b64 s[72:73], s[76:77]
; %bb.76:
	v_cmp_gt_f64_e32 vcc, v[16:17], v[18:19]
	s_and_b64 vcc, s[4:5], vcc
	v_cndmask_b32_e32 v17, v19, v17, vcc
	v_cndmask_b32_e32 v16, v18, v16, vcc
	s_or_b64 s[74:75], s[4:5], exec
; %bb.77:
	s_or_b64 exec, exec, s[72:73]
	s_andn2_b64 s[4:5], s[4:5], exec
	s_and_b64 s[72:73], s[74:75], exec
	s_or_b64 s[4:5], s[4:5], s[72:73]
	s_or_b64 exec, exec, s[38:39]
	s_and_saveexec_b64 s[38:39], s[50:51]
	s_cbranch_execz .LBB692_45
.LBB692_78:
	global_load_ubyte v20, v[4:5], off offset:640
	s_mov_b64 s[74:75], s[4:5]
	s_waitcnt vmcnt(0)
	v_and_b32_e32 v20, 1, v20
	v_cmp_eq_u32_e32 vcc, 1, v20
	s_xor_b64 s[76:77], vcc, -1
	s_and_saveexec_b64 s[72:73], s[76:77]
; %bb.79:
	v_cmp_gt_f64_e32 vcc, v[16:17], v[14:15]
	s_and_b64 vcc, s[4:5], vcc
	v_cndmask_b32_e32 v17, v15, v17, vcc
	v_cndmask_b32_e32 v16, v14, v16, vcc
	s_or_b64 s[74:75], s[4:5], exec
; %bb.80:
	s_or_b64 exec, exec, s[72:73]
	s_andn2_b64 s[4:5], s[4:5], exec
	s_and_b64 s[72:73], s[74:75], exec
	s_or_b64 s[4:5], s[4:5], s[72:73]
	s_or_b64 exec, exec, s[38:39]
	s_and_saveexec_b64 s[38:39], s[48:49]
	s_cbranch_execz .LBB692_46
.LBB692_81:
	global_load_ubyte v20, v[4:5], off offset:704
	s_mov_b64 s[74:75], s[4:5]
	s_waitcnt vmcnt(0)
	v_and_b32_e32 v20, 1, v20
	v_cmp_eq_u32_e32 vcc, 1, v20
	s_xor_b64 s[76:77], vcc, -1
	s_and_saveexec_b64 s[72:73], s[76:77]
; %bb.82:
	v_cmp_gt_f64_e32 vcc, v[16:17], v[12:13]
	s_and_b64 vcc, s[4:5], vcc
	v_cndmask_b32_e32 v17, v13, v17, vcc
	v_cndmask_b32_e32 v16, v12, v16, vcc
	s_or_b64 s[74:75], s[4:5], exec
; %bb.83:
	s_or_b64 exec, exec, s[72:73]
	s_andn2_b64 s[4:5], s[4:5], exec
	s_and_b64 s[72:73], s[74:75], exec
	s_or_b64 s[4:5], s[4:5], s[72:73]
	s_or_b64 exec, exec, s[38:39]
	s_and_saveexec_b64 s[38:39], s[46:47]
	s_cbranch_execz .LBB692_47
.LBB692_84:
	global_load_ubyte v20, v[4:5], off offset:768
	s_mov_b64 s[74:75], s[4:5]
	s_waitcnt vmcnt(0)
	v_and_b32_e32 v20, 1, v20
	v_cmp_eq_u32_e32 vcc, 1, v20
	s_xor_b64 s[76:77], vcc, -1
	s_and_saveexec_b64 s[72:73], s[76:77]
; %bb.85:
	v_cmp_gt_f64_e32 vcc, v[16:17], v[10:11]
	s_and_b64 vcc, s[4:5], vcc
	v_cndmask_b32_e32 v17, v11, v17, vcc
	v_cndmask_b32_e32 v16, v10, v16, vcc
	s_or_b64 s[74:75], s[4:5], exec
; %bb.86:
	s_or_b64 exec, exec, s[72:73]
	s_andn2_b64 s[4:5], s[4:5], exec
	s_and_b64 s[72:73], s[74:75], exec
	s_or_b64 s[4:5], s[4:5], s[72:73]
	s_or_b64 exec, exec, s[38:39]
	s_and_saveexec_b64 s[38:39], s[44:45]
	s_cbranch_execz .LBB692_48
.LBB692_87:
	global_load_ubyte v20, v[4:5], off offset:832
	s_mov_b64 s[74:75], s[4:5]
	s_waitcnt vmcnt(0)
	v_and_b32_e32 v20, 1, v20
	v_cmp_eq_u32_e32 vcc, 1, v20
	s_xor_b64 s[76:77], vcc, -1
	s_and_saveexec_b64 s[72:73], s[76:77]
; %bb.88:
	v_cmp_gt_f64_e32 vcc, v[16:17], v[8:9]
	s_and_b64 vcc, s[4:5], vcc
	v_cndmask_b32_e32 v17, v9, v17, vcc
	v_cndmask_b32_e32 v16, v8, v16, vcc
	s_or_b64 s[74:75], s[4:5], exec
; %bb.89:
	s_or_b64 exec, exec, s[72:73]
	s_andn2_b64 s[4:5], s[4:5], exec
	s_and_b64 s[72:73], s[74:75], exec
	s_or_b64 s[4:5], s[4:5], s[72:73]
	s_or_b64 exec, exec, s[38:39]
	s_and_saveexec_b64 s[38:39], s[42:43]
	s_cbranch_execz .LBB692_49
.LBB692_90:
	global_load_ubyte v20, v[4:5], off offset:896
	s_mov_b64 s[74:75], s[4:5]
	s_waitcnt vmcnt(0)
	v_and_b32_e32 v20, 1, v20
	v_cmp_eq_u32_e32 vcc, 1, v20
	s_xor_b64 s[76:77], vcc, -1
	s_and_saveexec_b64 s[72:73], s[76:77]
; %bb.91:
	v_cmp_gt_f64_e32 vcc, v[16:17], v[6:7]
	s_and_b64 vcc, s[4:5], vcc
	v_cndmask_b32_e32 v17, v7, v17, vcc
	v_cndmask_b32_e32 v16, v6, v16, vcc
	s_or_b64 s[74:75], s[4:5], exec
; %bb.92:
	s_or_b64 exec, exec, s[72:73]
	s_andn2_b64 s[4:5], s[4:5], exec
	s_and_b64 s[72:73], s[74:75], exec
	s_or_b64 s[4:5], s[4:5], s[72:73]
	s_or_b64 exec, exec, s[38:39]
	s_and_saveexec_b64 s[38:39], s[36:37]
	s_cbranch_execz .LBB692_96
.LBB692_93:
	global_load_ubyte v20, v[4:5], off offset:960
	s_mov_b64 s[74:75], s[4:5]
	s_waitcnt vmcnt(0)
	v_and_b32_e32 v20, 1, v20
	v_cmp_eq_u32_e32 vcc, 1, v20
	s_xor_b64 s[76:77], vcc, -1
	s_and_saveexec_b64 s[72:73], s[76:77]
; %bb.94:
	v_cmp_gt_f64_e32 vcc, v[16:17], v[2:3]
	s_and_b64 vcc, s[4:5], vcc
	v_cndmask_b32_e32 v17, v3, v17, vcc
	v_cndmask_b32_e32 v16, v2, v16, vcc
	s_or_b64 s[74:75], s[4:5], exec
; %bb.95:
	s_or_b64 exec, exec, s[72:73]
	s_andn2_b64 s[4:5], s[4:5], exec
	s_and_b64 s[72:73], s[74:75], exec
	s_or_b64 s[4:5], s[4:5], s[72:73]
.LBB692_96:
	s_or_b64 exec, exec, s[38:39]
	v_mov_b32_e32 v20, 0xfff00000
	v_cndmask_b32_e64 v17, v20, v17, s[4:5]
	v_mbcnt_lo_u32_b32 v20, -1, 0
	v_mbcnt_hi_u32_b32 v22, -1, v20
	v_and_b32_e32 v20, 64, v22
	v_add_u32_e32 v23, 64, v20
	v_xor_b32_e32 v20, 32, v22
	v_cmp_lt_i32_e32 vcc, v20, v23
	v_cndmask_b32_e32 v20, v22, v20, vcc
	v_cndmask_b32_e64 v16, 0, v16, s[4:5]
	v_lshlrev_b32_e32 v45, 2, v20
	ds_bpermute_b32 v20, v45, v16
	ds_bpermute_b32 v21, v45, v17
	s_waitcnt lgkmcnt(0)
	v_cmp_lt_f64_e32 vcc, v[16:17], v[20:21]
	v_cndmask_b32_e32 v16, v16, v20, vcc
	v_xor_b32_e32 v20, 16, v22
	v_cndmask_b32_e32 v17, v17, v21, vcc
	v_cmp_lt_i32_e32 vcc, v20, v23
	v_cndmask_b32_e32 v20, v22, v20, vcc
	v_lshlrev_b32_e32 v46, 2, v20
	ds_bpermute_b32 v20, v46, v16
	ds_bpermute_b32 v21, v46, v17
	s_waitcnt lgkmcnt(0)
	v_cmp_lt_f64_e32 vcc, v[16:17], v[20:21]
	v_cndmask_b32_e32 v16, v16, v20, vcc
	v_xor_b32_e32 v20, 8, v22
	v_cndmask_b32_e32 v17, v17, v21, vcc
	v_cmp_lt_i32_e32 vcc, v20, v23
	v_cndmask_b32_e32 v20, v22, v20, vcc
	;; [unrolled: 10-line block ×5, first 2 shown]
	v_lshlrev_b32_e32 v50, 2, v20
	ds_bpermute_b32 v20, v50, v16
	ds_bpermute_b32 v21, v50, v17
	s_waitcnt lgkmcnt(0)
	v_cmp_lt_f64_e32 vcc, v[16:17], v[20:21]
	v_cndmask_b32_e32 v25, v17, v21, vcc
	v_cndmask_b32_e32 v24, v16, v20, vcc
	v_pk_mov_b32 v[16:17], 0, 0
	v_pk_mov_b32 v[20:21], v[16:17], v[16:17] op_sel:[0,1]
	v_pk_mov_b32 v[22:23], v[16:17], v[16:17] op_sel:[0,1]
	s_and_saveexec_b64 s[38:39], s[70:71]
	s_cbranch_execnz .LBB692_99
; %bb.97:
	s_or_b64 exec, exec, s[38:39]
	v_pk_mov_b32 v[28:29], v[16:17], v[16:17] op_sel:[0,1]
	s_and_saveexec_b64 s[38:39], s[68:69]
	s_cbranch_execnz .LBB692_102
.LBB692_98:
	s_or_b64 exec, exec, s[38:39]
	s_and_saveexec_b64 s[38:39], s[66:67]
	s_cbranch_execnz .LBB692_105
	s_branch .LBB692_108
.LBB692_99:
	global_load_ubyte v20, v[4:5], off
	v_pk_mov_b32 v[22:23], 0, 0
	s_waitcnt vmcnt(0)
	v_and_b32_e32 v20, 1, v20
	v_cmp_eq_u32_e32 vcc, 1, v20
	s_xor_b64 s[4:5], vcc, -1
	v_pk_mov_b32 v[20:21], v[22:23], v[22:23] op_sel:[0,1]
	s_and_saveexec_b64 s[70:71], s[4:5]
	s_cbranch_execz .LBB692_101
; %bb.100:
	s_mov_b32 s4, 0x652b82fe
	v_add_f64 v[20:21], v[28:29], -v[24:25]
	s_mov_b32 s5, 0x3ff71547
	v_mul_f64 v[22:23], v[20:21], s[4:5]
	s_mov_b32 s4, 0xfefa39ef
	v_rndne_f64_e32 v[22:23], v[22:23]
	s_mov_b32 s5, 0xbfe62e42
	v_fma_f64 v[28:29], s[4:5], v[22:23], v[20:21]
	s_mov_b32 s4, 0x3b39803f
	s_mov_b32 s5, 0xbc7abc9e
	v_fmac_f64_e32 v[28:29], s[4:5], v[22:23]
	s_mov_b32 s4, 0x6a5dcb37
	v_mov_b32_e32 v52, 0xfca7ab0c
	v_mov_b32_e32 v53, 0x3e928af3
	s_mov_b32 s5, 0x3e5ade15
	v_fmac_f64_e32 v[52:53], s[4:5], v[28:29]
	v_mov_b32_e32 v54, 0x623fde64
	v_mov_b32_e32 v55, 0x3ec71dee
	v_fmac_f64_e32 v[54:55], v[28:29], v[52:53]
	v_mov_b32_e32 v52, 0x7c89e6b0
	v_mov_b32_e32 v53, 0x3efa0199
	;; [unrolled: 3-line block ×8, first 2 shown]
	s_mov_b32 s4, 0
	v_fmac_f64_e32 v[52:53], v[28:29], v[54:55]
	s_mov_b32 s5, 0x40900000
	v_fma_f64 v[52:53], v[28:29], v[52:53], 1.0
	v_cmp_nlt_f64_e32 vcc, s[4:5], v[20:21]
	s_mov_b32 s4, 0
	v_fma_f64 v[28:29], v[28:29], v[52:53], 1.0
	v_cvt_i32_f64_e32 v22, v[22:23]
	s_mov_b32 s5, 0xc090cc00
	v_ldexp_f64 v[22:23], v[28:29], v22
	v_mov_b32_e32 v28, 0x7ff00000
	v_cmp_ngt_f64_e64 s[4:5], s[4:5], v[20:21]
	v_cndmask_b32_e32 v23, v28, v23, vcc
	s_and_b64 vcc, s[4:5], vcc
	v_cndmask_b32_e64 v21, 0, v23, s[4:5]
	v_cndmask_b32_e32 v20, 0, v22, vcc
	v_add_f64 v[22:23], v[20:21], 0
.LBB692_101:
	s_or_b64 exec, exec, s[70:71]
	s_or_b64 exec, exec, s[38:39]
	v_pk_mov_b32 v[28:29], v[16:17], v[16:17] op_sel:[0,1]
	s_and_saveexec_b64 s[38:39], s[68:69]
	s_cbranch_execz .LBB692_98
.LBB692_102:
	global_load_ubyte v28, v[4:5], off offset:64
	s_waitcnt vmcnt(0)
	v_and_b32_e32 v28, 1, v28
	v_cmp_eq_u32_e32 vcc, 1, v28
	s_xor_b64 s[4:5], vcc, -1
	v_pk_mov_b32 v[28:29], 0, 0
	s_and_saveexec_b64 s[68:69], s[4:5]
	s_cbranch_execz .LBB692_104
; %bb.103:
	s_mov_b32 s4, 0x652b82fe
	v_add_f64 v[28:29], v[34:35], -v[24:25]
	s_mov_b32 s5, 0x3ff71547
	v_mul_f64 v[34:35], v[28:29], s[4:5]
	s_mov_b32 s4, 0xfefa39ef
	v_rndne_f64_e32 v[34:35], v[34:35]
	s_mov_b32 s5, 0xbfe62e42
	v_fma_f64 v[52:53], s[4:5], v[34:35], v[28:29]
	s_mov_b32 s4, 0x3b39803f
	s_mov_b32 s5, 0xbc7abc9e
	v_fmac_f64_e32 v[52:53], s[4:5], v[34:35]
	s_mov_b32 s4, 0x6a5dcb37
	v_mov_b32_e32 v54, 0xfca7ab0c
	v_mov_b32_e32 v55, 0x3e928af3
	s_mov_b32 s5, 0x3e5ade15
	v_fmac_f64_e32 v[54:55], s[4:5], v[52:53]
	v_mov_b32_e32 v56, 0x623fde64
	v_mov_b32_e32 v57, 0x3ec71dee
	v_fmac_f64_e32 v[56:57], v[52:53], v[54:55]
	v_mov_b32_e32 v54, 0x7c89e6b0
	v_mov_b32_e32 v55, 0x3efa0199
	;; [unrolled: 3-line block ×8, first 2 shown]
	s_mov_b32 s4, 0
	v_fmac_f64_e32 v[54:55], v[52:53], v[56:57]
	s_mov_b32 s5, 0x40900000
	v_fma_f64 v[54:55], v[52:53], v[54:55], 1.0
	v_cmp_nlt_f64_e32 vcc, s[4:5], v[28:29]
	s_mov_b32 s4, 0
	v_fma_f64 v[52:53], v[52:53], v[54:55], 1.0
	v_cvt_i32_f64_e32 v34, v[34:35]
	s_mov_b32 s5, 0xc090cc00
	v_ldexp_f64 v[34:35], v[52:53], v34
	v_mov_b32_e32 v51, 0x7ff00000
	v_cmp_ngt_f64_e64 s[4:5], s[4:5], v[28:29]
	v_cndmask_b32_e32 v35, v51, v35, vcc
	s_and_b64 vcc, s[4:5], vcc
	v_cndmask_b32_e64 v29, 0, v35, s[4:5]
	v_cndmask_b32_e32 v28, 0, v34, vcc
	v_add_f64 v[22:23], v[22:23], v[28:29]
.LBB692_104:
	s_or_b64 exec, exec, s[68:69]
	s_or_b64 exec, exec, s[38:39]
	s_and_saveexec_b64 s[38:39], s[66:67]
	s_cbranch_execz .LBB692_108
.LBB692_105:
	global_load_ubyte v16, v[4:5], off offset:128
	s_waitcnt vmcnt(0)
	v_and_b32_e32 v16, 1, v16
	v_cmp_eq_u32_e32 vcc, 1, v16
	s_xor_b64 s[4:5], vcc, -1
	v_pk_mov_b32 v[16:17], 0, 0
	s_and_saveexec_b64 s[66:67], s[4:5]
	s_cbranch_execz .LBB692_107
; %bb.106:
	s_mov_b32 s4, 0x652b82fe
	v_add_f64 v[16:17], v[32:33], -v[24:25]
	s_mov_b32 s5, 0x3ff71547
	v_mul_f64 v[32:33], v[16:17], s[4:5]
	s_mov_b32 s4, 0xfefa39ef
	v_rndne_f64_e32 v[32:33], v[32:33]
	s_mov_b32 s5, 0xbfe62e42
	v_fma_f64 v[34:35], s[4:5], v[32:33], v[16:17]
	s_mov_b32 s4, 0x3b39803f
	s_mov_b32 s5, 0xbc7abc9e
	v_fmac_f64_e32 v[34:35], s[4:5], v[32:33]
	s_mov_b32 s4, 0x6a5dcb37
	v_mov_b32_e32 v52, 0xfca7ab0c
	v_mov_b32_e32 v53, 0x3e928af3
	s_mov_b32 s5, 0x3e5ade15
	v_fmac_f64_e32 v[52:53], s[4:5], v[34:35]
	v_mov_b32_e32 v54, 0x623fde64
	v_mov_b32_e32 v55, 0x3ec71dee
	v_fmac_f64_e32 v[54:55], v[34:35], v[52:53]
	v_mov_b32_e32 v52, 0x7c89e6b0
	v_mov_b32_e32 v53, 0x3efa0199
	;; [unrolled: 3-line block ×8, first 2 shown]
	s_mov_b32 s4, 0
	v_fmac_f64_e32 v[52:53], v[34:35], v[54:55]
	s_mov_b32 s5, 0x40900000
	v_fma_f64 v[52:53], v[34:35], v[52:53], 1.0
	v_cmp_nlt_f64_e32 vcc, s[4:5], v[16:17]
	s_mov_b32 s4, 0
	v_fma_f64 v[34:35], v[34:35], v[52:53], 1.0
	v_cvt_i32_f64_e32 v32, v[32:33]
	s_mov_b32 s5, 0xc090cc00
	v_ldexp_f64 v[32:33], v[34:35], v32
	v_mov_b32_e32 v34, 0x7ff00000
	v_cmp_ngt_f64_e64 s[4:5], s[4:5], v[16:17]
	v_cndmask_b32_e32 v33, v34, v33, vcc
	s_and_b64 vcc, s[4:5], vcc
	v_cndmask_b32_e64 v17, 0, v33, s[4:5]
	v_cndmask_b32_e32 v16, 0, v32, vcc
	v_add_f64 v[22:23], v[22:23], v[16:17]
.LBB692_107:
	s_or_b64 exec, exec, s[66:67]
.LBB692_108:
	s_or_b64 exec, exec, s[38:39]
	v_pk_mov_b32 v[32:33], 0, 0
	v_pk_mov_b32 v[34:35], v[32:33], v[32:33] op_sel:[0,1]
	s_and_saveexec_b64 s[38:39], s[64:65]
	s_cbranch_execz .LBB692_112
; %bb.109:
	global_load_ubyte v34, v[4:5], off offset:192
	s_waitcnt vmcnt(0)
	v_and_b32_e32 v34, 1, v34
	v_cmp_eq_u32_e32 vcc, 1, v34
	s_xor_b64 s[4:5], vcc, -1
	v_pk_mov_b32 v[34:35], 0, 0
	s_and_saveexec_b64 s[64:65], s[4:5]
	s_cbranch_execz .LBB692_111
; %bb.110:
	s_mov_b32 s4, 0x652b82fe
	v_add_f64 v[34:35], v[42:43], -v[24:25]
	s_mov_b32 s5, 0x3ff71547
	v_mul_f64 v[42:43], v[34:35], s[4:5]
	s_mov_b32 s4, 0xfefa39ef
	v_rndne_f64_e32 v[42:43], v[42:43]
	s_mov_b32 s5, 0xbfe62e42
	v_fma_f64 v[52:53], s[4:5], v[42:43], v[34:35]
	s_mov_b32 s4, 0x3b39803f
	s_mov_b32 s5, 0xbc7abc9e
	v_fmac_f64_e32 v[52:53], s[4:5], v[42:43]
	s_mov_b32 s4, 0x6a5dcb37
	v_mov_b32_e32 v54, 0xfca7ab0c
	v_mov_b32_e32 v55, 0x3e928af3
	s_mov_b32 s5, 0x3e5ade15
	v_fmac_f64_e32 v[54:55], s[4:5], v[52:53]
	v_mov_b32_e32 v56, 0x623fde64
	v_mov_b32_e32 v57, 0x3ec71dee
	v_fmac_f64_e32 v[56:57], v[52:53], v[54:55]
	v_mov_b32_e32 v54, 0x7c89e6b0
	v_mov_b32_e32 v55, 0x3efa0199
	;; [unrolled: 3-line block ×8, first 2 shown]
	s_mov_b32 s4, 0
	v_fmac_f64_e32 v[54:55], v[52:53], v[56:57]
	s_mov_b32 s5, 0x40900000
	v_fma_f64 v[54:55], v[52:53], v[54:55], 1.0
	v_cmp_nlt_f64_e32 vcc, s[4:5], v[34:35]
	s_mov_b32 s4, 0
	v_fma_f64 v[52:53], v[52:53], v[54:55], 1.0
	v_cvt_i32_f64_e32 v42, v[42:43]
	s_mov_b32 s5, 0xc090cc00
	v_ldexp_f64 v[42:43], v[52:53], v42
	v_mov_b32_e32 v51, 0x7ff00000
	v_cmp_ngt_f64_e64 s[4:5], s[4:5], v[34:35]
	v_cndmask_b32_e32 v43, v51, v43, vcc
	s_and_b64 vcc, s[4:5], vcc
	v_cndmask_b32_e64 v35, 0, v43, s[4:5]
	v_cndmask_b32_e32 v34, 0, v42, vcc
	v_add_f64 v[22:23], v[22:23], v[34:35]
.LBB692_111:
	s_or_b64 exec, exec, s[64:65]
.LBB692_112:
	s_or_b64 exec, exec, s[38:39]
	s_and_saveexec_b64 s[38:39], s[62:63]
	s_cbranch_execz .LBB692_116
; %bb.113:
	global_load_ubyte v32, v[4:5], off offset:256
	s_waitcnt vmcnt(0)
	v_and_b32_e32 v32, 1, v32
	v_cmp_eq_u32_e32 vcc, 1, v32
	s_xor_b64 s[4:5], vcc, -1
	v_pk_mov_b32 v[32:33], 0, 0
	s_and_saveexec_b64 s[62:63], s[4:5]
	s_cbranch_execz .LBB692_115
; %bb.114:
	s_mov_b32 s4, 0x652b82fe
	v_add_f64 v[32:33], v[40:41], -v[24:25]
	s_mov_b32 s5, 0x3ff71547
	v_mul_f64 v[40:41], v[32:33], s[4:5]
	s_mov_b32 s4, 0xfefa39ef
	v_rndne_f64_e32 v[40:41], v[40:41]
	s_mov_b32 s5, 0xbfe62e42
	v_fma_f64 v[42:43], s[4:5], v[40:41], v[32:33]
	s_mov_b32 s4, 0x3b39803f
	s_mov_b32 s5, 0xbc7abc9e
	v_fmac_f64_e32 v[42:43], s[4:5], v[40:41]
	s_mov_b32 s4, 0x6a5dcb37
	v_mov_b32_e32 v52, 0xfca7ab0c
	v_mov_b32_e32 v53, 0x3e928af3
	s_mov_b32 s5, 0x3e5ade15
	v_fmac_f64_e32 v[52:53], s[4:5], v[42:43]
	v_mov_b32_e32 v54, 0x623fde64
	v_mov_b32_e32 v55, 0x3ec71dee
	v_fmac_f64_e32 v[54:55], v[42:43], v[52:53]
	v_mov_b32_e32 v52, 0x7c89e6b0
	v_mov_b32_e32 v53, 0x3efa0199
	;; [unrolled: 3-line block ×8, first 2 shown]
	s_mov_b32 s4, 0
	v_fmac_f64_e32 v[52:53], v[42:43], v[54:55]
	s_mov_b32 s5, 0x40900000
	v_fma_f64 v[52:53], v[42:43], v[52:53], 1.0
	v_cmp_nlt_f64_e32 vcc, s[4:5], v[32:33]
	s_mov_b32 s4, 0
	v_fma_f64 v[42:43], v[42:43], v[52:53], 1.0
	v_cvt_i32_f64_e32 v40, v[40:41]
	s_mov_b32 s5, 0xc090cc00
	v_ldexp_f64 v[40:41], v[42:43], v40
	v_mov_b32_e32 v42, 0x7ff00000
	v_cmp_ngt_f64_e64 s[4:5], s[4:5], v[32:33]
	v_cndmask_b32_e32 v41, v42, v41, vcc
	s_and_b64 vcc, s[4:5], vcc
	v_cndmask_b32_e64 v33, 0, v41, s[4:5]
	v_cndmask_b32_e32 v32, 0, v40, vcc
	v_add_f64 v[22:23], v[22:23], v[32:33]
.LBB692_115:
	s_or_b64 exec, exec, s[62:63]
.LBB692_116:
	s_or_b64 exec, exec, s[38:39]
	v_pk_mov_b32 v[40:41], 0, 0
	v_pk_mov_b32 v[42:43], v[40:41], v[40:41] op_sel:[0,1]
	s_and_saveexec_b64 s[38:39], s[60:61]
	s_cbranch_execz .LBB692_120
; %bb.117:
	global_load_ubyte v42, v[4:5], off offset:320
	s_waitcnt vmcnt(0)
	v_and_b32_e32 v42, 1, v42
	v_cmp_eq_u32_e32 vcc, 1, v42
	s_xor_b64 s[4:5], vcc, -1
	v_pk_mov_b32 v[42:43], 0, 0
	s_and_saveexec_b64 s[60:61], s[4:5]
	s_cbranch_execz .LBB692_119
; %bb.118:
	s_mov_b32 s4, 0x652b82fe
	v_add_f64 v[38:39], v[38:39], -v[24:25]
	s_mov_b32 s5, 0x3ff71547
	v_mul_f64 v[42:43], v[38:39], s[4:5]
	s_mov_b32 s4, 0xfefa39ef
	v_rndne_f64_e32 v[42:43], v[42:43]
	s_mov_b32 s5, 0xbfe62e42
	v_fma_f64 v[52:53], s[4:5], v[42:43], v[38:39]
	s_mov_b32 s4, 0x3b39803f
	s_mov_b32 s5, 0xbc7abc9e
	v_fmac_f64_e32 v[52:53], s[4:5], v[42:43]
	s_mov_b32 s4, 0x6a5dcb37
	v_mov_b32_e32 v54, 0xfca7ab0c
	v_mov_b32_e32 v55, 0x3e928af3
	s_mov_b32 s5, 0x3e5ade15
	v_fmac_f64_e32 v[54:55], s[4:5], v[52:53]
	v_mov_b32_e32 v56, 0x623fde64
	v_mov_b32_e32 v57, 0x3ec71dee
	v_fmac_f64_e32 v[56:57], v[52:53], v[54:55]
	v_mov_b32_e32 v54, 0x7c89e6b0
	v_mov_b32_e32 v55, 0x3efa0199
	;; [unrolled: 3-line block ×8, first 2 shown]
	s_mov_b32 s4, 0
	v_fmac_f64_e32 v[54:55], v[52:53], v[56:57]
	s_mov_b32 s5, 0x40900000
	v_fma_f64 v[54:55], v[52:53], v[54:55], 1.0
	v_cmp_nlt_f64_e32 vcc, s[4:5], v[38:39]
	s_mov_b32 s4, 0
	v_fma_f64 v[52:53], v[52:53], v[54:55], 1.0
	v_cvt_i32_f64_e32 v42, v[42:43]
	s_mov_b32 s5, 0xc090cc00
	v_ldexp_f64 v[42:43], v[52:53], v42
	v_mov_b32_e32 v51, 0x7ff00000
	v_cmp_ngt_f64_e64 s[4:5], s[4:5], v[38:39]
	v_cndmask_b32_e32 v43, v51, v43, vcc
	s_and_b64 vcc, s[4:5], vcc
	v_cndmask_b32_e64 v43, 0, v43, s[4:5]
	v_cndmask_b32_e32 v42, 0, v42, vcc
	v_add_f64 v[22:23], v[22:23], v[42:43]
.LBB692_119:
	s_or_b64 exec, exec, s[60:61]
.LBB692_120:
	s_or_b64 exec, exec, s[38:39]
	s_and_saveexec_b64 s[38:39], s[58:59]
	s_cbranch_execz .LBB692_124
; %bb.121:
	global_load_ubyte v38, v[4:5], off offset:384
	v_pk_mov_b32 v[40:41], 0, 0
	s_waitcnt vmcnt(0)
	v_and_b32_e32 v38, 1, v38
	v_cmp_eq_u32_e32 vcc, 1, v38
	s_xor_b64 s[4:5], vcc, -1
	s_and_saveexec_b64 s[58:59], s[4:5]
	s_cbranch_execz .LBB692_123
; %bb.122:
	s_mov_b32 s4, 0x652b82fe
	v_add_f64 v[36:37], v[36:37], -v[24:25]
	s_mov_b32 s5, 0x3ff71547
	v_mul_f64 v[38:39], v[36:37], s[4:5]
	s_mov_b32 s4, 0xfefa39ef
	v_rndne_f64_e32 v[38:39], v[38:39]
	s_mov_b32 s5, 0xbfe62e42
	v_fma_f64 v[40:41], s[4:5], v[38:39], v[36:37]
	s_mov_b32 s4, 0x3b39803f
	s_mov_b32 s5, 0xbc7abc9e
	v_fmac_f64_e32 v[40:41], s[4:5], v[38:39]
	s_mov_b32 s4, 0x6a5dcb37
	v_mov_b32_e32 v52, 0xfca7ab0c
	v_mov_b32_e32 v53, 0x3e928af3
	s_mov_b32 s5, 0x3e5ade15
	v_fmac_f64_e32 v[52:53], s[4:5], v[40:41]
	v_mov_b32_e32 v54, 0x623fde64
	v_mov_b32_e32 v55, 0x3ec71dee
	v_fmac_f64_e32 v[54:55], v[40:41], v[52:53]
	v_mov_b32_e32 v52, 0x7c89e6b0
	v_mov_b32_e32 v53, 0x3efa0199
	;; [unrolled: 3-line block ×8, first 2 shown]
	s_mov_b32 s4, 0
	v_fmac_f64_e32 v[52:53], v[40:41], v[54:55]
	s_mov_b32 s5, 0x40900000
	v_fma_f64 v[52:53], v[40:41], v[52:53], 1.0
	v_cmp_nlt_f64_e32 vcc, s[4:5], v[36:37]
	s_mov_b32 s4, 0
	v_fma_f64 v[40:41], v[40:41], v[52:53], 1.0
	v_cvt_i32_f64_e32 v38, v[38:39]
	s_mov_b32 s5, 0xc090cc00
	v_ldexp_f64 v[38:39], v[40:41], v38
	v_mov_b32_e32 v40, 0x7ff00000
	v_cmp_ngt_f64_e64 s[4:5], s[4:5], v[36:37]
	v_cndmask_b32_e32 v39, v40, v39, vcc
	s_and_b64 vcc, s[4:5], vcc
	v_cndmask_b32_e64 v41, 0, v39, s[4:5]
	v_cndmask_b32_e32 v40, 0, v38, vcc
	v_add_f64 v[22:23], v[22:23], v[40:41]
.LBB692_123:
	s_or_b64 exec, exec, s[58:59]
.LBB692_124:
	s_or_b64 exec, exec, s[38:39]
	v_pk_mov_b32 v[36:37], 0, 0
	v_pk_mov_b32 v[38:39], v[36:37], v[36:37] op_sel:[0,1]
	s_and_saveexec_b64 s[38:39], s[56:57]
	s_cbranch_execz .LBB692_128
; %bb.125:
	global_load_ubyte v38, v[4:5], off offset:448
	s_waitcnt vmcnt(0)
	v_and_b32_e32 v38, 1, v38
	v_cmp_eq_u32_e32 vcc, 1, v38
	s_xor_b64 s[4:5], vcc, -1
	v_pk_mov_b32 v[38:39], 0, 0
	s_and_saveexec_b64 s[56:57], s[4:5]
	s_cbranch_execz .LBB692_127
; %bb.126:
	s_mov_b32 s4, 0x652b82fe
	v_add_f64 v[30:31], v[30:31], -v[24:25]
	s_mov_b32 s5, 0x3ff71547
	v_mul_f64 v[38:39], v[30:31], s[4:5]
	s_mov_b32 s4, 0xfefa39ef
	v_rndne_f64_e32 v[38:39], v[38:39]
	s_mov_b32 s5, 0xbfe62e42
	v_fma_f64 v[52:53], s[4:5], v[38:39], v[30:31]
	s_mov_b32 s4, 0x3b39803f
	s_mov_b32 s5, 0xbc7abc9e
	v_fmac_f64_e32 v[52:53], s[4:5], v[38:39]
	s_mov_b32 s4, 0x6a5dcb37
	v_mov_b32_e32 v54, 0xfca7ab0c
	v_mov_b32_e32 v55, 0x3e928af3
	s_mov_b32 s5, 0x3e5ade15
	v_fmac_f64_e32 v[54:55], s[4:5], v[52:53]
	v_mov_b32_e32 v56, 0x623fde64
	v_mov_b32_e32 v57, 0x3ec71dee
	v_fmac_f64_e32 v[56:57], v[52:53], v[54:55]
	v_mov_b32_e32 v54, 0x7c89e6b0
	v_mov_b32_e32 v55, 0x3efa0199
	;; [unrolled: 3-line block ×8, first 2 shown]
	s_mov_b32 s4, 0
	v_fmac_f64_e32 v[54:55], v[52:53], v[56:57]
	s_mov_b32 s5, 0x40900000
	v_fma_f64 v[54:55], v[52:53], v[54:55], 1.0
	v_cmp_nlt_f64_e32 vcc, s[4:5], v[30:31]
	s_mov_b32 s4, 0
	v_fma_f64 v[52:53], v[52:53], v[54:55], 1.0
	v_cvt_i32_f64_e32 v38, v[38:39]
	s_mov_b32 s5, 0xc090cc00
	v_ldexp_f64 v[38:39], v[52:53], v38
	v_mov_b32_e32 v51, 0x7ff00000
	v_cmp_ngt_f64_e64 s[4:5], s[4:5], v[30:31]
	v_cndmask_b32_e32 v39, v51, v39, vcc
	s_and_b64 vcc, s[4:5], vcc
	v_cndmask_b32_e64 v39, 0, v39, s[4:5]
	v_cndmask_b32_e32 v38, 0, v38, vcc
	v_add_f64 v[22:23], v[22:23], v[38:39]
.LBB692_127:
	s_or_b64 exec, exec, s[56:57]
.LBB692_128:
	s_or_b64 exec, exec, s[38:39]
	s_and_saveexec_b64 s[38:39], s[54:55]
	s_cbranch_execz .LBB692_132
; %bb.129:
	global_load_ubyte v30, v[4:5], off offset:512
	v_pk_mov_b32 v[36:37], 0, 0
	s_waitcnt vmcnt(0)
	v_and_b32_e32 v30, 1, v30
	v_cmp_eq_u32_e32 vcc, 1, v30
	s_xor_b64 s[4:5], vcc, -1
	s_and_saveexec_b64 s[54:55], s[4:5]
	s_cbranch_execz .LBB692_131
; %bb.130:
	s_mov_b32 s4, 0x652b82fe
	v_add_f64 v[26:27], v[26:27], -v[24:25]
	s_mov_b32 s5, 0x3ff71547
	v_mul_f64 v[30:31], v[26:27], s[4:5]
	s_mov_b32 s4, 0xfefa39ef
	v_rndne_f64_e32 v[30:31], v[30:31]
	s_mov_b32 s5, 0xbfe62e42
	v_fma_f64 v[36:37], s[4:5], v[30:31], v[26:27]
	s_mov_b32 s4, 0x3b39803f
	s_mov_b32 s5, 0xbc7abc9e
	v_fmac_f64_e32 v[36:37], s[4:5], v[30:31]
	s_mov_b32 s4, 0x6a5dcb37
	v_mov_b32_e32 v52, 0xfca7ab0c
	v_mov_b32_e32 v53, 0x3e928af3
	s_mov_b32 s5, 0x3e5ade15
	v_fmac_f64_e32 v[52:53], s[4:5], v[36:37]
	v_mov_b32_e32 v54, 0x623fde64
	v_mov_b32_e32 v55, 0x3ec71dee
	v_fmac_f64_e32 v[54:55], v[36:37], v[52:53]
	v_mov_b32_e32 v52, 0x7c89e6b0
	v_mov_b32_e32 v53, 0x3efa0199
	;; [unrolled: 3-line block ×8, first 2 shown]
	s_mov_b32 s4, 0
	v_fmac_f64_e32 v[52:53], v[36:37], v[54:55]
	s_mov_b32 s5, 0x40900000
	v_fma_f64 v[52:53], v[36:37], v[52:53], 1.0
	v_cmp_nlt_f64_e32 vcc, s[4:5], v[26:27]
	s_mov_b32 s4, 0
	v_fma_f64 v[36:37], v[36:37], v[52:53], 1.0
	v_cvt_i32_f64_e32 v30, v[30:31]
	s_mov_b32 s5, 0xc090cc00
	v_ldexp_f64 v[30:31], v[36:37], v30
	v_mov_b32_e32 v36, 0x7ff00000
	v_cmp_ngt_f64_e64 s[4:5], s[4:5], v[26:27]
	v_cndmask_b32_e32 v31, v36, v31, vcc
	s_and_b64 vcc, s[4:5], vcc
	v_cndmask_b32_e64 v37, 0, v31, s[4:5]
	v_cndmask_b32_e32 v36, 0, v30, vcc
	v_add_f64 v[22:23], v[22:23], v[36:37]
.LBB692_131:
	s_or_b64 exec, exec, s[54:55]
.LBB692_132:
	s_or_b64 exec, exec, s[38:39]
	v_pk_mov_b32 v[26:27], 0, 0
	v_pk_mov_b32 v[30:31], v[26:27], v[26:27] op_sel:[0,1]
	s_and_saveexec_b64 s[38:39], s[52:53]
	s_cbranch_execz .LBB692_136
; %bb.133:
	global_load_ubyte v30, v[4:5], off offset:576
	s_waitcnt vmcnt(0)
	v_and_b32_e32 v30, 1, v30
	v_cmp_eq_u32_e32 vcc, 1, v30
	s_xor_b64 s[4:5], vcc, -1
	v_pk_mov_b32 v[30:31], 0, 0
	s_and_saveexec_b64 s[52:53], s[4:5]
	s_cbranch_execz .LBB692_135
; %bb.134:
	s_mov_b32 s4, 0x652b82fe
	v_add_f64 v[18:19], v[18:19], -v[24:25]
	s_mov_b32 s5, 0x3ff71547
	v_mul_f64 v[30:31], v[18:19], s[4:5]
	s_mov_b32 s4, 0xfefa39ef
	v_rndne_f64_e32 v[30:31], v[30:31]
	s_mov_b32 s5, 0xbfe62e42
	v_fma_f64 v[52:53], s[4:5], v[30:31], v[18:19]
	s_mov_b32 s4, 0x3b39803f
	s_mov_b32 s5, 0xbc7abc9e
	v_fmac_f64_e32 v[52:53], s[4:5], v[30:31]
	s_mov_b32 s4, 0x6a5dcb37
	v_mov_b32_e32 v54, 0xfca7ab0c
	v_mov_b32_e32 v55, 0x3e928af3
	s_mov_b32 s5, 0x3e5ade15
	v_fmac_f64_e32 v[54:55], s[4:5], v[52:53]
	v_mov_b32_e32 v56, 0x623fde64
	v_mov_b32_e32 v57, 0x3ec71dee
	v_fmac_f64_e32 v[56:57], v[52:53], v[54:55]
	v_mov_b32_e32 v54, 0x7c89e6b0
	v_mov_b32_e32 v55, 0x3efa0199
	v_fmac_f64_e32 v[54:55], v[52:53], v[56:57]
	v_mov_b32_e32 v56, 0x14761f6e
	v_mov_b32_e32 v57, 0x3f2a01a0
	v_fmac_f64_e32 v[56:57], v[52:53], v[54:55]
	v_mov_b32_e32 v54, 0x1852b7b0
	v_mov_b32_e32 v55, 0x3f56c16c
	v_fmac_f64_e32 v[54:55], v[52:53], v[56:57]
	v_mov_b32_e32 v56, 0x11122322
	v_mov_b32_e32 v57, 0x3f811111
	v_fmac_f64_e32 v[56:57], v[52:53], v[54:55]
	v_mov_b32_e32 v54, 0x555502a1
	v_mov_b32_e32 v55, 0x3fa55555
	v_fmac_f64_e32 v[54:55], v[52:53], v[56:57]
	v_mov_b32_e32 v56, 0x55555511
	v_mov_b32_e32 v57, 0x3fc55555
	v_fmac_f64_e32 v[56:57], v[52:53], v[54:55]
	v_mov_b32_e32 v54, 11
	v_mov_b32_e32 v55, 0x3fe00000
	s_mov_b32 s4, 0
	v_fmac_f64_e32 v[54:55], v[52:53], v[56:57]
	s_mov_b32 s5, 0x40900000
	v_fma_f64 v[54:55], v[52:53], v[54:55], 1.0
	v_cmp_nlt_f64_e32 vcc, s[4:5], v[18:19]
	s_mov_b32 s4, 0
	v_fma_f64 v[52:53], v[52:53], v[54:55], 1.0
	v_cvt_i32_f64_e32 v30, v[30:31]
	s_mov_b32 s5, 0xc090cc00
	v_ldexp_f64 v[30:31], v[52:53], v30
	v_mov_b32_e32 v51, 0x7ff00000
	v_cmp_ngt_f64_e64 s[4:5], s[4:5], v[18:19]
	v_cndmask_b32_e32 v31, v51, v31, vcc
	s_and_b64 vcc, s[4:5], vcc
	v_cndmask_b32_e64 v31, 0, v31, s[4:5]
	v_cndmask_b32_e32 v30, 0, v30, vcc
	v_add_f64 v[22:23], v[22:23], v[30:31]
.LBB692_135:
	s_or_b64 exec, exec, s[52:53]
.LBB692_136:
	s_or_b64 exec, exec, s[38:39]
	s_and_saveexec_b64 s[38:39], s[50:51]
	s_cbranch_execz .LBB692_140
; %bb.137:
	global_load_ubyte v18, v[4:5], off offset:640
	v_pk_mov_b32 v[26:27], 0, 0
	s_waitcnt vmcnt(0)
	v_and_b32_e32 v18, 1, v18
	v_cmp_eq_u32_e32 vcc, 1, v18
	s_xor_b64 s[4:5], vcc, -1
	s_and_saveexec_b64 s[50:51], s[4:5]
	s_cbranch_execz .LBB692_139
; %bb.138:
	s_mov_b32 s4, 0x652b82fe
	v_add_f64 v[14:15], v[14:15], -v[24:25]
	s_mov_b32 s5, 0x3ff71547
	v_mul_f64 v[18:19], v[14:15], s[4:5]
	s_mov_b32 s4, 0xfefa39ef
	v_rndne_f64_e32 v[18:19], v[18:19]
	s_mov_b32 s5, 0xbfe62e42
	v_fma_f64 v[26:27], s[4:5], v[18:19], v[14:15]
	s_mov_b32 s4, 0x3b39803f
	s_mov_b32 s5, 0xbc7abc9e
	v_fmac_f64_e32 v[26:27], s[4:5], v[18:19]
	s_mov_b32 s4, 0x6a5dcb37
	v_mov_b32_e32 v52, 0xfca7ab0c
	v_mov_b32_e32 v53, 0x3e928af3
	s_mov_b32 s5, 0x3e5ade15
	v_fmac_f64_e32 v[52:53], s[4:5], v[26:27]
	v_mov_b32_e32 v54, 0x623fde64
	v_mov_b32_e32 v55, 0x3ec71dee
	v_fmac_f64_e32 v[54:55], v[26:27], v[52:53]
	v_mov_b32_e32 v52, 0x7c89e6b0
	v_mov_b32_e32 v53, 0x3efa0199
	;; [unrolled: 3-line block ×8, first 2 shown]
	s_mov_b32 s4, 0
	v_fmac_f64_e32 v[52:53], v[26:27], v[54:55]
	s_mov_b32 s5, 0x40900000
	v_fma_f64 v[52:53], v[26:27], v[52:53], 1.0
	v_cmp_nlt_f64_e32 vcc, s[4:5], v[14:15]
	s_mov_b32 s4, 0
	v_fma_f64 v[26:27], v[26:27], v[52:53], 1.0
	v_cvt_i32_f64_e32 v18, v[18:19]
	s_mov_b32 s5, 0xc090cc00
	v_ldexp_f64 v[18:19], v[26:27], v18
	v_mov_b32_e32 v26, 0x7ff00000
	v_cmp_ngt_f64_e64 s[4:5], s[4:5], v[14:15]
	v_cndmask_b32_e32 v19, v26, v19, vcc
	s_and_b64 vcc, s[4:5], vcc
	v_cndmask_b32_e64 v27, 0, v19, s[4:5]
	v_cndmask_b32_e32 v26, 0, v18, vcc
	v_add_f64 v[22:23], v[22:23], v[26:27]
.LBB692_139:
	s_or_b64 exec, exec, s[50:51]
.LBB692_140:
	s_or_b64 exec, exec, s[38:39]
	v_pk_mov_b32 v[14:15], 0, 0
	v_pk_mov_b32 v[18:19], v[14:15], v[14:15] op_sel:[0,1]
	s_and_saveexec_b64 s[38:39], s[48:49]
	s_cbranch_execz .LBB692_144
; %bb.141:
	global_load_ubyte v18, v[4:5], off offset:704
	s_waitcnt vmcnt(0)
	v_and_b32_e32 v18, 1, v18
	v_cmp_eq_u32_e32 vcc, 1, v18
	s_xor_b64 s[4:5], vcc, -1
	v_pk_mov_b32 v[18:19], 0, 0
	s_and_saveexec_b64 s[48:49], s[4:5]
	s_cbranch_execz .LBB692_143
; %bb.142:
	s_mov_b32 s4, 0x652b82fe
	v_add_f64 v[12:13], v[12:13], -v[24:25]
	s_mov_b32 s5, 0x3ff71547
	v_mul_f64 v[18:19], v[12:13], s[4:5]
	s_mov_b32 s4, 0xfefa39ef
	v_rndne_f64_e32 v[18:19], v[18:19]
	s_mov_b32 s5, 0xbfe62e42
	v_fma_f64 v[52:53], s[4:5], v[18:19], v[12:13]
	s_mov_b32 s4, 0x3b39803f
	s_mov_b32 s5, 0xbc7abc9e
	v_fmac_f64_e32 v[52:53], s[4:5], v[18:19]
	s_mov_b32 s4, 0x6a5dcb37
	v_mov_b32_e32 v54, 0xfca7ab0c
	v_mov_b32_e32 v55, 0x3e928af3
	s_mov_b32 s5, 0x3e5ade15
	v_fmac_f64_e32 v[54:55], s[4:5], v[52:53]
	v_mov_b32_e32 v56, 0x623fde64
	v_mov_b32_e32 v57, 0x3ec71dee
	v_fmac_f64_e32 v[56:57], v[52:53], v[54:55]
	v_mov_b32_e32 v54, 0x7c89e6b0
	v_mov_b32_e32 v55, 0x3efa0199
	;; [unrolled: 3-line block ×8, first 2 shown]
	s_mov_b32 s4, 0
	v_fmac_f64_e32 v[54:55], v[52:53], v[56:57]
	s_mov_b32 s5, 0x40900000
	v_fma_f64 v[54:55], v[52:53], v[54:55], 1.0
	v_cmp_nlt_f64_e32 vcc, s[4:5], v[12:13]
	s_mov_b32 s4, 0
	v_fma_f64 v[52:53], v[52:53], v[54:55], 1.0
	v_cvt_i32_f64_e32 v18, v[18:19]
	s_mov_b32 s5, 0xc090cc00
	v_ldexp_f64 v[18:19], v[52:53], v18
	v_mov_b32_e32 v51, 0x7ff00000
	v_cmp_ngt_f64_e64 s[4:5], s[4:5], v[12:13]
	v_cndmask_b32_e32 v19, v51, v19, vcc
	s_and_b64 vcc, s[4:5], vcc
	v_cndmask_b32_e64 v19, 0, v19, s[4:5]
	v_cndmask_b32_e32 v18, 0, v18, vcc
	v_add_f64 v[22:23], v[22:23], v[18:19]
.LBB692_143:
	s_or_b64 exec, exec, s[48:49]
.LBB692_144:
	s_or_b64 exec, exec, s[38:39]
	s_and_saveexec_b64 s[38:39], s[46:47]
	s_cbranch_execz .LBB692_148
; %bb.145:
	global_load_ubyte v12, v[4:5], off offset:768
	v_pk_mov_b32 v[14:15], 0, 0
	s_waitcnt vmcnt(0)
	v_and_b32_e32 v12, 1, v12
	v_cmp_eq_u32_e32 vcc, 1, v12
	s_xor_b64 s[4:5], vcc, -1
	s_and_saveexec_b64 s[46:47], s[4:5]
	s_cbranch_execz .LBB692_147
; %bb.146:
	s_mov_b32 s4, 0x652b82fe
	v_add_f64 v[10:11], v[10:11], -v[24:25]
	s_mov_b32 s5, 0x3ff71547
	v_mul_f64 v[12:13], v[10:11], s[4:5]
	s_mov_b32 s4, 0xfefa39ef
	v_rndne_f64_e32 v[12:13], v[12:13]
	s_mov_b32 s5, 0xbfe62e42
	v_fma_f64 v[14:15], s[4:5], v[12:13], v[10:11]
	s_mov_b32 s4, 0x3b39803f
	s_mov_b32 s5, 0xbc7abc9e
	v_fmac_f64_e32 v[14:15], s[4:5], v[12:13]
	s_mov_b32 s4, 0x6a5dcb37
	v_mov_b32_e32 v52, 0xfca7ab0c
	v_mov_b32_e32 v53, 0x3e928af3
	s_mov_b32 s5, 0x3e5ade15
	v_fmac_f64_e32 v[52:53], s[4:5], v[14:15]
	v_mov_b32_e32 v54, 0x623fde64
	v_mov_b32_e32 v55, 0x3ec71dee
	v_fmac_f64_e32 v[54:55], v[14:15], v[52:53]
	v_mov_b32_e32 v52, 0x7c89e6b0
	v_mov_b32_e32 v53, 0x3efa0199
	v_fmac_f64_e32 v[52:53], v[14:15], v[54:55]
	v_mov_b32_e32 v54, 0x14761f6e
	v_mov_b32_e32 v55, 0x3f2a01a0
	v_fmac_f64_e32 v[54:55], v[14:15], v[52:53]
	v_mov_b32_e32 v52, 0x1852b7b0
	v_mov_b32_e32 v53, 0x3f56c16c
	v_fmac_f64_e32 v[52:53], v[14:15], v[54:55]
	v_mov_b32_e32 v54, 0x11122322
	v_mov_b32_e32 v55, 0x3f811111
	v_fmac_f64_e32 v[54:55], v[14:15], v[52:53]
	v_mov_b32_e32 v52, 0x555502a1
	v_mov_b32_e32 v53, 0x3fa55555
	v_fmac_f64_e32 v[52:53], v[14:15], v[54:55]
	v_mov_b32_e32 v54, 0x55555511
	v_mov_b32_e32 v55, 0x3fc55555
	v_fmac_f64_e32 v[54:55], v[14:15], v[52:53]
	v_mov_b32_e32 v52, 11
	v_mov_b32_e32 v53, 0x3fe00000
	s_mov_b32 s4, 0
	v_fmac_f64_e32 v[52:53], v[14:15], v[54:55]
	s_mov_b32 s5, 0x40900000
	v_fma_f64 v[52:53], v[14:15], v[52:53], 1.0
	v_cmp_nlt_f64_e32 vcc, s[4:5], v[10:11]
	s_mov_b32 s4, 0
	v_fma_f64 v[14:15], v[14:15], v[52:53], 1.0
	v_cvt_i32_f64_e32 v12, v[12:13]
	s_mov_b32 s5, 0xc090cc00
	v_ldexp_f64 v[12:13], v[14:15], v12
	v_mov_b32_e32 v14, 0x7ff00000
	v_cmp_ngt_f64_e64 s[4:5], s[4:5], v[10:11]
	v_cndmask_b32_e32 v13, v14, v13, vcc
	s_and_b64 vcc, s[4:5], vcc
	v_cndmask_b32_e64 v15, 0, v13, s[4:5]
	v_cndmask_b32_e32 v14, 0, v12, vcc
	v_add_f64 v[22:23], v[22:23], v[14:15]
.LBB692_147:
	s_or_b64 exec, exec, s[46:47]
.LBB692_148:
	s_or_b64 exec, exec, s[38:39]
	v_pk_mov_b32 v[10:11], 0, 0
	v_pk_mov_b32 v[12:13], v[10:11], v[10:11] op_sel:[0,1]
	s_and_saveexec_b64 s[38:39], s[44:45]
	s_cbranch_execnz .LBB692_151
; %bb.149:
	s_or_b64 exec, exec, s[38:39]
	s_and_saveexec_b64 s[38:39], s[42:43]
	s_cbranch_execnz .LBB692_154
.LBB692_150:
	s_or_b64 exec, exec, s[38:39]
	v_pk_mov_b32 v[6:7], 0, 0
	s_and_saveexec_b64 s[38:39], s[36:37]
	s_cbranch_execnz .LBB692_157
	s_branch .LBB692_160
.LBB692_151:
	global_load_ubyte v12, v[4:5], off offset:832
	s_waitcnt vmcnt(0)
	v_and_b32_e32 v12, 1, v12
	v_cmp_eq_u32_e32 vcc, 1, v12
	s_xor_b64 s[4:5], vcc, -1
	v_pk_mov_b32 v[12:13], 0, 0
	s_and_saveexec_b64 s[44:45], s[4:5]
	s_cbranch_execz .LBB692_153
; %bb.152:
	s_mov_b32 s4, 0x652b82fe
	v_add_f64 v[8:9], v[8:9], -v[24:25]
	s_mov_b32 s5, 0x3ff71547
	v_mul_f64 v[12:13], v[8:9], s[4:5]
	s_mov_b32 s4, 0xfefa39ef
	v_rndne_f64_e32 v[12:13], v[12:13]
	s_mov_b32 s5, 0xbfe62e42
	v_fma_f64 v[52:53], s[4:5], v[12:13], v[8:9]
	s_mov_b32 s4, 0x3b39803f
	s_mov_b32 s5, 0xbc7abc9e
	v_fmac_f64_e32 v[52:53], s[4:5], v[12:13]
	s_mov_b32 s4, 0x6a5dcb37
	v_mov_b32_e32 v54, 0xfca7ab0c
	v_mov_b32_e32 v55, 0x3e928af3
	s_mov_b32 s5, 0x3e5ade15
	v_fmac_f64_e32 v[54:55], s[4:5], v[52:53]
	v_mov_b32_e32 v56, 0x623fde64
	v_mov_b32_e32 v57, 0x3ec71dee
	v_fmac_f64_e32 v[56:57], v[52:53], v[54:55]
	v_mov_b32_e32 v54, 0x7c89e6b0
	v_mov_b32_e32 v55, 0x3efa0199
	;; [unrolled: 3-line block ×8, first 2 shown]
	s_mov_b32 s4, 0
	v_fmac_f64_e32 v[54:55], v[52:53], v[56:57]
	s_mov_b32 s5, 0x40900000
	v_fma_f64 v[54:55], v[52:53], v[54:55], 1.0
	v_cmp_nlt_f64_e32 vcc, s[4:5], v[8:9]
	s_mov_b32 s4, 0
	v_fma_f64 v[52:53], v[52:53], v[54:55], 1.0
	v_cvt_i32_f64_e32 v12, v[12:13]
	s_mov_b32 s5, 0xc090cc00
	v_ldexp_f64 v[12:13], v[52:53], v12
	v_mov_b32_e32 v51, 0x7ff00000
	v_cmp_ngt_f64_e64 s[4:5], s[4:5], v[8:9]
	v_cndmask_b32_e32 v13, v51, v13, vcc
	s_and_b64 vcc, s[4:5], vcc
	v_cndmask_b32_e64 v13, 0, v13, s[4:5]
	v_cndmask_b32_e32 v12, 0, v12, vcc
	v_add_f64 v[22:23], v[22:23], v[12:13]
.LBB692_153:
	s_or_b64 exec, exec, s[44:45]
	s_or_b64 exec, exec, s[38:39]
	s_and_saveexec_b64 s[38:39], s[42:43]
	s_cbranch_execz .LBB692_150
.LBB692_154:
	global_load_ubyte v8, v[4:5], off offset:896
	v_pk_mov_b32 v[10:11], 0, 0
	s_waitcnt vmcnt(0)
	v_and_b32_e32 v8, 1, v8
	v_cmp_eq_u32_e32 vcc, 1, v8
	s_xor_b64 s[4:5], vcc, -1
	s_and_saveexec_b64 s[42:43], s[4:5]
	s_cbranch_execz .LBB692_156
; %bb.155:
	s_mov_b32 s4, 0x652b82fe
	v_add_f64 v[6:7], v[6:7], -v[24:25]
	s_mov_b32 s5, 0x3ff71547
	v_mul_f64 v[8:9], v[6:7], s[4:5]
	s_mov_b32 s4, 0xfefa39ef
	v_rndne_f64_e32 v[8:9], v[8:9]
	s_mov_b32 s5, 0xbfe62e42
	v_fma_f64 v[10:11], s[4:5], v[8:9], v[6:7]
	s_mov_b32 s4, 0x3b39803f
	s_mov_b32 s5, 0xbc7abc9e
	v_fmac_f64_e32 v[10:11], s[4:5], v[8:9]
	s_mov_b32 s4, 0x6a5dcb37
	v_mov_b32_e32 v52, 0xfca7ab0c
	v_mov_b32_e32 v53, 0x3e928af3
	s_mov_b32 s5, 0x3e5ade15
	v_fmac_f64_e32 v[52:53], s[4:5], v[10:11]
	v_mov_b32_e32 v54, 0x623fde64
	v_mov_b32_e32 v55, 0x3ec71dee
	v_fmac_f64_e32 v[54:55], v[10:11], v[52:53]
	v_mov_b32_e32 v52, 0x7c89e6b0
	v_mov_b32_e32 v53, 0x3efa0199
	;; [unrolled: 3-line block ×8, first 2 shown]
	s_mov_b32 s4, 0
	v_fmac_f64_e32 v[52:53], v[10:11], v[54:55]
	s_mov_b32 s5, 0x40900000
	v_fma_f64 v[52:53], v[10:11], v[52:53], 1.0
	v_cmp_nlt_f64_e32 vcc, s[4:5], v[6:7]
	s_mov_b32 s4, 0
	v_fma_f64 v[10:11], v[10:11], v[52:53], 1.0
	v_cvt_i32_f64_e32 v8, v[8:9]
	s_mov_b32 s5, 0xc090cc00
	v_ldexp_f64 v[8:9], v[10:11], v8
	v_mov_b32_e32 v10, 0x7ff00000
	v_cmp_ngt_f64_e64 s[4:5], s[4:5], v[6:7]
	v_cndmask_b32_e32 v9, v10, v9, vcc
	s_and_b64 vcc, s[4:5], vcc
	v_cndmask_b32_e64 v11, 0, v9, s[4:5]
	v_cndmask_b32_e32 v10, 0, v8, vcc
	v_add_f64 v[22:23], v[22:23], v[10:11]
.LBB692_156:
	s_or_b64 exec, exec, s[42:43]
	s_or_b64 exec, exec, s[38:39]
	v_pk_mov_b32 v[6:7], 0, 0
	s_and_saveexec_b64 s[38:39], s[36:37]
	s_cbranch_execz .LBB692_160
.LBB692_157:
	global_load_ubyte v4, v[4:5], off offset:960
	v_pk_mov_b32 v[6:7], 0, 0
	s_waitcnt vmcnt(0)
	v_and_b32_e32 v4, 1, v4
	v_cmp_eq_u32_e32 vcc, 1, v4
	s_xor_b64 s[4:5], vcc, -1
	s_and_saveexec_b64 s[36:37], s[4:5]
	s_cbranch_execz .LBB692_159
; %bb.158:
	s_mov_b32 s4, 0x652b82fe
	v_add_f64 v[2:3], v[2:3], -v[24:25]
	s_mov_b32 s5, 0x3ff71547
	v_mul_f64 v[4:5], v[2:3], s[4:5]
	s_mov_b32 s4, 0xfefa39ef
	v_rndne_f64_e32 v[4:5], v[4:5]
	s_mov_b32 s5, 0xbfe62e42
	v_fma_f64 v[6:7], s[4:5], v[4:5], v[2:3]
	s_mov_b32 s4, 0x3b39803f
	s_mov_b32 s5, 0xbc7abc9e
	v_fmac_f64_e32 v[6:7], s[4:5], v[4:5]
	s_mov_b32 s4, 0x6a5dcb37
	v_mov_b32_e32 v8, 0xfca7ab0c
	v_mov_b32_e32 v9, 0x3e928af3
	s_mov_b32 s5, 0x3e5ade15
	v_fmac_f64_e32 v[8:9], s[4:5], v[6:7]
	v_mov_b32_e32 v24, 0x623fde64
	v_mov_b32_e32 v25, 0x3ec71dee
	v_fmac_f64_e32 v[24:25], v[6:7], v[8:9]
	v_mov_b32_e32 v8, 0x7c89e6b0
	v_mov_b32_e32 v9, 0x3efa0199
	v_fmac_f64_e32 v[8:9], v[6:7], v[24:25]
	v_mov_b32_e32 v24, 0x14761f6e
	v_mov_b32_e32 v25, 0x3f2a01a0
	v_fmac_f64_e32 v[24:25], v[6:7], v[8:9]
	v_mov_b32_e32 v8, 0x1852b7b0
	v_mov_b32_e32 v9, 0x3f56c16c
	v_fmac_f64_e32 v[8:9], v[6:7], v[24:25]
	v_mov_b32_e32 v24, 0x11122322
	v_mov_b32_e32 v25, 0x3f811111
	v_fmac_f64_e32 v[24:25], v[6:7], v[8:9]
	v_mov_b32_e32 v8, 0x555502a1
	v_mov_b32_e32 v9, 0x3fa55555
	v_fmac_f64_e32 v[8:9], v[6:7], v[24:25]
	v_mov_b32_e32 v24, 0x55555511
	v_mov_b32_e32 v25, 0x3fc55555
	v_fmac_f64_e32 v[24:25], v[6:7], v[8:9]
	v_mov_b32_e32 v8, 11
	v_mov_b32_e32 v9, 0x3fe00000
	s_mov_b32 s4, 0
	v_fmac_f64_e32 v[8:9], v[6:7], v[24:25]
	s_mov_b32 s5, 0x40900000
	v_fma_f64 v[8:9], v[6:7], v[8:9], 1.0
	v_cmp_nlt_f64_e32 vcc, s[4:5], v[2:3]
	s_mov_b32 s4, 0
	v_fma_f64 v[6:7], v[6:7], v[8:9], 1.0
	v_cvt_i32_f64_e32 v4, v[4:5]
	s_mov_b32 s5, 0xc090cc00
	v_ldexp_f64 v[4:5], v[6:7], v4
	v_mov_b32_e32 v6, 0x7ff00000
	v_cmp_ngt_f64_e64 s[4:5], s[4:5], v[2:3]
	v_cndmask_b32_e32 v5, v6, v5, vcc
	s_and_b64 vcc, s[4:5], vcc
	v_cndmask_b32_e64 v7, 0, v5, s[4:5]
	v_cndmask_b32_e32 v6, 0, v4, vcc
	v_add_f64 v[22:23], v[22:23], v[6:7]
.LBB692_159:
	s_or_b64 exec, exec, s[36:37]
.LBB692_160:
	s_or_b64 exec, exec, s[38:39]
	ds_bpermute_b32 v2, v45, v22
	ds_bpermute_b32 v3, v45, v23
	v_cmp_lt_i32_e32 vcc, 0, v44
	s_waitcnt lgkmcnt(0)
	v_add_f64 v[2:3], v[22:23], v[2:3]
	ds_bpermute_b32 v4, v46, v2
	ds_bpermute_b32 v5, v46, v3
	s_waitcnt lgkmcnt(0)
	v_add_f64 v[2:3], v[2:3], v[4:5]
	ds_bpermute_b32 v4, v47, v2
	ds_bpermute_b32 v5, v47, v3
	;; [unrolled: 4-line block ×5, first 2 shown]
	s_and_saveexec_b64 s[4:5], vcc
	s_cbranch_execz .LBB692_178
; %bb.161:
	s_and_b64 exec, exec, s[30:31]
	s_cbranch_execz .LBB692_178
; %bb.162:
	s_waitcnt lgkmcnt(0)
	v_add_f64 v[2:3], v[2:3], v[4:5]
	v_div_scale_f64 v[4:5], s[4:5], v[2:3], v[2:3], v[20:21]
	v_rcp_f64_e32 v[8:9], v[4:5]
	v_mov_b32_e32 v22, s41
	v_add_co_u32_e32 v0, vcc, s40, v0
	v_addc_co_u32_e32 v1, vcc, v22, v1, vcc
	v_fma_f64 v[22:23], -v[4:5], v[8:9], 1.0
	v_fmac_f64_e32 v[8:9], v[8:9], v[22:23]
	v_fma_f64 v[22:23], -v[4:5], v[8:9], 1.0
	v_fmac_f64_e32 v[8:9], v[8:9], v[22:23]
	v_div_scale_f64 v[22:23], vcc, v[20:21], v[2:3], v[20:21]
	v_mul_f64 v[24:25], v[22:23], v[8:9]
	v_fma_f64 v[4:5], -v[4:5], v[24:25], v[22:23]
	v_cmp_eq_f64_e64 s[30:31], 0, v[2:3]
	s_nop 0
	v_div_fmas_f64 v[4:5], v[4:5], v[8:9], v[24:25]
	v_div_fixup_f64 v[8:9], v[4:5], v[2:3], v[20:21]
	v_mov_b32_e32 v4, 0x7ff80000
	v_cndmask_b32_e64 v9, v9, v4, s[30:31]
	v_cndmask_b32_e64 v8, v8, 0, s[30:31]
	global_store_dwordx2 v[0:1], v[8:9], off
	s_and_b64 exec, exec, s[28:29]
	s_cbranch_execz .LBB692_178
; %bb.163:
	v_div_scale_f64 v[8:9], s[4:5], v[2:3], v[2:3], v[28:29]
	v_rcp_f64_e32 v[20:21], v[8:9]
	v_div_scale_f64 v[22:23], vcc, v[28:29], v[2:3], v[28:29]
	v_fma_f64 v[24:25], -v[8:9], v[20:21], 1.0
	v_fmac_f64_e32 v[20:21], v[20:21], v[24:25]
	v_fma_f64 v[24:25], -v[8:9], v[20:21], 1.0
	v_fmac_f64_e32 v[20:21], v[20:21], v[24:25]
	v_mul_f64 v[24:25], v[22:23], v[20:21]
	v_fma_f64 v[8:9], -v[8:9], v[24:25], v[22:23]
	v_div_fmas_f64 v[8:9], v[8:9], v[20:21], v[24:25]
	v_div_fixup_f64 v[8:9], v[8:9], v[2:3], v[28:29]
	v_cndmask_b32_e64 v5, v9, v4, s[30:31]
	v_cndmask_b32_e64 v4, v8, 0, s[30:31]
	global_store_dwordx2 v[0:1], v[4:5], off offset:512
	s_and_b64 exec, exec, s[26:27]
	s_cbranch_execz .LBB692_178
; %bb.164:
	v_div_scale_f64 v[4:5], s[4:5], v[2:3], v[2:3], v[16:17]
	v_rcp_f64_e32 v[8:9], v[4:5]
	v_div_scale_f64 v[20:21], vcc, v[16:17], v[2:3], v[16:17]
	v_fma_f64 v[22:23], -v[4:5], v[8:9], 1.0
	v_fmac_f64_e32 v[8:9], v[8:9], v[22:23]
	v_fma_f64 v[22:23], -v[4:5], v[8:9], 1.0
	v_fmac_f64_e32 v[8:9], v[8:9], v[22:23]
	v_mul_f64 v[22:23], v[20:21], v[8:9]
	v_fma_f64 v[4:5], -v[4:5], v[22:23], v[20:21]
	v_div_fmas_f64 v[4:5], v[4:5], v[8:9], v[22:23]
	v_div_fixup_f64 v[8:9], v[4:5], v[2:3], v[16:17]
	v_mov_b32_e32 v4, 0x7ff80000
	v_cndmask_b32_e64 v9, v9, v4, s[30:31]
	v_cndmask_b32_e64 v8, v8, 0, s[30:31]
	global_store_dwordx2 v[0:1], v[8:9], off offset:1024
	s_and_b64 exec, exec, s[24:25]
	s_cbranch_execz .LBB692_178
; %bb.165:
	v_div_scale_f64 v[8:9], s[4:5], v[2:3], v[2:3], v[34:35]
	v_rcp_f64_e32 v[16:17], v[8:9]
	v_div_scale_f64 v[20:21], vcc, v[34:35], v[2:3], v[34:35]
	v_fma_f64 v[22:23], -v[8:9], v[16:17], 1.0
	v_fmac_f64_e32 v[16:17], v[16:17], v[22:23]
	v_fma_f64 v[22:23], -v[8:9], v[16:17], 1.0
	v_fmac_f64_e32 v[16:17], v[16:17], v[22:23]
	v_mul_f64 v[22:23], v[20:21], v[16:17]
	v_fma_f64 v[8:9], -v[8:9], v[22:23], v[20:21]
	v_div_fmas_f64 v[8:9], v[8:9], v[16:17], v[22:23]
	v_div_fixup_f64 v[8:9], v[8:9], v[2:3], v[34:35]
	v_cndmask_b32_e64 v5, v9, v4, s[30:31]
	v_cndmask_b32_e64 v4, v8, 0, s[30:31]
	global_store_dwordx2 v[0:1], v[4:5], off offset:1536
	s_and_b64 exec, exec, s[22:23]
	s_cbranch_execz .LBB692_178
; %bb.166:
	v_div_scale_f64 v[4:5], s[4:5], v[2:3], v[2:3], v[32:33]
	v_rcp_f64_e32 v[8:9], v[4:5]
	v_div_scale_f64 v[16:17], vcc, v[32:33], v[2:3], v[32:33]
	v_fma_f64 v[20:21], -v[4:5], v[8:9], 1.0
	v_fmac_f64_e32 v[8:9], v[8:9], v[20:21]
	v_fma_f64 v[20:21], -v[4:5], v[8:9], 1.0
	v_fmac_f64_e32 v[8:9], v[8:9], v[20:21]
	v_mul_f64 v[20:21], v[16:17], v[8:9]
	v_fma_f64 v[4:5], -v[4:5], v[20:21], v[16:17]
	v_div_fmas_f64 v[4:5], v[4:5], v[8:9], v[20:21]
	v_div_fixup_f64 v[8:9], v[4:5], v[2:3], v[32:33]
	v_mov_b32_e32 v4, 0x7ff80000
	v_cndmask_b32_e64 v9, v9, v4, s[30:31]
	v_cndmask_b32_e64 v8, v8, 0, s[30:31]
	global_store_dwordx2 v[0:1], v[8:9], off offset:2048
	;; [unrolled: 35-line block ×3, first 2 shown]
	s_and_b64 exec, exec, s[16:17]
	s_cbranch_execz .LBB692_178
; %bb.169:
	v_div_scale_f64 v[8:9], s[4:5], v[2:3], v[2:3], v[38:39]
	v_rcp_f64_e32 v[16:17], v[8:9]
	v_div_scale_f64 v[20:21], vcc, v[38:39], v[2:3], v[38:39]
	v_fma_f64 v[22:23], -v[8:9], v[16:17], 1.0
	v_fmac_f64_e32 v[16:17], v[16:17], v[22:23]
	v_fma_f64 v[22:23], -v[8:9], v[16:17], 1.0
	v_fmac_f64_e32 v[16:17], v[16:17], v[22:23]
	v_mul_f64 v[22:23], v[20:21], v[16:17]
	v_fma_f64 v[8:9], -v[8:9], v[22:23], v[20:21]
	v_div_fmas_f64 v[8:9], v[8:9], v[16:17], v[22:23]
	v_div_fixup_f64 v[8:9], v[8:9], v[2:3], v[38:39]
	v_cndmask_b32_e64 v5, v9, v4, s[30:31]
	v_cndmask_b32_e64 v4, v8, 0, s[30:31]
	global_store_dwordx2 v[0:1], v[4:5], off offset:3584
	s_and_b64 exec, exec, s[14:15]
	s_cbranch_execz .LBB692_178
; %bb.170:
	v_div_scale_f64 v[4:5], s[4:5], v[2:3], v[2:3], v[36:37]
	v_rcp_f64_e32 v[8:9], v[4:5]
	v_div_scale_f64 v[16:17], vcc, v[36:37], v[2:3], v[36:37]
	v_fma_f64 v[20:21], -v[4:5], v[8:9], 1.0
	v_fmac_f64_e32 v[8:9], v[8:9], v[20:21]
	v_fma_f64 v[20:21], -v[4:5], v[8:9], 1.0
	v_fmac_f64_e32 v[8:9], v[8:9], v[20:21]
	v_mul_f64 v[20:21], v[16:17], v[8:9]
	v_fma_f64 v[4:5], -v[4:5], v[20:21], v[16:17]
	v_div_fmas_f64 v[4:5], v[4:5], v[8:9], v[20:21]
	v_div_fixup_f64 v[8:9], v[4:5], v[2:3], v[36:37]
	v_mov_b32_e32 v4, 0x7ff80000
	v_add_co_u32_e32 v16, vcc, 0x1000, v0
	v_cndmask_b32_e64 v9, v9, v4, s[30:31]
	v_cndmask_b32_e64 v8, v8, 0, s[30:31]
	v_addc_co_u32_e32 v17, vcc, 0, v1, vcc
	global_store_dwordx2 v[16:17], v[8:9], off
	s_and_b64 exec, exec, s[12:13]
	s_cbranch_execz .LBB692_178
; %bb.171:
	v_div_scale_f64 v[8:9], s[4:5], v[2:3], v[2:3], v[30:31]
	v_rcp_f64_e32 v[16:17], v[8:9]
	v_div_scale_f64 v[20:21], vcc, v[30:31], v[2:3], v[30:31]
	v_fma_f64 v[22:23], -v[8:9], v[16:17], 1.0
	v_fmac_f64_e32 v[16:17], v[16:17], v[22:23]
	v_fma_f64 v[22:23], -v[8:9], v[16:17], 1.0
	v_fmac_f64_e32 v[16:17], v[16:17], v[22:23]
	v_mul_f64 v[22:23], v[20:21], v[16:17]
	v_fma_f64 v[8:9], -v[8:9], v[22:23], v[20:21]
	v_div_fmas_f64 v[8:9], v[8:9], v[16:17], v[22:23]
	v_div_fixup_f64 v[8:9], v[8:9], v[2:3], v[30:31]
	v_cndmask_b32_e64 v5, v9, v4, s[30:31]
	v_cndmask_b32_e64 v4, v8, 0, s[30:31]
	v_add_co_u32_e32 v8, vcc, 0x1000, v0
	v_addc_co_u32_e32 v9, vcc, 0, v1, vcc
	global_store_dwordx2 v[8:9], v[4:5], off offset:512
	s_and_b64 exec, exec, s[10:11]
	s_cbranch_execz .LBB692_178
; %bb.172:
	v_div_scale_f64 v[4:5], s[4:5], v[2:3], v[2:3], v[26:27]
	v_rcp_f64_e32 v[8:9], v[4:5]
	v_div_scale_f64 v[16:17], vcc, v[26:27], v[2:3], v[26:27]
	v_fma_f64 v[20:21], -v[4:5], v[8:9], 1.0
	v_fmac_f64_e32 v[8:9], v[8:9], v[20:21]
	v_fma_f64 v[20:21], -v[4:5], v[8:9], 1.0
	v_fmac_f64_e32 v[8:9], v[8:9], v[20:21]
	v_mul_f64 v[20:21], v[16:17], v[8:9]
	v_fma_f64 v[4:5], -v[4:5], v[20:21], v[16:17]
	v_div_fmas_f64 v[4:5], v[4:5], v[8:9], v[20:21]
	v_div_fixup_f64 v[8:9], v[4:5], v[2:3], v[26:27]
	v_mov_b32_e32 v4, 0x7ff80000
	v_add_co_u32_e32 v16, vcc, 0x1000, v0
	v_cndmask_b32_e64 v9, v9, v4, s[30:31]
	v_cndmask_b32_e64 v8, v8, 0, s[30:31]
	v_addc_co_u32_e32 v17, vcc, 0, v1, vcc
	global_store_dwordx2 v[16:17], v[8:9], off offset:1024
	s_and_b64 exec, exec, s[8:9]
	s_cbranch_execz .LBB692_178
; %bb.173:
	v_div_scale_f64 v[8:9], s[4:5], v[2:3], v[2:3], v[18:19]
	v_rcp_f64_e32 v[16:17], v[8:9]
	v_div_scale_f64 v[20:21], vcc, v[18:19], v[2:3], v[18:19]
	v_fma_f64 v[22:23], -v[8:9], v[16:17], 1.0
	v_fmac_f64_e32 v[16:17], v[16:17], v[22:23]
	v_fma_f64 v[22:23], -v[8:9], v[16:17], 1.0
	v_fmac_f64_e32 v[16:17], v[16:17], v[22:23]
	v_mul_f64 v[22:23], v[20:21], v[16:17]
	v_fma_f64 v[8:9], -v[8:9], v[22:23], v[20:21]
	v_div_fmas_f64 v[8:9], v[8:9], v[16:17], v[22:23]
	v_div_fixup_f64 v[8:9], v[8:9], v[2:3], v[18:19]
	v_cndmask_b32_e64 v5, v9, v4, s[30:31]
	v_cndmask_b32_e64 v4, v8, 0, s[30:31]
	v_add_co_u32_e32 v8, vcc, 0x1000, v0
	v_addc_co_u32_e32 v9, vcc, 0, v1, vcc
	global_store_dwordx2 v[8:9], v[4:5], off offset:1536
	s_and_b64 exec, exec, s[6:7]
	s_cbranch_execz .LBB692_178
; %bb.174:
	v_div_scale_f64 v[4:5], s[4:5], v[2:3], v[2:3], v[14:15]
	v_rcp_f64_e32 v[8:9], v[4:5]
	v_div_scale_f64 v[16:17], vcc, v[14:15], v[2:3], v[14:15]
	v_fma_f64 v[18:19], -v[4:5], v[8:9], 1.0
	v_fmac_f64_e32 v[8:9], v[8:9], v[18:19]
	v_fma_f64 v[18:19], -v[4:5], v[8:9], 1.0
	v_fmac_f64_e32 v[8:9], v[8:9], v[18:19]
	v_mul_f64 v[18:19], v[16:17], v[8:9]
	v_fma_f64 v[4:5], -v[4:5], v[18:19], v[16:17]
	v_div_fmas_f64 v[4:5], v[4:5], v[8:9], v[18:19]
	v_div_fixup_f64 v[8:9], v[4:5], v[2:3], v[14:15]
	v_mov_b32_e32 v4, 0x7ff80000
	v_add_co_u32_e32 v14, vcc, 0x1000, v0
	v_cndmask_b32_e64 v9, v9, v4, s[30:31]
	v_cndmask_b32_e64 v8, v8, 0, s[30:31]
	v_addc_co_u32_e32 v15, vcc, 0, v1, vcc
	global_store_dwordx2 v[14:15], v[8:9], off offset:2048
	;; [unrolled: 39-line block ×3, first 2 shown]
	s_and_b64 exec, exec, s[0:1]
	s_cbranch_execz .LBB692_178
; %bb.177:
	v_div_scale_f64 v[8:9], s[0:1], v[2:3], v[2:3], v[6:7]
	v_rcp_f64_e32 v[10:11], v[8:9]
	v_div_scale_f64 v[12:13], vcc, v[6:7], v[2:3], v[6:7]
	v_fma_f64 v[14:15], -v[8:9], v[10:11], 1.0
	v_fmac_f64_e32 v[10:11], v[10:11], v[14:15]
	v_fma_f64 v[14:15], -v[8:9], v[10:11], 1.0
	v_fmac_f64_e32 v[10:11], v[10:11], v[14:15]
	v_mul_f64 v[14:15], v[12:13], v[10:11]
	v_fma_f64 v[8:9], -v[8:9], v[14:15], v[12:13]
	v_div_fmas_f64 v[8:9], v[8:9], v[10:11], v[14:15]
	v_div_fixup_f64 v[2:3], v[8:9], v[2:3], v[6:7]
	v_add_co_u32_e32 v0, vcc, 0x1000, v0
	v_cndmask_b32_e64 v3, v3, v4, s[30:31]
	v_cndmask_b32_e64 v2, v2, 0, s[30:31]
	v_addc_co_u32_e32 v1, vcc, 0, v1, vcc
	global_store_dwordx2 v[0:1], v[2:3], off offset:3584
.LBB692_178:
	s_endpgm
	.section	.rodata,"a",@progbits
	.p2align	6, 0x0
	.amdhsa_kernel _ZN12_GLOBAL__N_120softmax_warp_forwardIdddLi10ELb0ELb1ELi64EEEvPT0_PKT_iiiPKbib
		.amdhsa_group_segment_fixed_size 0
		.amdhsa_private_segment_fixed_size 0
		.amdhsa_kernarg_size 304
		.amdhsa_user_sgpr_count 6
		.amdhsa_user_sgpr_private_segment_buffer 1
		.amdhsa_user_sgpr_dispatch_ptr 0
		.amdhsa_user_sgpr_queue_ptr 0
		.amdhsa_user_sgpr_kernarg_segment_ptr 1
		.amdhsa_user_sgpr_dispatch_id 0
		.amdhsa_user_sgpr_flat_scratch_init 0
		.amdhsa_user_sgpr_kernarg_preload_length 0
		.amdhsa_user_sgpr_kernarg_preload_offset 0
		.amdhsa_user_sgpr_private_segment_size 0
		.amdhsa_uses_dynamic_stack 0
		.amdhsa_system_sgpr_private_segment_wavefront_offset 0
		.amdhsa_system_sgpr_workgroup_id_x 1
		.amdhsa_system_sgpr_workgroup_id_y 0
		.amdhsa_system_sgpr_workgroup_id_z 0
		.amdhsa_system_sgpr_workgroup_info 0
		.amdhsa_system_vgpr_workitem_id 1
		.amdhsa_next_free_vgpr 58
		.amdhsa_next_free_sgpr 78
		.amdhsa_accum_offset 60
		.amdhsa_reserve_vcc 1
		.amdhsa_reserve_flat_scratch 0
		.amdhsa_float_round_mode_32 0
		.amdhsa_float_round_mode_16_64 0
		.amdhsa_float_denorm_mode_32 3
		.amdhsa_float_denorm_mode_16_64 3
		.amdhsa_dx10_clamp 1
		.amdhsa_ieee_mode 1
		.amdhsa_fp16_overflow 0
		.amdhsa_tg_split 0
		.amdhsa_exception_fp_ieee_invalid_op 0
		.amdhsa_exception_fp_denorm_src 0
		.amdhsa_exception_fp_ieee_div_zero 0
		.amdhsa_exception_fp_ieee_overflow 0
		.amdhsa_exception_fp_ieee_underflow 0
		.amdhsa_exception_fp_ieee_inexact 0
		.amdhsa_exception_int_div_zero 0
	.end_amdhsa_kernel
	.section	.text._ZN12_GLOBAL__N_120softmax_warp_forwardIdddLi10ELb0ELb1ELi64EEEvPT0_PKT_iiiPKbib,"axG",@progbits,_ZN12_GLOBAL__N_120softmax_warp_forwardIdddLi10ELb0ELb1ELi64EEEvPT0_PKT_iiiPKbib,comdat
.Lfunc_end692:
	.size	_ZN12_GLOBAL__N_120softmax_warp_forwardIdddLi10ELb0ELb1ELi64EEEvPT0_PKT_iiiPKbib, .Lfunc_end692-_ZN12_GLOBAL__N_120softmax_warp_forwardIdddLi10ELb0ELb1ELi64EEEvPT0_PKT_iiiPKbib
                                        ; -- End function
	.section	.AMDGPU.csdata,"",@progbits
; Kernel info:
; codeLenInByte = 12128
; NumSgprs: 82
; NumVgprs: 58
; NumAgprs: 0
; TotalNumVgprs: 58
; ScratchSize: 0
; MemoryBound: 0
; FloatMode: 240
; IeeeMode: 1
; LDSByteSize: 0 bytes/workgroup (compile time only)
; SGPRBlocks: 10
; VGPRBlocks: 7
; NumSGPRsForWavesPerEU: 82
; NumVGPRsForWavesPerEU: 58
; AccumOffset: 60
; Occupancy: 8
; WaveLimiterHint : 0
; COMPUTE_PGM_RSRC2:SCRATCH_EN: 0
; COMPUTE_PGM_RSRC2:USER_SGPR: 6
; COMPUTE_PGM_RSRC2:TRAP_HANDLER: 0
; COMPUTE_PGM_RSRC2:TGID_X_EN: 1
; COMPUTE_PGM_RSRC2:TGID_Y_EN: 0
; COMPUTE_PGM_RSRC2:TGID_Z_EN: 0
; COMPUTE_PGM_RSRC2:TIDIG_COMP_CNT: 1
; COMPUTE_PGM_RSRC3_GFX90A:ACCUM_OFFSET: 14
; COMPUTE_PGM_RSRC3_GFX90A:TG_SPLIT: 0
	.section	.text._ZN12_GLOBAL__N_120softmax_warp_forwardIdddLi10ELb0ELb1ELi32EEEvPT0_PKT_iiiPKbib,"axG",@progbits,_ZN12_GLOBAL__N_120softmax_warp_forwardIdddLi10ELb0ELb1ELi32EEEvPT0_PKT_iiiPKbib,comdat
	.globl	_ZN12_GLOBAL__N_120softmax_warp_forwardIdddLi10ELb0ELb1ELi32EEEvPT0_PKT_iiiPKbib ; -- Begin function _ZN12_GLOBAL__N_120softmax_warp_forwardIdddLi10ELb0ELb1ELi32EEEvPT0_PKT_iiiPKbib
	.p2align	8
	.type	_ZN12_GLOBAL__N_120softmax_warp_forwardIdddLi10ELb0ELb1ELi32EEEvPT0_PKT_iiiPKbib,@function
_ZN12_GLOBAL__N_120softmax_warp_forwardIdddLi10ELb0ELb1ELi32EEEvPT0_PKT_iiiPKbib: ; @_ZN12_GLOBAL__N_120softmax_warp_forwardIdddLi10ELb0ELb1ELi32EEEvPT0_PKT_iiiPKbib
; %bb.0:
	s_load_dword s2, s[4:5], 0x3c
	s_load_dwordx4 s[68:71], s[4:5], 0x10
	s_load_dwordx2 s[0:1], s[4:5], 0x28
	v_bfe_u32 v1, v0, 10, 10
	v_and_b32_e32 v4, 0x3ff, v0
	s_waitcnt lgkmcnt(0)
	s_lshr_b32 s2, s2, 16
	s_mul_i32 s6, s6, s2
	v_add_u32_e32 v2, s6, v1
	v_mul_lo_u32 v3, v2, s69
	v_add_u32_e32 v0, v3, v4
	v_ashrrev_i32_e32 v1, 31, v0
	s_bitcmp0_b32 s1, 0
	v_pk_mov_b32 v[30:31], v[0:1], v[0:1] op_sel:[0,1]
	s_cbranch_scc1 .LBB693_2
; %bb.1:
	s_abs_i32 s1, s0
	v_cvt_f32_u32_e32 v5, s1
	v_xor_b32_e32 v6, s0, v3
	v_sub_u32_e32 v7, 0, v3
	s_sub_i32 s0, 0, s1
	v_rcp_iflag_f32_e32 v5, v5
	v_max_i32_e32 v3, v3, v7
	v_ashrrev_i32_e32 v6, 31, v6
	v_mul_f32_e32 v5, 0x4f7ffffe, v5
	v_cvt_u32_f32_e32 v5, v5
	v_mul_lo_u32 v7, s0, v5
	v_mul_hi_u32 v7, v5, v7
	v_add_u32_e32 v5, v5, v7
	v_mul_hi_u32 v5, v3, v5
	v_mul_lo_u32 v7, v5, s1
	v_sub_u32_e32 v3, v3, v7
	v_add_u32_e32 v8, 1, v5
	v_cmp_le_u32_e32 vcc, s1, v3
	v_subrev_u32_e32 v7, s1, v3
	v_cndmask_b32_e32 v5, v5, v8, vcc
	v_cndmask_b32_e32 v3, v3, v7, vcc
	v_add_u32_e32 v7, 1, v5
	v_cmp_le_u32_e32 vcc, s1, v3
	v_cndmask_b32_e32 v3, v5, v7, vcc
	v_xor_b32_e32 v3, v3, v6
	v_sub_u32_e32 v3, v3, v6
	v_mad_u64_u32 v[30:31], s[0:1], v3, s69, v[4:5]
	v_ashrrev_i32_e32 v31, 31, v30
.LBB693_2:
	s_load_dwordx4 s[0:3], s[4:5], 0x0
                                        ; implicit-def: $vgpr88 : SGPR spill to VGPR lane
	v_sub_u32_e32 v76, s68, v2
	v_lshlrev_b64 v[0:1], 3, v[0:1]
	v_mov_b32_e32 v48, 0
	v_cmp_lt_i32_e64 s[68:69], 0, v76
	s_waitcnt lgkmcnt(0)
	v_mov_b32_e32 v2, s3
	v_writelane_b32 v88, s0, 0
	v_writelane_b32 v88, s1, 1
	v_add_co_u32_e32 v32, vcc, s2, v0
	v_cmp_gt_i32_e64 s[64:65], s70, v4
	v_mov_b32_e32 v49, 0xfff00000
	v_writelane_b32 v88, s2, 2
	v_addc_co_u32_e32 v33, vcc, v2, v1, vcc
	s_and_b64 s[38:39], s[68:69], s[64:65]
	v_pk_mov_b32 v[40:41], v[48:49], v[48:49] op_sel:[0,1]
	v_writelane_b32 v88, s3, 3
	s_and_saveexec_b64 s[0:1], s[38:39]
	s_cbranch_execz .LBB693_4
; %bb.3:
	global_load_dwordx2 v[40:41], v[32:33], off
.LBB693_4:
	s_or_b64 exec, exec, s[0:1]
	v_add_u32_e32 v2, 32, v4
	v_cmp_gt_i32_e64 s[62:63], s70, v2
	s_and_b64 s[36:37], s[68:69], s[62:63]
	s_and_saveexec_b64 s[0:1], s[36:37]
	s_cbranch_execz .LBB693_6
; %bb.5:
	global_load_dwordx2 v[48:49], v[32:33], off offset:256
.LBB693_6:
	s_or_b64 exec, exec, s[0:1]
	v_add_u32_e32 v2, 64, v4
	v_mov_b32_e32 v56, 0
	v_cmp_gt_i32_e64 s[60:61], s70, v2
	v_mov_b32_e32 v57, 0xfff00000
	s_and_b64 s[34:35], s[68:69], s[60:61]
	v_pk_mov_b32 v[46:47], v[56:57], v[56:57] op_sel:[0,1]
	s_and_saveexec_b64 s[0:1], s[34:35]
	s_cbranch_execz .LBB693_8
; %bb.7:
	global_load_dwordx2 v[46:47], v[32:33], off offset:512
.LBB693_8:
	s_or_b64 exec, exec, s[0:1]
	v_add_u32_e32 v2, 0x60, v4
	v_cmp_gt_i32_e64 s[58:59], s70, v2
	s_and_b64 s[30:31], s[68:69], s[58:59]
	s_and_saveexec_b64 s[0:1], s[30:31]
	s_cbranch_execz .LBB693_10
; %bb.9:
	global_load_dwordx2 v[56:57], v[32:33], off offset:768
.LBB693_10:
	s_or_b64 exec, exec, s[0:1]
	v_add_u32_e32 v2, 0x80, v4
	v_mov_b32_e32 v64, 0
	v_cmp_gt_i32_e64 s[56:57], s70, v2
	v_mov_b32_e32 v65, 0xfff00000
	s_and_b64 s[28:29], s[68:69], s[56:57]
	v_pk_mov_b32 v[54:55], v[64:65], v[64:65] op_sel:[0,1]
	s_and_saveexec_b64 s[0:1], s[28:29]
	s_cbranch_execz .LBB693_12
; %bb.11:
	global_load_dwordx2 v[54:55], v[32:33], off offset:1024
.LBB693_12:
	;; [unrolled: 21-line block ×5, first 2 shown]
	s_or_b64 exec, exec, s[0:1]
	v_add_u32_e32 v2, 0x160, v4
	v_cmp_gt_i32_e64 s[0:1], s70, v2
	v_writelane_b32 v88, s0, 4
	s_and_b64 s[14:15], s[68:69], s[0:1]
	v_writelane_b32 v88, s1, 5
	s_and_saveexec_b64 s[0:1], s[14:15]
	s_cbranch_execz .LBB693_26
; %bb.25:
	global_load_dwordx2 v[66:67], v[32:33], off offset:2816
.LBB693_26:
	s_or_b64 exec, exec, s[0:1]
	v_add_u32_e32 v2, 0x180, v4
	v_mov_b32_e32 v58, 0
	v_cmp_gt_i32_e64 s[0:1], s70, v2
	v_mov_b32_e32 v59, 0xfff00000
	v_writelane_b32 v88, s0, 6
	s_and_b64 s[12:13], s[68:69], s[0:1]
	v_pk_mov_b32 v[62:63], v[58:59], v[58:59] op_sel:[0,1]
	v_writelane_b32 v88, s1, 7
	s_and_saveexec_b64 s[0:1], s[12:13]
	s_cbranch_execz .LBB693_28
; %bb.27:
	global_load_dwordx2 v[62:63], v[32:33], off offset:3072
.LBB693_28:
	s_or_b64 exec, exec, s[0:1]
	v_add_u32_e32 v2, 0x1a0, v4
	v_cmp_gt_i32_e64 s[0:1], s70, v2
	v_writelane_b32 v88, s0, 8
	s_and_b64 s[10:11], s[68:69], s[0:1]
	v_writelane_b32 v88, s1, 9
	s_and_saveexec_b64 s[0:1], s[10:11]
	s_cbranch_execz .LBB693_30
; %bb.29:
	global_load_dwordx2 v[58:59], v[32:33], off offset:3328
.LBB693_30:
	s_or_b64 exec, exec, s[0:1]
	v_add_u32_e32 v2, 0x1c0, v4
	v_mov_b32_e32 v50, 0
	v_cmp_gt_i32_e64 s[0:1], s70, v2
	v_mov_b32_e32 v51, 0xfff00000
	v_writelane_b32 v88, s0, 10
	s_and_b64 s[8:9], s[68:69], s[0:1]
	v_pk_mov_b32 v[52:53], v[50:51], v[50:51] op_sel:[0,1]
	v_writelane_b32 v88, s1, 11
	s_and_saveexec_b64 s[0:1], s[8:9]
	s_cbranch_execz .LBB693_32
; %bb.31:
	global_load_dwordx2 v[52:53], v[32:33], off offset:3584
.LBB693_32:
	s_or_b64 exec, exec, s[0:1]
	v_add_u32_e32 v2, 0x1e0, v4
	v_cmp_gt_i32_e64 s[0:1], s70, v2
	v_writelane_b32 v88, s0, 12
	s_and_b64 s[6:7], s[68:69], s[0:1]
	v_writelane_b32 v88, s1, 13
	s_and_saveexec_b64 s[0:1], s[6:7]
	s_cbranch_execz .LBB693_34
; %bb.33:
	global_load_dwordx2 v[50:51], v[32:33], off offset:3840
.LBB693_34:
	s_or_b64 exec, exec, s[0:1]
	v_add_u32_e32 v2, 0x200, v4
	v_mov_b32_e32 v42, 0
	v_cmp_gt_i32_e64 s[0:1], s70, v2
	v_mov_b32_e32 v43, 0xfff00000
	v_writelane_b32 v88, s0, 14
	s_and_b64 s[66:67], s[68:69], s[0:1]
	v_pk_mov_b32 v[44:45], v[42:43], v[42:43] op_sel:[0,1]
	v_writelane_b32 v88, s1, 15
	s_and_saveexec_b64 s[0:1], s[66:67]
	s_cbranch_execz .LBB693_36
; %bb.35:
	v_add_co_u32_e32 v2, vcc, 0x1000, v32
	v_addc_co_u32_e32 v3, vcc, 0, v33, vcc
	global_load_dwordx2 v[44:45], v[2:3], off
.LBB693_36:
	s_or_b64 exec, exec, s[0:1]
	v_add_u32_e32 v2, 0x220, v4
	v_cmp_gt_i32_e64 s[0:1], s70, v2
	v_writelane_b32 v88, s0, 16
	s_and_b64 s[2:3], s[68:69], s[0:1]
	v_writelane_b32 v88, s1, 17
	s_and_saveexec_b64 s[0:1], s[2:3]
	s_cbranch_execz .LBB693_38
; %bb.37:
	v_add_co_u32_e32 v2, vcc, 0x1000, v32
	v_addc_co_u32_e32 v3, vcc, 0, v33, vcc
	global_load_dwordx2 v[42:43], v[2:3], off offset:256
.LBB693_38:
	s_or_b64 exec, exec, s[0:1]
	v_add_u32_e32 v2, 0x240, v4
	v_cmp_gt_i32_e64 s[0:1], s70, v2
	v_mov_b32_e32 v28, 0
	v_writelane_b32 v88, s0, 18
	v_mov_b32_e32 v29, 0xfff00000
	v_writelane_b32 v88, s1, 19
	s_and_b64 s[0:1], s[68:69], s[0:1]
	v_pk_mov_b32 v[34:35], v[28:29], v[28:29] op_sel:[0,1]
	s_and_saveexec_b64 s[40:41], s[0:1]
	s_cbranch_execz .LBB693_40
; %bb.39:
	v_add_co_u32_e32 v2, vcc, 0x1000, v32
	v_addc_co_u32_e32 v3, vcc, 0, v33, vcc
	global_load_dwordx2 v[34:35], v[2:3], off offset:512
.LBB693_40:
	s_or_b64 exec, exec, s[40:41]
	v_add_u32_e32 v2, 0x260, v4
	v_cmp_gt_i32_e64 s[40:41], s70, v2
	v_writelane_b32 v88, s40, 20
	s_and_b64 s[72:73], s[68:69], s[40:41]
	v_writelane_b32 v88, s41, 21
	s_and_saveexec_b64 s[40:41], s[72:73]
	s_cbranch_execz .LBB693_42
; %bb.41:
	v_add_co_u32_e32 v2, vcc, 0x1000, v32
	v_addc_co_u32_e32 v3, vcc, 0, v33, vcc
	global_load_dwordx2 v[28:29], v[2:3], off offset:768
.LBB693_42:
	s_or_b64 exec, exec, s[40:41]
	v_add_u32_e32 v2, 0x280, v4
	v_mov_b32_e32 v24, 0
	v_cmp_gt_i32_e64 s[40:41], s70, v2
	v_mov_b32_e32 v25, 0xfff00000
	v_writelane_b32 v88, s40, 22
	s_and_b64 s[94:95], s[68:69], s[40:41]
	v_pk_mov_b32 v[26:27], v[24:25], v[24:25] op_sel:[0,1]
	v_writelane_b32 v88, s41, 23
	s_and_saveexec_b64 s[40:41], s[94:95]
	s_cbranch_execz .LBB693_44
; %bb.43:
	v_add_co_u32_e32 v2, vcc, 0x1000, v32
	v_addc_co_u32_e32 v3, vcc, 0, v33, vcc
	global_load_dwordx2 v[26:27], v[2:3], off offset:1024
.LBB693_44:
	s_or_b64 exec, exec, s[40:41]
	v_add_u32_e32 v2, 0x2a0, v4
	v_cmp_gt_i32_e64 s[40:41], s70, v2
	v_writelane_b32 v88, s40, 24
	s_and_b64 s[92:93], s[68:69], s[40:41]
	v_writelane_b32 v88, s41, 25
	s_and_saveexec_b64 s[40:41], s[92:93]
	s_cbranch_execz .LBB693_46
; %bb.45:
	v_add_co_u32_e32 v2, vcc, 0x1000, v32
	v_addc_co_u32_e32 v3, vcc, 0, v33, vcc
	global_load_dwordx2 v[24:25], v[2:3], off offset:1280
.LBB693_46:
	s_or_b64 exec, exec, s[40:41]
	v_add_u32_e32 v2, 0x2c0, v4
	v_mov_b32_e32 v20, 0
	v_cmp_gt_i32_e64 s[40:41], s70, v2
	v_mov_b32_e32 v21, 0xfff00000
	v_writelane_b32 v88, s40, 26
	s_and_b64 s[90:91], s[68:69], s[40:41]
	v_pk_mov_b32 v[22:23], v[20:21], v[20:21] op_sel:[0,1]
	v_writelane_b32 v88, s41, 27
	s_and_saveexec_b64 s[40:41], s[90:91]
	s_cbranch_execz .LBB693_48
; %bb.47:
	v_add_co_u32_e32 v2, vcc, 0x1000, v32
	v_addc_co_u32_e32 v3, vcc, 0, v33, vcc
	global_load_dwordx2 v[22:23], v[2:3], off offset:1536
.LBB693_48:
	s_or_b64 exec, exec, s[40:41]
	v_add_u32_e32 v2, 0x2e0, v4
	v_cmp_gt_i32_e64 s[40:41], s70, v2
	v_writelane_b32 v88, s40, 28
	s_and_b64 s[88:89], s[68:69], s[40:41]
	v_writelane_b32 v88, s41, 29
	s_and_saveexec_b64 s[40:41], s[88:89]
	s_cbranch_execz .LBB693_50
; %bb.49:
	v_add_co_u32_e32 v2, vcc, 0x1000, v32
	v_addc_co_u32_e32 v3, vcc, 0, v33, vcc
	global_load_dwordx2 v[20:21], v[2:3], off offset:1792
.LBB693_50:
	s_or_b64 exec, exec, s[40:41]
	v_add_u32_e32 v2, 0x300, v4
	v_mov_b32_e32 v16, 0
	v_cmp_gt_i32_e64 s[40:41], s70, v2
	v_mov_b32_e32 v17, 0xfff00000
	v_writelane_b32 v88, s40, 30
	s_and_b64 s[86:87], s[68:69], s[40:41]
	v_pk_mov_b32 v[18:19], v[16:17], v[16:17] op_sel:[0,1]
	v_writelane_b32 v88, s41, 31
	s_and_saveexec_b64 s[40:41], s[86:87]
	s_cbranch_execz .LBB693_52
; %bb.51:
	v_add_co_u32_e32 v2, vcc, 0x1000, v32
	v_addc_co_u32_e32 v3, vcc, 0, v33, vcc
	global_load_dwordx2 v[18:19], v[2:3], off offset:2048
.LBB693_52:
	s_or_b64 exec, exec, s[40:41]
	v_add_u32_e32 v2, 0x320, v4
	v_cmp_gt_i32_e64 s[40:41], s70, v2
	v_writelane_b32 v88, s40, 32
	s_and_b64 s[84:85], s[68:69], s[40:41]
	v_writelane_b32 v88, s41, 33
	s_and_saveexec_b64 s[40:41], s[84:85]
	s_cbranch_execz .LBB693_54
; %bb.53:
	v_add_co_u32_e32 v2, vcc, 0x1000, v32
	v_addc_co_u32_e32 v3, vcc, 0, v33, vcc
	global_load_dwordx2 v[16:17], v[2:3], off offset:2304
.LBB693_54:
	s_or_b64 exec, exec, s[40:41]
	v_add_u32_e32 v2, 0x340, v4
	v_mov_b32_e32 v12, 0
	v_cmp_gt_i32_e64 s[40:41], s70, v2
	v_mov_b32_e32 v13, 0xfff00000
	v_writelane_b32 v88, s40, 34
	s_and_b64 s[82:83], s[68:69], s[40:41]
	v_pk_mov_b32 v[14:15], v[12:13], v[12:13] op_sel:[0,1]
	v_writelane_b32 v88, s41, 35
	s_and_saveexec_b64 s[40:41], s[82:83]
	s_cbranch_execz .LBB693_56
; %bb.55:
	v_add_co_u32_e32 v2, vcc, 0x1000, v32
	v_addc_co_u32_e32 v3, vcc, 0, v33, vcc
	global_load_dwordx2 v[14:15], v[2:3], off offset:2560
.LBB693_56:
	s_or_b64 exec, exec, s[40:41]
	v_add_u32_e32 v2, 0x360, v4
	v_cmp_gt_i32_e64 s[40:41], s70, v2
	v_writelane_b32 v88, s40, 36
	s_and_b64 s[80:81], s[68:69], s[40:41]
	v_writelane_b32 v88, s41, 37
	s_and_saveexec_b64 s[40:41], s[80:81]
	s_cbranch_execz .LBB693_58
; %bb.57:
	v_add_co_u32_e32 v2, vcc, 0x1000, v32
	v_addc_co_u32_e32 v3, vcc, 0, v33, vcc
	global_load_dwordx2 v[12:13], v[2:3], off offset:2816
.LBB693_58:
	s_or_b64 exec, exec, s[40:41]
	v_add_u32_e32 v2, 0x380, v4
	v_mov_b32_e32 v8, 0
	v_cmp_gt_i32_e64 s[40:41], s70, v2
	v_mov_b32_e32 v9, 0xfff00000
	v_writelane_b32 v88, s40, 38
	s_and_b64 s[78:79], s[68:69], s[40:41]
	v_pk_mov_b32 v[10:11], v[8:9], v[8:9] op_sel:[0,1]
	v_writelane_b32 v88, s41, 39
	s_and_saveexec_b64 s[40:41], s[78:79]
	s_cbranch_execz .LBB693_60
; %bb.59:
	v_add_co_u32_e32 v2, vcc, 0x1000, v32
	v_addc_co_u32_e32 v3, vcc, 0, v33, vcc
	global_load_dwordx2 v[10:11], v[2:3], off offset:3072
.LBB693_60:
	s_or_b64 exec, exec, s[40:41]
	v_add_u32_e32 v2, 0x3a0, v4
	v_cmp_gt_i32_e64 s[40:41], s70, v2
	v_writelane_b32 v88, s40, 40
	s_and_b64 s[76:77], s[68:69], s[40:41]
	v_writelane_b32 v88, s41, 41
	s_and_saveexec_b64 s[40:41], s[76:77]
	s_cbranch_execz .LBB693_62
; %bb.61:
	v_add_co_u32_e32 v2, vcc, 0x1000, v32
	v_addc_co_u32_e32 v3, vcc, 0, v33, vcc
	global_load_dwordx2 v[8:9], v[2:3], off offset:3328
.LBB693_62:
	s_or_b64 exec, exec, s[40:41]
	v_add_u32_e32 v2, 0x3c0, v4
	v_cmp_gt_i32_e64 s[40:41], s70, v2
	v_mov_b32_e32 v2, 0
	v_mov_b32_e32 v3, 0xfff00000
	v_writelane_b32 v88, s40, 42
	s_and_b64 s[74:75], s[68:69], s[40:41]
	v_pk_mov_b32 v[6:7], v[2:3], v[2:3] op_sel:[0,1]
	v_writelane_b32 v88, s41, 43
	s_and_saveexec_b64 s[40:41], s[74:75]
	s_cbranch_execz .LBB693_64
; %bb.63:
	v_add_co_u32_e32 v6, vcc, 0x1000, v32
	v_addc_co_u32_e32 v7, vcc, 0, v33, vcc
	global_load_dwordx2 v[6:7], v[6:7], off offset:3584
.LBB693_64:
	s_or_b64 exec, exec, s[40:41]
	v_add_u32_e32 v4, 0x3e0, v4
	v_cmp_gt_i32_e64 s[40:41], s70, v4
	v_writelane_b32 v88, s40, 44
	s_and_b64 s[68:69], s[68:69], s[40:41]
	v_writelane_b32 v88, s41, 45
	s_and_saveexec_b64 s[40:41], s[68:69]
	s_cbranch_execz .LBB693_66
; %bb.65:
	v_add_co_u32_e32 v2, vcc, 0x1000, v32
	v_addc_co_u32_e32 v3, vcc, 0, v33, vcc
	global_load_dwordx2 v[2:3], v[2:3], off offset:3840
.LBB693_66:
	s_or_b64 exec, exec, s[40:41]
	s_load_dwordx2 s[4:5], s[4:5], 0x20
	s_waitcnt lgkmcnt(0)
	v_mov_b32_e32 v5, s5
	v_add_co_u32_e32 v4, vcc, s4, v30
	v_addc_co_u32_e32 v5, vcc, v5, v31, vcc
	s_mov_b64 s[4:5], 0
	s_and_saveexec_b64 s[40:41], s[38:39]
	s_cbranch_execnz .LBB693_98
; %bb.67:
	s_or_b64 exec, exec, s[40:41]
	s_waitcnt vmcnt(0)
	v_pk_mov_b32 v[30:31], v[40:41], v[40:41] op_sel:[0,1]
	s_and_saveexec_b64 s[70:71], s[36:37]
	s_cbranch_execnz .LBB693_99
.LBB693_68:
	s_or_b64 exec, exec, s[70:71]
	s_and_saveexec_b64 s[70:71], s[34:35]
	s_cbranch_execnz .LBB693_102
.LBB693_69:
	s_or_b64 exec, exec, s[70:71]
	s_and_saveexec_b64 s[70:71], s[30:31]
	s_cbranch_execnz .LBB693_105
.LBB693_70:
	s_or_b64 exec, exec, s[70:71]
	s_and_saveexec_b64 s[70:71], s[28:29]
	s_cbranch_execnz .LBB693_108
.LBB693_71:
	s_or_b64 exec, exec, s[70:71]
	s_and_saveexec_b64 s[70:71], s[26:27]
	s_cbranch_execnz .LBB693_111
.LBB693_72:
	s_or_b64 exec, exec, s[70:71]
	s_and_saveexec_b64 s[70:71], s[24:25]
	s_cbranch_execnz .LBB693_114
.LBB693_73:
	s_or_b64 exec, exec, s[70:71]
	s_and_saveexec_b64 s[70:71], s[22:23]
	s_cbranch_execnz .LBB693_117
.LBB693_74:
	s_or_b64 exec, exec, s[70:71]
	s_and_saveexec_b64 s[70:71], s[20:21]
	s_cbranch_execnz .LBB693_120
.LBB693_75:
	s_or_b64 exec, exec, s[70:71]
	s_and_saveexec_b64 s[70:71], s[18:19]
	s_cbranch_execnz .LBB693_123
.LBB693_76:
	s_or_b64 exec, exec, s[70:71]
	s_and_saveexec_b64 s[70:71], s[16:17]
	s_cbranch_execnz .LBB693_126
.LBB693_77:
	s_or_b64 exec, exec, s[70:71]
	s_and_saveexec_b64 s[70:71], s[14:15]
	s_cbranch_execnz .LBB693_129
.LBB693_78:
	s_or_b64 exec, exec, s[70:71]
	s_and_saveexec_b64 s[70:71], s[12:13]
	s_cbranch_execnz .LBB693_132
.LBB693_79:
	s_or_b64 exec, exec, s[70:71]
	s_and_saveexec_b64 s[70:71], s[10:11]
	s_cbranch_execnz .LBB693_135
.LBB693_80:
	s_or_b64 exec, exec, s[70:71]
	s_and_saveexec_b64 s[70:71], s[8:9]
	s_cbranch_execnz .LBB693_138
.LBB693_81:
	s_or_b64 exec, exec, s[70:71]
	s_and_saveexec_b64 s[70:71], s[6:7]
	s_cbranch_execnz .LBB693_141
.LBB693_82:
	s_or_b64 exec, exec, s[70:71]
	s_and_saveexec_b64 s[70:71], s[66:67]
	s_cbranch_execnz .LBB693_144
.LBB693_83:
	s_or_b64 exec, exec, s[70:71]
	s_and_saveexec_b64 s[70:71], s[2:3]
	s_cbranch_execnz .LBB693_147
.LBB693_84:
	s_or_b64 exec, exec, s[70:71]
	s_and_saveexec_b64 s[70:71], s[0:1]
	s_cbranch_execnz .LBB693_150
.LBB693_85:
	s_or_b64 exec, exec, s[70:71]
	s_and_saveexec_b64 s[70:71], s[72:73]
	s_cbranch_execnz .LBB693_153
.LBB693_86:
	s_or_b64 exec, exec, s[70:71]
	s_and_saveexec_b64 s[70:71], s[94:95]
	s_cbranch_execnz .LBB693_156
.LBB693_87:
	s_or_b64 exec, exec, s[70:71]
	s_and_saveexec_b64 s[70:71], s[92:93]
	s_cbranch_execnz .LBB693_159
.LBB693_88:
	s_or_b64 exec, exec, s[70:71]
	s_and_saveexec_b64 s[70:71], s[90:91]
	s_cbranch_execnz .LBB693_162
.LBB693_89:
	s_or_b64 exec, exec, s[70:71]
	s_and_saveexec_b64 s[70:71], s[88:89]
	s_cbranch_execnz .LBB693_165
.LBB693_90:
	s_or_b64 exec, exec, s[70:71]
	s_and_saveexec_b64 s[70:71], s[86:87]
	s_cbranch_execnz .LBB693_168
.LBB693_91:
	s_or_b64 exec, exec, s[70:71]
	s_and_saveexec_b64 s[70:71], s[84:85]
	s_cbranch_execnz .LBB693_171
.LBB693_92:
	s_or_b64 exec, exec, s[70:71]
	s_and_saveexec_b64 s[70:71], s[82:83]
	s_cbranch_execnz .LBB693_174
.LBB693_93:
	s_or_b64 exec, exec, s[70:71]
	s_and_saveexec_b64 s[70:71], s[80:81]
	s_cbranch_execnz .LBB693_177
.LBB693_94:
	s_or_b64 exec, exec, s[70:71]
	s_and_saveexec_b64 s[70:71], s[78:79]
	s_cbranch_execnz .LBB693_180
.LBB693_95:
	s_or_b64 exec, exec, s[70:71]
	s_and_saveexec_b64 s[70:71], s[76:77]
	s_cbranch_execnz .LBB693_183
.LBB693_96:
	s_or_b64 exec, exec, s[70:71]
	s_and_saveexec_b64 s[70:71], s[74:75]
	s_cbranch_execnz .LBB693_186
.LBB693_97:
	s_or_b64 exec, exec, s[70:71]
	s_and_saveexec_b64 s[70:71], s[68:69]
	s_cbranch_execnz .LBB693_189
	s_branch .LBB693_192
.LBB693_98:
	global_load_ubyte v30, v[4:5], off
	s_waitcnt vmcnt(0)
	v_and_b32_e32 v30, 1, v30
	v_cmp_eq_u32_e32 vcc, 1, v30
	s_xor_b64 s[4:5], vcc, -1
	s_and_b64 s[4:5], s[4:5], exec
	s_or_b64 exec, exec, s[40:41]
	v_pk_mov_b32 v[30:31], v[40:41], v[40:41] op_sel:[0,1]
	s_and_saveexec_b64 s[70:71], s[36:37]
	s_cbranch_execz .LBB693_68
.LBB693_99:
	global_load_ubyte v30, v[4:5], off offset:32
	s_mov_b64 s[40:41], s[4:5]
	s_waitcnt vmcnt(0)
	v_and_b32_e32 v30, 1, v30
	v_cmp_eq_u32_e32 vcc, 1, v30
	s_xor_b64 vcc, vcc, -1
	v_pk_mov_b32 v[30:31], v[40:41], v[40:41] op_sel:[0,1]
	s_and_saveexec_b64 s[42:43], vcc
; %bb.100:
	v_cmp_gt_f64_e32 vcc, v[40:41], v[48:49]
	s_and_b64 vcc, s[4:5], vcc
	v_cndmask_b32_e32 v31, v49, v41, vcc
	v_cndmask_b32_e32 v30, v48, v40, vcc
	s_or_b64 s[40:41], s[4:5], exec
; %bb.101:
	s_or_b64 exec, exec, s[42:43]
	s_andn2_b64 s[4:5], s[4:5], exec
	s_and_b64 s[40:41], s[40:41], exec
	s_or_b64 s[4:5], s[4:5], s[40:41]
	s_or_b64 exec, exec, s[70:71]
	s_and_saveexec_b64 s[70:71], s[34:35]
	s_cbranch_execz .LBB693_69
.LBB693_102:
	global_load_ubyte v32, v[4:5], off offset:64
	s_mov_b64 s[42:43], s[4:5]
	s_waitcnt vmcnt(0)
	v_and_b32_e32 v32, 1, v32
	v_cmp_eq_u32_e32 vcc, 1, v32
	s_xor_b64 vcc, vcc, -1
	s_and_saveexec_b64 s[40:41], vcc
; %bb.103:
	v_cmp_gt_f64_e32 vcc, v[30:31], v[46:47]
	s_and_b64 vcc, s[4:5], vcc
	v_cndmask_b32_e32 v31, v47, v31, vcc
	v_cndmask_b32_e32 v30, v46, v30, vcc
	s_or_b64 s[42:43], s[4:5], exec
; %bb.104:
	s_or_b64 exec, exec, s[40:41]
	s_andn2_b64 s[4:5], s[4:5], exec
	s_and_b64 s[40:41], s[42:43], exec
	s_or_b64 s[4:5], s[4:5], s[40:41]
	s_or_b64 exec, exec, s[70:71]
	s_and_saveexec_b64 s[70:71], s[30:31]
	s_cbranch_execz .LBB693_70
.LBB693_105:
	global_load_ubyte v32, v[4:5], off offset:96
	s_mov_b64 s[42:43], s[4:5]
	s_waitcnt vmcnt(0)
	v_and_b32_e32 v32, 1, v32
	v_cmp_eq_u32_e32 vcc, 1, v32
	s_xor_b64 vcc, vcc, -1
	s_and_saveexec_b64 s[40:41], vcc
; %bb.106:
	v_cmp_gt_f64_e32 vcc, v[30:31], v[56:57]
	s_and_b64 vcc, s[4:5], vcc
	v_cndmask_b32_e32 v31, v57, v31, vcc
	v_cndmask_b32_e32 v30, v56, v30, vcc
	s_or_b64 s[42:43], s[4:5], exec
; %bb.107:
	s_or_b64 exec, exec, s[40:41]
	s_andn2_b64 s[4:5], s[4:5], exec
	s_and_b64 s[40:41], s[42:43], exec
	s_or_b64 s[4:5], s[4:5], s[40:41]
	s_or_b64 exec, exec, s[70:71]
	s_and_saveexec_b64 s[70:71], s[28:29]
	s_cbranch_execz .LBB693_71
.LBB693_108:
	global_load_ubyte v32, v[4:5], off offset:128
	s_mov_b64 s[42:43], s[4:5]
	s_waitcnt vmcnt(0)
	v_and_b32_e32 v32, 1, v32
	v_cmp_eq_u32_e32 vcc, 1, v32
	s_xor_b64 vcc, vcc, -1
	s_and_saveexec_b64 s[40:41], vcc
; %bb.109:
	v_cmp_gt_f64_e32 vcc, v[30:31], v[54:55]
	s_and_b64 vcc, s[4:5], vcc
	v_cndmask_b32_e32 v31, v55, v31, vcc
	v_cndmask_b32_e32 v30, v54, v30, vcc
	s_or_b64 s[42:43], s[4:5], exec
; %bb.110:
	s_or_b64 exec, exec, s[40:41]
	s_andn2_b64 s[4:5], s[4:5], exec
	s_and_b64 s[40:41], s[42:43], exec
	s_or_b64 s[4:5], s[4:5], s[40:41]
	s_or_b64 exec, exec, s[70:71]
	s_and_saveexec_b64 s[70:71], s[26:27]
	s_cbranch_execz .LBB693_72
.LBB693_111:
	global_load_ubyte v32, v[4:5], off offset:160
	s_mov_b64 s[42:43], s[4:5]
	s_waitcnt vmcnt(0)
	v_and_b32_e32 v32, 1, v32
	v_cmp_eq_u32_e32 vcc, 1, v32
	s_xor_b64 vcc, vcc, -1
	s_and_saveexec_b64 s[40:41], vcc
; %bb.112:
	v_cmp_gt_f64_e32 vcc, v[30:31], v[64:65]
	s_and_b64 vcc, s[4:5], vcc
	v_cndmask_b32_e32 v31, v65, v31, vcc
	v_cndmask_b32_e32 v30, v64, v30, vcc
	s_or_b64 s[42:43], s[4:5], exec
; %bb.113:
	s_or_b64 exec, exec, s[40:41]
	s_andn2_b64 s[4:5], s[4:5], exec
	s_and_b64 s[40:41], s[42:43], exec
	s_or_b64 s[4:5], s[4:5], s[40:41]
	s_or_b64 exec, exec, s[70:71]
	s_and_saveexec_b64 s[70:71], s[24:25]
	s_cbranch_execz .LBB693_73
.LBB693_114:
	global_load_ubyte v32, v[4:5], off offset:192
	s_mov_b64 s[42:43], s[4:5]
	s_waitcnt vmcnt(0)
	v_and_b32_e32 v32, 1, v32
	v_cmp_eq_u32_e32 vcc, 1, v32
	s_xor_b64 vcc, vcc, -1
	s_and_saveexec_b64 s[40:41], vcc
; %bb.115:
	v_cmp_gt_f64_e32 vcc, v[30:31], v[60:61]
	s_and_b64 vcc, s[4:5], vcc
	v_cndmask_b32_e32 v31, v61, v31, vcc
	v_cndmask_b32_e32 v30, v60, v30, vcc
	s_or_b64 s[42:43], s[4:5], exec
; %bb.116:
	s_or_b64 exec, exec, s[40:41]
	s_andn2_b64 s[4:5], s[4:5], exec
	s_and_b64 s[40:41], s[42:43], exec
	s_or_b64 s[4:5], s[4:5], s[40:41]
	s_or_b64 exec, exec, s[70:71]
	s_and_saveexec_b64 s[70:71], s[22:23]
	s_cbranch_execz .LBB693_74
.LBB693_117:
	global_load_ubyte v32, v[4:5], off offset:224
	s_mov_b64 s[42:43], s[4:5]
	s_waitcnt vmcnt(0)
	v_and_b32_e32 v32, 1, v32
	v_cmp_eq_u32_e32 vcc, 1, v32
	s_xor_b64 vcc, vcc, -1
	s_and_saveexec_b64 s[40:41], vcc
; %bb.118:
	v_cmp_gt_f64_e32 vcc, v[30:31], v[70:71]
	s_and_b64 vcc, s[4:5], vcc
	v_cndmask_b32_e32 v31, v71, v31, vcc
	v_cndmask_b32_e32 v30, v70, v30, vcc
	s_or_b64 s[42:43], s[4:5], exec
; %bb.119:
	s_or_b64 exec, exec, s[40:41]
	s_andn2_b64 s[4:5], s[4:5], exec
	s_and_b64 s[40:41], s[42:43], exec
	s_or_b64 s[4:5], s[4:5], s[40:41]
	s_or_b64 exec, exec, s[70:71]
	s_and_saveexec_b64 s[70:71], s[20:21]
	s_cbranch_execz .LBB693_75
.LBB693_120:
	global_load_ubyte v32, v[4:5], off offset:256
	s_mov_b64 s[42:43], s[4:5]
	s_waitcnt vmcnt(0)
	v_and_b32_e32 v32, 1, v32
	v_cmp_eq_u32_e32 vcc, 1, v32
	s_xor_b64 vcc, vcc, -1
	s_and_saveexec_b64 s[40:41], vcc
; %bb.121:
	v_cmp_gt_f64_e32 vcc, v[30:31], v[68:69]
	s_and_b64 vcc, s[4:5], vcc
	v_cndmask_b32_e32 v31, v69, v31, vcc
	v_cndmask_b32_e32 v30, v68, v30, vcc
	s_or_b64 s[42:43], s[4:5], exec
; %bb.122:
	s_or_b64 exec, exec, s[40:41]
	s_andn2_b64 s[4:5], s[4:5], exec
	s_and_b64 s[40:41], s[42:43], exec
	s_or_b64 s[4:5], s[4:5], s[40:41]
	s_or_b64 exec, exec, s[70:71]
	s_and_saveexec_b64 s[70:71], s[18:19]
	s_cbranch_execz .LBB693_76
.LBB693_123:
	global_load_ubyte v32, v[4:5], off offset:288
	s_mov_b64 s[42:43], s[4:5]
	s_waitcnt vmcnt(0)
	v_and_b32_e32 v32, 1, v32
	v_cmp_eq_u32_e32 vcc, 1, v32
	s_xor_b64 vcc, vcc, -1
	s_and_saveexec_b64 s[40:41], vcc
; %bb.124:
	v_cmp_gt_f64_e32 vcc, v[30:31], v[74:75]
	s_and_b64 vcc, s[4:5], vcc
	v_cndmask_b32_e32 v31, v75, v31, vcc
	v_cndmask_b32_e32 v30, v74, v30, vcc
	s_or_b64 s[42:43], s[4:5], exec
; %bb.125:
	s_or_b64 exec, exec, s[40:41]
	s_andn2_b64 s[4:5], s[4:5], exec
	s_and_b64 s[40:41], s[42:43], exec
	s_or_b64 s[4:5], s[4:5], s[40:41]
	s_or_b64 exec, exec, s[70:71]
	s_and_saveexec_b64 s[70:71], s[16:17]
	s_cbranch_execz .LBB693_77
.LBB693_126:
	global_load_ubyte v32, v[4:5], off offset:320
	s_mov_b64 s[42:43], s[4:5]
	s_waitcnt vmcnt(0)
	v_and_b32_e32 v32, 1, v32
	v_cmp_eq_u32_e32 vcc, 1, v32
	s_xor_b64 vcc, vcc, -1
	s_and_saveexec_b64 s[40:41], vcc
; %bb.127:
	v_cmp_gt_f64_e32 vcc, v[30:31], v[72:73]
	s_and_b64 vcc, s[4:5], vcc
	v_cndmask_b32_e32 v31, v73, v31, vcc
	v_cndmask_b32_e32 v30, v72, v30, vcc
	s_or_b64 s[42:43], s[4:5], exec
; %bb.128:
	s_or_b64 exec, exec, s[40:41]
	s_andn2_b64 s[4:5], s[4:5], exec
	s_and_b64 s[40:41], s[42:43], exec
	s_or_b64 s[4:5], s[4:5], s[40:41]
	s_or_b64 exec, exec, s[70:71]
	s_and_saveexec_b64 s[70:71], s[14:15]
	s_cbranch_execz .LBB693_78
.LBB693_129:
	global_load_ubyte v32, v[4:5], off offset:352
	s_mov_b64 s[42:43], s[4:5]
	s_waitcnt vmcnt(0)
	v_and_b32_e32 v32, 1, v32
	v_cmp_eq_u32_e32 vcc, 1, v32
	s_xor_b64 vcc, vcc, -1
	s_and_saveexec_b64 s[40:41], vcc
; %bb.130:
	v_cmp_gt_f64_e32 vcc, v[30:31], v[66:67]
	s_and_b64 vcc, s[4:5], vcc
	v_cndmask_b32_e32 v31, v67, v31, vcc
	v_cndmask_b32_e32 v30, v66, v30, vcc
	s_or_b64 s[42:43], s[4:5], exec
; %bb.131:
	s_or_b64 exec, exec, s[40:41]
	s_andn2_b64 s[4:5], s[4:5], exec
	s_and_b64 s[40:41], s[42:43], exec
	s_or_b64 s[4:5], s[4:5], s[40:41]
	s_or_b64 exec, exec, s[70:71]
	s_and_saveexec_b64 s[70:71], s[12:13]
	s_cbranch_execz .LBB693_79
.LBB693_132:
	global_load_ubyte v32, v[4:5], off offset:384
	s_mov_b64 s[42:43], s[4:5]
	s_waitcnt vmcnt(0)
	v_and_b32_e32 v32, 1, v32
	v_cmp_eq_u32_e32 vcc, 1, v32
	s_xor_b64 vcc, vcc, -1
	s_and_saveexec_b64 s[40:41], vcc
; %bb.133:
	v_cmp_gt_f64_e32 vcc, v[30:31], v[62:63]
	s_and_b64 vcc, s[4:5], vcc
	v_cndmask_b32_e32 v31, v63, v31, vcc
	v_cndmask_b32_e32 v30, v62, v30, vcc
	s_or_b64 s[42:43], s[4:5], exec
; %bb.134:
	s_or_b64 exec, exec, s[40:41]
	s_andn2_b64 s[4:5], s[4:5], exec
	s_and_b64 s[40:41], s[42:43], exec
	s_or_b64 s[4:5], s[4:5], s[40:41]
	s_or_b64 exec, exec, s[70:71]
	s_and_saveexec_b64 s[70:71], s[10:11]
	s_cbranch_execz .LBB693_80
.LBB693_135:
	global_load_ubyte v32, v[4:5], off offset:416
	s_mov_b64 s[42:43], s[4:5]
	s_waitcnt vmcnt(0)
	v_and_b32_e32 v32, 1, v32
	v_cmp_eq_u32_e32 vcc, 1, v32
	s_xor_b64 vcc, vcc, -1
	s_and_saveexec_b64 s[40:41], vcc
; %bb.136:
	v_cmp_gt_f64_e32 vcc, v[30:31], v[58:59]
	s_and_b64 vcc, s[4:5], vcc
	v_cndmask_b32_e32 v31, v59, v31, vcc
	v_cndmask_b32_e32 v30, v58, v30, vcc
	s_or_b64 s[42:43], s[4:5], exec
; %bb.137:
	s_or_b64 exec, exec, s[40:41]
	s_andn2_b64 s[4:5], s[4:5], exec
	s_and_b64 s[40:41], s[42:43], exec
	s_or_b64 s[4:5], s[4:5], s[40:41]
	s_or_b64 exec, exec, s[70:71]
	s_and_saveexec_b64 s[70:71], s[8:9]
	s_cbranch_execz .LBB693_81
.LBB693_138:
	global_load_ubyte v32, v[4:5], off offset:448
	s_mov_b64 s[42:43], s[4:5]
	s_waitcnt vmcnt(0)
	v_and_b32_e32 v32, 1, v32
	v_cmp_eq_u32_e32 vcc, 1, v32
	s_xor_b64 vcc, vcc, -1
	s_and_saveexec_b64 s[40:41], vcc
; %bb.139:
	v_cmp_gt_f64_e32 vcc, v[30:31], v[52:53]
	s_and_b64 vcc, s[4:5], vcc
	v_cndmask_b32_e32 v31, v53, v31, vcc
	v_cndmask_b32_e32 v30, v52, v30, vcc
	s_or_b64 s[42:43], s[4:5], exec
; %bb.140:
	s_or_b64 exec, exec, s[40:41]
	s_andn2_b64 s[4:5], s[4:5], exec
	s_and_b64 s[40:41], s[42:43], exec
	s_or_b64 s[4:5], s[4:5], s[40:41]
	s_or_b64 exec, exec, s[70:71]
	s_and_saveexec_b64 s[70:71], s[6:7]
	s_cbranch_execz .LBB693_82
.LBB693_141:
	global_load_ubyte v32, v[4:5], off offset:480
	s_mov_b64 s[42:43], s[4:5]
	s_waitcnt vmcnt(0)
	v_and_b32_e32 v32, 1, v32
	v_cmp_eq_u32_e32 vcc, 1, v32
	s_xor_b64 vcc, vcc, -1
	s_and_saveexec_b64 s[40:41], vcc
; %bb.142:
	v_cmp_gt_f64_e32 vcc, v[30:31], v[50:51]
	s_and_b64 vcc, s[4:5], vcc
	v_cndmask_b32_e32 v31, v51, v31, vcc
	v_cndmask_b32_e32 v30, v50, v30, vcc
	s_or_b64 s[42:43], s[4:5], exec
; %bb.143:
	s_or_b64 exec, exec, s[40:41]
	s_andn2_b64 s[4:5], s[4:5], exec
	s_and_b64 s[40:41], s[42:43], exec
	s_or_b64 s[4:5], s[4:5], s[40:41]
	s_or_b64 exec, exec, s[70:71]
	s_and_saveexec_b64 s[70:71], s[66:67]
	s_cbranch_execz .LBB693_83
.LBB693_144:
	global_load_ubyte v32, v[4:5], off offset:512
	s_mov_b64 s[42:43], s[4:5]
	s_waitcnt vmcnt(0)
	v_and_b32_e32 v32, 1, v32
	v_cmp_eq_u32_e32 vcc, 1, v32
	s_xor_b64 vcc, vcc, -1
	s_and_saveexec_b64 s[40:41], vcc
; %bb.145:
	v_cmp_gt_f64_e32 vcc, v[30:31], v[44:45]
	s_and_b64 vcc, s[4:5], vcc
	v_cndmask_b32_e32 v31, v45, v31, vcc
	v_cndmask_b32_e32 v30, v44, v30, vcc
	s_or_b64 s[42:43], s[4:5], exec
; %bb.146:
	s_or_b64 exec, exec, s[40:41]
	s_andn2_b64 s[4:5], s[4:5], exec
	s_and_b64 s[40:41], s[42:43], exec
	s_or_b64 s[4:5], s[4:5], s[40:41]
	s_or_b64 exec, exec, s[70:71]
	s_and_saveexec_b64 s[70:71], s[2:3]
	s_cbranch_execz .LBB693_84
.LBB693_147:
	global_load_ubyte v32, v[4:5], off offset:544
	s_mov_b64 s[42:43], s[4:5]
	s_waitcnt vmcnt(0)
	v_and_b32_e32 v32, 1, v32
	v_cmp_eq_u32_e32 vcc, 1, v32
	s_xor_b64 vcc, vcc, -1
	s_and_saveexec_b64 s[40:41], vcc
; %bb.148:
	v_cmp_gt_f64_e32 vcc, v[30:31], v[42:43]
	s_and_b64 vcc, s[4:5], vcc
	v_cndmask_b32_e32 v31, v43, v31, vcc
	v_cndmask_b32_e32 v30, v42, v30, vcc
	s_or_b64 s[42:43], s[4:5], exec
; %bb.149:
	s_or_b64 exec, exec, s[40:41]
	s_andn2_b64 s[4:5], s[4:5], exec
	s_and_b64 s[40:41], s[42:43], exec
	s_or_b64 s[4:5], s[4:5], s[40:41]
	s_or_b64 exec, exec, s[70:71]
	s_and_saveexec_b64 s[70:71], s[0:1]
	s_cbranch_execz .LBB693_85
.LBB693_150:
	global_load_ubyte v32, v[4:5], off offset:576
	s_mov_b64 s[42:43], s[4:5]
	s_waitcnt vmcnt(0)
	v_and_b32_e32 v32, 1, v32
	v_cmp_eq_u32_e32 vcc, 1, v32
	s_xor_b64 vcc, vcc, -1
	s_and_saveexec_b64 s[40:41], vcc
; %bb.151:
	v_cmp_gt_f64_e32 vcc, v[30:31], v[34:35]
	s_and_b64 vcc, s[4:5], vcc
	v_cndmask_b32_e32 v31, v35, v31, vcc
	v_cndmask_b32_e32 v30, v34, v30, vcc
	s_or_b64 s[42:43], s[4:5], exec
; %bb.152:
	s_or_b64 exec, exec, s[40:41]
	s_andn2_b64 s[4:5], s[4:5], exec
	s_and_b64 s[40:41], s[42:43], exec
	s_or_b64 s[4:5], s[4:5], s[40:41]
	s_or_b64 exec, exec, s[70:71]
	s_and_saveexec_b64 s[70:71], s[72:73]
	s_cbranch_execz .LBB693_86
.LBB693_153:
	global_load_ubyte v32, v[4:5], off offset:608
	s_mov_b64 s[42:43], s[4:5]
	s_waitcnt vmcnt(0)
	v_and_b32_e32 v32, 1, v32
	v_cmp_eq_u32_e32 vcc, 1, v32
	s_xor_b64 vcc, vcc, -1
	s_and_saveexec_b64 s[40:41], vcc
; %bb.154:
	v_cmp_gt_f64_e32 vcc, v[30:31], v[28:29]
	s_and_b64 vcc, s[4:5], vcc
	v_cndmask_b32_e32 v31, v29, v31, vcc
	v_cndmask_b32_e32 v30, v28, v30, vcc
	s_or_b64 s[42:43], s[4:5], exec
; %bb.155:
	s_or_b64 exec, exec, s[40:41]
	s_andn2_b64 s[4:5], s[4:5], exec
	s_and_b64 s[40:41], s[42:43], exec
	s_or_b64 s[4:5], s[4:5], s[40:41]
	s_or_b64 exec, exec, s[70:71]
	s_and_saveexec_b64 s[70:71], s[94:95]
	s_cbranch_execz .LBB693_87
.LBB693_156:
	global_load_ubyte v32, v[4:5], off offset:640
	s_mov_b64 s[42:43], s[4:5]
	s_waitcnt vmcnt(0)
	v_and_b32_e32 v32, 1, v32
	v_cmp_eq_u32_e32 vcc, 1, v32
	s_xor_b64 vcc, vcc, -1
	s_and_saveexec_b64 s[40:41], vcc
; %bb.157:
	v_cmp_gt_f64_e32 vcc, v[30:31], v[26:27]
	s_and_b64 vcc, s[4:5], vcc
	v_cndmask_b32_e32 v31, v27, v31, vcc
	v_cndmask_b32_e32 v30, v26, v30, vcc
	s_or_b64 s[42:43], s[4:5], exec
; %bb.158:
	s_or_b64 exec, exec, s[40:41]
	s_andn2_b64 s[4:5], s[4:5], exec
	s_and_b64 s[40:41], s[42:43], exec
	s_or_b64 s[4:5], s[4:5], s[40:41]
	s_or_b64 exec, exec, s[70:71]
	s_and_saveexec_b64 s[70:71], s[92:93]
	s_cbranch_execz .LBB693_88
.LBB693_159:
	global_load_ubyte v32, v[4:5], off offset:672
	s_mov_b64 s[42:43], s[4:5]
	s_waitcnt vmcnt(0)
	v_and_b32_e32 v32, 1, v32
	v_cmp_eq_u32_e32 vcc, 1, v32
	s_xor_b64 vcc, vcc, -1
	s_and_saveexec_b64 s[40:41], vcc
; %bb.160:
	v_cmp_gt_f64_e32 vcc, v[30:31], v[24:25]
	s_and_b64 vcc, s[4:5], vcc
	v_cndmask_b32_e32 v31, v25, v31, vcc
	v_cndmask_b32_e32 v30, v24, v30, vcc
	s_or_b64 s[42:43], s[4:5], exec
; %bb.161:
	s_or_b64 exec, exec, s[40:41]
	s_andn2_b64 s[4:5], s[4:5], exec
	s_and_b64 s[40:41], s[42:43], exec
	s_or_b64 s[4:5], s[4:5], s[40:41]
	s_or_b64 exec, exec, s[70:71]
	s_and_saveexec_b64 s[70:71], s[90:91]
	s_cbranch_execz .LBB693_89
.LBB693_162:
	global_load_ubyte v32, v[4:5], off offset:704
	s_mov_b64 s[42:43], s[4:5]
	s_waitcnt vmcnt(0)
	v_and_b32_e32 v32, 1, v32
	v_cmp_eq_u32_e32 vcc, 1, v32
	s_xor_b64 vcc, vcc, -1
	s_and_saveexec_b64 s[40:41], vcc
; %bb.163:
	v_cmp_gt_f64_e32 vcc, v[30:31], v[22:23]
	s_and_b64 vcc, s[4:5], vcc
	v_cndmask_b32_e32 v31, v23, v31, vcc
	v_cndmask_b32_e32 v30, v22, v30, vcc
	s_or_b64 s[42:43], s[4:5], exec
; %bb.164:
	s_or_b64 exec, exec, s[40:41]
	s_andn2_b64 s[4:5], s[4:5], exec
	s_and_b64 s[40:41], s[42:43], exec
	s_or_b64 s[4:5], s[4:5], s[40:41]
	s_or_b64 exec, exec, s[70:71]
	s_and_saveexec_b64 s[70:71], s[88:89]
	s_cbranch_execz .LBB693_90
.LBB693_165:
	global_load_ubyte v32, v[4:5], off offset:736
	s_mov_b64 s[42:43], s[4:5]
	s_waitcnt vmcnt(0)
	v_and_b32_e32 v32, 1, v32
	v_cmp_eq_u32_e32 vcc, 1, v32
	s_xor_b64 vcc, vcc, -1
	s_and_saveexec_b64 s[40:41], vcc
; %bb.166:
	v_cmp_gt_f64_e32 vcc, v[30:31], v[20:21]
	s_and_b64 vcc, s[4:5], vcc
	v_cndmask_b32_e32 v31, v21, v31, vcc
	v_cndmask_b32_e32 v30, v20, v30, vcc
	s_or_b64 s[42:43], s[4:5], exec
; %bb.167:
	s_or_b64 exec, exec, s[40:41]
	s_andn2_b64 s[4:5], s[4:5], exec
	s_and_b64 s[40:41], s[42:43], exec
	s_or_b64 s[4:5], s[4:5], s[40:41]
	s_or_b64 exec, exec, s[70:71]
	s_and_saveexec_b64 s[70:71], s[86:87]
	s_cbranch_execz .LBB693_91
.LBB693_168:
	global_load_ubyte v32, v[4:5], off offset:768
	s_mov_b64 s[42:43], s[4:5]
	s_waitcnt vmcnt(0)
	v_and_b32_e32 v32, 1, v32
	v_cmp_eq_u32_e32 vcc, 1, v32
	s_xor_b64 vcc, vcc, -1
	s_and_saveexec_b64 s[40:41], vcc
; %bb.169:
	v_cmp_gt_f64_e32 vcc, v[30:31], v[18:19]
	s_and_b64 vcc, s[4:5], vcc
	v_cndmask_b32_e32 v31, v19, v31, vcc
	v_cndmask_b32_e32 v30, v18, v30, vcc
	s_or_b64 s[42:43], s[4:5], exec
; %bb.170:
	s_or_b64 exec, exec, s[40:41]
	s_andn2_b64 s[4:5], s[4:5], exec
	s_and_b64 s[40:41], s[42:43], exec
	s_or_b64 s[4:5], s[4:5], s[40:41]
	s_or_b64 exec, exec, s[70:71]
	s_and_saveexec_b64 s[70:71], s[84:85]
	s_cbranch_execz .LBB693_92
.LBB693_171:
	global_load_ubyte v32, v[4:5], off offset:800
	s_mov_b64 s[42:43], s[4:5]
	s_waitcnt vmcnt(0)
	v_and_b32_e32 v32, 1, v32
	v_cmp_eq_u32_e32 vcc, 1, v32
	s_xor_b64 vcc, vcc, -1
	s_and_saveexec_b64 s[40:41], vcc
; %bb.172:
	v_cmp_gt_f64_e32 vcc, v[30:31], v[16:17]
	s_and_b64 vcc, s[4:5], vcc
	v_cndmask_b32_e32 v31, v17, v31, vcc
	v_cndmask_b32_e32 v30, v16, v30, vcc
	s_or_b64 s[42:43], s[4:5], exec
; %bb.173:
	s_or_b64 exec, exec, s[40:41]
	s_andn2_b64 s[4:5], s[4:5], exec
	s_and_b64 s[40:41], s[42:43], exec
	s_or_b64 s[4:5], s[4:5], s[40:41]
	s_or_b64 exec, exec, s[70:71]
	s_and_saveexec_b64 s[70:71], s[82:83]
	s_cbranch_execz .LBB693_93
.LBB693_174:
	global_load_ubyte v32, v[4:5], off offset:832
	s_mov_b64 s[42:43], s[4:5]
	s_waitcnt vmcnt(0)
	v_and_b32_e32 v32, 1, v32
	v_cmp_eq_u32_e32 vcc, 1, v32
	s_xor_b64 vcc, vcc, -1
	s_and_saveexec_b64 s[40:41], vcc
; %bb.175:
	v_cmp_gt_f64_e32 vcc, v[30:31], v[14:15]
	s_and_b64 vcc, s[4:5], vcc
	v_cndmask_b32_e32 v31, v15, v31, vcc
	v_cndmask_b32_e32 v30, v14, v30, vcc
	s_or_b64 s[42:43], s[4:5], exec
; %bb.176:
	s_or_b64 exec, exec, s[40:41]
	s_andn2_b64 s[4:5], s[4:5], exec
	s_and_b64 s[40:41], s[42:43], exec
	s_or_b64 s[4:5], s[4:5], s[40:41]
	s_or_b64 exec, exec, s[70:71]
	s_and_saveexec_b64 s[70:71], s[80:81]
	s_cbranch_execz .LBB693_94
.LBB693_177:
	global_load_ubyte v32, v[4:5], off offset:864
	s_mov_b64 s[42:43], s[4:5]
	s_waitcnt vmcnt(0)
	v_and_b32_e32 v32, 1, v32
	v_cmp_eq_u32_e32 vcc, 1, v32
	s_xor_b64 vcc, vcc, -1
	s_and_saveexec_b64 s[40:41], vcc
; %bb.178:
	v_cmp_gt_f64_e32 vcc, v[30:31], v[12:13]
	s_and_b64 vcc, s[4:5], vcc
	v_cndmask_b32_e32 v31, v13, v31, vcc
	v_cndmask_b32_e32 v30, v12, v30, vcc
	s_or_b64 s[42:43], s[4:5], exec
; %bb.179:
	s_or_b64 exec, exec, s[40:41]
	s_andn2_b64 s[4:5], s[4:5], exec
	s_and_b64 s[40:41], s[42:43], exec
	s_or_b64 s[4:5], s[4:5], s[40:41]
	s_or_b64 exec, exec, s[70:71]
	s_and_saveexec_b64 s[70:71], s[78:79]
	s_cbranch_execz .LBB693_95
.LBB693_180:
	global_load_ubyte v32, v[4:5], off offset:896
	s_mov_b64 s[42:43], s[4:5]
	s_waitcnt vmcnt(0)
	v_and_b32_e32 v32, 1, v32
	v_cmp_eq_u32_e32 vcc, 1, v32
	s_xor_b64 vcc, vcc, -1
	s_and_saveexec_b64 s[40:41], vcc
; %bb.181:
	v_cmp_gt_f64_e32 vcc, v[30:31], v[10:11]
	s_and_b64 vcc, s[4:5], vcc
	v_cndmask_b32_e32 v31, v11, v31, vcc
	v_cndmask_b32_e32 v30, v10, v30, vcc
	s_or_b64 s[42:43], s[4:5], exec
; %bb.182:
	s_or_b64 exec, exec, s[40:41]
	s_andn2_b64 s[4:5], s[4:5], exec
	s_and_b64 s[40:41], s[42:43], exec
	s_or_b64 s[4:5], s[4:5], s[40:41]
	s_or_b64 exec, exec, s[70:71]
	s_and_saveexec_b64 s[70:71], s[76:77]
	s_cbranch_execz .LBB693_96
.LBB693_183:
	global_load_ubyte v32, v[4:5], off offset:928
	s_mov_b64 s[42:43], s[4:5]
	s_waitcnt vmcnt(0)
	v_and_b32_e32 v32, 1, v32
	v_cmp_eq_u32_e32 vcc, 1, v32
	s_xor_b64 vcc, vcc, -1
	s_and_saveexec_b64 s[40:41], vcc
; %bb.184:
	v_cmp_gt_f64_e32 vcc, v[30:31], v[8:9]
	s_and_b64 vcc, s[4:5], vcc
	v_cndmask_b32_e32 v31, v9, v31, vcc
	v_cndmask_b32_e32 v30, v8, v30, vcc
	s_or_b64 s[42:43], s[4:5], exec
; %bb.185:
	s_or_b64 exec, exec, s[40:41]
	s_andn2_b64 s[4:5], s[4:5], exec
	s_and_b64 s[40:41], s[42:43], exec
	s_or_b64 s[4:5], s[4:5], s[40:41]
	s_or_b64 exec, exec, s[70:71]
	s_and_saveexec_b64 s[70:71], s[74:75]
	s_cbranch_execz .LBB693_97
.LBB693_186:
	global_load_ubyte v32, v[4:5], off offset:960
	s_mov_b64 s[42:43], s[4:5]
	s_waitcnt vmcnt(0)
	v_and_b32_e32 v32, 1, v32
	v_cmp_eq_u32_e32 vcc, 1, v32
	s_xor_b64 vcc, vcc, -1
	s_and_saveexec_b64 s[40:41], vcc
; %bb.187:
	v_cmp_gt_f64_e32 vcc, v[30:31], v[6:7]
	s_and_b64 vcc, s[4:5], vcc
	v_cndmask_b32_e32 v31, v7, v31, vcc
	v_cndmask_b32_e32 v30, v6, v30, vcc
	s_or_b64 s[42:43], s[4:5], exec
; %bb.188:
	s_or_b64 exec, exec, s[40:41]
	s_andn2_b64 s[4:5], s[4:5], exec
	s_and_b64 s[40:41], s[42:43], exec
	s_or_b64 s[4:5], s[4:5], s[40:41]
	s_or_b64 exec, exec, s[70:71]
	s_and_saveexec_b64 s[70:71], s[68:69]
	s_cbranch_execz .LBB693_192
.LBB693_189:
	global_load_ubyte v32, v[4:5], off offset:992
	s_mov_b64 s[42:43], s[4:5]
	s_waitcnt vmcnt(0)
	v_and_b32_e32 v32, 1, v32
	v_cmp_eq_u32_e32 vcc, 1, v32
	s_xor_b64 vcc, vcc, -1
	s_and_saveexec_b64 s[40:41], vcc
; %bb.190:
	v_cmp_gt_f64_e32 vcc, v[30:31], v[2:3]
	s_and_b64 vcc, s[4:5], vcc
	v_cndmask_b32_e32 v31, v3, v31, vcc
	v_cndmask_b32_e32 v30, v2, v30, vcc
	s_or_b64 s[42:43], s[4:5], exec
; %bb.191:
	s_or_b64 exec, exec, s[40:41]
	s_andn2_b64 s[4:5], s[4:5], exec
	s_and_b64 s[40:41], s[42:43], exec
	s_or_b64 s[4:5], s[4:5], s[40:41]
.LBB693_192:
	s_or_b64 exec, exec, s[70:71]
	v_mov_b32_e32 v32, 0xfff00000
	v_cndmask_b32_e64 v31, v32, v31, s[4:5]
	v_mbcnt_lo_u32_b32 v32, -1, 0
	v_mbcnt_hi_u32_b32 v36, -1, v32
	v_and_b32_e32 v32, 0x60, v36
	v_add_u32_e32 v37, 32, v32
	v_xor_b32_e32 v32, 16, v36
	v_cmp_lt_i32_e32 vcc, v32, v37
	v_cndmask_b32_e32 v32, v36, v32, vcc
	v_cndmask_b32_e64 v30, 0, v30, s[4:5]
	v_lshlrev_b32_e32 v77, 2, v32
	ds_bpermute_b32 v32, v77, v30
	ds_bpermute_b32 v33, v77, v31
	s_waitcnt lgkmcnt(0)
	v_cmp_lt_f64_e32 vcc, v[30:31], v[32:33]
	v_cndmask_b32_e32 v30, v30, v32, vcc
	v_xor_b32_e32 v32, 8, v36
	v_cndmask_b32_e32 v31, v31, v33, vcc
	v_cmp_lt_i32_e32 vcc, v32, v37
	v_cndmask_b32_e32 v32, v36, v32, vcc
	v_lshlrev_b32_e32 v78, 2, v32
	ds_bpermute_b32 v32, v78, v30
	ds_bpermute_b32 v33, v78, v31
	s_waitcnt lgkmcnt(0)
	v_cmp_lt_f64_e32 vcc, v[30:31], v[32:33]
	v_cndmask_b32_e32 v30, v30, v32, vcc
	v_xor_b32_e32 v32, 4, v36
	v_cndmask_b32_e32 v31, v31, v33, vcc
	v_cmp_lt_i32_e32 vcc, v32, v37
	v_cndmask_b32_e32 v32, v36, v32, vcc
	;; [unrolled: 10-line block ×4, first 2 shown]
	v_lshlrev_b32_e32 v81, 2, v32
	ds_bpermute_b32 v32, v81, v30
	ds_bpermute_b32 v33, v81, v31
	s_waitcnt lgkmcnt(0)
	v_cmp_lt_f64_e32 vcc, v[30:31], v[32:33]
	v_cndmask_b32_e32 v39, v31, v33, vcc
	v_cndmask_b32_e32 v38, v30, v32, vcc
	v_pk_mov_b32 v[30:31], 0, 0
	v_pk_mov_b32 v[32:33], v[30:31], v[30:31] op_sel:[0,1]
	v_pk_mov_b32 v[36:37], v[30:31], v[30:31] op_sel:[0,1]
	s_and_saveexec_b64 s[70:71], s[38:39]
	s_cbranch_execnz .LBB693_195
; %bb.193:
	s_or_b64 exec, exec, s[70:71]
	v_pk_mov_b32 v[40:41], v[30:31], v[30:31] op_sel:[0,1]
	s_and_saveexec_b64 s[38:39], s[36:37]
	s_cbranch_execnz .LBB693_198
.LBB693_194:
	s_or_b64 exec, exec, s[38:39]
	s_and_saveexec_b64 s[36:37], s[34:35]
	s_cbranch_execnz .LBB693_201
	s_branch .LBB693_204
.LBB693_195:
	global_load_ubyte v32, v[4:5], off
	v_pk_mov_b32 v[36:37], 0, 0
	s_waitcnt vmcnt(0)
	v_and_b32_e32 v32, 1, v32
	v_cmp_eq_u32_e32 vcc, 1, v32
	s_xor_b64 s[4:5], vcc, -1
	v_pk_mov_b32 v[32:33], v[36:37], v[36:37] op_sel:[0,1]
	s_and_saveexec_b64 s[38:39], s[4:5]
	s_cbranch_execz .LBB693_197
; %bb.196:
	s_mov_b32 s4, 0x652b82fe
	v_add_f64 v[32:33], v[40:41], -v[38:39]
	s_mov_b32 s5, 0x3ff71547
	v_mul_f64 v[36:37], v[32:33], s[4:5]
	s_mov_b32 s4, 0xfefa39ef
	v_rndne_f64_e32 v[36:37], v[36:37]
	s_mov_b32 s5, 0xbfe62e42
	v_fma_f64 v[40:41], s[4:5], v[36:37], v[32:33]
	s_mov_b32 s4, 0x3b39803f
	s_mov_b32 s5, 0xbc7abc9e
	v_fmac_f64_e32 v[40:41], s[4:5], v[36:37]
	s_mov_b32 s4, 0x6a5dcb37
	v_mov_b32_e32 v82, 0xfca7ab0c
	v_mov_b32_e32 v83, 0x3e928af3
	s_mov_b32 s5, 0x3e5ade15
	v_fmac_f64_e32 v[82:83], s[4:5], v[40:41]
	v_mov_b32_e32 v84, 0x623fde64
	v_mov_b32_e32 v85, 0x3ec71dee
	v_fmac_f64_e32 v[84:85], v[40:41], v[82:83]
	v_mov_b32_e32 v82, 0x7c89e6b0
	v_mov_b32_e32 v83, 0x3efa0199
	;; [unrolled: 3-line block ×8, first 2 shown]
	s_mov_b32 s4, 0
	v_fmac_f64_e32 v[82:83], v[40:41], v[84:85]
	s_mov_b32 s5, 0x40900000
	v_fma_f64 v[82:83], v[40:41], v[82:83], 1.0
	v_cmp_nlt_f64_e32 vcc, s[4:5], v[32:33]
	s_mov_b32 s4, 0
	v_fma_f64 v[40:41], v[40:41], v[82:83], 1.0
	v_cvt_i32_f64_e32 v36, v[36:37]
	s_mov_b32 s5, 0xc090cc00
	v_ldexp_f64 v[36:37], v[40:41], v36
	v_mov_b32_e32 v40, 0x7ff00000
	v_cmp_ngt_f64_e64 s[4:5], s[4:5], v[32:33]
	v_cndmask_b32_e32 v37, v40, v37, vcc
	s_and_b64 vcc, s[4:5], vcc
	v_cndmask_b32_e64 v33, 0, v37, s[4:5]
	v_cndmask_b32_e32 v32, 0, v36, vcc
	v_add_f64 v[36:37], v[32:33], 0
.LBB693_197:
	s_or_b64 exec, exec, s[38:39]
	s_or_b64 exec, exec, s[70:71]
	v_pk_mov_b32 v[40:41], v[30:31], v[30:31] op_sel:[0,1]
	s_and_saveexec_b64 s[38:39], s[36:37]
	s_cbranch_execz .LBB693_194
.LBB693_198:
	global_load_ubyte v40, v[4:5], off offset:32
	s_waitcnt vmcnt(0)
	v_and_b32_e32 v40, 1, v40
	v_cmp_eq_u32_e32 vcc, 1, v40
	s_xor_b64 s[4:5], vcc, -1
	v_pk_mov_b32 v[40:41], 0, 0
	s_and_saveexec_b64 s[36:37], s[4:5]
	s_cbranch_execz .LBB693_200
; %bb.199:
	s_mov_b32 s4, 0x652b82fe
	v_add_f64 v[40:41], v[48:49], -v[38:39]
	s_mov_b32 s5, 0x3ff71547
	v_mul_f64 v[48:49], v[40:41], s[4:5]
	s_mov_b32 s4, 0xfefa39ef
	v_rndne_f64_e32 v[48:49], v[48:49]
	s_mov_b32 s5, 0xbfe62e42
	v_fma_f64 v[82:83], s[4:5], v[48:49], v[40:41]
	s_mov_b32 s4, 0x3b39803f
	s_mov_b32 s5, 0xbc7abc9e
	v_fmac_f64_e32 v[82:83], s[4:5], v[48:49]
	s_mov_b32 s4, 0x6a5dcb37
	v_mov_b32_e32 v84, 0xfca7ab0c
	v_mov_b32_e32 v85, 0x3e928af3
	s_mov_b32 s5, 0x3e5ade15
	v_fmac_f64_e32 v[84:85], s[4:5], v[82:83]
	v_mov_b32_e32 v86, 0x623fde64
	v_mov_b32_e32 v87, 0x3ec71dee
	v_fmac_f64_e32 v[86:87], v[82:83], v[84:85]
	v_mov_b32_e32 v84, 0x7c89e6b0
	v_mov_b32_e32 v85, 0x3efa0199
	;; [unrolled: 3-line block ×8, first 2 shown]
	s_mov_b32 s4, 0
	v_fmac_f64_e32 v[84:85], v[82:83], v[86:87]
	s_mov_b32 s5, 0x40900000
	v_fma_f64 v[84:85], v[82:83], v[84:85], 1.0
	v_cmp_nlt_f64_e32 vcc, s[4:5], v[40:41]
	s_mov_b32 s4, 0
	v_fma_f64 v[82:83], v[82:83], v[84:85], 1.0
	v_cvt_i32_f64_e32 v48, v[48:49]
	s_mov_b32 s5, 0xc090cc00
	v_ldexp_f64 v[48:49], v[82:83], v48
	v_mov_b32_e32 v82, 0x7ff00000
	v_cmp_ngt_f64_e64 s[4:5], s[4:5], v[40:41]
	v_cndmask_b32_e32 v49, v82, v49, vcc
	s_and_b64 vcc, s[4:5], vcc
	v_cndmask_b32_e64 v41, 0, v49, s[4:5]
	v_cndmask_b32_e32 v40, 0, v48, vcc
	v_add_f64 v[36:37], v[36:37], v[40:41]
.LBB693_200:
	s_or_b64 exec, exec, s[36:37]
	s_or_b64 exec, exec, s[38:39]
	s_and_saveexec_b64 s[36:37], s[34:35]
	s_cbranch_execz .LBB693_204
.LBB693_201:
	global_load_ubyte v30, v[4:5], off offset:64
	s_waitcnt vmcnt(0)
	v_and_b32_e32 v30, 1, v30
	v_cmp_eq_u32_e32 vcc, 1, v30
	s_xor_b64 s[4:5], vcc, -1
	v_pk_mov_b32 v[30:31], 0, 0
	s_and_saveexec_b64 s[34:35], s[4:5]
	s_cbranch_execz .LBB693_203
; %bb.202:
	s_mov_b32 s4, 0x652b82fe
	v_add_f64 v[30:31], v[46:47], -v[38:39]
	s_mov_b32 s5, 0x3ff71547
	v_mul_f64 v[46:47], v[30:31], s[4:5]
	s_mov_b32 s4, 0xfefa39ef
	v_rndne_f64_e32 v[46:47], v[46:47]
	s_mov_b32 s5, 0xbfe62e42
	v_fma_f64 v[48:49], s[4:5], v[46:47], v[30:31]
	s_mov_b32 s4, 0x3b39803f
	s_mov_b32 s5, 0xbc7abc9e
	v_fmac_f64_e32 v[48:49], s[4:5], v[46:47]
	s_mov_b32 s4, 0x6a5dcb37
	v_mov_b32_e32 v82, 0xfca7ab0c
	v_mov_b32_e32 v83, 0x3e928af3
	s_mov_b32 s5, 0x3e5ade15
	v_fmac_f64_e32 v[82:83], s[4:5], v[48:49]
	v_mov_b32_e32 v84, 0x623fde64
	v_mov_b32_e32 v85, 0x3ec71dee
	v_fmac_f64_e32 v[84:85], v[48:49], v[82:83]
	v_mov_b32_e32 v82, 0x7c89e6b0
	v_mov_b32_e32 v83, 0x3efa0199
	;; [unrolled: 3-line block ×8, first 2 shown]
	s_mov_b32 s4, 0
	v_fmac_f64_e32 v[82:83], v[48:49], v[84:85]
	s_mov_b32 s5, 0x40900000
	v_fma_f64 v[82:83], v[48:49], v[82:83], 1.0
	v_cmp_nlt_f64_e32 vcc, s[4:5], v[30:31]
	s_mov_b32 s4, 0
	v_fma_f64 v[48:49], v[48:49], v[82:83], 1.0
	v_cvt_i32_f64_e32 v46, v[46:47]
	s_mov_b32 s5, 0xc090cc00
	v_ldexp_f64 v[46:47], v[48:49], v46
	v_mov_b32_e32 v48, 0x7ff00000
	v_cmp_ngt_f64_e64 s[4:5], s[4:5], v[30:31]
	v_cndmask_b32_e32 v47, v48, v47, vcc
	s_and_b64 vcc, s[4:5], vcc
	v_cndmask_b32_e64 v31, 0, v47, s[4:5]
	v_cndmask_b32_e32 v30, 0, v46, vcc
	v_add_f64 v[36:37], v[36:37], v[30:31]
.LBB693_203:
	s_or_b64 exec, exec, s[34:35]
.LBB693_204:
	s_or_b64 exec, exec, s[36:37]
	v_pk_mov_b32 v[46:47], 0, 0
	v_pk_mov_b32 v[48:49], v[46:47], v[46:47] op_sel:[0,1]
	s_and_saveexec_b64 s[34:35], s[30:31]
	s_cbranch_execz .LBB693_208
; %bb.205:
	global_load_ubyte v48, v[4:5], off offset:96
	s_waitcnt vmcnt(0)
	v_and_b32_e32 v48, 1, v48
	v_cmp_eq_u32_e32 vcc, 1, v48
	s_xor_b64 s[4:5], vcc, -1
	v_pk_mov_b32 v[48:49], 0, 0
	s_and_saveexec_b64 s[30:31], s[4:5]
	s_cbranch_execz .LBB693_207
; %bb.206:
	s_mov_b32 s4, 0x652b82fe
	v_add_f64 v[48:49], v[56:57], -v[38:39]
	s_mov_b32 s5, 0x3ff71547
	v_mul_f64 v[56:57], v[48:49], s[4:5]
	s_mov_b32 s4, 0xfefa39ef
	v_rndne_f64_e32 v[56:57], v[56:57]
	s_mov_b32 s5, 0xbfe62e42
	v_fma_f64 v[82:83], s[4:5], v[56:57], v[48:49]
	s_mov_b32 s4, 0x3b39803f
	s_mov_b32 s5, 0xbc7abc9e
	v_fmac_f64_e32 v[82:83], s[4:5], v[56:57]
	s_mov_b32 s4, 0x6a5dcb37
	v_mov_b32_e32 v84, 0xfca7ab0c
	v_mov_b32_e32 v85, 0x3e928af3
	s_mov_b32 s5, 0x3e5ade15
	v_fmac_f64_e32 v[84:85], s[4:5], v[82:83]
	v_mov_b32_e32 v86, 0x623fde64
	v_mov_b32_e32 v87, 0x3ec71dee
	v_fmac_f64_e32 v[86:87], v[82:83], v[84:85]
	v_mov_b32_e32 v84, 0x7c89e6b0
	v_mov_b32_e32 v85, 0x3efa0199
	;; [unrolled: 3-line block ×8, first 2 shown]
	s_mov_b32 s4, 0
	v_fmac_f64_e32 v[84:85], v[82:83], v[86:87]
	s_mov_b32 s5, 0x40900000
	v_fma_f64 v[84:85], v[82:83], v[84:85], 1.0
	v_cmp_nlt_f64_e32 vcc, s[4:5], v[48:49]
	s_mov_b32 s4, 0
	v_fma_f64 v[82:83], v[82:83], v[84:85], 1.0
	v_cvt_i32_f64_e32 v56, v[56:57]
	s_mov_b32 s5, 0xc090cc00
	v_ldexp_f64 v[56:57], v[82:83], v56
	v_mov_b32_e32 v82, 0x7ff00000
	v_cmp_ngt_f64_e64 s[4:5], s[4:5], v[48:49]
	v_cndmask_b32_e32 v57, v82, v57, vcc
	s_and_b64 vcc, s[4:5], vcc
	v_cndmask_b32_e64 v49, 0, v57, s[4:5]
	v_cndmask_b32_e32 v48, 0, v56, vcc
	v_add_f64 v[36:37], v[36:37], v[48:49]
.LBB693_207:
	s_or_b64 exec, exec, s[30:31]
.LBB693_208:
	s_or_b64 exec, exec, s[34:35]
	s_and_saveexec_b64 s[30:31], s[28:29]
	s_cbranch_execz .LBB693_212
; %bb.209:
	global_load_ubyte v46, v[4:5], off offset:128
	s_waitcnt vmcnt(0)
	v_and_b32_e32 v46, 1, v46
	v_cmp_eq_u32_e32 vcc, 1, v46
	s_xor_b64 s[4:5], vcc, -1
	v_pk_mov_b32 v[46:47], 0, 0
	s_and_saveexec_b64 s[28:29], s[4:5]
	s_cbranch_execz .LBB693_211
; %bb.210:
	s_mov_b32 s4, 0x652b82fe
	v_add_f64 v[46:47], v[54:55], -v[38:39]
	s_mov_b32 s5, 0x3ff71547
	v_mul_f64 v[54:55], v[46:47], s[4:5]
	s_mov_b32 s4, 0xfefa39ef
	v_rndne_f64_e32 v[54:55], v[54:55]
	s_mov_b32 s5, 0xbfe62e42
	v_fma_f64 v[56:57], s[4:5], v[54:55], v[46:47]
	s_mov_b32 s4, 0x3b39803f
	s_mov_b32 s5, 0xbc7abc9e
	v_fmac_f64_e32 v[56:57], s[4:5], v[54:55]
	s_mov_b32 s4, 0x6a5dcb37
	v_mov_b32_e32 v82, 0xfca7ab0c
	v_mov_b32_e32 v83, 0x3e928af3
	s_mov_b32 s5, 0x3e5ade15
	v_fmac_f64_e32 v[82:83], s[4:5], v[56:57]
	v_mov_b32_e32 v84, 0x623fde64
	v_mov_b32_e32 v85, 0x3ec71dee
	v_fmac_f64_e32 v[84:85], v[56:57], v[82:83]
	v_mov_b32_e32 v82, 0x7c89e6b0
	v_mov_b32_e32 v83, 0x3efa0199
	;; [unrolled: 3-line block ×8, first 2 shown]
	s_mov_b32 s4, 0
	v_fmac_f64_e32 v[82:83], v[56:57], v[84:85]
	s_mov_b32 s5, 0x40900000
	v_fma_f64 v[82:83], v[56:57], v[82:83], 1.0
	v_cmp_nlt_f64_e32 vcc, s[4:5], v[46:47]
	s_mov_b32 s4, 0
	v_fma_f64 v[56:57], v[56:57], v[82:83], 1.0
	v_cvt_i32_f64_e32 v54, v[54:55]
	s_mov_b32 s5, 0xc090cc00
	v_ldexp_f64 v[54:55], v[56:57], v54
	v_mov_b32_e32 v56, 0x7ff00000
	v_cmp_ngt_f64_e64 s[4:5], s[4:5], v[46:47]
	v_cndmask_b32_e32 v55, v56, v55, vcc
	s_and_b64 vcc, s[4:5], vcc
	v_cndmask_b32_e64 v47, 0, v55, s[4:5]
	v_cndmask_b32_e32 v46, 0, v54, vcc
	v_add_f64 v[36:37], v[36:37], v[46:47]
.LBB693_211:
	s_or_b64 exec, exec, s[28:29]
.LBB693_212:
	s_or_b64 exec, exec, s[30:31]
	v_pk_mov_b32 v[54:55], 0, 0
	v_pk_mov_b32 v[56:57], v[54:55], v[54:55] op_sel:[0,1]
	s_and_saveexec_b64 s[28:29], s[26:27]
	s_cbranch_execz .LBB693_216
; %bb.213:
	global_load_ubyte v56, v[4:5], off offset:160
	s_waitcnt vmcnt(0)
	v_and_b32_e32 v56, 1, v56
	v_cmp_eq_u32_e32 vcc, 1, v56
	s_xor_b64 s[4:5], vcc, -1
	v_pk_mov_b32 v[56:57], 0, 0
	s_and_saveexec_b64 s[26:27], s[4:5]
	s_cbranch_execz .LBB693_215
; %bb.214:
	s_mov_b32 s4, 0x652b82fe
	v_add_f64 v[56:57], v[64:65], -v[38:39]
	s_mov_b32 s5, 0x3ff71547
	v_mul_f64 v[64:65], v[56:57], s[4:5]
	s_mov_b32 s4, 0xfefa39ef
	v_rndne_f64_e32 v[64:65], v[64:65]
	s_mov_b32 s5, 0xbfe62e42
	v_fma_f64 v[82:83], s[4:5], v[64:65], v[56:57]
	s_mov_b32 s4, 0x3b39803f
	s_mov_b32 s5, 0xbc7abc9e
	v_fmac_f64_e32 v[82:83], s[4:5], v[64:65]
	s_mov_b32 s4, 0x6a5dcb37
	v_mov_b32_e32 v84, 0xfca7ab0c
	v_mov_b32_e32 v85, 0x3e928af3
	s_mov_b32 s5, 0x3e5ade15
	v_fmac_f64_e32 v[84:85], s[4:5], v[82:83]
	v_mov_b32_e32 v86, 0x623fde64
	v_mov_b32_e32 v87, 0x3ec71dee
	v_fmac_f64_e32 v[86:87], v[82:83], v[84:85]
	v_mov_b32_e32 v84, 0x7c89e6b0
	v_mov_b32_e32 v85, 0x3efa0199
	;; [unrolled: 3-line block ×8, first 2 shown]
	s_mov_b32 s4, 0
	v_fmac_f64_e32 v[84:85], v[82:83], v[86:87]
	s_mov_b32 s5, 0x40900000
	v_fma_f64 v[84:85], v[82:83], v[84:85], 1.0
	v_cmp_nlt_f64_e32 vcc, s[4:5], v[56:57]
	s_mov_b32 s4, 0
	v_fma_f64 v[82:83], v[82:83], v[84:85], 1.0
	v_cvt_i32_f64_e32 v64, v[64:65]
	s_mov_b32 s5, 0xc090cc00
	v_ldexp_f64 v[64:65], v[82:83], v64
	v_mov_b32_e32 v82, 0x7ff00000
	v_cmp_ngt_f64_e64 s[4:5], s[4:5], v[56:57]
	v_cndmask_b32_e32 v65, v82, v65, vcc
	s_and_b64 vcc, s[4:5], vcc
	v_cndmask_b32_e64 v57, 0, v65, s[4:5]
	v_cndmask_b32_e32 v56, 0, v64, vcc
	v_add_f64 v[36:37], v[36:37], v[56:57]
.LBB693_215:
	s_or_b64 exec, exec, s[26:27]
.LBB693_216:
	s_or_b64 exec, exec, s[28:29]
	s_and_saveexec_b64 s[26:27], s[24:25]
	s_cbranch_execz .LBB693_220
; %bb.217:
	global_load_ubyte v54, v[4:5], off offset:192
	s_waitcnt vmcnt(0)
	v_and_b32_e32 v54, 1, v54
	v_cmp_eq_u32_e32 vcc, 1, v54
	s_xor_b64 s[4:5], vcc, -1
	v_pk_mov_b32 v[54:55], 0, 0
	s_and_saveexec_b64 s[24:25], s[4:5]
	s_cbranch_execz .LBB693_219
; %bb.218:
	s_mov_b32 s4, 0x652b82fe
	v_add_f64 v[54:55], v[60:61], -v[38:39]
	s_mov_b32 s5, 0x3ff71547
	v_mul_f64 v[60:61], v[54:55], s[4:5]
	s_mov_b32 s4, 0xfefa39ef
	v_rndne_f64_e32 v[60:61], v[60:61]
	s_mov_b32 s5, 0xbfe62e42
	v_fma_f64 v[64:65], s[4:5], v[60:61], v[54:55]
	s_mov_b32 s4, 0x3b39803f
	s_mov_b32 s5, 0xbc7abc9e
	v_fmac_f64_e32 v[64:65], s[4:5], v[60:61]
	s_mov_b32 s4, 0x6a5dcb37
	v_mov_b32_e32 v82, 0xfca7ab0c
	v_mov_b32_e32 v83, 0x3e928af3
	s_mov_b32 s5, 0x3e5ade15
	v_fmac_f64_e32 v[82:83], s[4:5], v[64:65]
	v_mov_b32_e32 v84, 0x623fde64
	v_mov_b32_e32 v85, 0x3ec71dee
	v_fmac_f64_e32 v[84:85], v[64:65], v[82:83]
	v_mov_b32_e32 v82, 0x7c89e6b0
	v_mov_b32_e32 v83, 0x3efa0199
	;; [unrolled: 3-line block ×8, first 2 shown]
	s_mov_b32 s4, 0
	v_fmac_f64_e32 v[82:83], v[64:65], v[84:85]
	s_mov_b32 s5, 0x40900000
	v_fma_f64 v[82:83], v[64:65], v[82:83], 1.0
	v_cmp_nlt_f64_e32 vcc, s[4:5], v[54:55]
	s_mov_b32 s4, 0
	v_fma_f64 v[64:65], v[64:65], v[82:83], 1.0
	v_cvt_i32_f64_e32 v60, v[60:61]
	s_mov_b32 s5, 0xc090cc00
	v_ldexp_f64 v[60:61], v[64:65], v60
	v_mov_b32_e32 v64, 0x7ff00000
	v_cmp_ngt_f64_e64 s[4:5], s[4:5], v[54:55]
	v_cndmask_b32_e32 v61, v64, v61, vcc
	s_and_b64 vcc, s[4:5], vcc
	v_cndmask_b32_e64 v55, 0, v61, s[4:5]
	v_cndmask_b32_e32 v54, 0, v60, vcc
	v_add_f64 v[36:37], v[36:37], v[54:55]
.LBB693_219:
	s_or_b64 exec, exec, s[24:25]
.LBB693_220:
	s_or_b64 exec, exec, s[26:27]
	v_pk_mov_b32 v[60:61], 0, 0
	v_pk_mov_b32 v[64:65], v[60:61], v[60:61] op_sel:[0,1]
	s_and_saveexec_b64 s[24:25], s[22:23]
	s_cbranch_execz .LBB693_224
; %bb.221:
	global_load_ubyte v64, v[4:5], off offset:224
	s_waitcnt vmcnt(0)
	v_and_b32_e32 v64, 1, v64
	v_cmp_eq_u32_e32 vcc, 1, v64
	s_xor_b64 s[4:5], vcc, -1
	v_pk_mov_b32 v[64:65], 0, 0
	s_and_saveexec_b64 s[22:23], s[4:5]
	s_cbranch_execz .LBB693_223
; %bb.222:
	s_mov_b32 s4, 0x652b82fe
	v_add_f64 v[64:65], v[70:71], -v[38:39]
	s_mov_b32 s5, 0x3ff71547
	v_mul_f64 v[70:71], v[64:65], s[4:5]
	s_mov_b32 s4, 0xfefa39ef
	v_rndne_f64_e32 v[70:71], v[70:71]
	s_mov_b32 s5, 0xbfe62e42
	v_fma_f64 v[82:83], s[4:5], v[70:71], v[64:65]
	s_mov_b32 s4, 0x3b39803f
	s_mov_b32 s5, 0xbc7abc9e
	v_fmac_f64_e32 v[82:83], s[4:5], v[70:71]
	s_mov_b32 s4, 0x6a5dcb37
	v_mov_b32_e32 v84, 0xfca7ab0c
	v_mov_b32_e32 v85, 0x3e928af3
	s_mov_b32 s5, 0x3e5ade15
	v_fmac_f64_e32 v[84:85], s[4:5], v[82:83]
	v_mov_b32_e32 v86, 0x623fde64
	v_mov_b32_e32 v87, 0x3ec71dee
	v_fmac_f64_e32 v[86:87], v[82:83], v[84:85]
	v_mov_b32_e32 v84, 0x7c89e6b0
	v_mov_b32_e32 v85, 0x3efa0199
	;; [unrolled: 3-line block ×8, first 2 shown]
	s_mov_b32 s4, 0
	v_fmac_f64_e32 v[84:85], v[82:83], v[86:87]
	s_mov_b32 s5, 0x40900000
	v_fma_f64 v[84:85], v[82:83], v[84:85], 1.0
	v_cmp_nlt_f64_e32 vcc, s[4:5], v[64:65]
	s_mov_b32 s4, 0
	v_fma_f64 v[82:83], v[82:83], v[84:85], 1.0
	v_cvt_i32_f64_e32 v70, v[70:71]
	s_mov_b32 s5, 0xc090cc00
	v_ldexp_f64 v[70:71], v[82:83], v70
	v_mov_b32_e32 v82, 0x7ff00000
	v_cmp_ngt_f64_e64 s[4:5], s[4:5], v[64:65]
	v_cndmask_b32_e32 v71, v82, v71, vcc
	s_and_b64 vcc, s[4:5], vcc
	v_cndmask_b32_e64 v65, 0, v71, s[4:5]
	v_cndmask_b32_e32 v64, 0, v70, vcc
	v_add_f64 v[36:37], v[36:37], v[64:65]
.LBB693_223:
	s_or_b64 exec, exec, s[22:23]
.LBB693_224:
	s_or_b64 exec, exec, s[24:25]
	s_and_saveexec_b64 s[22:23], s[20:21]
	s_cbranch_execz .LBB693_228
; %bb.225:
	global_load_ubyte v60, v[4:5], off offset:256
	s_waitcnt vmcnt(0)
	v_and_b32_e32 v60, 1, v60
	v_cmp_eq_u32_e32 vcc, 1, v60
	s_xor_b64 s[4:5], vcc, -1
	v_pk_mov_b32 v[60:61], 0, 0
	s_and_saveexec_b64 s[20:21], s[4:5]
	s_cbranch_execz .LBB693_227
; %bb.226:
	s_mov_b32 s4, 0x652b82fe
	v_add_f64 v[60:61], v[68:69], -v[38:39]
	s_mov_b32 s5, 0x3ff71547
	v_mul_f64 v[68:69], v[60:61], s[4:5]
	s_mov_b32 s4, 0xfefa39ef
	v_rndne_f64_e32 v[68:69], v[68:69]
	s_mov_b32 s5, 0xbfe62e42
	v_fma_f64 v[70:71], s[4:5], v[68:69], v[60:61]
	s_mov_b32 s4, 0x3b39803f
	s_mov_b32 s5, 0xbc7abc9e
	v_fmac_f64_e32 v[70:71], s[4:5], v[68:69]
	s_mov_b32 s4, 0x6a5dcb37
	v_mov_b32_e32 v82, 0xfca7ab0c
	v_mov_b32_e32 v83, 0x3e928af3
	s_mov_b32 s5, 0x3e5ade15
	v_fmac_f64_e32 v[82:83], s[4:5], v[70:71]
	v_mov_b32_e32 v84, 0x623fde64
	v_mov_b32_e32 v85, 0x3ec71dee
	v_fmac_f64_e32 v[84:85], v[70:71], v[82:83]
	v_mov_b32_e32 v82, 0x7c89e6b0
	v_mov_b32_e32 v83, 0x3efa0199
	;; [unrolled: 3-line block ×8, first 2 shown]
	s_mov_b32 s4, 0
	v_fmac_f64_e32 v[82:83], v[70:71], v[84:85]
	s_mov_b32 s5, 0x40900000
	v_fma_f64 v[82:83], v[70:71], v[82:83], 1.0
	v_cmp_nlt_f64_e32 vcc, s[4:5], v[60:61]
	s_mov_b32 s4, 0
	v_fma_f64 v[70:71], v[70:71], v[82:83], 1.0
	v_cvt_i32_f64_e32 v68, v[68:69]
	s_mov_b32 s5, 0xc090cc00
	v_ldexp_f64 v[68:69], v[70:71], v68
	v_mov_b32_e32 v70, 0x7ff00000
	v_cmp_ngt_f64_e64 s[4:5], s[4:5], v[60:61]
	v_cndmask_b32_e32 v69, v70, v69, vcc
	s_and_b64 vcc, s[4:5], vcc
	v_cndmask_b32_e64 v61, 0, v69, s[4:5]
	v_cndmask_b32_e32 v60, 0, v68, vcc
	v_add_f64 v[36:37], v[36:37], v[60:61]
.LBB693_227:
	s_or_b64 exec, exec, s[20:21]
.LBB693_228:
	s_or_b64 exec, exec, s[22:23]
	v_pk_mov_b32 v[68:69], 0, 0
	v_pk_mov_b32 v[70:71], v[68:69], v[68:69] op_sel:[0,1]
	s_and_saveexec_b64 s[20:21], s[18:19]
	s_cbranch_execz .LBB693_232
; %bb.229:
	global_load_ubyte v70, v[4:5], off offset:288
	s_waitcnt vmcnt(0)
	v_and_b32_e32 v70, 1, v70
	v_cmp_eq_u32_e32 vcc, 1, v70
	s_xor_b64 s[4:5], vcc, -1
	v_pk_mov_b32 v[70:71], 0, 0
	s_and_saveexec_b64 s[18:19], s[4:5]
	s_cbranch_execz .LBB693_231
; %bb.230:
	s_mov_b32 s4, 0x652b82fe
	v_add_f64 v[70:71], v[74:75], -v[38:39]
	s_mov_b32 s5, 0x3ff71547
	v_mul_f64 v[74:75], v[70:71], s[4:5]
	s_mov_b32 s4, 0xfefa39ef
	v_rndne_f64_e32 v[74:75], v[74:75]
	s_mov_b32 s5, 0xbfe62e42
	v_fma_f64 v[82:83], s[4:5], v[74:75], v[70:71]
	s_mov_b32 s4, 0x3b39803f
	s_mov_b32 s5, 0xbc7abc9e
	v_fmac_f64_e32 v[82:83], s[4:5], v[74:75]
	s_mov_b32 s4, 0x6a5dcb37
	v_mov_b32_e32 v84, 0xfca7ab0c
	v_mov_b32_e32 v85, 0x3e928af3
	s_mov_b32 s5, 0x3e5ade15
	v_fmac_f64_e32 v[84:85], s[4:5], v[82:83]
	v_mov_b32_e32 v86, 0x623fde64
	v_mov_b32_e32 v87, 0x3ec71dee
	v_fmac_f64_e32 v[86:87], v[82:83], v[84:85]
	v_mov_b32_e32 v84, 0x7c89e6b0
	v_mov_b32_e32 v85, 0x3efa0199
	;; [unrolled: 3-line block ×8, first 2 shown]
	s_mov_b32 s4, 0
	v_fmac_f64_e32 v[84:85], v[82:83], v[86:87]
	s_mov_b32 s5, 0x40900000
	v_fma_f64 v[84:85], v[82:83], v[84:85], 1.0
	v_cmp_nlt_f64_e32 vcc, s[4:5], v[70:71]
	s_mov_b32 s4, 0
	v_fma_f64 v[82:83], v[82:83], v[84:85], 1.0
	v_cvt_i32_f64_e32 v74, v[74:75]
	s_mov_b32 s5, 0xc090cc00
	v_ldexp_f64 v[74:75], v[82:83], v74
	v_mov_b32_e32 v82, 0x7ff00000
	v_cmp_ngt_f64_e64 s[4:5], s[4:5], v[70:71]
	v_cndmask_b32_e32 v75, v82, v75, vcc
	s_and_b64 vcc, s[4:5], vcc
	v_cndmask_b32_e64 v71, 0, v75, s[4:5]
	v_cndmask_b32_e32 v70, 0, v74, vcc
	v_add_f64 v[36:37], v[36:37], v[70:71]
.LBB693_231:
	s_or_b64 exec, exec, s[18:19]
.LBB693_232:
	s_or_b64 exec, exec, s[20:21]
	s_and_saveexec_b64 s[18:19], s[16:17]
	s_cbranch_execz .LBB693_236
; %bb.233:
	global_load_ubyte v68, v[4:5], off offset:320
	s_waitcnt vmcnt(0)
	v_and_b32_e32 v68, 1, v68
	v_cmp_eq_u32_e32 vcc, 1, v68
	s_xor_b64 s[4:5], vcc, -1
	v_pk_mov_b32 v[68:69], 0, 0
	s_and_saveexec_b64 s[16:17], s[4:5]
	s_cbranch_execz .LBB693_235
; %bb.234:
	s_mov_b32 s4, 0x652b82fe
	v_add_f64 v[68:69], v[72:73], -v[38:39]
	s_mov_b32 s5, 0x3ff71547
	v_mul_f64 v[72:73], v[68:69], s[4:5]
	s_mov_b32 s4, 0xfefa39ef
	v_rndne_f64_e32 v[72:73], v[72:73]
	s_mov_b32 s5, 0xbfe62e42
	v_fma_f64 v[74:75], s[4:5], v[72:73], v[68:69]
	s_mov_b32 s4, 0x3b39803f
	s_mov_b32 s5, 0xbc7abc9e
	v_fmac_f64_e32 v[74:75], s[4:5], v[72:73]
	s_mov_b32 s4, 0x6a5dcb37
	v_mov_b32_e32 v82, 0xfca7ab0c
	v_mov_b32_e32 v83, 0x3e928af3
	s_mov_b32 s5, 0x3e5ade15
	v_fmac_f64_e32 v[82:83], s[4:5], v[74:75]
	v_mov_b32_e32 v84, 0x623fde64
	v_mov_b32_e32 v85, 0x3ec71dee
	v_fmac_f64_e32 v[84:85], v[74:75], v[82:83]
	v_mov_b32_e32 v82, 0x7c89e6b0
	v_mov_b32_e32 v83, 0x3efa0199
	;; [unrolled: 3-line block ×8, first 2 shown]
	s_mov_b32 s4, 0
	v_fmac_f64_e32 v[82:83], v[74:75], v[84:85]
	s_mov_b32 s5, 0x40900000
	v_fma_f64 v[82:83], v[74:75], v[82:83], 1.0
	v_cmp_nlt_f64_e32 vcc, s[4:5], v[68:69]
	s_mov_b32 s4, 0
	v_fma_f64 v[74:75], v[74:75], v[82:83], 1.0
	v_cvt_i32_f64_e32 v72, v[72:73]
	s_mov_b32 s5, 0xc090cc00
	v_ldexp_f64 v[72:73], v[74:75], v72
	v_mov_b32_e32 v74, 0x7ff00000
	v_cmp_ngt_f64_e64 s[4:5], s[4:5], v[68:69]
	v_cndmask_b32_e32 v73, v74, v73, vcc
	s_and_b64 vcc, s[4:5], vcc
	v_cndmask_b32_e64 v69, 0, v73, s[4:5]
	v_cndmask_b32_e32 v68, 0, v72, vcc
	v_add_f64 v[36:37], v[36:37], v[68:69]
.LBB693_235:
	s_or_b64 exec, exec, s[16:17]
.LBB693_236:
	s_or_b64 exec, exec, s[18:19]
	v_pk_mov_b32 v[72:73], 0, 0
	v_pk_mov_b32 v[74:75], v[72:73], v[72:73] op_sel:[0,1]
	s_and_saveexec_b64 s[16:17], s[14:15]
	s_cbranch_execz .LBB693_240
; %bb.237:
	global_load_ubyte v74, v[4:5], off offset:352
	s_waitcnt vmcnt(0)
	v_and_b32_e32 v74, 1, v74
	v_cmp_eq_u32_e32 vcc, 1, v74
	s_xor_b64 s[4:5], vcc, -1
	v_pk_mov_b32 v[74:75], 0, 0
	s_and_saveexec_b64 s[14:15], s[4:5]
	s_cbranch_execz .LBB693_239
; %bb.238:
	s_mov_b32 s4, 0x652b82fe
	v_add_f64 v[66:67], v[66:67], -v[38:39]
	s_mov_b32 s5, 0x3ff71547
	v_mul_f64 v[74:75], v[66:67], s[4:5]
	s_mov_b32 s4, 0xfefa39ef
	v_rndne_f64_e32 v[74:75], v[74:75]
	s_mov_b32 s5, 0xbfe62e42
	v_fma_f64 v[82:83], s[4:5], v[74:75], v[66:67]
	s_mov_b32 s4, 0x3b39803f
	s_mov_b32 s5, 0xbc7abc9e
	v_fmac_f64_e32 v[82:83], s[4:5], v[74:75]
	s_mov_b32 s4, 0x6a5dcb37
	v_mov_b32_e32 v84, 0xfca7ab0c
	v_mov_b32_e32 v85, 0x3e928af3
	s_mov_b32 s5, 0x3e5ade15
	v_fmac_f64_e32 v[84:85], s[4:5], v[82:83]
	v_mov_b32_e32 v86, 0x623fde64
	v_mov_b32_e32 v87, 0x3ec71dee
	v_fmac_f64_e32 v[86:87], v[82:83], v[84:85]
	v_mov_b32_e32 v84, 0x7c89e6b0
	v_mov_b32_e32 v85, 0x3efa0199
	;; [unrolled: 3-line block ×8, first 2 shown]
	s_mov_b32 s4, 0
	v_fmac_f64_e32 v[84:85], v[82:83], v[86:87]
	s_mov_b32 s5, 0x40900000
	v_fma_f64 v[84:85], v[82:83], v[84:85], 1.0
	v_cmp_nlt_f64_e32 vcc, s[4:5], v[66:67]
	s_mov_b32 s4, 0
	v_fma_f64 v[82:83], v[82:83], v[84:85], 1.0
	v_cvt_i32_f64_e32 v74, v[74:75]
	s_mov_b32 s5, 0xc090cc00
	v_ldexp_f64 v[74:75], v[82:83], v74
	v_mov_b32_e32 v82, 0x7ff00000
	v_cmp_ngt_f64_e64 s[4:5], s[4:5], v[66:67]
	v_cndmask_b32_e32 v75, v82, v75, vcc
	s_and_b64 vcc, s[4:5], vcc
	v_cndmask_b32_e64 v75, 0, v75, s[4:5]
	v_cndmask_b32_e32 v74, 0, v74, vcc
	v_add_f64 v[36:37], v[36:37], v[74:75]
.LBB693_239:
	s_or_b64 exec, exec, s[14:15]
.LBB693_240:
	s_or_b64 exec, exec, s[16:17]
	s_and_saveexec_b64 s[14:15], s[12:13]
	s_cbranch_execz .LBB693_244
; %bb.241:
	global_load_ubyte v66, v[4:5], off offset:384
	v_pk_mov_b32 v[72:73], 0, 0
	s_waitcnt vmcnt(0)
	v_and_b32_e32 v66, 1, v66
	v_cmp_eq_u32_e32 vcc, 1, v66
	s_xor_b64 s[4:5], vcc, -1
	s_and_saveexec_b64 s[12:13], s[4:5]
	s_cbranch_execz .LBB693_243
; %bb.242:
	s_mov_b32 s4, 0x652b82fe
	v_add_f64 v[62:63], v[62:63], -v[38:39]
	s_mov_b32 s5, 0x3ff71547
	v_mul_f64 v[66:67], v[62:63], s[4:5]
	s_mov_b32 s4, 0xfefa39ef
	v_rndne_f64_e32 v[66:67], v[66:67]
	s_mov_b32 s5, 0xbfe62e42
	v_fma_f64 v[72:73], s[4:5], v[66:67], v[62:63]
	s_mov_b32 s4, 0x3b39803f
	s_mov_b32 s5, 0xbc7abc9e
	v_fmac_f64_e32 v[72:73], s[4:5], v[66:67]
	s_mov_b32 s4, 0x6a5dcb37
	v_mov_b32_e32 v82, 0xfca7ab0c
	v_mov_b32_e32 v83, 0x3e928af3
	s_mov_b32 s5, 0x3e5ade15
	v_fmac_f64_e32 v[82:83], s[4:5], v[72:73]
	v_mov_b32_e32 v84, 0x623fde64
	v_mov_b32_e32 v85, 0x3ec71dee
	v_fmac_f64_e32 v[84:85], v[72:73], v[82:83]
	v_mov_b32_e32 v82, 0x7c89e6b0
	v_mov_b32_e32 v83, 0x3efa0199
	;; [unrolled: 3-line block ×8, first 2 shown]
	s_mov_b32 s4, 0
	v_fmac_f64_e32 v[82:83], v[72:73], v[84:85]
	s_mov_b32 s5, 0x40900000
	v_fma_f64 v[82:83], v[72:73], v[82:83], 1.0
	v_cmp_nlt_f64_e32 vcc, s[4:5], v[62:63]
	s_mov_b32 s4, 0
	v_fma_f64 v[72:73], v[72:73], v[82:83], 1.0
	v_cvt_i32_f64_e32 v66, v[66:67]
	s_mov_b32 s5, 0xc090cc00
	v_ldexp_f64 v[66:67], v[72:73], v66
	v_mov_b32_e32 v72, 0x7ff00000
	v_cmp_ngt_f64_e64 s[4:5], s[4:5], v[62:63]
	v_cndmask_b32_e32 v67, v72, v67, vcc
	s_and_b64 vcc, s[4:5], vcc
	v_cndmask_b32_e64 v73, 0, v67, s[4:5]
	v_cndmask_b32_e32 v72, 0, v66, vcc
	v_add_f64 v[36:37], v[36:37], v[72:73]
.LBB693_243:
	s_or_b64 exec, exec, s[12:13]
.LBB693_244:
	s_or_b64 exec, exec, s[14:15]
	v_pk_mov_b32 v[62:63], 0, 0
	v_pk_mov_b32 v[66:67], v[62:63], v[62:63] op_sel:[0,1]
	s_and_saveexec_b64 s[12:13], s[10:11]
	s_cbranch_execz .LBB693_248
; %bb.245:
	global_load_ubyte v66, v[4:5], off offset:416
	s_waitcnt vmcnt(0)
	v_and_b32_e32 v66, 1, v66
	v_cmp_eq_u32_e32 vcc, 1, v66
	s_xor_b64 s[4:5], vcc, -1
	v_pk_mov_b32 v[66:67], 0, 0
	s_and_saveexec_b64 s[10:11], s[4:5]
	s_cbranch_execz .LBB693_247
; %bb.246:
	s_mov_b32 s4, 0x652b82fe
	v_add_f64 v[58:59], v[58:59], -v[38:39]
	s_mov_b32 s5, 0x3ff71547
	v_mul_f64 v[66:67], v[58:59], s[4:5]
	s_mov_b32 s4, 0xfefa39ef
	v_rndne_f64_e32 v[66:67], v[66:67]
	s_mov_b32 s5, 0xbfe62e42
	v_fma_f64 v[82:83], s[4:5], v[66:67], v[58:59]
	s_mov_b32 s4, 0x3b39803f
	s_mov_b32 s5, 0xbc7abc9e
	v_fmac_f64_e32 v[82:83], s[4:5], v[66:67]
	s_mov_b32 s4, 0x6a5dcb37
	v_mov_b32_e32 v84, 0xfca7ab0c
	v_mov_b32_e32 v85, 0x3e928af3
	s_mov_b32 s5, 0x3e5ade15
	v_fmac_f64_e32 v[84:85], s[4:5], v[82:83]
	v_mov_b32_e32 v86, 0x623fde64
	v_mov_b32_e32 v87, 0x3ec71dee
	v_fmac_f64_e32 v[86:87], v[82:83], v[84:85]
	v_mov_b32_e32 v84, 0x7c89e6b0
	v_mov_b32_e32 v85, 0x3efa0199
	;; [unrolled: 3-line block ×8, first 2 shown]
	s_mov_b32 s4, 0
	v_fmac_f64_e32 v[84:85], v[82:83], v[86:87]
	s_mov_b32 s5, 0x40900000
	v_fma_f64 v[84:85], v[82:83], v[84:85], 1.0
	v_cmp_nlt_f64_e32 vcc, s[4:5], v[58:59]
	s_mov_b32 s4, 0
	v_fma_f64 v[82:83], v[82:83], v[84:85], 1.0
	v_cvt_i32_f64_e32 v66, v[66:67]
	s_mov_b32 s5, 0xc090cc00
	v_ldexp_f64 v[66:67], v[82:83], v66
	v_mov_b32_e32 v82, 0x7ff00000
	v_cmp_ngt_f64_e64 s[4:5], s[4:5], v[58:59]
	v_cndmask_b32_e32 v67, v82, v67, vcc
	s_and_b64 vcc, s[4:5], vcc
	v_cndmask_b32_e64 v67, 0, v67, s[4:5]
	v_cndmask_b32_e32 v66, 0, v66, vcc
	v_add_f64 v[36:37], v[36:37], v[66:67]
.LBB693_247:
	s_or_b64 exec, exec, s[10:11]
.LBB693_248:
	s_or_b64 exec, exec, s[12:13]
	s_and_saveexec_b64 s[10:11], s[8:9]
	s_cbranch_execz .LBB693_252
; %bb.249:
	global_load_ubyte v58, v[4:5], off offset:448
	v_pk_mov_b32 v[62:63], 0, 0
	s_waitcnt vmcnt(0)
	v_and_b32_e32 v58, 1, v58
	v_cmp_eq_u32_e32 vcc, 1, v58
	s_xor_b64 s[4:5], vcc, -1
	s_and_saveexec_b64 s[8:9], s[4:5]
	s_cbranch_execz .LBB693_251
; %bb.250:
	s_mov_b32 s4, 0x652b82fe
	v_add_f64 v[52:53], v[52:53], -v[38:39]
	s_mov_b32 s5, 0x3ff71547
	v_mul_f64 v[58:59], v[52:53], s[4:5]
	s_mov_b32 s4, 0xfefa39ef
	v_rndne_f64_e32 v[58:59], v[58:59]
	s_mov_b32 s5, 0xbfe62e42
	v_fma_f64 v[62:63], s[4:5], v[58:59], v[52:53]
	s_mov_b32 s4, 0x3b39803f
	s_mov_b32 s5, 0xbc7abc9e
	v_fmac_f64_e32 v[62:63], s[4:5], v[58:59]
	s_mov_b32 s4, 0x6a5dcb37
	v_mov_b32_e32 v82, 0xfca7ab0c
	v_mov_b32_e32 v83, 0x3e928af3
	s_mov_b32 s5, 0x3e5ade15
	v_fmac_f64_e32 v[82:83], s[4:5], v[62:63]
	v_mov_b32_e32 v84, 0x623fde64
	v_mov_b32_e32 v85, 0x3ec71dee
	v_fmac_f64_e32 v[84:85], v[62:63], v[82:83]
	v_mov_b32_e32 v82, 0x7c89e6b0
	v_mov_b32_e32 v83, 0x3efa0199
	;; [unrolled: 3-line block ×8, first 2 shown]
	s_mov_b32 s4, 0
	v_fmac_f64_e32 v[82:83], v[62:63], v[84:85]
	s_mov_b32 s5, 0x40900000
	v_fma_f64 v[82:83], v[62:63], v[82:83], 1.0
	v_cmp_nlt_f64_e32 vcc, s[4:5], v[52:53]
	s_mov_b32 s4, 0
	v_fma_f64 v[62:63], v[62:63], v[82:83], 1.0
	v_cvt_i32_f64_e32 v58, v[58:59]
	s_mov_b32 s5, 0xc090cc00
	v_ldexp_f64 v[58:59], v[62:63], v58
	v_mov_b32_e32 v62, 0x7ff00000
	v_cmp_ngt_f64_e64 s[4:5], s[4:5], v[52:53]
	v_cndmask_b32_e32 v59, v62, v59, vcc
	s_and_b64 vcc, s[4:5], vcc
	v_cndmask_b32_e64 v63, 0, v59, s[4:5]
	v_cndmask_b32_e32 v62, 0, v58, vcc
	v_add_f64 v[36:37], v[36:37], v[62:63]
.LBB693_251:
	s_or_b64 exec, exec, s[8:9]
.LBB693_252:
	s_or_b64 exec, exec, s[10:11]
	v_pk_mov_b32 v[52:53], 0, 0
	v_pk_mov_b32 v[58:59], v[52:53], v[52:53] op_sel:[0,1]
	s_and_saveexec_b64 s[8:9], s[6:7]
	s_cbranch_execz .LBB693_256
; %bb.253:
	global_load_ubyte v58, v[4:5], off offset:480
	s_waitcnt vmcnt(0)
	v_and_b32_e32 v58, 1, v58
	v_cmp_eq_u32_e32 vcc, 1, v58
	s_xor_b64 s[4:5], vcc, -1
	v_pk_mov_b32 v[58:59], 0, 0
	s_and_saveexec_b64 s[6:7], s[4:5]
	s_cbranch_execz .LBB693_255
; %bb.254:
	s_mov_b32 s4, 0x652b82fe
	v_add_f64 v[50:51], v[50:51], -v[38:39]
	s_mov_b32 s5, 0x3ff71547
	v_mul_f64 v[58:59], v[50:51], s[4:5]
	s_mov_b32 s4, 0xfefa39ef
	v_rndne_f64_e32 v[58:59], v[58:59]
	s_mov_b32 s5, 0xbfe62e42
	v_fma_f64 v[82:83], s[4:5], v[58:59], v[50:51]
	s_mov_b32 s4, 0x3b39803f
	s_mov_b32 s5, 0xbc7abc9e
	v_fmac_f64_e32 v[82:83], s[4:5], v[58:59]
	s_mov_b32 s4, 0x6a5dcb37
	v_mov_b32_e32 v84, 0xfca7ab0c
	v_mov_b32_e32 v85, 0x3e928af3
	s_mov_b32 s5, 0x3e5ade15
	v_fmac_f64_e32 v[84:85], s[4:5], v[82:83]
	v_mov_b32_e32 v86, 0x623fde64
	v_mov_b32_e32 v87, 0x3ec71dee
	v_fmac_f64_e32 v[86:87], v[82:83], v[84:85]
	v_mov_b32_e32 v84, 0x7c89e6b0
	v_mov_b32_e32 v85, 0x3efa0199
	;; [unrolled: 3-line block ×8, first 2 shown]
	s_mov_b32 s4, 0
	v_fmac_f64_e32 v[84:85], v[82:83], v[86:87]
	s_mov_b32 s5, 0x40900000
	v_fma_f64 v[84:85], v[82:83], v[84:85], 1.0
	v_cmp_nlt_f64_e32 vcc, s[4:5], v[50:51]
	s_mov_b32 s4, 0
	v_fma_f64 v[82:83], v[82:83], v[84:85], 1.0
	v_cvt_i32_f64_e32 v58, v[58:59]
	s_mov_b32 s5, 0xc090cc00
	v_ldexp_f64 v[58:59], v[82:83], v58
	v_mov_b32_e32 v82, 0x7ff00000
	v_cmp_ngt_f64_e64 s[4:5], s[4:5], v[50:51]
	v_cndmask_b32_e32 v59, v82, v59, vcc
	s_and_b64 vcc, s[4:5], vcc
	v_cndmask_b32_e64 v59, 0, v59, s[4:5]
	v_cndmask_b32_e32 v58, 0, v58, vcc
	v_add_f64 v[36:37], v[36:37], v[58:59]
.LBB693_255:
	s_or_b64 exec, exec, s[6:7]
.LBB693_256:
	s_or_b64 exec, exec, s[8:9]
	s_and_saveexec_b64 s[6:7], s[66:67]
	s_cbranch_execz .LBB693_260
; %bb.257:
	global_load_ubyte v50, v[4:5], off offset:512
	v_pk_mov_b32 v[52:53], 0, 0
	s_waitcnt vmcnt(0)
	v_and_b32_e32 v50, 1, v50
	v_cmp_eq_u32_e32 vcc, 1, v50
	s_xor_b64 s[4:5], vcc, -1
	s_and_saveexec_b64 s[8:9], s[4:5]
	s_cbranch_execz .LBB693_259
; %bb.258:
	s_mov_b32 s4, 0x652b82fe
	v_add_f64 v[44:45], v[44:45], -v[38:39]
	s_mov_b32 s5, 0x3ff71547
	v_mul_f64 v[50:51], v[44:45], s[4:5]
	s_mov_b32 s4, 0xfefa39ef
	v_rndne_f64_e32 v[50:51], v[50:51]
	s_mov_b32 s5, 0xbfe62e42
	v_fma_f64 v[52:53], s[4:5], v[50:51], v[44:45]
	s_mov_b32 s4, 0x3b39803f
	s_mov_b32 s5, 0xbc7abc9e
	v_fmac_f64_e32 v[52:53], s[4:5], v[50:51]
	s_mov_b32 s4, 0x6a5dcb37
	v_mov_b32_e32 v82, 0xfca7ab0c
	v_mov_b32_e32 v83, 0x3e928af3
	s_mov_b32 s5, 0x3e5ade15
	v_fmac_f64_e32 v[82:83], s[4:5], v[52:53]
	v_mov_b32_e32 v84, 0x623fde64
	v_mov_b32_e32 v85, 0x3ec71dee
	v_fmac_f64_e32 v[84:85], v[52:53], v[82:83]
	v_mov_b32_e32 v82, 0x7c89e6b0
	v_mov_b32_e32 v83, 0x3efa0199
	;; [unrolled: 3-line block ×8, first 2 shown]
	s_mov_b32 s4, 0
	v_fmac_f64_e32 v[82:83], v[52:53], v[84:85]
	s_mov_b32 s5, 0x40900000
	v_fma_f64 v[82:83], v[52:53], v[82:83], 1.0
	v_cmp_nlt_f64_e32 vcc, s[4:5], v[44:45]
	s_mov_b32 s4, 0
	v_fma_f64 v[52:53], v[52:53], v[82:83], 1.0
	v_cvt_i32_f64_e32 v50, v[50:51]
	s_mov_b32 s5, 0xc090cc00
	v_ldexp_f64 v[50:51], v[52:53], v50
	v_mov_b32_e32 v52, 0x7ff00000
	v_cmp_ngt_f64_e64 s[4:5], s[4:5], v[44:45]
	v_cndmask_b32_e32 v51, v52, v51, vcc
	s_and_b64 vcc, s[4:5], vcc
	v_cndmask_b32_e64 v53, 0, v51, s[4:5]
	v_cndmask_b32_e32 v52, 0, v50, vcc
	v_add_f64 v[36:37], v[36:37], v[52:53]
.LBB693_259:
	s_or_b64 exec, exec, s[8:9]
.LBB693_260:
	s_or_b64 exec, exec, s[6:7]
	v_pk_mov_b32 v[44:45], 0, 0
	v_pk_mov_b32 v[50:51], v[44:45], v[44:45] op_sel:[0,1]
	s_and_saveexec_b64 s[6:7], s[2:3]
	s_cbranch_execz .LBB693_264
; %bb.261:
	global_load_ubyte v50, v[4:5], off offset:544
	s_waitcnt vmcnt(0)
	v_and_b32_e32 v50, 1, v50
	v_cmp_eq_u32_e32 vcc, 1, v50
	s_xor_b64 s[4:5], vcc, -1
	v_pk_mov_b32 v[50:51], 0, 0
	s_and_saveexec_b64 s[2:3], s[4:5]
	s_cbranch_execz .LBB693_263
; %bb.262:
	s_mov_b32 s4, 0x652b82fe
	v_add_f64 v[42:43], v[42:43], -v[38:39]
	s_mov_b32 s5, 0x3ff71547
	v_mul_f64 v[50:51], v[42:43], s[4:5]
	s_mov_b32 s4, 0xfefa39ef
	v_rndne_f64_e32 v[50:51], v[50:51]
	s_mov_b32 s5, 0xbfe62e42
	v_fma_f64 v[82:83], s[4:5], v[50:51], v[42:43]
	s_mov_b32 s4, 0x3b39803f
	s_mov_b32 s5, 0xbc7abc9e
	v_fmac_f64_e32 v[82:83], s[4:5], v[50:51]
	s_mov_b32 s4, 0x6a5dcb37
	v_mov_b32_e32 v84, 0xfca7ab0c
	v_mov_b32_e32 v85, 0x3e928af3
	s_mov_b32 s5, 0x3e5ade15
	v_fmac_f64_e32 v[84:85], s[4:5], v[82:83]
	v_mov_b32_e32 v86, 0x623fde64
	v_mov_b32_e32 v87, 0x3ec71dee
	v_fmac_f64_e32 v[86:87], v[82:83], v[84:85]
	v_mov_b32_e32 v84, 0x7c89e6b0
	v_mov_b32_e32 v85, 0x3efa0199
	;; [unrolled: 3-line block ×8, first 2 shown]
	s_mov_b32 s4, 0
	v_fmac_f64_e32 v[84:85], v[82:83], v[86:87]
	s_mov_b32 s5, 0x40900000
	v_fma_f64 v[84:85], v[82:83], v[84:85], 1.0
	v_cmp_nlt_f64_e32 vcc, s[4:5], v[42:43]
	s_mov_b32 s4, 0
	v_fma_f64 v[82:83], v[82:83], v[84:85], 1.0
	v_cvt_i32_f64_e32 v50, v[50:51]
	s_mov_b32 s5, 0xc090cc00
	v_ldexp_f64 v[50:51], v[82:83], v50
	v_mov_b32_e32 v82, 0x7ff00000
	v_cmp_ngt_f64_e64 s[4:5], s[4:5], v[42:43]
	v_cndmask_b32_e32 v51, v82, v51, vcc
	s_and_b64 vcc, s[4:5], vcc
	v_cndmask_b32_e64 v51, 0, v51, s[4:5]
	v_cndmask_b32_e32 v50, 0, v50, vcc
	v_add_f64 v[36:37], v[36:37], v[50:51]
.LBB693_263:
	s_or_b64 exec, exec, s[2:3]
.LBB693_264:
	s_or_b64 exec, exec, s[6:7]
	s_and_saveexec_b64 s[2:3], s[0:1]
	s_cbranch_execz .LBB693_268
; %bb.265:
	global_load_ubyte v42, v[4:5], off offset:576
	v_pk_mov_b32 v[44:45], 0, 0
	s_waitcnt vmcnt(0)
	v_and_b32_e32 v42, 1, v42
	v_cmp_eq_u32_e32 vcc, 1, v42
	s_xor_b64 s[4:5], vcc, -1
	s_and_saveexec_b64 s[0:1], s[4:5]
	s_cbranch_execz .LBB693_267
; %bb.266:
	s_mov_b32 s4, 0x652b82fe
	v_add_f64 v[34:35], v[34:35], -v[38:39]
	s_mov_b32 s5, 0x3ff71547
	v_mul_f64 v[42:43], v[34:35], s[4:5]
	s_mov_b32 s4, 0xfefa39ef
	v_rndne_f64_e32 v[42:43], v[42:43]
	s_mov_b32 s5, 0xbfe62e42
	v_fma_f64 v[44:45], s[4:5], v[42:43], v[34:35]
	s_mov_b32 s4, 0x3b39803f
	s_mov_b32 s5, 0xbc7abc9e
	v_fmac_f64_e32 v[44:45], s[4:5], v[42:43]
	s_mov_b32 s4, 0x6a5dcb37
	v_mov_b32_e32 v82, 0xfca7ab0c
	v_mov_b32_e32 v83, 0x3e928af3
	s_mov_b32 s5, 0x3e5ade15
	v_fmac_f64_e32 v[82:83], s[4:5], v[44:45]
	v_mov_b32_e32 v84, 0x623fde64
	v_mov_b32_e32 v85, 0x3ec71dee
	v_fmac_f64_e32 v[84:85], v[44:45], v[82:83]
	v_mov_b32_e32 v82, 0x7c89e6b0
	v_mov_b32_e32 v83, 0x3efa0199
	;; [unrolled: 3-line block ×8, first 2 shown]
	s_mov_b32 s4, 0
	v_fmac_f64_e32 v[82:83], v[44:45], v[84:85]
	s_mov_b32 s5, 0x40900000
	v_fma_f64 v[82:83], v[44:45], v[82:83], 1.0
	v_cmp_nlt_f64_e32 vcc, s[4:5], v[34:35]
	s_mov_b32 s4, 0
	v_fma_f64 v[44:45], v[44:45], v[82:83], 1.0
	v_cvt_i32_f64_e32 v42, v[42:43]
	s_mov_b32 s5, 0xc090cc00
	v_ldexp_f64 v[42:43], v[44:45], v42
	v_mov_b32_e32 v44, 0x7ff00000
	v_cmp_ngt_f64_e64 s[4:5], s[4:5], v[34:35]
	v_cndmask_b32_e32 v43, v44, v43, vcc
	s_and_b64 vcc, s[4:5], vcc
	v_cndmask_b32_e64 v45, 0, v43, s[4:5]
	v_cndmask_b32_e32 v44, 0, v42, vcc
	v_add_f64 v[36:37], v[36:37], v[44:45]
.LBB693_267:
	s_or_b64 exec, exec, s[0:1]
.LBB693_268:
	s_or_b64 exec, exec, s[2:3]
	v_pk_mov_b32 v[34:35], 0, 0
	v_pk_mov_b32 v[42:43], v[34:35], v[34:35] op_sel:[0,1]
	s_and_saveexec_b64 s[0:1], s[72:73]
	s_cbranch_execz .LBB693_272
; %bb.269:
	global_load_ubyte v42, v[4:5], off offset:608
	s_waitcnt vmcnt(0)
	v_and_b32_e32 v42, 1, v42
	v_cmp_eq_u32_e32 vcc, 1, v42
	s_xor_b64 s[4:5], vcc, -1
	v_pk_mov_b32 v[42:43], 0, 0
	s_and_saveexec_b64 s[2:3], s[4:5]
	s_cbranch_execz .LBB693_271
; %bb.270:
	s_mov_b32 s4, 0x652b82fe
	v_add_f64 v[28:29], v[28:29], -v[38:39]
	s_mov_b32 s5, 0x3ff71547
	v_mul_f64 v[42:43], v[28:29], s[4:5]
	s_mov_b32 s4, 0xfefa39ef
	v_rndne_f64_e32 v[42:43], v[42:43]
	s_mov_b32 s5, 0xbfe62e42
	v_fma_f64 v[82:83], s[4:5], v[42:43], v[28:29]
	s_mov_b32 s4, 0x3b39803f
	s_mov_b32 s5, 0xbc7abc9e
	v_fmac_f64_e32 v[82:83], s[4:5], v[42:43]
	s_mov_b32 s4, 0x6a5dcb37
	v_mov_b32_e32 v84, 0xfca7ab0c
	v_mov_b32_e32 v85, 0x3e928af3
	s_mov_b32 s5, 0x3e5ade15
	v_fmac_f64_e32 v[84:85], s[4:5], v[82:83]
	v_mov_b32_e32 v86, 0x623fde64
	v_mov_b32_e32 v87, 0x3ec71dee
	v_fmac_f64_e32 v[86:87], v[82:83], v[84:85]
	v_mov_b32_e32 v84, 0x7c89e6b0
	v_mov_b32_e32 v85, 0x3efa0199
	;; [unrolled: 3-line block ×8, first 2 shown]
	s_mov_b32 s4, 0
	v_fmac_f64_e32 v[84:85], v[82:83], v[86:87]
	s_mov_b32 s5, 0x40900000
	v_fma_f64 v[84:85], v[82:83], v[84:85], 1.0
	v_cmp_nlt_f64_e32 vcc, s[4:5], v[28:29]
	s_mov_b32 s4, 0
	v_fma_f64 v[82:83], v[82:83], v[84:85], 1.0
	v_cvt_i32_f64_e32 v42, v[42:43]
	s_mov_b32 s5, 0xc090cc00
	v_ldexp_f64 v[42:43], v[82:83], v42
	v_mov_b32_e32 v82, 0x7ff00000
	v_cmp_ngt_f64_e64 s[4:5], s[4:5], v[28:29]
	v_cndmask_b32_e32 v43, v82, v43, vcc
	s_and_b64 vcc, s[4:5], vcc
	v_cndmask_b32_e64 v43, 0, v43, s[4:5]
	v_cndmask_b32_e32 v42, 0, v42, vcc
	v_add_f64 v[36:37], v[36:37], v[42:43]
.LBB693_271:
	s_or_b64 exec, exec, s[2:3]
.LBB693_272:
	s_or_b64 exec, exec, s[0:1]
	s_and_saveexec_b64 s[0:1], s[94:95]
	s_cbranch_execz .LBB693_276
; %bb.273:
	global_load_ubyte v28, v[4:5], off offset:640
	v_pk_mov_b32 v[34:35], 0, 0
	s_waitcnt vmcnt(0)
	v_and_b32_e32 v28, 1, v28
	v_cmp_eq_u32_e32 vcc, 1, v28
	s_xor_b64 s[4:5], vcc, -1
	s_and_saveexec_b64 s[2:3], s[4:5]
	s_cbranch_execz .LBB693_275
; %bb.274:
	s_mov_b32 s4, 0x652b82fe
	v_add_f64 v[26:27], v[26:27], -v[38:39]
	s_mov_b32 s5, 0x3ff71547
	v_mul_f64 v[28:29], v[26:27], s[4:5]
	s_mov_b32 s4, 0xfefa39ef
	v_rndne_f64_e32 v[28:29], v[28:29]
	s_mov_b32 s5, 0xbfe62e42
	v_fma_f64 v[34:35], s[4:5], v[28:29], v[26:27]
	s_mov_b32 s4, 0x3b39803f
	s_mov_b32 s5, 0xbc7abc9e
	v_fmac_f64_e32 v[34:35], s[4:5], v[28:29]
	s_mov_b32 s4, 0x6a5dcb37
	v_mov_b32_e32 v82, 0xfca7ab0c
	v_mov_b32_e32 v83, 0x3e928af3
	s_mov_b32 s5, 0x3e5ade15
	v_fmac_f64_e32 v[82:83], s[4:5], v[34:35]
	v_mov_b32_e32 v84, 0x623fde64
	v_mov_b32_e32 v85, 0x3ec71dee
	v_fmac_f64_e32 v[84:85], v[34:35], v[82:83]
	v_mov_b32_e32 v82, 0x7c89e6b0
	v_mov_b32_e32 v83, 0x3efa0199
	;; [unrolled: 3-line block ×8, first 2 shown]
	s_mov_b32 s4, 0
	v_fmac_f64_e32 v[82:83], v[34:35], v[84:85]
	s_mov_b32 s5, 0x40900000
	v_fma_f64 v[82:83], v[34:35], v[82:83], 1.0
	v_cmp_nlt_f64_e32 vcc, s[4:5], v[26:27]
	s_mov_b32 s4, 0
	v_fma_f64 v[34:35], v[34:35], v[82:83], 1.0
	v_cvt_i32_f64_e32 v28, v[28:29]
	s_mov_b32 s5, 0xc090cc00
	v_ldexp_f64 v[28:29], v[34:35], v28
	v_mov_b32_e32 v34, 0x7ff00000
	v_cmp_ngt_f64_e64 s[4:5], s[4:5], v[26:27]
	v_cndmask_b32_e32 v29, v34, v29, vcc
	s_and_b64 vcc, s[4:5], vcc
	v_cndmask_b32_e64 v35, 0, v29, s[4:5]
	v_cndmask_b32_e32 v34, 0, v28, vcc
	v_add_f64 v[36:37], v[36:37], v[34:35]
.LBB693_275:
	s_or_b64 exec, exec, s[2:3]
.LBB693_276:
	s_or_b64 exec, exec, s[0:1]
	v_pk_mov_b32 v[26:27], 0, 0
	v_pk_mov_b32 v[28:29], v[26:27], v[26:27] op_sel:[0,1]
	s_and_saveexec_b64 s[0:1], s[92:93]
	s_cbranch_execz .LBB693_280
; %bb.277:
	global_load_ubyte v28, v[4:5], off offset:672
	s_waitcnt vmcnt(0)
	v_and_b32_e32 v28, 1, v28
	v_cmp_eq_u32_e32 vcc, 1, v28
	s_xor_b64 s[4:5], vcc, -1
	v_pk_mov_b32 v[28:29], 0, 0
	s_and_saveexec_b64 s[2:3], s[4:5]
	s_cbranch_execz .LBB693_279
; %bb.278:
	s_mov_b32 s4, 0x652b82fe
	v_add_f64 v[24:25], v[24:25], -v[38:39]
	s_mov_b32 s5, 0x3ff71547
	v_mul_f64 v[28:29], v[24:25], s[4:5]
	s_mov_b32 s4, 0xfefa39ef
	v_rndne_f64_e32 v[28:29], v[28:29]
	s_mov_b32 s5, 0xbfe62e42
	v_fma_f64 v[82:83], s[4:5], v[28:29], v[24:25]
	s_mov_b32 s4, 0x3b39803f
	s_mov_b32 s5, 0xbc7abc9e
	v_fmac_f64_e32 v[82:83], s[4:5], v[28:29]
	s_mov_b32 s4, 0x6a5dcb37
	v_mov_b32_e32 v84, 0xfca7ab0c
	v_mov_b32_e32 v85, 0x3e928af3
	s_mov_b32 s5, 0x3e5ade15
	v_fmac_f64_e32 v[84:85], s[4:5], v[82:83]
	v_mov_b32_e32 v86, 0x623fde64
	v_mov_b32_e32 v87, 0x3ec71dee
	v_fmac_f64_e32 v[86:87], v[82:83], v[84:85]
	v_mov_b32_e32 v84, 0x7c89e6b0
	v_mov_b32_e32 v85, 0x3efa0199
	;; [unrolled: 3-line block ×8, first 2 shown]
	s_mov_b32 s4, 0
	v_fmac_f64_e32 v[84:85], v[82:83], v[86:87]
	s_mov_b32 s5, 0x40900000
	v_fma_f64 v[84:85], v[82:83], v[84:85], 1.0
	v_cmp_nlt_f64_e32 vcc, s[4:5], v[24:25]
	s_mov_b32 s4, 0
	v_fma_f64 v[82:83], v[82:83], v[84:85], 1.0
	v_cvt_i32_f64_e32 v28, v[28:29]
	s_mov_b32 s5, 0xc090cc00
	v_ldexp_f64 v[28:29], v[82:83], v28
	v_mov_b32_e32 v82, 0x7ff00000
	v_cmp_ngt_f64_e64 s[4:5], s[4:5], v[24:25]
	v_cndmask_b32_e32 v29, v82, v29, vcc
	s_and_b64 vcc, s[4:5], vcc
	v_cndmask_b32_e64 v29, 0, v29, s[4:5]
	v_cndmask_b32_e32 v28, 0, v28, vcc
	v_add_f64 v[36:37], v[36:37], v[28:29]
.LBB693_279:
	s_or_b64 exec, exec, s[2:3]
.LBB693_280:
	s_or_b64 exec, exec, s[0:1]
	s_and_saveexec_b64 s[0:1], s[90:91]
	s_cbranch_execz .LBB693_284
; %bb.281:
	global_load_ubyte v24, v[4:5], off offset:704
	v_pk_mov_b32 v[26:27], 0, 0
	s_waitcnt vmcnt(0)
	v_and_b32_e32 v24, 1, v24
	v_cmp_eq_u32_e32 vcc, 1, v24
	s_xor_b64 s[4:5], vcc, -1
	s_and_saveexec_b64 s[2:3], s[4:5]
	s_cbranch_execz .LBB693_283
; %bb.282:
	s_mov_b32 s4, 0x652b82fe
	v_add_f64 v[22:23], v[22:23], -v[38:39]
	s_mov_b32 s5, 0x3ff71547
	v_mul_f64 v[24:25], v[22:23], s[4:5]
	s_mov_b32 s4, 0xfefa39ef
	v_rndne_f64_e32 v[24:25], v[24:25]
	s_mov_b32 s5, 0xbfe62e42
	v_fma_f64 v[26:27], s[4:5], v[24:25], v[22:23]
	s_mov_b32 s4, 0x3b39803f
	s_mov_b32 s5, 0xbc7abc9e
	v_fmac_f64_e32 v[26:27], s[4:5], v[24:25]
	s_mov_b32 s4, 0x6a5dcb37
	v_mov_b32_e32 v82, 0xfca7ab0c
	v_mov_b32_e32 v83, 0x3e928af3
	s_mov_b32 s5, 0x3e5ade15
	v_fmac_f64_e32 v[82:83], s[4:5], v[26:27]
	v_mov_b32_e32 v84, 0x623fde64
	v_mov_b32_e32 v85, 0x3ec71dee
	v_fmac_f64_e32 v[84:85], v[26:27], v[82:83]
	v_mov_b32_e32 v82, 0x7c89e6b0
	v_mov_b32_e32 v83, 0x3efa0199
	;; [unrolled: 3-line block ×8, first 2 shown]
	s_mov_b32 s4, 0
	v_fmac_f64_e32 v[82:83], v[26:27], v[84:85]
	s_mov_b32 s5, 0x40900000
	v_fma_f64 v[82:83], v[26:27], v[82:83], 1.0
	v_cmp_nlt_f64_e32 vcc, s[4:5], v[22:23]
	s_mov_b32 s4, 0
	v_fma_f64 v[26:27], v[26:27], v[82:83], 1.0
	v_cvt_i32_f64_e32 v24, v[24:25]
	s_mov_b32 s5, 0xc090cc00
	v_ldexp_f64 v[24:25], v[26:27], v24
	v_mov_b32_e32 v26, 0x7ff00000
	v_cmp_ngt_f64_e64 s[4:5], s[4:5], v[22:23]
	v_cndmask_b32_e32 v25, v26, v25, vcc
	s_and_b64 vcc, s[4:5], vcc
	v_cndmask_b32_e64 v27, 0, v25, s[4:5]
	v_cndmask_b32_e32 v26, 0, v24, vcc
	v_add_f64 v[36:37], v[36:37], v[26:27]
.LBB693_283:
	s_or_b64 exec, exec, s[2:3]
.LBB693_284:
	s_or_b64 exec, exec, s[0:1]
	v_pk_mov_b32 v[22:23], 0, 0
	v_pk_mov_b32 v[24:25], v[22:23], v[22:23] op_sel:[0,1]
	s_and_saveexec_b64 s[0:1], s[88:89]
	s_cbranch_execz .LBB693_288
; %bb.285:
	global_load_ubyte v24, v[4:5], off offset:736
	s_waitcnt vmcnt(0)
	v_and_b32_e32 v24, 1, v24
	v_cmp_eq_u32_e32 vcc, 1, v24
	s_xor_b64 s[4:5], vcc, -1
	v_pk_mov_b32 v[24:25], 0, 0
	s_and_saveexec_b64 s[2:3], s[4:5]
	s_cbranch_execz .LBB693_287
; %bb.286:
	s_mov_b32 s4, 0x652b82fe
	v_add_f64 v[20:21], v[20:21], -v[38:39]
	s_mov_b32 s5, 0x3ff71547
	v_mul_f64 v[24:25], v[20:21], s[4:5]
	s_mov_b32 s4, 0xfefa39ef
	v_rndne_f64_e32 v[24:25], v[24:25]
	s_mov_b32 s5, 0xbfe62e42
	v_fma_f64 v[82:83], s[4:5], v[24:25], v[20:21]
	s_mov_b32 s4, 0x3b39803f
	s_mov_b32 s5, 0xbc7abc9e
	v_fmac_f64_e32 v[82:83], s[4:5], v[24:25]
	s_mov_b32 s4, 0x6a5dcb37
	v_mov_b32_e32 v84, 0xfca7ab0c
	v_mov_b32_e32 v85, 0x3e928af3
	s_mov_b32 s5, 0x3e5ade15
	v_fmac_f64_e32 v[84:85], s[4:5], v[82:83]
	v_mov_b32_e32 v86, 0x623fde64
	v_mov_b32_e32 v87, 0x3ec71dee
	v_fmac_f64_e32 v[86:87], v[82:83], v[84:85]
	v_mov_b32_e32 v84, 0x7c89e6b0
	v_mov_b32_e32 v85, 0x3efa0199
	;; [unrolled: 3-line block ×8, first 2 shown]
	s_mov_b32 s4, 0
	v_fmac_f64_e32 v[84:85], v[82:83], v[86:87]
	s_mov_b32 s5, 0x40900000
	v_fma_f64 v[84:85], v[82:83], v[84:85], 1.0
	v_cmp_nlt_f64_e32 vcc, s[4:5], v[20:21]
	s_mov_b32 s4, 0
	v_fma_f64 v[82:83], v[82:83], v[84:85], 1.0
	v_cvt_i32_f64_e32 v24, v[24:25]
	s_mov_b32 s5, 0xc090cc00
	v_ldexp_f64 v[24:25], v[82:83], v24
	v_mov_b32_e32 v82, 0x7ff00000
	v_cmp_ngt_f64_e64 s[4:5], s[4:5], v[20:21]
	v_cndmask_b32_e32 v25, v82, v25, vcc
	s_and_b64 vcc, s[4:5], vcc
	v_cndmask_b32_e64 v25, 0, v25, s[4:5]
	v_cndmask_b32_e32 v24, 0, v24, vcc
	v_add_f64 v[36:37], v[36:37], v[24:25]
.LBB693_287:
	s_or_b64 exec, exec, s[2:3]
.LBB693_288:
	s_or_b64 exec, exec, s[0:1]
	s_and_saveexec_b64 s[0:1], s[86:87]
	s_cbranch_execz .LBB693_292
; %bb.289:
	global_load_ubyte v20, v[4:5], off offset:768
	v_pk_mov_b32 v[22:23], 0, 0
	s_waitcnt vmcnt(0)
	v_and_b32_e32 v20, 1, v20
	v_cmp_eq_u32_e32 vcc, 1, v20
	s_xor_b64 s[4:5], vcc, -1
	s_and_saveexec_b64 s[2:3], s[4:5]
	s_cbranch_execz .LBB693_291
; %bb.290:
	s_mov_b32 s4, 0x652b82fe
	v_add_f64 v[18:19], v[18:19], -v[38:39]
	s_mov_b32 s5, 0x3ff71547
	v_mul_f64 v[20:21], v[18:19], s[4:5]
	s_mov_b32 s4, 0xfefa39ef
	v_rndne_f64_e32 v[20:21], v[20:21]
	s_mov_b32 s5, 0xbfe62e42
	v_fma_f64 v[22:23], s[4:5], v[20:21], v[18:19]
	s_mov_b32 s4, 0x3b39803f
	s_mov_b32 s5, 0xbc7abc9e
	v_fmac_f64_e32 v[22:23], s[4:5], v[20:21]
	s_mov_b32 s4, 0x6a5dcb37
	v_mov_b32_e32 v82, 0xfca7ab0c
	v_mov_b32_e32 v83, 0x3e928af3
	s_mov_b32 s5, 0x3e5ade15
	v_fmac_f64_e32 v[82:83], s[4:5], v[22:23]
	v_mov_b32_e32 v84, 0x623fde64
	v_mov_b32_e32 v85, 0x3ec71dee
	v_fmac_f64_e32 v[84:85], v[22:23], v[82:83]
	v_mov_b32_e32 v82, 0x7c89e6b0
	v_mov_b32_e32 v83, 0x3efa0199
	;; [unrolled: 3-line block ×8, first 2 shown]
	s_mov_b32 s4, 0
	v_fmac_f64_e32 v[82:83], v[22:23], v[84:85]
	s_mov_b32 s5, 0x40900000
	v_fma_f64 v[82:83], v[22:23], v[82:83], 1.0
	v_cmp_nlt_f64_e32 vcc, s[4:5], v[18:19]
	s_mov_b32 s4, 0
	v_fma_f64 v[22:23], v[22:23], v[82:83], 1.0
	v_cvt_i32_f64_e32 v20, v[20:21]
	s_mov_b32 s5, 0xc090cc00
	v_ldexp_f64 v[20:21], v[22:23], v20
	v_mov_b32_e32 v22, 0x7ff00000
	v_cmp_ngt_f64_e64 s[4:5], s[4:5], v[18:19]
	v_cndmask_b32_e32 v21, v22, v21, vcc
	s_and_b64 vcc, s[4:5], vcc
	v_cndmask_b32_e64 v23, 0, v21, s[4:5]
	v_cndmask_b32_e32 v22, 0, v20, vcc
	v_add_f64 v[36:37], v[36:37], v[22:23]
.LBB693_291:
	s_or_b64 exec, exec, s[2:3]
.LBB693_292:
	s_or_b64 exec, exec, s[0:1]
	v_pk_mov_b32 v[18:19], 0, 0
	v_pk_mov_b32 v[20:21], v[18:19], v[18:19] op_sel:[0,1]
	s_and_saveexec_b64 s[0:1], s[84:85]
	s_cbranch_execz .LBB693_296
; %bb.293:
	global_load_ubyte v20, v[4:5], off offset:800
	s_waitcnt vmcnt(0)
	v_and_b32_e32 v20, 1, v20
	v_cmp_eq_u32_e32 vcc, 1, v20
	s_xor_b64 s[4:5], vcc, -1
	v_pk_mov_b32 v[20:21], 0, 0
	s_and_saveexec_b64 s[2:3], s[4:5]
	s_cbranch_execz .LBB693_295
; %bb.294:
	s_mov_b32 s4, 0x652b82fe
	v_add_f64 v[16:17], v[16:17], -v[38:39]
	s_mov_b32 s5, 0x3ff71547
	v_mul_f64 v[20:21], v[16:17], s[4:5]
	s_mov_b32 s4, 0xfefa39ef
	v_rndne_f64_e32 v[20:21], v[20:21]
	s_mov_b32 s5, 0xbfe62e42
	v_fma_f64 v[82:83], s[4:5], v[20:21], v[16:17]
	s_mov_b32 s4, 0x3b39803f
	s_mov_b32 s5, 0xbc7abc9e
	v_fmac_f64_e32 v[82:83], s[4:5], v[20:21]
	s_mov_b32 s4, 0x6a5dcb37
	v_mov_b32_e32 v84, 0xfca7ab0c
	v_mov_b32_e32 v85, 0x3e928af3
	s_mov_b32 s5, 0x3e5ade15
	v_fmac_f64_e32 v[84:85], s[4:5], v[82:83]
	v_mov_b32_e32 v86, 0x623fde64
	v_mov_b32_e32 v87, 0x3ec71dee
	v_fmac_f64_e32 v[86:87], v[82:83], v[84:85]
	v_mov_b32_e32 v84, 0x7c89e6b0
	v_mov_b32_e32 v85, 0x3efa0199
	;; [unrolled: 3-line block ×8, first 2 shown]
	s_mov_b32 s4, 0
	v_fmac_f64_e32 v[84:85], v[82:83], v[86:87]
	s_mov_b32 s5, 0x40900000
	v_fma_f64 v[84:85], v[82:83], v[84:85], 1.0
	v_cmp_nlt_f64_e32 vcc, s[4:5], v[16:17]
	s_mov_b32 s4, 0
	v_fma_f64 v[82:83], v[82:83], v[84:85], 1.0
	v_cvt_i32_f64_e32 v20, v[20:21]
	s_mov_b32 s5, 0xc090cc00
	v_ldexp_f64 v[20:21], v[82:83], v20
	v_mov_b32_e32 v82, 0x7ff00000
	v_cmp_ngt_f64_e64 s[4:5], s[4:5], v[16:17]
	v_cndmask_b32_e32 v21, v82, v21, vcc
	s_and_b64 vcc, s[4:5], vcc
	v_cndmask_b32_e64 v21, 0, v21, s[4:5]
	v_cndmask_b32_e32 v20, 0, v20, vcc
	v_add_f64 v[36:37], v[36:37], v[20:21]
.LBB693_295:
	s_or_b64 exec, exec, s[2:3]
.LBB693_296:
	s_or_b64 exec, exec, s[0:1]
	s_and_saveexec_b64 s[0:1], s[82:83]
	s_cbranch_execz .LBB693_300
; %bb.297:
	global_load_ubyte v16, v[4:5], off offset:832
	v_pk_mov_b32 v[18:19], 0, 0
	s_waitcnt vmcnt(0)
	v_and_b32_e32 v16, 1, v16
	v_cmp_eq_u32_e32 vcc, 1, v16
	s_xor_b64 s[4:5], vcc, -1
	s_and_saveexec_b64 s[2:3], s[4:5]
	s_cbranch_execz .LBB693_299
; %bb.298:
	s_mov_b32 s4, 0x652b82fe
	v_add_f64 v[14:15], v[14:15], -v[38:39]
	s_mov_b32 s5, 0x3ff71547
	v_mul_f64 v[16:17], v[14:15], s[4:5]
	s_mov_b32 s4, 0xfefa39ef
	v_rndne_f64_e32 v[16:17], v[16:17]
	s_mov_b32 s5, 0xbfe62e42
	v_fma_f64 v[18:19], s[4:5], v[16:17], v[14:15]
	s_mov_b32 s4, 0x3b39803f
	s_mov_b32 s5, 0xbc7abc9e
	v_fmac_f64_e32 v[18:19], s[4:5], v[16:17]
	s_mov_b32 s4, 0x6a5dcb37
	v_mov_b32_e32 v82, 0xfca7ab0c
	v_mov_b32_e32 v83, 0x3e928af3
	s_mov_b32 s5, 0x3e5ade15
	v_fmac_f64_e32 v[82:83], s[4:5], v[18:19]
	v_mov_b32_e32 v84, 0x623fde64
	v_mov_b32_e32 v85, 0x3ec71dee
	v_fmac_f64_e32 v[84:85], v[18:19], v[82:83]
	v_mov_b32_e32 v82, 0x7c89e6b0
	v_mov_b32_e32 v83, 0x3efa0199
	;; [unrolled: 3-line block ×8, first 2 shown]
	s_mov_b32 s4, 0
	v_fmac_f64_e32 v[82:83], v[18:19], v[84:85]
	s_mov_b32 s5, 0x40900000
	v_fma_f64 v[82:83], v[18:19], v[82:83], 1.0
	v_cmp_nlt_f64_e32 vcc, s[4:5], v[14:15]
	s_mov_b32 s4, 0
	v_fma_f64 v[18:19], v[18:19], v[82:83], 1.0
	v_cvt_i32_f64_e32 v16, v[16:17]
	s_mov_b32 s5, 0xc090cc00
	v_ldexp_f64 v[16:17], v[18:19], v16
	v_mov_b32_e32 v18, 0x7ff00000
	v_cmp_ngt_f64_e64 s[4:5], s[4:5], v[14:15]
	v_cndmask_b32_e32 v17, v18, v17, vcc
	s_and_b64 vcc, s[4:5], vcc
	v_cndmask_b32_e64 v19, 0, v17, s[4:5]
	v_cndmask_b32_e32 v18, 0, v16, vcc
	v_add_f64 v[36:37], v[36:37], v[18:19]
.LBB693_299:
	s_or_b64 exec, exec, s[2:3]
.LBB693_300:
	s_or_b64 exec, exec, s[0:1]
	v_pk_mov_b32 v[14:15], 0, 0
	v_pk_mov_b32 v[16:17], v[14:15], v[14:15] op_sel:[0,1]
	s_and_saveexec_b64 s[0:1], s[80:81]
	s_cbranch_execz .LBB693_304
; %bb.301:
	global_load_ubyte v16, v[4:5], off offset:864
	s_waitcnt vmcnt(0)
	v_and_b32_e32 v16, 1, v16
	v_cmp_eq_u32_e32 vcc, 1, v16
	s_xor_b64 s[4:5], vcc, -1
	v_pk_mov_b32 v[16:17], 0, 0
	s_and_saveexec_b64 s[2:3], s[4:5]
	s_cbranch_execz .LBB693_303
; %bb.302:
	s_mov_b32 s4, 0x652b82fe
	v_add_f64 v[12:13], v[12:13], -v[38:39]
	s_mov_b32 s5, 0x3ff71547
	v_mul_f64 v[16:17], v[12:13], s[4:5]
	s_mov_b32 s4, 0xfefa39ef
	v_rndne_f64_e32 v[16:17], v[16:17]
	s_mov_b32 s5, 0xbfe62e42
	v_fma_f64 v[82:83], s[4:5], v[16:17], v[12:13]
	s_mov_b32 s4, 0x3b39803f
	s_mov_b32 s5, 0xbc7abc9e
	v_fmac_f64_e32 v[82:83], s[4:5], v[16:17]
	s_mov_b32 s4, 0x6a5dcb37
	v_mov_b32_e32 v84, 0xfca7ab0c
	v_mov_b32_e32 v85, 0x3e928af3
	s_mov_b32 s5, 0x3e5ade15
	v_fmac_f64_e32 v[84:85], s[4:5], v[82:83]
	v_mov_b32_e32 v86, 0x623fde64
	v_mov_b32_e32 v87, 0x3ec71dee
	v_fmac_f64_e32 v[86:87], v[82:83], v[84:85]
	v_mov_b32_e32 v84, 0x7c89e6b0
	v_mov_b32_e32 v85, 0x3efa0199
	;; [unrolled: 3-line block ×8, first 2 shown]
	s_mov_b32 s4, 0
	v_fmac_f64_e32 v[84:85], v[82:83], v[86:87]
	s_mov_b32 s5, 0x40900000
	v_fma_f64 v[84:85], v[82:83], v[84:85], 1.0
	v_cmp_nlt_f64_e32 vcc, s[4:5], v[12:13]
	s_mov_b32 s4, 0
	v_fma_f64 v[82:83], v[82:83], v[84:85], 1.0
	v_cvt_i32_f64_e32 v16, v[16:17]
	s_mov_b32 s5, 0xc090cc00
	v_ldexp_f64 v[16:17], v[82:83], v16
	v_mov_b32_e32 v82, 0x7ff00000
	v_cmp_ngt_f64_e64 s[4:5], s[4:5], v[12:13]
	v_cndmask_b32_e32 v17, v82, v17, vcc
	s_and_b64 vcc, s[4:5], vcc
	v_cndmask_b32_e64 v17, 0, v17, s[4:5]
	v_cndmask_b32_e32 v16, 0, v16, vcc
	v_add_f64 v[36:37], v[36:37], v[16:17]
.LBB693_303:
	s_or_b64 exec, exec, s[2:3]
.LBB693_304:
	s_or_b64 exec, exec, s[0:1]
	s_and_saveexec_b64 s[0:1], s[78:79]
	s_cbranch_execz .LBB693_308
; %bb.305:
	global_load_ubyte v12, v[4:5], off offset:896
	v_pk_mov_b32 v[14:15], 0, 0
	s_waitcnt vmcnt(0)
	v_and_b32_e32 v12, 1, v12
	v_cmp_eq_u32_e32 vcc, 1, v12
	s_xor_b64 s[4:5], vcc, -1
	s_and_saveexec_b64 s[2:3], s[4:5]
	s_cbranch_execz .LBB693_307
; %bb.306:
	s_mov_b32 s4, 0x652b82fe
	v_add_f64 v[10:11], v[10:11], -v[38:39]
	s_mov_b32 s5, 0x3ff71547
	v_mul_f64 v[12:13], v[10:11], s[4:5]
	s_mov_b32 s4, 0xfefa39ef
	v_rndne_f64_e32 v[12:13], v[12:13]
	s_mov_b32 s5, 0xbfe62e42
	v_fma_f64 v[14:15], s[4:5], v[12:13], v[10:11]
	s_mov_b32 s4, 0x3b39803f
	s_mov_b32 s5, 0xbc7abc9e
	v_fmac_f64_e32 v[14:15], s[4:5], v[12:13]
	s_mov_b32 s4, 0x6a5dcb37
	v_mov_b32_e32 v82, 0xfca7ab0c
	v_mov_b32_e32 v83, 0x3e928af3
	s_mov_b32 s5, 0x3e5ade15
	v_fmac_f64_e32 v[82:83], s[4:5], v[14:15]
	v_mov_b32_e32 v84, 0x623fde64
	v_mov_b32_e32 v85, 0x3ec71dee
	v_fmac_f64_e32 v[84:85], v[14:15], v[82:83]
	v_mov_b32_e32 v82, 0x7c89e6b0
	v_mov_b32_e32 v83, 0x3efa0199
	;; [unrolled: 3-line block ×8, first 2 shown]
	s_mov_b32 s4, 0
	v_fmac_f64_e32 v[82:83], v[14:15], v[84:85]
	s_mov_b32 s5, 0x40900000
	v_fma_f64 v[82:83], v[14:15], v[82:83], 1.0
	v_cmp_nlt_f64_e32 vcc, s[4:5], v[10:11]
	s_mov_b32 s4, 0
	v_fma_f64 v[14:15], v[14:15], v[82:83], 1.0
	v_cvt_i32_f64_e32 v12, v[12:13]
	s_mov_b32 s5, 0xc090cc00
	v_ldexp_f64 v[12:13], v[14:15], v12
	v_mov_b32_e32 v14, 0x7ff00000
	v_cmp_ngt_f64_e64 s[4:5], s[4:5], v[10:11]
	v_cndmask_b32_e32 v13, v14, v13, vcc
	s_and_b64 vcc, s[4:5], vcc
	v_cndmask_b32_e64 v15, 0, v13, s[4:5]
	v_cndmask_b32_e32 v14, 0, v12, vcc
	v_add_f64 v[36:37], v[36:37], v[14:15]
.LBB693_307:
	s_or_b64 exec, exec, s[2:3]
.LBB693_308:
	s_or_b64 exec, exec, s[0:1]
	v_pk_mov_b32 v[10:11], 0, 0
	v_pk_mov_b32 v[12:13], v[10:11], v[10:11] op_sel:[0,1]
	s_and_saveexec_b64 s[0:1], s[76:77]
	s_cbranch_execnz .LBB693_311
; %bb.309:
	s_or_b64 exec, exec, s[0:1]
	s_and_saveexec_b64 s[0:1], s[74:75]
	s_cbranch_execnz .LBB693_314
.LBB693_310:
	s_or_b64 exec, exec, s[0:1]
	v_pk_mov_b32 v[6:7], 0, 0
	s_and_saveexec_b64 s[0:1], s[68:69]
	s_cbranch_execnz .LBB693_317
	s_branch .LBB693_320
.LBB693_311:
	global_load_ubyte v12, v[4:5], off offset:928
	s_waitcnt vmcnt(0)
	v_and_b32_e32 v12, 1, v12
	v_cmp_eq_u32_e32 vcc, 1, v12
	s_xor_b64 s[4:5], vcc, -1
	v_pk_mov_b32 v[12:13], 0, 0
	s_and_saveexec_b64 s[2:3], s[4:5]
	s_cbranch_execz .LBB693_313
; %bb.312:
	s_mov_b32 s4, 0x652b82fe
	v_add_f64 v[8:9], v[8:9], -v[38:39]
	s_mov_b32 s5, 0x3ff71547
	v_mul_f64 v[12:13], v[8:9], s[4:5]
	s_mov_b32 s4, 0xfefa39ef
	v_rndne_f64_e32 v[12:13], v[12:13]
	s_mov_b32 s5, 0xbfe62e42
	v_fma_f64 v[82:83], s[4:5], v[12:13], v[8:9]
	s_mov_b32 s4, 0x3b39803f
	s_mov_b32 s5, 0xbc7abc9e
	v_fmac_f64_e32 v[82:83], s[4:5], v[12:13]
	s_mov_b32 s4, 0x6a5dcb37
	v_mov_b32_e32 v84, 0xfca7ab0c
	v_mov_b32_e32 v85, 0x3e928af3
	s_mov_b32 s5, 0x3e5ade15
	v_fmac_f64_e32 v[84:85], s[4:5], v[82:83]
	v_mov_b32_e32 v86, 0x623fde64
	v_mov_b32_e32 v87, 0x3ec71dee
	v_fmac_f64_e32 v[86:87], v[82:83], v[84:85]
	v_mov_b32_e32 v84, 0x7c89e6b0
	v_mov_b32_e32 v85, 0x3efa0199
	;; [unrolled: 3-line block ×8, first 2 shown]
	s_mov_b32 s4, 0
	v_fmac_f64_e32 v[84:85], v[82:83], v[86:87]
	s_mov_b32 s5, 0x40900000
	v_fma_f64 v[84:85], v[82:83], v[84:85], 1.0
	v_cmp_nlt_f64_e32 vcc, s[4:5], v[8:9]
	s_mov_b32 s4, 0
	v_fma_f64 v[82:83], v[82:83], v[84:85], 1.0
	v_cvt_i32_f64_e32 v12, v[12:13]
	s_mov_b32 s5, 0xc090cc00
	v_ldexp_f64 v[12:13], v[82:83], v12
	v_mov_b32_e32 v82, 0x7ff00000
	v_cmp_ngt_f64_e64 s[4:5], s[4:5], v[8:9]
	v_cndmask_b32_e32 v13, v82, v13, vcc
	s_and_b64 vcc, s[4:5], vcc
	v_cndmask_b32_e64 v13, 0, v13, s[4:5]
	v_cndmask_b32_e32 v12, 0, v12, vcc
	v_add_f64 v[36:37], v[36:37], v[12:13]
.LBB693_313:
	s_or_b64 exec, exec, s[2:3]
	s_or_b64 exec, exec, s[0:1]
	s_and_saveexec_b64 s[0:1], s[74:75]
	s_cbranch_execz .LBB693_310
.LBB693_314:
	global_load_ubyte v8, v[4:5], off offset:960
	v_pk_mov_b32 v[10:11], 0, 0
	s_waitcnt vmcnt(0)
	v_and_b32_e32 v8, 1, v8
	v_cmp_eq_u32_e32 vcc, 1, v8
	s_xor_b64 s[4:5], vcc, -1
	s_and_saveexec_b64 s[2:3], s[4:5]
	s_cbranch_execz .LBB693_316
; %bb.315:
	s_mov_b32 s4, 0x652b82fe
	v_add_f64 v[6:7], v[6:7], -v[38:39]
	s_mov_b32 s5, 0x3ff71547
	v_mul_f64 v[8:9], v[6:7], s[4:5]
	s_mov_b32 s4, 0xfefa39ef
	v_rndne_f64_e32 v[8:9], v[8:9]
	s_mov_b32 s5, 0xbfe62e42
	v_fma_f64 v[10:11], s[4:5], v[8:9], v[6:7]
	s_mov_b32 s4, 0x3b39803f
	s_mov_b32 s5, 0xbc7abc9e
	v_fmac_f64_e32 v[10:11], s[4:5], v[8:9]
	s_mov_b32 s4, 0x6a5dcb37
	v_mov_b32_e32 v82, 0xfca7ab0c
	v_mov_b32_e32 v83, 0x3e928af3
	s_mov_b32 s5, 0x3e5ade15
	v_fmac_f64_e32 v[82:83], s[4:5], v[10:11]
	v_mov_b32_e32 v84, 0x623fde64
	v_mov_b32_e32 v85, 0x3ec71dee
	v_fmac_f64_e32 v[84:85], v[10:11], v[82:83]
	v_mov_b32_e32 v82, 0x7c89e6b0
	v_mov_b32_e32 v83, 0x3efa0199
	;; [unrolled: 3-line block ×8, first 2 shown]
	s_mov_b32 s4, 0
	v_fmac_f64_e32 v[82:83], v[10:11], v[84:85]
	s_mov_b32 s5, 0x40900000
	v_fma_f64 v[82:83], v[10:11], v[82:83], 1.0
	v_cmp_nlt_f64_e32 vcc, s[4:5], v[6:7]
	s_mov_b32 s4, 0
	v_fma_f64 v[10:11], v[10:11], v[82:83], 1.0
	v_cvt_i32_f64_e32 v8, v[8:9]
	s_mov_b32 s5, 0xc090cc00
	v_ldexp_f64 v[8:9], v[10:11], v8
	v_mov_b32_e32 v10, 0x7ff00000
	v_cmp_ngt_f64_e64 s[4:5], s[4:5], v[6:7]
	v_cndmask_b32_e32 v9, v10, v9, vcc
	s_and_b64 vcc, s[4:5], vcc
	v_cndmask_b32_e64 v11, 0, v9, s[4:5]
	v_cndmask_b32_e32 v10, 0, v8, vcc
	v_add_f64 v[36:37], v[36:37], v[10:11]
.LBB693_316:
	s_or_b64 exec, exec, s[2:3]
	s_or_b64 exec, exec, s[0:1]
	v_pk_mov_b32 v[6:7], 0, 0
	s_and_saveexec_b64 s[0:1], s[68:69]
	s_cbranch_execz .LBB693_320
.LBB693_317:
	global_load_ubyte v4, v[4:5], off offset:992
	v_pk_mov_b32 v[6:7], 0, 0
	s_waitcnt vmcnt(0)
	v_and_b32_e32 v4, 1, v4
	v_cmp_eq_u32_e32 vcc, 1, v4
	s_xor_b64 s[4:5], vcc, -1
	s_and_saveexec_b64 s[2:3], s[4:5]
	s_cbranch_execz .LBB693_319
; %bb.318:
	s_mov_b32 s4, 0x652b82fe
	v_add_f64 v[2:3], v[2:3], -v[38:39]
	s_mov_b32 s5, 0x3ff71547
	v_mul_f64 v[4:5], v[2:3], s[4:5]
	s_mov_b32 s4, 0xfefa39ef
	v_rndne_f64_e32 v[4:5], v[4:5]
	s_mov_b32 s5, 0xbfe62e42
	v_fma_f64 v[6:7], s[4:5], v[4:5], v[2:3]
	s_mov_b32 s4, 0x3b39803f
	s_mov_b32 s5, 0xbc7abc9e
	v_fmac_f64_e32 v[6:7], s[4:5], v[4:5]
	s_mov_b32 s4, 0x6a5dcb37
	v_mov_b32_e32 v8, 0xfca7ab0c
	v_mov_b32_e32 v9, 0x3e928af3
	s_mov_b32 s5, 0x3e5ade15
	v_fmac_f64_e32 v[8:9], s[4:5], v[6:7]
	v_mov_b32_e32 v38, 0x623fde64
	v_mov_b32_e32 v39, 0x3ec71dee
	v_fmac_f64_e32 v[38:39], v[6:7], v[8:9]
	v_mov_b32_e32 v8, 0x7c89e6b0
	v_mov_b32_e32 v9, 0x3efa0199
	;; [unrolled: 3-line block ×8, first 2 shown]
	s_mov_b32 s4, 0
	v_fmac_f64_e32 v[8:9], v[6:7], v[38:39]
	s_mov_b32 s5, 0x40900000
	v_fma_f64 v[8:9], v[6:7], v[8:9], 1.0
	v_cmp_nlt_f64_e32 vcc, s[4:5], v[2:3]
	s_mov_b32 s4, 0
	v_fma_f64 v[6:7], v[6:7], v[8:9], 1.0
	v_cvt_i32_f64_e32 v4, v[4:5]
	s_mov_b32 s5, 0xc090cc00
	v_ldexp_f64 v[4:5], v[6:7], v4
	v_mov_b32_e32 v6, 0x7ff00000
	v_cmp_ngt_f64_e64 s[4:5], s[4:5], v[2:3]
	v_cndmask_b32_e32 v5, v6, v5, vcc
	s_and_b64 vcc, s[4:5], vcc
	v_cndmask_b32_e64 v7, 0, v5, s[4:5]
	v_cndmask_b32_e32 v6, 0, v4, vcc
	v_add_f64 v[36:37], v[36:37], v[6:7]
.LBB693_319:
	s_or_b64 exec, exec, s[2:3]
.LBB693_320:
	s_or_b64 exec, exec, s[0:1]
	ds_bpermute_b32 v2, v77, v36
	ds_bpermute_b32 v3, v77, v37
	v_cmp_lt_i32_e32 vcc, 0, v76
	s_waitcnt lgkmcnt(0)
	v_add_f64 v[2:3], v[36:37], v[2:3]
	ds_bpermute_b32 v4, v78, v2
	ds_bpermute_b32 v5, v78, v3
	s_waitcnt lgkmcnt(0)
	v_add_f64 v[2:3], v[2:3], v[4:5]
	ds_bpermute_b32 v4, v79, v2
	ds_bpermute_b32 v5, v79, v3
	;; [unrolled: 4-line block ×4, first 2 shown]
	s_and_saveexec_b64 s[0:1], vcc
	s_cbranch_execz .LBB693_354
; %bb.321:
	s_and_b64 exec, exec, s[64:65]
	s_cbranch_execz .LBB693_354
; %bb.322:
	v_readlane_b32 s0, v88, 0
	s_waitcnt lgkmcnt(0)
	v_add_f64 v[2:3], v[2:3], v[4:5]
	v_readlane_b32 s1, v88, 1
	s_mov_b64 s[4:5], s[0:1]
	v_div_scale_f64 v[4:5], s[0:1], v[2:3], v[2:3], v[32:33]
	v_rcp_f64_e32 v[8:9], v[4:5]
	v_mov_b32_e32 v36, s5
	v_add_co_u32_e32 v0, vcc, s4, v0
	v_addc_co_u32_e32 v1, vcc, v36, v1, vcc
	v_fma_f64 v[36:37], -v[4:5], v[8:9], 1.0
	v_fmac_f64_e32 v[8:9], v[8:9], v[36:37]
	v_fma_f64 v[36:37], -v[4:5], v[8:9], 1.0
	v_fmac_f64_e32 v[8:9], v[8:9], v[36:37]
	v_div_scale_f64 v[36:37], vcc, v[32:33], v[2:3], v[32:33]
	v_mul_f64 v[38:39], v[36:37], v[8:9]
	v_fma_f64 v[4:5], -v[4:5], v[38:39], v[36:37]
	v_cmp_eq_f64_e64 s[64:65], 0, v[2:3]
	s_nop 0
	v_div_fmas_f64 v[4:5], v[4:5], v[8:9], v[38:39]
	v_div_fixup_f64 v[8:9], v[4:5], v[2:3], v[32:33]
	v_mov_b32_e32 v4, 0x7ff80000
	v_cndmask_b32_e64 v9, v9, v4, s[64:65]
	v_cndmask_b32_e64 v8, v8, 0, s[64:65]
	v_readlane_b32 s2, v88, 2
	v_readlane_b32 s3, v88, 3
	global_store_dwordx2 v[0:1], v[8:9], off
	s_and_b64 exec, exec, s[62:63]
	s_cbranch_execz .LBB693_354
; %bb.323:
	v_div_scale_f64 v[8:9], s[0:1], v[2:3], v[2:3], v[40:41]
	v_rcp_f64_e32 v[32:33], v[8:9]
	v_div_scale_f64 v[36:37], vcc, v[40:41], v[2:3], v[40:41]
	v_fma_f64 v[38:39], -v[8:9], v[32:33], 1.0
	v_fmac_f64_e32 v[32:33], v[32:33], v[38:39]
	v_fma_f64 v[38:39], -v[8:9], v[32:33], 1.0
	v_fmac_f64_e32 v[32:33], v[32:33], v[38:39]
	v_mul_f64 v[38:39], v[36:37], v[32:33]
	v_fma_f64 v[8:9], -v[8:9], v[38:39], v[36:37]
	v_div_fmas_f64 v[8:9], v[8:9], v[32:33], v[38:39]
	v_div_fixup_f64 v[8:9], v[8:9], v[2:3], v[40:41]
	v_cndmask_b32_e64 v5, v9, v4, s[64:65]
	v_cndmask_b32_e64 v4, v8, 0, s[64:65]
	global_store_dwordx2 v[0:1], v[4:5], off offset:256
	s_and_b64 exec, exec, s[60:61]
	s_cbranch_execz .LBB693_354
; %bb.324:
	v_div_scale_f64 v[4:5], s[0:1], v[2:3], v[2:3], v[30:31]
	v_rcp_f64_e32 v[8:9], v[4:5]
	v_div_scale_f64 v[32:33], vcc, v[30:31], v[2:3], v[30:31]
	v_fma_f64 v[36:37], -v[4:5], v[8:9], 1.0
	v_fmac_f64_e32 v[8:9], v[8:9], v[36:37]
	v_fma_f64 v[36:37], -v[4:5], v[8:9], 1.0
	v_fmac_f64_e32 v[8:9], v[8:9], v[36:37]
	v_mul_f64 v[36:37], v[32:33], v[8:9]
	v_fma_f64 v[4:5], -v[4:5], v[36:37], v[32:33]
	v_div_fmas_f64 v[4:5], v[4:5], v[8:9], v[36:37]
	v_div_fixup_f64 v[8:9], v[4:5], v[2:3], v[30:31]
	v_mov_b32_e32 v4, 0x7ff80000
	v_cndmask_b32_e64 v9, v9, v4, s[64:65]
	v_cndmask_b32_e64 v8, v8, 0, s[64:65]
	global_store_dwordx2 v[0:1], v[8:9], off offset:512
	s_and_b64 exec, exec, s[58:59]
	s_cbranch_execz .LBB693_354
; %bb.325:
	v_div_scale_f64 v[8:9], s[0:1], v[2:3], v[2:3], v[48:49]
	v_rcp_f64_e32 v[30:31], v[8:9]
	v_div_scale_f64 v[32:33], vcc, v[48:49], v[2:3], v[48:49]
	v_fma_f64 v[36:37], -v[8:9], v[30:31], 1.0
	v_fmac_f64_e32 v[30:31], v[30:31], v[36:37]
	v_fma_f64 v[36:37], -v[8:9], v[30:31], 1.0
	v_fmac_f64_e32 v[30:31], v[30:31], v[36:37]
	v_mul_f64 v[36:37], v[32:33], v[30:31]
	v_fma_f64 v[8:9], -v[8:9], v[36:37], v[32:33]
	v_div_fmas_f64 v[8:9], v[8:9], v[30:31], v[36:37]
	v_div_fixup_f64 v[8:9], v[8:9], v[2:3], v[48:49]
	v_cndmask_b32_e64 v5, v9, v4, s[64:65]
	v_cndmask_b32_e64 v4, v8, 0, s[64:65]
	global_store_dwordx2 v[0:1], v[4:5], off offset:768
	s_and_b64 exec, exec, s[56:57]
	s_cbranch_execz .LBB693_354
; %bb.326:
	v_div_scale_f64 v[4:5], s[0:1], v[2:3], v[2:3], v[46:47]
	v_rcp_f64_e32 v[8:9], v[4:5]
	v_div_scale_f64 v[30:31], vcc, v[46:47], v[2:3], v[46:47]
	v_fma_f64 v[32:33], -v[4:5], v[8:9], 1.0
	v_fmac_f64_e32 v[8:9], v[8:9], v[32:33]
	v_fma_f64 v[32:33], -v[4:5], v[8:9], 1.0
	v_fmac_f64_e32 v[8:9], v[8:9], v[32:33]
	v_mul_f64 v[32:33], v[30:31], v[8:9]
	v_fma_f64 v[4:5], -v[4:5], v[32:33], v[30:31]
	v_div_fmas_f64 v[4:5], v[4:5], v[8:9], v[32:33]
	v_div_fixup_f64 v[8:9], v[4:5], v[2:3], v[46:47]
	v_mov_b32_e32 v4, 0x7ff80000
	v_cndmask_b32_e64 v9, v9, v4, s[64:65]
	v_cndmask_b32_e64 v8, v8, 0, s[64:65]
	global_store_dwordx2 v[0:1], v[8:9], off offset:1024
	;; [unrolled: 35-line block ×4, first 2 shown]
	s_and_b64 exec, exec, s[46:47]
	s_cbranch_execz .LBB693_354
; %bb.331:
	v_div_scale_f64 v[8:9], s[0:1], v[2:3], v[2:3], v[70:71]
	v_rcp_f64_e32 v[30:31], v[8:9]
	v_div_scale_f64 v[32:33], vcc, v[70:71], v[2:3], v[70:71]
	v_fma_f64 v[36:37], -v[8:9], v[30:31], 1.0
	v_fmac_f64_e32 v[30:31], v[30:31], v[36:37]
	v_fma_f64 v[36:37], -v[8:9], v[30:31], 1.0
	v_fmac_f64_e32 v[30:31], v[30:31], v[36:37]
	v_mul_f64 v[36:37], v[32:33], v[30:31]
	v_fma_f64 v[8:9], -v[8:9], v[36:37], v[32:33]
	v_div_fmas_f64 v[8:9], v[8:9], v[30:31], v[36:37]
	v_div_fixup_f64 v[8:9], v[8:9], v[2:3], v[70:71]
	v_cndmask_b32_e64 v5, v9, v4, s[64:65]
	v_cndmask_b32_e64 v4, v8, 0, s[64:65]
	global_store_dwordx2 v[0:1], v[4:5], off offset:2304
	s_and_b64 exec, exec, s[44:45]
	s_cbranch_execz .LBB693_354
; %bb.332:
	v_div_scale_f64 v[4:5], s[0:1], v[2:3], v[2:3], v[68:69]
	v_rcp_f64_e32 v[8:9], v[4:5]
	v_div_scale_f64 v[30:31], vcc, v[68:69], v[2:3], v[68:69]
	v_readlane_b32 s0, v88, 4
	v_fma_f64 v[32:33], -v[4:5], v[8:9], 1.0
	v_fmac_f64_e32 v[8:9], v[8:9], v[32:33]
	v_fma_f64 v[32:33], -v[4:5], v[8:9], 1.0
	v_fmac_f64_e32 v[8:9], v[8:9], v[32:33]
	v_mul_f64 v[32:33], v[30:31], v[8:9]
	v_fma_f64 v[4:5], -v[4:5], v[32:33], v[30:31]
	v_div_fmas_f64 v[4:5], v[4:5], v[8:9], v[32:33]
	v_div_fixup_f64 v[8:9], v[4:5], v[2:3], v[68:69]
	v_mov_b32_e32 v4, 0x7ff80000
	v_cndmask_b32_e64 v9, v9, v4, s[64:65]
	v_cndmask_b32_e64 v8, v8, 0, s[64:65]
	v_readlane_b32 s1, v88, 5
	global_store_dwordx2 v[0:1], v[8:9], off offset:2560
	s_and_b64 exec, exec, s[0:1]
	s_cbranch_execz .LBB693_354
; %bb.333:
	v_div_scale_f64 v[8:9], s[0:1], v[2:3], v[2:3], v[74:75]
	v_rcp_f64_e32 v[30:31], v[8:9]
	v_div_scale_f64 v[32:33], vcc, v[74:75], v[2:3], v[74:75]
	v_readlane_b32 s0, v88, 6
	v_fma_f64 v[36:37], -v[8:9], v[30:31], 1.0
	v_fmac_f64_e32 v[30:31], v[30:31], v[36:37]
	v_fma_f64 v[36:37], -v[8:9], v[30:31], 1.0
	v_fmac_f64_e32 v[30:31], v[30:31], v[36:37]
	v_mul_f64 v[36:37], v[32:33], v[30:31]
	v_fma_f64 v[8:9], -v[8:9], v[36:37], v[32:33]
	v_div_fmas_f64 v[8:9], v[8:9], v[30:31], v[36:37]
	v_div_fixup_f64 v[8:9], v[8:9], v[2:3], v[74:75]
	v_cndmask_b32_e64 v5, v9, v4, s[64:65]
	v_cndmask_b32_e64 v4, v8, 0, s[64:65]
	v_readlane_b32 s1, v88, 7
	global_store_dwordx2 v[0:1], v[4:5], off offset:2816
	s_and_b64 exec, exec, s[0:1]
	s_cbranch_execz .LBB693_354
; %bb.334:
	v_div_scale_f64 v[4:5], s[0:1], v[2:3], v[2:3], v[72:73]
	v_rcp_f64_e32 v[8:9], v[4:5]
	v_div_scale_f64 v[30:31], vcc, v[72:73], v[2:3], v[72:73]
	v_readlane_b32 s0, v88, 8
	v_fma_f64 v[32:33], -v[4:5], v[8:9], 1.0
	v_fmac_f64_e32 v[8:9], v[8:9], v[32:33]
	v_fma_f64 v[32:33], -v[4:5], v[8:9], 1.0
	v_fmac_f64_e32 v[8:9], v[8:9], v[32:33]
	v_mul_f64 v[32:33], v[30:31], v[8:9]
	v_fma_f64 v[4:5], -v[4:5], v[32:33], v[30:31]
	v_div_fmas_f64 v[4:5], v[4:5], v[8:9], v[32:33]
	v_div_fixup_f64 v[8:9], v[4:5], v[2:3], v[72:73]
	v_mov_b32_e32 v4, 0x7ff80000
	v_cndmask_b32_e64 v9, v9, v4, s[64:65]
	v_cndmask_b32_e64 v8, v8, 0, s[64:65]
	v_readlane_b32 s1, v88, 9
	global_store_dwordx2 v[0:1], v[8:9], off offset:3072
	s_and_b64 exec, exec, s[0:1]
	s_cbranch_execz .LBB693_354
; %bb.335:
	v_div_scale_f64 v[8:9], s[0:1], v[2:3], v[2:3], v[66:67]
	v_rcp_f64_e32 v[30:31], v[8:9]
	v_div_scale_f64 v[32:33], vcc, v[66:67], v[2:3], v[66:67]
	v_readlane_b32 s0, v88, 10
	v_fma_f64 v[36:37], -v[8:9], v[30:31], 1.0
	v_fmac_f64_e32 v[30:31], v[30:31], v[36:37]
	v_fma_f64 v[36:37], -v[8:9], v[30:31], 1.0
	v_fmac_f64_e32 v[30:31], v[30:31], v[36:37]
	v_mul_f64 v[36:37], v[32:33], v[30:31]
	v_fma_f64 v[8:9], -v[8:9], v[36:37], v[32:33]
	v_div_fmas_f64 v[8:9], v[8:9], v[30:31], v[36:37]
	v_div_fixup_f64 v[8:9], v[8:9], v[2:3], v[66:67]
	v_cndmask_b32_e64 v5, v9, v4, s[64:65]
	v_cndmask_b32_e64 v4, v8, 0, s[64:65]
	v_readlane_b32 s1, v88, 11
	global_store_dwordx2 v[0:1], v[4:5], off offset:3328
	s_and_b64 exec, exec, s[0:1]
	s_cbranch_execz .LBB693_354
; %bb.336:
	v_div_scale_f64 v[4:5], s[0:1], v[2:3], v[2:3], v[62:63]
	v_rcp_f64_e32 v[8:9], v[4:5]
	v_div_scale_f64 v[30:31], vcc, v[62:63], v[2:3], v[62:63]
	v_readlane_b32 s0, v88, 12
	v_fma_f64 v[32:33], -v[4:5], v[8:9], 1.0
	v_fmac_f64_e32 v[8:9], v[8:9], v[32:33]
	v_fma_f64 v[32:33], -v[4:5], v[8:9], 1.0
	v_fmac_f64_e32 v[8:9], v[8:9], v[32:33]
	v_mul_f64 v[32:33], v[30:31], v[8:9]
	v_fma_f64 v[4:5], -v[4:5], v[32:33], v[30:31]
	v_div_fmas_f64 v[4:5], v[4:5], v[8:9], v[32:33]
	v_div_fixup_f64 v[8:9], v[4:5], v[2:3], v[62:63]
	v_mov_b32_e32 v4, 0x7ff80000
	v_cndmask_b32_e64 v9, v9, v4, s[64:65]
	v_cndmask_b32_e64 v8, v8, 0, s[64:65]
	v_readlane_b32 s1, v88, 13
	global_store_dwordx2 v[0:1], v[8:9], off offset:3584
	s_and_b64 exec, exec, s[0:1]
	s_cbranch_execz .LBB693_354
; %bb.337:
	v_div_scale_f64 v[8:9], s[0:1], v[2:3], v[2:3], v[58:59]
	v_rcp_f64_e32 v[30:31], v[8:9]
	v_div_scale_f64 v[32:33], vcc, v[58:59], v[2:3], v[58:59]
	v_readlane_b32 s0, v88, 14
	v_fma_f64 v[36:37], -v[8:9], v[30:31], 1.0
	v_fmac_f64_e32 v[30:31], v[30:31], v[36:37]
	v_fma_f64 v[36:37], -v[8:9], v[30:31], 1.0
	v_fmac_f64_e32 v[30:31], v[30:31], v[36:37]
	v_mul_f64 v[36:37], v[32:33], v[30:31]
	v_fma_f64 v[8:9], -v[8:9], v[36:37], v[32:33]
	v_div_fmas_f64 v[8:9], v[8:9], v[30:31], v[36:37]
	v_div_fixup_f64 v[8:9], v[8:9], v[2:3], v[58:59]
	v_cndmask_b32_e64 v5, v9, v4, s[64:65]
	v_cndmask_b32_e64 v4, v8, 0, s[64:65]
	v_readlane_b32 s1, v88, 15
	global_store_dwordx2 v[0:1], v[4:5], off offset:3840
	s_and_b64 exec, exec, s[0:1]
	s_cbranch_execz .LBB693_354
; %bb.338:
	v_div_scale_f64 v[4:5], s[0:1], v[2:3], v[2:3], v[52:53]
	v_rcp_f64_e32 v[8:9], v[4:5]
	v_div_scale_f64 v[30:31], vcc, v[52:53], v[2:3], v[52:53]
	v_readlane_b32 s0, v88, 16
	v_fma_f64 v[32:33], -v[4:5], v[8:9], 1.0
	v_fmac_f64_e32 v[8:9], v[8:9], v[32:33]
	v_fma_f64 v[32:33], -v[4:5], v[8:9], 1.0
	v_fmac_f64_e32 v[8:9], v[8:9], v[32:33]
	v_mul_f64 v[32:33], v[30:31], v[8:9]
	v_fma_f64 v[4:5], -v[4:5], v[32:33], v[30:31]
	v_div_fmas_f64 v[4:5], v[4:5], v[8:9], v[32:33]
	v_div_fixup_f64 v[8:9], v[4:5], v[2:3], v[52:53]
	v_mov_b32_e32 v4, 0x7ff80000
	v_add_co_u32_e32 v30, vcc, 0x1000, v0
	v_cndmask_b32_e64 v9, v9, v4, s[64:65]
	v_cndmask_b32_e64 v8, v8, 0, s[64:65]
	v_addc_co_u32_e32 v31, vcc, 0, v1, vcc
	v_readlane_b32 s1, v88, 17
	global_store_dwordx2 v[30:31], v[8:9], off
	s_and_b64 exec, exec, s[0:1]
	s_cbranch_execz .LBB693_354
; %bb.339:
	v_div_scale_f64 v[8:9], s[0:1], v[2:3], v[2:3], v[50:51]
	v_rcp_f64_e32 v[30:31], v[8:9]
	v_div_scale_f64 v[32:33], vcc, v[50:51], v[2:3], v[50:51]
	v_readlane_b32 s0, v88, 18
	v_fma_f64 v[36:37], -v[8:9], v[30:31], 1.0
	v_fmac_f64_e32 v[30:31], v[30:31], v[36:37]
	v_fma_f64 v[36:37], -v[8:9], v[30:31], 1.0
	v_fmac_f64_e32 v[30:31], v[30:31], v[36:37]
	v_mul_f64 v[36:37], v[32:33], v[30:31]
	v_fma_f64 v[8:9], -v[8:9], v[36:37], v[32:33]
	v_div_fmas_f64 v[8:9], v[8:9], v[30:31], v[36:37]
	v_div_fixup_f64 v[8:9], v[8:9], v[2:3], v[50:51]
	v_cndmask_b32_e64 v5, v9, v4, s[64:65]
	v_cndmask_b32_e64 v4, v8, 0, s[64:65]
	v_add_co_u32_e32 v8, vcc, 0x1000, v0
	v_addc_co_u32_e32 v9, vcc, 0, v1, vcc
	v_readlane_b32 s1, v88, 19
	global_store_dwordx2 v[8:9], v[4:5], off offset:256
	s_and_b64 exec, exec, s[0:1]
	s_cbranch_execz .LBB693_354
; %bb.340:
	v_div_scale_f64 v[4:5], s[0:1], v[2:3], v[2:3], v[44:45]
	v_rcp_f64_e32 v[8:9], v[4:5]
	v_div_scale_f64 v[30:31], vcc, v[44:45], v[2:3], v[44:45]
	v_readlane_b32 s0, v88, 20
	v_fma_f64 v[32:33], -v[4:5], v[8:9], 1.0
	v_fmac_f64_e32 v[8:9], v[8:9], v[32:33]
	v_fma_f64 v[32:33], -v[4:5], v[8:9], 1.0
	v_fmac_f64_e32 v[8:9], v[8:9], v[32:33]
	v_mul_f64 v[32:33], v[30:31], v[8:9]
	v_fma_f64 v[4:5], -v[4:5], v[32:33], v[30:31]
	v_div_fmas_f64 v[4:5], v[4:5], v[8:9], v[32:33]
	v_div_fixup_f64 v[8:9], v[4:5], v[2:3], v[44:45]
	v_mov_b32_e32 v4, 0x7ff80000
	v_add_co_u32_e32 v30, vcc, 0x1000, v0
	v_cndmask_b32_e64 v9, v9, v4, s[64:65]
	v_cndmask_b32_e64 v8, v8, 0, s[64:65]
	v_addc_co_u32_e32 v31, vcc, 0, v1, vcc
	v_readlane_b32 s1, v88, 21
	global_store_dwordx2 v[30:31], v[8:9], off offset:512
	s_and_b64 exec, exec, s[0:1]
	s_cbranch_execz .LBB693_354
; %bb.341:
	v_div_scale_f64 v[8:9], s[0:1], v[2:3], v[2:3], v[42:43]
	v_rcp_f64_e32 v[30:31], v[8:9]
	v_div_scale_f64 v[32:33], vcc, v[42:43], v[2:3], v[42:43]
	v_readlane_b32 s0, v88, 22
	v_fma_f64 v[36:37], -v[8:9], v[30:31], 1.0
	v_fmac_f64_e32 v[30:31], v[30:31], v[36:37]
	v_fma_f64 v[36:37], -v[8:9], v[30:31], 1.0
	v_fmac_f64_e32 v[30:31], v[30:31], v[36:37]
	v_mul_f64 v[36:37], v[32:33], v[30:31]
	v_fma_f64 v[8:9], -v[8:9], v[36:37], v[32:33]
	v_div_fmas_f64 v[8:9], v[8:9], v[30:31], v[36:37]
	v_div_fixup_f64 v[8:9], v[8:9], v[2:3], v[42:43]
	v_cndmask_b32_e64 v5, v9, v4, s[64:65]
	v_cndmask_b32_e64 v4, v8, 0, s[64:65]
	v_add_co_u32_e32 v8, vcc, 0x1000, v0
	v_addc_co_u32_e32 v9, vcc, 0, v1, vcc
	v_readlane_b32 s1, v88, 23
	global_store_dwordx2 v[8:9], v[4:5], off offset:768
	s_and_b64 exec, exec, s[0:1]
	s_cbranch_execz .LBB693_354
; %bb.342:
	v_div_scale_f64 v[4:5], s[0:1], v[2:3], v[2:3], v[34:35]
	v_rcp_f64_e32 v[8:9], v[4:5]
	v_div_scale_f64 v[30:31], vcc, v[34:35], v[2:3], v[34:35]
	v_readlane_b32 s0, v88, 24
	v_fma_f64 v[32:33], -v[4:5], v[8:9], 1.0
	v_fmac_f64_e32 v[8:9], v[8:9], v[32:33]
	v_fma_f64 v[32:33], -v[4:5], v[8:9], 1.0
	v_fmac_f64_e32 v[8:9], v[8:9], v[32:33]
	v_mul_f64 v[32:33], v[30:31], v[8:9]
	v_fma_f64 v[4:5], -v[4:5], v[32:33], v[30:31]
	v_div_fmas_f64 v[4:5], v[4:5], v[8:9], v[32:33]
	v_div_fixup_f64 v[8:9], v[4:5], v[2:3], v[34:35]
	v_mov_b32_e32 v4, 0x7ff80000
	v_add_co_u32_e32 v30, vcc, 0x1000, v0
	v_cndmask_b32_e64 v9, v9, v4, s[64:65]
	v_cndmask_b32_e64 v8, v8, 0, s[64:65]
	v_addc_co_u32_e32 v31, vcc, 0, v1, vcc
	v_readlane_b32 s1, v88, 25
	global_store_dwordx2 v[30:31], v[8:9], off offset:1024
	;; [unrolled: 43-line block ×7, first 2 shown]
	s_and_b64 exec, exec, s[0:1]
	s_cbranch_execz .LBB693_354
; %bb.353:
	v_div_scale_f64 v[8:9], s[0:1], v[2:3], v[2:3], v[6:7]
	v_rcp_f64_e32 v[10:11], v[8:9]
	v_div_scale_f64 v[12:13], vcc, v[6:7], v[2:3], v[6:7]
	v_fma_f64 v[14:15], -v[8:9], v[10:11], 1.0
	v_fmac_f64_e32 v[10:11], v[10:11], v[14:15]
	v_fma_f64 v[14:15], -v[8:9], v[10:11], 1.0
	v_fmac_f64_e32 v[10:11], v[10:11], v[14:15]
	v_mul_f64 v[14:15], v[12:13], v[10:11]
	v_fma_f64 v[8:9], -v[8:9], v[14:15], v[12:13]
	v_div_fmas_f64 v[8:9], v[8:9], v[10:11], v[14:15]
	v_div_fixup_f64 v[2:3], v[8:9], v[2:3], v[6:7]
	v_add_co_u32_e32 v0, vcc, 0x1000, v0
	v_cndmask_b32_e64 v3, v3, v4, s[64:65]
	v_cndmask_b32_e64 v2, v2, 0, s[64:65]
	v_addc_co_u32_e32 v1, vcc, 0, v1, vcc
	global_store_dwordx2 v[0:1], v[2:3], off offset:3840
.LBB693_354:
	s_endpgm
	.section	.rodata,"a",@progbits
	.p2align	6, 0x0
	.amdhsa_kernel _ZN12_GLOBAL__N_120softmax_warp_forwardIdddLi10ELb0ELb1ELi32EEEvPT0_PKT_iiiPKbib
		.amdhsa_group_segment_fixed_size 0
		.amdhsa_private_segment_fixed_size 0
		.amdhsa_kernarg_size 304
		.amdhsa_user_sgpr_count 6
		.amdhsa_user_sgpr_private_segment_buffer 1
		.amdhsa_user_sgpr_dispatch_ptr 0
		.amdhsa_user_sgpr_queue_ptr 0
		.amdhsa_user_sgpr_kernarg_segment_ptr 1
		.amdhsa_user_sgpr_dispatch_id 0
		.amdhsa_user_sgpr_flat_scratch_init 0
		.amdhsa_user_sgpr_kernarg_preload_length 0
		.amdhsa_user_sgpr_kernarg_preload_offset 0
		.amdhsa_user_sgpr_private_segment_size 0
		.amdhsa_uses_dynamic_stack 0
		.amdhsa_system_sgpr_private_segment_wavefront_offset 0
		.amdhsa_system_sgpr_workgroup_id_x 1
		.amdhsa_system_sgpr_workgroup_id_y 0
		.amdhsa_system_sgpr_workgroup_id_z 0
		.amdhsa_system_sgpr_workgroup_info 0
		.amdhsa_system_vgpr_workitem_id 1
		.amdhsa_next_free_vgpr 89
		.amdhsa_next_free_sgpr 96
		.amdhsa_accum_offset 92
		.amdhsa_reserve_vcc 1
		.amdhsa_reserve_flat_scratch 0
		.amdhsa_float_round_mode_32 0
		.amdhsa_float_round_mode_16_64 0
		.amdhsa_float_denorm_mode_32 3
		.amdhsa_float_denorm_mode_16_64 3
		.amdhsa_dx10_clamp 1
		.amdhsa_ieee_mode 1
		.amdhsa_fp16_overflow 0
		.amdhsa_tg_split 0
		.amdhsa_exception_fp_ieee_invalid_op 0
		.amdhsa_exception_fp_denorm_src 0
		.amdhsa_exception_fp_ieee_div_zero 0
		.amdhsa_exception_fp_ieee_overflow 0
		.amdhsa_exception_fp_ieee_underflow 0
		.amdhsa_exception_fp_ieee_inexact 0
		.amdhsa_exception_int_div_zero 0
	.end_amdhsa_kernel
	.section	.text._ZN12_GLOBAL__N_120softmax_warp_forwardIdddLi10ELb0ELb1ELi32EEEvPT0_PKT_iiiPKbib,"axG",@progbits,_ZN12_GLOBAL__N_120softmax_warp_forwardIdddLi10ELb0ELb1ELi32EEEvPT0_PKT_iiiPKbib,comdat
.Lfunc_end693:
	.size	_ZN12_GLOBAL__N_120softmax_warp_forwardIdddLi10ELb0ELb1ELi32EEEvPT0_PKT_iiiPKbib, .Lfunc_end693-_ZN12_GLOBAL__N_120softmax_warp_forwardIdddLi10ELb0ELb1ELi32EEEvPT0_PKT_iiiPKbib
                                        ; -- End function
	.section	.AMDGPU.csdata,"",@progbits
; Kernel info:
; codeLenInByte = 24024
; NumSgprs: 100
; NumVgprs: 89
; NumAgprs: 0
; TotalNumVgprs: 89
; ScratchSize: 0
; MemoryBound: 0
; FloatMode: 240
; IeeeMode: 1
; LDSByteSize: 0 bytes/workgroup (compile time only)
; SGPRBlocks: 12
; VGPRBlocks: 11
; NumSGPRsForWavesPerEU: 100
; NumVGPRsForWavesPerEU: 89
; AccumOffset: 92
; Occupancy: 5
; WaveLimiterHint : 0
; COMPUTE_PGM_RSRC2:SCRATCH_EN: 0
; COMPUTE_PGM_RSRC2:USER_SGPR: 6
; COMPUTE_PGM_RSRC2:TRAP_HANDLER: 0
; COMPUTE_PGM_RSRC2:TGID_X_EN: 1
; COMPUTE_PGM_RSRC2:TGID_Y_EN: 0
; COMPUTE_PGM_RSRC2:TGID_Z_EN: 0
; COMPUTE_PGM_RSRC2:TIDIG_COMP_CNT: 1
; COMPUTE_PGM_RSRC3_GFX90A:ACCUM_OFFSET: 22
; COMPUTE_PGM_RSRC3_GFX90A:TG_SPLIT: 0
	.section	.text._ZN12_GLOBAL__N_120softmax_warp_forwardIdddLi11ELb0ELb1ELi64EEEvPT0_PKT_iiiPKbib,"axG",@progbits,_ZN12_GLOBAL__N_120softmax_warp_forwardIdddLi11ELb0ELb1ELi64EEEvPT0_PKT_iiiPKbib,comdat
	.globl	_ZN12_GLOBAL__N_120softmax_warp_forwardIdddLi11ELb0ELb1ELi64EEEvPT0_PKT_iiiPKbib ; -- Begin function _ZN12_GLOBAL__N_120softmax_warp_forwardIdddLi11ELb0ELb1ELi64EEEvPT0_PKT_iiiPKbib
	.p2align	8
	.type	_ZN12_GLOBAL__N_120softmax_warp_forwardIdddLi11ELb0ELb1ELi64EEEvPT0_PKT_iiiPKbib,@function
_ZN12_GLOBAL__N_120softmax_warp_forwardIdddLi11ELb0ELb1ELi64EEEvPT0_PKT_iiiPKbib: ; @_ZN12_GLOBAL__N_120softmax_warp_forwardIdddLi11ELb0ELb1ELi64EEEvPT0_PKT_iiiPKbib
; %bb.0:
	s_load_dword s2, s[4:5], 0x3c
	s_load_dwordx4 s[68:71], s[4:5], 0x10
	s_load_dwordx2 s[0:1], s[4:5], 0x28
	v_bfe_u32 v1, v0, 10, 10
	v_and_b32_e32 v4, 0x3ff, v0
	s_waitcnt lgkmcnt(0)
	s_lshr_b32 s2, s2, 16
	s_mul_i32 s6, s6, s2
	v_add_u32_e32 v2, s6, v1
	v_mul_lo_u32 v3, v2, s69
	v_add_u32_e32 v0, v3, v4
	v_ashrrev_i32_e32 v1, 31, v0
	s_bitcmp0_b32 s1, 0
	v_pk_mov_b32 v[30:31], v[0:1], v[0:1] op_sel:[0,1]
	s_cbranch_scc1 .LBB694_2
; %bb.1:
	s_abs_i32 s1, s0
	v_cvt_f32_u32_e32 v5, s1
	v_xor_b32_e32 v6, s0, v3
	v_sub_u32_e32 v7, 0, v3
	s_sub_i32 s0, 0, s1
	v_rcp_iflag_f32_e32 v5, v5
	v_max_i32_e32 v3, v3, v7
	v_ashrrev_i32_e32 v6, 31, v6
	v_mul_f32_e32 v5, 0x4f7ffffe, v5
	v_cvt_u32_f32_e32 v5, v5
	v_mul_lo_u32 v7, s0, v5
	v_mul_hi_u32 v7, v5, v7
	v_add_u32_e32 v5, v5, v7
	v_mul_hi_u32 v5, v3, v5
	v_mul_lo_u32 v7, v5, s1
	v_sub_u32_e32 v3, v3, v7
	v_add_u32_e32 v8, 1, v5
	v_cmp_le_u32_e32 vcc, s1, v3
	v_subrev_u32_e32 v7, s1, v3
	v_cndmask_b32_e32 v5, v5, v8, vcc
	v_cndmask_b32_e32 v3, v3, v7, vcc
	v_add_u32_e32 v7, 1, v5
	v_cmp_le_u32_e32 vcc, s1, v3
	v_cndmask_b32_e32 v3, v5, v7, vcc
	v_xor_b32_e32 v3, v3, v6
	v_sub_u32_e32 v3, v3, v6
	v_mad_u64_u32 v[30:31], s[0:1], v3, s69, v[4:5]
	v_ashrrev_i32_e32 v31, 31, v30
.LBB694_2:
	s_load_dwordx4 s[0:3], s[4:5], 0x0
                                        ; implicit-def: $vgpr90 : SGPR spill to VGPR lane
	v_sub_u32_e32 v76, s68, v2
	v_lshlrev_b64 v[0:1], 3, v[0:1]
	v_mov_b32_e32 v48, 0
	v_cmp_lt_i32_e64 s[68:69], 0, v76
	s_waitcnt lgkmcnt(0)
	v_mov_b32_e32 v2, s3
	v_writelane_b32 v90, s0, 0
	v_writelane_b32 v90, s1, 1
	v_add_co_u32_e32 v32, vcc, s2, v0
	v_cmp_gt_i32_e64 s[64:65], s70, v4
	v_mov_b32_e32 v49, 0xfff00000
	v_writelane_b32 v90, s2, 2
	v_addc_co_u32_e32 v33, vcc, v2, v1, vcc
	s_and_b64 s[38:39], s[68:69], s[64:65]
	v_pk_mov_b32 v[40:41], v[48:49], v[48:49] op_sel:[0,1]
	v_writelane_b32 v90, s3, 3
	s_and_saveexec_b64 s[0:1], s[38:39]
	s_cbranch_execz .LBB694_4
; %bb.3:
	global_load_dwordx2 v[40:41], v[32:33], off
.LBB694_4:
	s_or_b64 exec, exec, s[0:1]
	v_add_u32_e32 v2, 64, v4
	v_cmp_gt_i32_e64 s[62:63], s70, v2
	s_and_b64 s[36:37], s[68:69], s[62:63]
	s_and_saveexec_b64 s[0:1], s[36:37]
	s_cbranch_execz .LBB694_6
; %bb.5:
	global_load_dwordx2 v[48:49], v[32:33], off offset:512
.LBB694_6:
	s_or_b64 exec, exec, s[0:1]
	v_add_u32_e32 v2, 0x80, v4
	v_mov_b32_e32 v56, 0
	v_cmp_gt_i32_e64 s[60:61], s70, v2
	v_mov_b32_e32 v57, 0xfff00000
	s_and_b64 s[34:35], s[68:69], s[60:61]
	v_pk_mov_b32 v[46:47], v[56:57], v[56:57] op_sel:[0,1]
	s_and_saveexec_b64 s[0:1], s[34:35]
	s_cbranch_execz .LBB694_8
; %bb.7:
	global_load_dwordx2 v[46:47], v[32:33], off offset:1024
.LBB694_8:
	s_or_b64 exec, exec, s[0:1]
	v_add_u32_e32 v2, 0xc0, v4
	v_cmp_gt_i32_e64 s[58:59], s70, v2
	s_and_b64 s[30:31], s[68:69], s[58:59]
	s_and_saveexec_b64 s[0:1], s[30:31]
	s_cbranch_execz .LBB694_10
; %bb.9:
	global_load_dwordx2 v[56:57], v[32:33], off offset:1536
.LBB694_10:
	s_or_b64 exec, exec, s[0:1]
	v_add_u32_e32 v2, 0x100, v4
	v_mov_b32_e32 v64, 0
	v_cmp_gt_i32_e64 s[56:57], s70, v2
	v_mov_b32_e32 v65, 0xfff00000
	s_and_b64 s[28:29], s[68:69], s[56:57]
	v_pk_mov_b32 v[54:55], v[64:65], v[64:65] op_sel:[0,1]
	s_and_saveexec_b64 s[0:1], s[28:29]
	s_cbranch_execz .LBB694_12
; %bb.11:
	global_load_dwordx2 v[54:55], v[32:33], off offset:2048
.LBB694_12:
	;; [unrolled: 21-line block ×3, first 2 shown]
	s_or_b64 exec, exec, s[0:1]
	v_add_u32_e32 v2, 0x1c0, v4
	v_cmp_gt_i32_e64 s[50:51], s70, v2
	s_and_b64 s[22:23], s[68:69], s[50:51]
	s_and_saveexec_b64 s[0:1], s[22:23]
	s_cbranch_execz .LBB694_18
; %bb.17:
	global_load_dwordx2 v[72:73], v[32:33], off offset:3584
.LBB694_18:
	s_or_b64 exec, exec, s[0:1]
	v_add_u32_e32 v2, 0x200, v4
	v_mov_b32_e32 v74, 0
	v_cmp_gt_i32_e64 s[48:49], s70, v2
	v_mov_b32_e32 v75, 0xfff00000
	s_and_b64 s[20:21], s[68:69], s[48:49]
	v_pk_mov_b32 v[68:69], v[74:75], v[74:75] op_sel:[0,1]
	s_and_saveexec_b64 s[0:1], s[20:21]
	s_cbranch_execz .LBB694_20
; %bb.19:
	v_add_co_u32_e32 v2, vcc, 0x1000, v32
	v_addc_co_u32_e32 v3, vcc, 0, v33, vcc
	global_load_dwordx2 v[68:69], v[2:3], off
.LBB694_20:
	s_or_b64 exec, exec, s[0:1]
	v_add_u32_e32 v2, 0x240, v4
	v_cmp_gt_i32_e64 s[46:47], s70, v2
	s_and_b64 s[18:19], s[68:69], s[46:47]
	s_and_saveexec_b64 s[0:1], s[18:19]
	s_cbranch_execz .LBB694_22
; %bb.21:
	v_add_co_u32_e32 v2, vcc, 0x1000, v32
	v_addc_co_u32_e32 v3, vcc, 0, v33, vcc
	global_load_dwordx2 v[74:75], v[2:3], off offset:512
.LBB694_22:
	s_or_b64 exec, exec, s[0:1]
	v_add_u32_e32 v2, 0x280, v4
	v_mov_b32_e32 v66, 0
	v_cmp_gt_i32_e64 s[44:45], s70, v2
	v_mov_b32_e32 v67, 0xfff00000
	s_and_b64 s[16:17], s[68:69], s[44:45]
	v_pk_mov_b32 v[70:71], v[66:67], v[66:67] op_sel:[0,1]
	s_and_saveexec_b64 s[0:1], s[16:17]
	s_cbranch_execz .LBB694_24
; %bb.23:
	v_add_co_u32_e32 v2, vcc, 0x1000, v32
	v_addc_co_u32_e32 v3, vcc, 0, v33, vcc
	global_load_dwordx2 v[70:71], v[2:3], off offset:1024
.LBB694_24:
	s_or_b64 exec, exec, s[0:1]
	v_add_u32_e32 v2, 0x2c0, v4
	v_cmp_gt_i32_e64 s[0:1], s70, v2
	v_writelane_b32 v90, s0, 4
	s_and_b64 s[14:15], s[68:69], s[0:1]
	v_writelane_b32 v90, s1, 5
	s_and_saveexec_b64 s[0:1], s[14:15]
	s_cbranch_execz .LBB694_26
; %bb.25:
	v_add_co_u32_e32 v2, vcc, 0x1000, v32
	v_addc_co_u32_e32 v3, vcc, 0, v33, vcc
	global_load_dwordx2 v[66:67], v[2:3], off offset:1536
.LBB694_26:
	s_or_b64 exec, exec, s[0:1]
	v_add_u32_e32 v2, 0x300, v4
	v_mov_b32_e32 v58, 0
	v_cmp_gt_i32_e64 s[0:1], s70, v2
	v_mov_b32_e32 v59, 0xfff00000
	v_writelane_b32 v90, s0, 6
	s_and_b64 s[12:13], s[68:69], s[0:1]
	v_pk_mov_b32 v[60:61], v[58:59], v[58:59] op_sel:[0,1]
	v_writelane_b32 v90, s1, 7
	s_and_saveexec_b64 s[0:1], s[12:13]
	s_cbranch_execz .LBB694_28
; %bb.27:
	v_add_co_u32_e32 v2, vcc, 0x1000, v32
	v_addc_co_u32_e32 v3, vcc, 0, v33, vcc
	global_load_dwordx2 v[60:61], v[2:3], off offset:2048
.LBB694_28:
	s_or_b64 exec, exec, s[0:1]
	v_add_u32_e32 v2, 0x340, v4
	v_cmp_gt_i32_e64 s[0:1], s70, v2
	v_writelane_b32 v90, s0, 8
	s_and_b64 s[10:11], s[68:69], s[0:1]
	v_writelane_b32 v90, s1, 9
	s_and_saveexec_b64 s[0:1], s[10:11]
	s_cbranch_execz .LBB694_30
; %bb.29:
	v_add_co_u32_e32 v2, vcc, 0x1000, v32
	v_addc_co_u32_e32 v3, vcc, 0, v33, vcc
	global_load_dwordx2 v[58:59], v[2:3], off offset:2560
.LBB694_30:
	s_or_b64 exec, exec, s[0:1]
	v_add_u32_e32 v2, 0x380, v4
	v_mov_b32_e32 v50, 0
	v_cmp_gt_i32_e64 s[0:1], s70, v2
	v_mov_b32_e32 v51, 0xfff00000
	v_writelane_b32 v90, s0, 10
	s_and_b64 s[8:9], s[68:69], s[0:1]
	v_pk_mov_b32 v[52:53], v[50:51], v[50:51] op_sel:[0,1]
	v_writelane_b32 v90, s1, 11
	s_and_saveexec_b64 s[0:1], s[8:9]
	s_cbranch_execz .LBB694_32
; %bb.31:
	v_add_co_u32_e32 v2, vcc, 0x1000, v32
	v_addc_co_u32_e32 v3, vcc, 0, v33, vcc
	global_load_dwordx2 v[52:53], v[2:3], off offset:3072
.LBB694_32:
	s_or_b64 exec, exec, s[0:1]
	v_add_u32_e32 v2, 0x3c0, v4
	v_cmp_gt_i32_e64 s[0:1], s70, v2
	v_writelane_b32 v90, s0, 12
	s_and_b64 s[6:7], s[68:69], s[0:1]
	v_writelane_b32 v90, s1, 13
	s_and_saveexec_b64 s[0:1], s[6:7]
	s_cbranch_execz .LBB694_34
; %bb.33:
	v_add_co_u32_e32 v2, vcc, 0x1000, v32
	v_addc_co_u32_e32 v3, vcc, 0, v33, vcc
	global_load_dwordx2 v[50:51], v[2:3], off offset:3584
.LBB694_34:
	s_or_b64 exec, exec, s[0:1]
	v_or_b32_e32 v2, 0x400, v4
	v_mov_b32_e32 v42, 0
	v_cmp_gt_i32_e64 s[0:1], s70, v2
	v_mov_b32_e32 v43, 0xfff00000
	v_writelane_b32 v90, s0, 14
	s_and_b64 s[66:67], s[68:69], s[0:1]
	v_pk_mov_b32 v[44:45], v[42:43], v[42:43] op_sel:[0,1]
	v_writelane_b32 v90, s1, 15
	s_and_saveexec_b64 s[0:1], s[66:67]
	s_cbranch_execz .LBB694_36
; %bb.35:
	v_add_co_u32_e32 v2, vcc, 0x2000, v32
	v_addc_co_u32_e32 v3, vcc, 0, v33, vcc
	global_load_dwordx2 v[44:45], v[2:3], off
.LBB694_36:
	s_or_b64 exec, exec, s[0:1]
	v_add_u32_e32 v2, 0x440, v4
	v_cmp_gt_i32_e64 s[0:1], s70, v2
	v_writelane_b32 v90, s0, 16
	s_and_b64 s[2:3], s[68:69], s[0:1]
	v_writelane_b32 v90, s1, 17
	s_and_saveexec_b64 s[0:1], s[2:3]
	s_cbranch_execz .LBB694_38
; %bb.37:
	v_add_co_u32_e32 v2, vcc, 0x2000, v32
	v_addc_co_u32_e32 v3, vcc, 0, v33, vcc
	global_load_dwordx2 v[42:43], v[2:3], off offset:512
.LBB694_38:
	s_or_b64 exec, exec, s[0:1]
	v_add_u32_e32 v2, 0x480, v4
	v_cmp_gt_i32_e64 s[0:1], s70, v2
	v_mov_b32_e32 v28, 0
	v_writelane_b32 v90, s0, 18
	v_mov_b32_e32 v29, 0xfff00000
	v_writelane_b32 v90, s1, 19
	s_and_b64 s[0:1], s[68:69], s[0:1]
	v_pk_mov_b32 v[34:35], v[28:29], v[28:29] op_sel:[0,1]
	s_and_saveexec_b64 s[40:41], s[0:1]
	s_cbranch_execz .LBB694_40
; %bb.39:
	v_add_co_u32_e32 v2, vcc, 0x2000, v32
	v_addc_co_u32_e32 v3, vcc, 0, v33, vcc
	global_load_dwordx2 v[34:35], v[2:3], off offset:1024
.LBB694_40:
	s_or_b64 exec, exec, s[40:41]
	v_add_u32_e32 v2, 0x4c0, v4
	v_cmp_gt_i32_e64 s[40:41], s70, v2
	v_writelane_b32 v90, s40, 20
	s_and_b64 s[72:73], s[68:69], s[40:41]
	v_writelane_b32 v90, s41, 21
	s_and_saveexec_b64 s[40:41], s[72:73]
	s_cbranch_execz .LBB694_42
; %bb.41:
	v_add_co_u32_e32 v2, vcc, 0x2000, v32
	v_addc_co_u32_e32 v3, vcc, 0, v33, vcc
	global_load_dwordx2 v[28:29], v[2:3], off offset:1536
.LBB694_42:
	s_or_b64 exec, exec, s[40:41]
	v_add_u32_e32 v2, 0x500, v4
	v_mov_b32_e32 v24, 0
	v_cmp_gt_i32_e64 s[40:41], s70, v2
	v_mov_b32_e32 v25, 0xfff00000
	v_writelane_b32 v90, s40, 22
	s_and_b64 s[94:95], s[68:69], s[40:41]
	v_pk_mov_b32 v[26:27], v[24:25], v[24:25] op_sel:[0,1]
	v_writelane_b32 v90, s41, 23
	s_and_saveexec_b64 s[40:41], s[94:95]
	s_cbranch_execz .LBB694_44
; %bb.43:
	v_add_co_u32_e32 v2, vcc, 0x2000, v32
	v_addc_co_u32_e32 v3, vcc, 0, v33, vcc
	global_load_dwordx2 v[26:27], v[2:3], off offset:2048
.LBB694_44:
	s_or_b64 exec, exec, s[40:41]
	v_add_u32_e32 v2, 0x540, v4
	v_cmp_gt_i32_e64 s[40:41], s70, v2
	v_writelane_b32 v90, s40, 24
	s_and_b64 s[92:93], s[68:69], s[40:41]
	v_writelane_b32 v90, s41, 25
	s_and_saveexec_b64 s[40:41], s[92:93]
	s_cbranch_execz .LBB694_46
; %bb.45:
	v_add_co_u32_e32 v2, vcc, 0x2000, v32
	v_addc_co_u32_e32 v3, vcc, 0, v33, vcc
	global_load_dwordx2 v[24:25], v[2:3], off offset:2560
.LBB694_46:
	s_or_b64 exec, exec, s[40:41]
	v_add_u32_e32 v2, 0x580, v4
	v_mov_b32_e32 v20, 0
	v_cmp_gt_i32_e64 s[40:41], s70, v2
	v_mov_b32_e32 v21, 0xfff00000
	v_writelane_b32 v90, s40, 26
	s_and_b64 s[90:91], s[68:69], s[40:41]
	v_pk_mov_b32 v[22:23], v[20:21], v[20:21] op_sel:[0,1]
	v_writelane_b32 v90, s41, 27
	s_and_saveexec_b64 s[40:41], s[90:91]
	s_cbranch_execz .LBB694_48
; %bb.47:
	v_add_co_u32_e32 v2, vcc, 0x2000, v32
	v_addc_co_u32_e32 v3, vcc, 0, v33, vcc
	global_load_dwordx2 v[22:23], v[2:3], off offset:3072
.LBB694_48:
	s_or_b64 exec, exec, s[40:41]
	v_add_u32_e32 v2, 0x5c0, v4
	v_cmp_gt_i32_e64 s[40:41], s70, v2
	v_writelane_b32 v90, s40, 28
	s_and_b64 s[88:89], s[68:69], s[40:41]
	v_writelane_b32 v90, s41, 29
	s_and_saveexec_b64 s[40:41], s[88:89]
	s_cbranch_execz .LBB694_50
; %bb.49:
	v_add_co_u32_e32 v2, vcc, 0x2000, v32
	v_addc_co_u32_e32 v3, vcc, 0, v33, vcc
	global_load_dwordx2 v[20:21], v[2:3], off offset:3584
.LBB694_50:
	s_or_b64 exec, exec, s[40:41]
	v_add_u32_e32 v2, 0x600, v4
	v_mov_b32_e32 v16, 0
	v_cmp_gt_i32_e64 s[40:41], s70, v2
	v_mov_b32_e32 v17, 0xfff00000
	v_writelane_b32 v90, s40, 30
	s_and_b64 s[86:87], s[68:69], s[40:41]
	v_pk_mov_b32 v[18:19], v[16:17], v[16:17] op_sel:[0,1]
	v_writelane_b32 v90, s41, 31
	s_and_saveexec_b64 s[40:41], s[86:87]
	s_cbranch_execz .LBB694_52
; %bb.51:
	v_add_co_u32_e32 v2, vcc, 0x3000, v32
	v_addc_co_u32_e32 v3, vcc, 0, v33, vcc
	global_load_dwordx2 v[18:19], v[2:3], off
.LBB694_52:
	s_or_b64 exec, exec, s[40:41]
	v_add_u32_e32 v2, 0x640, v4
	v_cmp_gt_i32_e64 s[40:41], s70, v2
	v_writelane_b32 v90, s40, 32
	s_and_b64 s[84:85], s[68:69], s[40:41]
	v_writelane_b32 v90, s41, 33
	s_and_saveexec_b64 s[40:41], s[84:85]
	s_cbranch_execz .LBB694_54
; %bb.53:
	v_add_co_u32_e32 v2, vcc, 0x3000, v32
	v_addc_co_u32_e32 v3, vcc, 0, v33, vcc
	global_load_dwordx2 v[16:17], v[2:3], off offset:512
.LBB694_54:
	s_or_b64 exec, exec, s[40:41]
	v_add_u32_e32 v2, 0x680, v4
	v_mov_b32_e32 v12, 0
	v_cmp_gt_i32_e64 s[40:41], s70, v2
	v_mov_b32_e32 v13, 0xfff00000
	v_writelane_b32 v90, s40, 34
	s_and_b64 s[82:83], s[68:69], s[40:41]
	v_pk_mov_b32 v[14:15], v[12:13], v[12:13] op_sel:[0,1]
	v_writelane_b32 v90, s41, 35
	s_and_saveexec_b64 s[40:41], s[82:83]
	s_cbranch_execz .LBB694_56
; %bb.55:
	v_add_co_u32_e32 v2, vcc, 0x3000, v32
	v_addc_co_u32_e32 v3, vcc, 0, v33, vcc
	global_load_dwordx2 v[14:15], v[2:3], off offset:1024
.LBB694_56:
	s_or_b64 exec, exec, s[40:41]
	v_add_u32_e32 v2, 0x6c0, v4
	v_cmp_gt_i32_e64 s[40:41], s70, v2
	v_writelane_b32 v90, s40, 36
	s_and_b64 s[80:81], s[68:69], s[40:41]
	v_writelane_b32 v90, s41, 37
	s_and_saveexec_b64 s[40:41], s[80:81]
	s_cbranch_execz .LBB694_58
; %bb.57:
	v_add_co_u32_e32 v2, vcc, 0x3000, v32
	v_addc_co_u32_e32 v3, vcc, 0, v33, vcc
	global_load_dwordx2 v[12:13], v[2:3], off offset:1536
.LBB694_58:
	s_or_b64 exec, exec, s[40:41]
	v_add_u32_e32 v2, 0x700, v4
	v_mov_b32_e32 v8, 0
	v_cmp_gt_i32_e64 s[40:41], s70, v2
	v_mov_b32_e32 v9, 0xfff00000
	v_writelane_b32 v90, s40, 38
	s_and_b64 s[78:79], s[68:69], s[40:41]
	v_pk_mov_b32 v[10:11], v[8:9], v[8:9] op_sel:[0,1]
	v_writelane_b32 v90, s41, 39
	s_and_saveexec_b64 s[40:41], s[78:79]
	s_cbranch_execz .LBB694_60
; %bb.59:
	v_add_co_u32_e32 v2, vcc, 0x3000, v32
	v_addc_co_u32_e32 v3, vcc, 0, v33, vcc
	global_load_dwordx2 v[10:11], v[2:3], off offset:2048
.LBB694_60:
	s_or_b64 exec, exec, s[40:41]
	v_add_u32_e32 v2, 0x740, v4
	v_cmp_gt_i32_e64 s[40:41], s70, v2
	v_writelane_b32 v90, s40, 40
	s_and_b64 s[76:77], s[68:69], s[40:41]
	v_writelane_b32 v90, s41, 41
	s_and_saveexec_b64 s[40:41], s[76:77]
	s_cbranch_execz .LBB694_62
; %bb.61:
	v_add_co_u32_e32 v2, vcc, 0x3000, v32
	v_addc_co_u32_e32 v3, vcc, 0, v33, vcc
	global_load_dwordx2 v[8:9], v[2:3], off offset:2560
.LBB694_62:
	s_or_b64 exec, exec, s[40:41]
	v_add_u32_e32 v2, 0x780, v4
	v_cmp_gt_i32_e64 s[40:41], s70, v2
	v_mov_b32_e32 v2, 0
	v_mov_b32_e32 v3, 0xfff00000
	v_writelane_b32 v90, s40, 42
	s_and_b64 s[74:75], s[68:69], s[40:41]
	v_pk_mov_b32 v[6:7], v[2:3], v[2:3] op_sel:[0,1]
	v_writelane_b32 v90, s41, 43
	s_and_saveexec_b64 s[40:41], s[74:75]
	s_cbranch_execz .LBB694_64
; %bb.63:
	v_add_co_u32_e32 v6, vcc, 0x3000, v32
	v_addc_co_u32_e32 v7, vcc, 0, v33, vcc
	global_load_dwordx2 v[6:7], v[6:7], off offset:3072
.LBB694_64:
	s_or_b64 exec, exec, s[40:41]
	v_add_u32_e32 v4, 0x7c0, v4
	v_cmp_gt_i32_e64 s[40:41], s70, v4
	v_writelane_b32 v90, s40, 44
	s_and_b64 s[68:69], s[68:69], s[40:41]
	v_writelane_b32 v90, s41, 45
	s_and_saveexec_b64 s[40:41], s[68:69]
	s_cbranch_execz .LBB694_66
; %bb.65:
	v_add_co_u32_e32 v2, vcc, 0x3000, v32
	v_addc_co_u32_e32 v3, vcc, 0, v33, vcc
	global_load_dwordx2 v[2:3], v[2:3], off offset:3584
.LBB694_66:
	s_or_b64 exec, exec, s[40:41]
	s_load_dwordx2 s[4:5], s[4:5], 0x20
	s_waitcnt lgkmcnt(0)
	v_mov_b32_e32 v5, s5
	v_add_co_u32_e32 v4, vcc, s4, v30
	v_addc_co_u32_e32 v5, vcc, v5, v31, vcc
	s_mov_b64 s[4:5], 0
	s_and_saveexec_b64 s[40:41], s[38:39]
	s_cbranch_execnz .LBB694_98
; %bb.67:
	s_or_b64 exec, exec, s[40:41]
	s_waitcnt vmcnt(0)
	v_pk_mov_b32 v[30:31], v[40:41], v[40:41] op_sel:[0,1]
	s_and_saveexec_b64 s[70:71], s[36:37]
	s_cbranch_execnz .LBB694_99
.LBB694_68:
	s_or_b64 exec, exec, s[70:71]
	s_and_saveexec_b64 s[70:71], s[34:35]
	s_cbranch_execnz .LBB694_102
.LBB694_69:
	s_or_b64 exec, exec, s[70:71]
	s_and_saveexec_b64 s[70:71], s[30:31]
	s_cbranch_execnz .LBB694_105
.LBB694_70:
	s_or_b64 exec, exec, s[70:71]
	s_and_saveexec_b64 s[70:71], s[28:29]
	s_cbranch_execnz .LBB694_108
.LBB694_71:
	s_or_b64 exec, exec, s[70:71]
	s_and_saveexec_b64 s[70:71], s[26:27]
	s_cbranch_execnz .LBB694_111
.LBB694_72:
	s_or_b64 exec, exec, s[70:71]
	s_and_saveexec_b64 s[70:71], s[24:25]
	s_cbranch_execnz .LBB694_114
.LBB694_73:
	s_or_b64 exec, exec, s[70:71]
	s_and_saveexec_b64 s[70:71], s[22:23]
	s_cbranch_execnz .LBB694_117
.LBB694_74:
	s_or_b64 exec, exec, s[70:71]
	s_and_saveexec_b64 s[70:71], s[20:21]
	s_cbranch_execnz .LBB694_120
.LBB694_75:
	s_or_b64 exec, exec, s[70:71]
	s_and_saveexec_b64 s[70:71], s[18:19]
	s_cbranch_execnz .LBB694_123
.LBB694_76:
	s_or_b64 exec, exec, s[70:71]
	s_and_saveexec_b64 s[70:71], s[16:17]
	s_cbranch_execnz .LBB694_126
.LBB694_77:
	s_or_b64 exec, exec, s[70:71]
	s_and_saveexec_b64 s[70:71], s[14:15]
	s_cbranch_execnz .LBB694_129
.LBB694_78:
	s_or_b64 exec, exec, s[70:71]
	s_and_saveexec_b64 s[70:71], s[12:13]
	s_cbranch_execnz .LBB694_132
.LBB694_79:
	s_or_b64 exec, exec, s[70:71]
	s_and_saveexec_b64 s[70:71], s[10:11]
	s_cbranch_execnz .LBB694_135
.LBB694_80:
	s_or_b64 exec, exec, s[70:71]
	s_and_saveexec_b64 s[70:71], s[8:9]
	s_cbranch_execnz .LBB694_138
.LBB694_81:
	s_or_b64 exec, exec, s[70:71]
	s_and_saveexec_b64 s[70:71], s[6:7]
	s_cbranch_execnz .LBB694_141
.LBB694_82:
	s_or_b64 exec, exec, s[70:71]
	s_and_saveexec_b64 s[70:71], s[66:67]
	s_cbranch_execnz .LBB694_144
.LBB694_83:
	s_or_b64 exec, exec, s[70:71]
	s_and_saveexec_b64 s[70:71], s[2:3]
	s_cbranch_execnz .LBB694_147
.LBB694_84:
	s_or_b64 exec, exec, s[70:71]
	s_and_saveexec_b64 s[70:71], s[0:1]
	s_cbranch_execnz .LBB694_150
.LBB694_85:
	s_or_b64 exec, exec, s[70:71]
	s_and_saveexec_b64 s[70:71], s[72:73]
	s_cbranch_execnz .LBB694_153
.LBB694_86:
	s_or_b64 exec, exec, s[70:71]
	s_and_saveexec_b64 s[70:71], s[94:95]
	s_cbranch_execnz .LBB694_156
.LBB694_87:
	s_or_b64 exec, exec, s[70:71]
	s_and_saveexec_b64 s[70:71], s[92:93]
	s_cbranch_execnz .LBB694_159
.LBB694_88:
	s_or_b64 exec, exec, s[70:71]
	s_and_saveexec_b64 s[70:71], s[90:91]
	s_cbranch_execnz .LBB694_162
.LBB694_89:
	s_or_b64 exec, exec, s[70:71]
	s_and_saveexec_b64 s[70:71], s[88:89]
	s_cbranch_execnz .LBB694_165
.LBB694_90:
	s_or_b64 exec, exec, s[70:71]
	s_and_saveexec_b64 s[70:71], s[86:87]
	s_cbranch_execnz .LBB694_168
.LBB694_91:
	s_or_b64 exec, exec, s[70:71]
	s_and_saveexec_b64 s[70:71], s[84:85]
	s_cbranch_execnz .LBB694_171
.LBB694_92:
	s_or_b64 exec, exec, s[70:71]
	s_and_saveexec_b64 s[70:71], s[82:83]
	s_cbranch_execnz .LBB694_174
.LBB694_93:
	s_or_b64 exec, exec, s[70:71]
	s_and_saveexec_b64 s[70:71], s[80:81]
	s_cbranch_execnz .LBB694_177
.LBB694_94:
	s_or_b64 exec, exec, s[70:71]
	s_and_saveexec_b64 s[70:71], s[78:79]
	s_cbranch_execnz .LBB694_180
.LBB694_95:
	s_or_b64 exec, exec, s[70:71]
	s_and_saveexec_b64 s[70:71], s[76:77]
	s_cbranch_execnz .LBB694_183
.LBB694_96:
	s_or_b64 exec, exec, s[70:71]
	s_and_saveexec_b64 s[70:71], s[74:75]
	s_cbranch_execnz .LBB694_186
.LBB694_97:
	s_or_b64 exec, exec, s[70:71]
	s_and_saveexec_b64 s[70:71], s[68:69]
	s_cbranch_execnz .LBB694_189
	s_branch .LBB694_192
.LBB694_98:
	global_load_ubyte v30, v[4:5], off
	s_waitcnt vmcnt(0)
	v_and_b32_e32 v30, 1, v30
	v_cmp_eq_u32_e32 vcc, 1, v30
	s_xor_b64 s[4:5], vcc, -1
	s_and_b64 s[4:5], s[4:5], exec
	s_or_b64 exec, exec, s[40:41]
	v_pk_mov_b32 v[30:31], v[40:41], v[40:41] op_sel:[0,1]
	s_and_saveexec_b64 s[70:71], s[36:37]
	s_cbranch_execz .LBB694_68
.LBB694_99:
	global_load_ubyte v30, v[4:5], off offset:64
	s_mov_b64 s[40:41], s[4:5]
	s_waitcnt vmcnt(0)
	v_and_b32_e32 v30, 1, v30
	v_cmp_eq_u32_e32 vcc, 1, v30
	s_xor_b64 vcc, vcc, -1
	v_pk_mov_b32 v[30:31], v[40:41], v[40:41] op_sel:[0,1]
	s_and_saveexec_b64 s[42:43], vcc
; %bb.100:
	v_cmp_gt_f64_e32 vcc, v[40:41], v[48:49]
	s_and_b64 vcc, s[4:5], vcc
	v_cndmask_b32_e32 v31, v49, v41, vcc
	v_cndmask_b32_e32 v30, v48, v40, vcc
	s_or_b64 s[40:41], s[4:5], exec
; %bb.101:
	s_or_b64 exec, exec, s[42:43]
	s_andn2_b64 s[4:5], s[4:5], exec
	s_and_b64 s[40:41], s[40:41], exec
	s_or_b64 s[4:5], s[4:5], s[40:41]
	s_or_b64 exec, exec, s[70:71]
	s_and_saveexec_b64 s[70:71], s[34:35]
	s_cbranch_execz .LBB694_69
.LBB694_102:
	global_load_ubyte v32, v[4:5], off offset:128
	s_mov_b64 s[42:43], s[4:5]
	s_waitcnt vmcnt(0)
	v_and_b32_e32 v32, 1, v32
	v_cmp_eq_u32_e32 vcc, 1, v32
	s_xor_b64 vcc, vcc, -1
	s_and_saveexec_b64 s[40:41], vcc
; %bb.103:
	v_cmp_gt_f64_e32 vcc, v[30:31], v[46:47]
	s_and_b64 vcc, s[4:5], vcc
	v_cndmask_b32_e32 v31, v47, v31, vcc
	v_cndmask_b32_e32 v30, v46, v30, vcc
	s_or_b64 s[42:43], s[4:5], exec
; %bb.104:
	s_or_b64 exec, exec, s[40:41]
	s_andn2_b64 s[4:5], s[4:5], exec
	s_and_b64 s[40:41], s[42:43], exec
	s_or_b64 s[4:5], s[4:5], s[40:41]
	s_or_b64 exec, exec, s[70:71]
	s_and_saveexec_b64 s[70:71], s[30:31]
	s_cbranch_execz .LBB694_70
.LBB694_105:
	global_load_ubyte v32, v[4:5], off offset:192
	s_mov_b64 s[42:43], s[4:5]
	s_waitcnt vmcnt(0)
	v_and_b32_e32 v32, 1, v32
	v_cmp_eq_u32_e32 vcc, 1, v32
	s_xor_b64 vcc, vcc, -1
	s_and_saveexec_b64 s[40:41], vcc
; %bb.106:
	v_cmp_gt_f64_e32 vcc, v[30:31], v[56:57]
	s_and_b64 vcc, s[4:5], vcc
	v_cndmask_b32_e32 v31, v57, v31, vcc
	v_cndmask_b32_e32 v30, v56, v30, vcc
	s_or_b64 s[42:43], s[4:5], exec
; %bb.107:
	s_or_b64 exec, exec, s[40:41]
	s_andn2_b64 s[4:5], s[4:5], exec
	s_and_b64 s[40:41], s[42:43], exec
	s_or_b64 s[4:5], s[4:5], s[40:41]
	s_or_b64 exec, exec, s[70:71]
	s_and_saveexec_b64 s[70:71], s[28:29]
	s_cbranch_execz .LBB694_71
.LBB694_108:
	global_load_ubyte v32, v[4:5], off offset:256
	s_mov_b64 s[42:43], s[4:5]
	s_waitcnt vmcnt(0)
	v_and_b32_e32 v32, 1, v32
	v_cmp_eq_u32_e32 vcc, 1, v32
	s_xor_b64 vcc, vcc, -1
	s_and_saveexec_b64 s[40:41], vcc
; %bb.109:
	v_cmp_gt_f64_e32 vcc, v[30:31], v[54:55]
	s_and_b64 vcc, s[4:5], vcc
	v_cndmask_b32_e32 v31, v55, v31, vcc
	v_cndmask_b32_e32 v30, v54, v30, vcc
	s_or_b64 s[42:43], s[4:5], exec
; %bb.110:
	s_or_b64 exec, exec, s[40:41]
	s_andn2_b64 s[4:5], s[4:5], exec
	s_and_b64 s[40:41], s[42:43], exec
	s_or_b64 s[4:5], s[4:5], s[40:41]
	s_or_b64 exec, exec, s[70:71]
	s_and_saveexec_b64 s[70:71], s[26:27]
	s_cbranch_execz .LBB694_72
.LBB694_111:
	global_load_ubyte v32, v[4:5], off offset:320
	s_mov_b64 s[42:43], s[4:5]
	s_waitcnt vmcnt(0)
	v_and_b32_e32 v32, 1, v32
	v_cmp_eq_u32_e32 vcc, 1, v32
	s_xor_b64 vcc, vcc, -1
	s_and_saveexec_b64 s[40:41], vcc
; %bb.112:
	v_cmp_gt_f64_e32 vcc, v[30:31], v[64:65]
	s_and_b64 vcc, s[4:5], vcc
	v_cndmask_b32_e32 v31, v65, v31, vcc
	v_cndmask_b32_e32 v30, v64, v30, vcc
	s_or_b64 s[42:43], s[4:5], exec
; %bb.113:
	s_or_b64 exec, exec, s[40:41]
	s_andn2_b64 s[4:5], s[4:5], exec
	s_and_b64 s[40:41], s[42:43], exec
	s_or_b64 s[4:5], s[4:5], s[40:41]
	s_or_b64 exec, exec, s[70:71]
	s_and_saveexec_b64 s[70:71], s[24:25]
	s_cbranch_execz .LBB694_73
.LBB694_114:
	global_load_ubyte v32, v[4:5], off offset:384
	s_mov_b64 s[42:43], s[4:5]
	s_waitcnt vmcnt(0)
	v_and_b32_e32 v32, 1, v32
	v_cmp_eq_u32_e32 vcc, 1, v32
	s_xor_b64 vcc, vcc, -1
	s_and_saveexec_b64 s[40:41], vcc
; %bb.115:
	v_cmp_gt_f64_e32 vcc, v[30:31], v[62:63]
	s_and_b64 vcc, s[4:5], vcc
	v_cndmask_b32_e32 v31, v63, v31, vcc
	v_cndmask_b32_e32 v30, v62, v30, vcc
	s_or_b64 s[42:43], s[4:5], exec
; %bb.116:
	s_or_b64 exec, exec, s[40:41]
	s_andn2_b64 s[4:5], s[4:5], exec
	s_and_b64 s[40:41], s[42:43], exec
	s_or_b64 s[4:5], s[4:5], s[40:41]
	s_or_b64 exec, exec, s[70:71]
	s_and_saveexec_b64 s[70:71], s[22:23]
	s_cbranch_execz .LBB694_74
.LBB694_117:
	global_load_ubyte v32, v[4:5], off offset:448
	s_mov_b64 s[42:43], s[4:5]
	s_waitcnt vmcnt(0)
	v_and_b32_e32 v32, 1, v32
	v_cmp_eq_u32_e32 vcc, 1, v32
	s_xor_b64 vcc, vcc, -1
	s_and_saveexec_b64 s[40:41], vcc
; %bb.118:
	v_cmp_gt_f64_e32 vcc, v[30:31], v[72:73]
	s_and_b64 vcc, s[4:5], vcc
	v_cndmask_b32_e32 v31, v73, v31, vcc
	v_cndmask_b32_e32 v30, v72, v30, vcc
	s_or_b64 s[42:43], s[4:5], exec
; %bb.119:
	s_or_b64 exec, exec, s[40:41]
	s_andn2_b64 s[4:5], s[4:5], exec
	s_and_b64 s[40:41], s[42:43], exec
	s_or_b64 s[4:5], s[4:5], s[40:41]
	s_or_b64 exec, exec, s[70:71]
	s_and_saveexec_b64 s[70:71], s[20:21]
	s_cbranch_execz .LBB694_75
.LBB694_120:
	global_load_ubyte v32, v[4:5], off offset:512
	s_mov_b64 s[42:43], s[4:5]
	s_waitcnt vmcnt(0)
	v_and_b32_e32 v32, 1, v32
	v_cmp_eq_u32_e32 vcc, 1, v32
	s_xor_b64 vcc, vcc, -1
	s_and_saveexec_b64 s[40:41], vcc
; %bb.121:
	v_cmp_gt_f64_e32 vcc, v[30:31], v[68:69]
	s_and_b64 vcc, s[4:5], vcc
	v_cndmask_b32_e32 v31, v69, v31, vcc
	v_cndmask_b32_e32 v30, v68, v30, vcc
	s_or_b64 s[42:43], s[4:5], exec
; %bb.122:
	s_or_b64 exec, exec, s[40:41]
	s_andn2_b64 s[4:5], s[4:5], exec
	s_and_b64 s[40:41], s[42:43], exec
	s_or_b64 s[4:5], s[4:5], s[40:41]
	s_or_b64 exec, exec, s[70:71]
	s_and_saveexec_b64 s[70:71], s[18:19]
	s_cbranch_execz .LBB694_76
.LBB694_123:
	global_load_ubyte v32, v[4:5], off offset:576
	s_mov_b64 s[42:43], s[4:5]
	s_waitcnt vmcnt(0)
	v_and_b32_e32 v32, 1, v32
	v_cmp_eq_u32_e32 vcc, 1, v32
	s_xor_b64 vcc, vcc, -1
	s_and_saveexec_b64 s[40:41], vcc
; %bb.124:
	v_cmp_gt_f64_e32 vcc, v[30:31], v[74:75]
	s_and_b64 vcc, s[4:5], vcc
	v_cndmask_b32_e32 v31, v75, v31, vcc
	v_cndmask_b32_e32 v30, v74, v30, vcc
	s_or_b64 s[42:43], s[4:5], exec
; %bb.125:
	s_or_b64 exec, exec, s[40:41]
	s_andn2_b64 s[4:5], s[4:5], exec
	s_and_b64 s[40:41], s[42:43], exec
	s_or_b64 s[4:5], s[4:5], s[40:41]
	s_or_b64 exec, exec, s[70:71]
	s_and_saveexec_b64 s[70:71], s[16:17]
	s_cbranch_execz .LBB694_77
.LBB694_126:
	global_load_ubyte v32, v[4:5], off offset:640
	s_mov_b64 s[42:43], s[4:5]
	s_waitcnt vmcnt(0)
	v_and_b32_e32 v32, 1, v32
	v_cmp_eq_u32_e32 vcc, 1, v32
	s_xor_b64 vcc, vcc, -1
	s_and_saveexec_b64 s[40:41], vcc
; %bb.127:
	v_cmp_gt_f64_e32 vcc, v[30:31], v[70:71]
	s_and_b64 vcc, s[4:5], vcc
	v_cndmask_b32_e32 v31, v71, v31, vcc
	v_cndmask_b32_e32 v30, v70, v30, vcc
	s_or_b64 s[42:43], s[4:5], exec
; %bb.128:
	s_or_b64 exec, exec, s[40:41]
	s_andn2_b64 s[4:5], s[4:5], exec
	s_and_b64 s[40:41], s[42:43], exec
	s_or_b64 s[4:5], s[4:5], s[40:41]
	s_or_b64 exec, exec, s[70:71]
	s_and_saveexec_b64 s[70:71], s[14:15]
	s_cbranch_execz .LBB694_78
.LBB694_129:
	global_load_ubyte v32, v[4:5], off offset:704
	s_mov_b64 s[42:43], s[4:5]
	s_waitcnt vmcnt(0)
	v_and_b32_e32 v32, 1, v32
	v_cmp_eq_u32_e32 vcc, 1, v32
	s_xor_b64 vcc, vcc, -1
	s_and_saveexec_b64 s[40:41], vcc
; %bb.130:
	v_cmp_gt_f64_e32 vcc, v[30:31], v[66:67]
	s_and_b64 vcc, s[4:5], vcc
	v_cndmask_b32_e32 v31, v67, v31, vcc
	v_cndmask_b32_e32 v30, v66, v30, vcc
	s_or_b64 s[42:43], s[4:5], exec
; %bb.131:
	s_or_b64 exec, exec, s[40:41]
	s_andn2_b64 s[4:5], s[4:5], exec
	s_and_b64 s[40:41], s[42:43], exec
	s_or_b64 s[4:5], s[4:5], s[40:41]
	s_or_b64 exec, exec, s[70:71]
	s_and_saveexec_b64 s[70:71], s[12:13]
	s_cbranch_execz .LBB694_79
.LBB694_132:
	global_load_ubyte v32, v[4:5], off offset:768
	s_mov_b64 s[42:43], s[4:5]
	s_waitcnt vmcnt(0)
	v_and_b32_e32 v32, 1, v32
	v_cmp_eq_u32_e32 vcc, 1, v32
	s_xor_b64 vcc, vcc, -1
	s_and_saveexec_b64 s[40:41], vcc
; %bb.133:
	v_cmp_gt_f64_e32 vcc, v[30:31], v[60:61]
	s_and_b64 vcc, s[4:5], vcc
	v_cndmask_b32_e32 v31, v61, v31, vcc
	v_cndmask_b32_e32 v30, v60, v30, vcc
	s_or_b64 s[42:43], s[4:5], exec
; %bb.134:
	s_or_b64 exec, exec, s[40:41]
	s_andn2_b64 s[4:5], s[4:5], exec
	s_and_b64 s[40:41], s[42:43], exec
	s_or_b64 s[4:5], s[4:5], s[40:41]
	s_or_b64 exec, exec, s[70:71]
	s_and_saveexec_b64 s[70:71], s[10:11]
	s_cbranch_execz .LBB694_80
.LBB694_135:
	global_load_ubyte v32, v[4:5], off offset:832
	s_mov_b64 s[42:43], s[4:5]
	s_waitcnt vmcnt(0)
	v_and_b32_e32 v32, 1, v32
	v_cmp_eq_u32_e32 vcc, 1, v32
	s_xor_b64 vcc, vcc, -1
	s_and_saveexec_b64 s[40:41], vcc
; %bb.136:
	v_cmp_gt_f64_e32 vcc, v[30:31], v[58:59]
	s_and_b64 vcc, s[4:5], vcc
	v_cndmask_b32_e32 v31, v59, v31, vcc
	v_cndmask_b32_e32 v30, v58, v30, vcc
	s_or_b64 s[42:43], s[4:5], exec
; %bb.137:
	s_or_b64 exec, exec, s[40:41]
	s_andn2_b64 s[4:5], s[4:5], exec
	s_and_b64 s[40:41], s[42:43], exec
	s_or_b64 s[4:5], s[4:5], s[40:41]
	s_or_b64 exec, exec, s[70:71]
	s_and_saveexec_b64 s[70:71], s[8:9]
	s_cbranch_execz .LBB694_81
.LBB694_138:
	global_load_ubyte v32, v[4:5], off offset:896
	s_mov_b64 s[42:43], s[4:5]
	s_waitcnt vmcnt(0)
	v_and_b32_e32 v32, 1, v32
	v_cmp_eq_u32_e32 vcc, 1, v32
	s_xor_b64 vcc, vcc, -1
	s_and_saveexec_b64 s[40:41], vcc
; %bb.139:
	v_cmp_gt_f64_e32 vcc, v[30:31], v[52:53]
	s_and_b64 vcc, s[4:5], vcc
	v_cndmask_b32_e32 v31, v53, v31, vcc
	v_cndmask_b32_e32 v30, v52, v30, vcc
	s_or_b64 s[42:43], s[4:5], exec
; %bb.140:
	s_or_b64 exec, exec, s[40:41]
	s_andn2_b64 s[4:5], s[4:5], exec
	s_and_b64 s[40:41], s[42:43], exec
	s_or_b64 s[4:5], s[4:5], s[40:41]
	s_or_b64 exec, exec, s[70:71]
	s_and_saveexec_b64 s[70:71], s[6:7]
	s_cbranch_execz .LBB694_82
.LBB694_141:
	global_load_ubyte v32, v[4:5], off offset:960
	s_mov_b64 s[42:43], s[4:5]
	s_waitcnt vmcnt(0)
	v_and_b32_e32 v32, 1, v32
	v_cmp_eq_u32_e32 vcc, 1, v32
	s_xor_b64 vcc, vcc, -1
	s_and_saveexec_b64 s[40:41], vcc
; %bb.142:
	v_cmp_gt_f64_e32 vcc, v[30:31], v[50:51]
	s_and_b64 vcc, s[4:5], vcc
	v_cndmask_b32_e32 v31, v51, v31, vcc
	v_cndmask_b32_e32 v30, v50, v30, vcc
	s_or_b64 s[42:43], s[4:5], exec
; %bb.143:
	s_or_b64 exec, exec, s[40:41]
	s_andn2_b64 s[4:5], s[4:5], exec
	s_and_b64 s[40:41], s[42:43], exec
	s_or_b64 s[4:5], s[4:5], s[40:41]
	s_or_b64 exec, exec, s[70:71]
	s_and_saveexec_b64 s[70:71], s[66:67]
	s_cbranch_execz .LBB694_83
.LBB694_144:
	global_load_ubyte v32, v[4:5], off offset:1024
	s_mov_b64 s[42:43], s[4:5]
	s_waitcnt vmcnt(0)
	v_and_b32_e32 v32, 1, v32
	v_cmp_eq_u32_e32 vcc, 1, v32
	s_xor_b64 vcc, vcc, -1
	s_and_saveexec_b64 s[40:41], vcc
; %bb.145:
	v_cmp_gt_f64_e32 vcc, v[30:31], v[44:45]
	s_and_b64 vcc, s[4:5], vcc
	v_cndmask_b32_e32 v31, v45, v31, vcc
	v_cndmask_b32_e32 v30, v44, v30, vcc
	s_or_b64 s[42:43], s[4:5], exec
; %bb.146:
	s_or_b64 exec, exec, s[40:41]
	s_andn2_b64 s[4:5], s[4:5], exec
	s_and_b64 s[40:41], s[42:43], exec
	s_or_b64 s[4:5], s[4:5], s[40:41]
	s_or_b64 exec, exec, s[70:71]
	s_and_saveexec_b64 s[70:71], s[2:3]
	s_cbranch_execz .LBB694_84
.LBB694_147:
	global_load_ubyte v32, v[4:5], off offset:1088
	s_mov_b64 s[42:43], s[4:5]
	s_waitcnt vmcnt(0)
	v_and_b32_e32 v32, 1, v32
	v_cmp_eq_u32_e32 vcc, 1, v32
	s_xor_b64 vcc, vcc, -1
	s_and_saveexec_b64 s[40:41], vcc
; %bb.148:
	v_cmp_gt_f64_e32 vcc, v[30:31], v[42:43]
	s_and_b64 vcc, s[4:5], vcc
	v_cndmask_b32_e32 v31, v43, v31, vcc
	v_cndmask_b32_e32 v30, v42, v30, vcc
	s_or_b64 s[42:43], s[4:5], exec
; %bb.149:
	s_or_b64 exec, exec, s[40:41]
	s_andn2_b64 s[4:5], s[4:5], exec
	s_and_b64 s[40:41], s[42:43], exec
	s_or_b64 s[4:5], s[4:5], s[40:41]
	s_or_b64 exec, exec, s[70:71]
	s_and_saveexec_b64 s[70:71], s[0:1]
	s_cbranch_execz .LBB694_85
.LBB694_150:
	global_load_ubyte v32, v[4:5], off offset:1152
	s_mov_b64 s[42:43], s[4:5]
	s_waitcnt vmcnt(0)
	v_and_b32_e32 v32, 1, v32
	v_cmp_eq_u32_e32 vcc, 1, v32
	s_xor_b64 vcc, vcc, -1
	s_and_saveexec_b64 s[40:41], vcc
; %bb.151:
	v_cmp_gt_f64_e32 vcc, v[30:31], v[34:35]
	s_and_b64 vcc, s[4:5], vcc
	v_cndmask_b32_e32 v31, v35, v31, vcc
	v_cndmask_b32_e32 v30, v34, v30, vcc
	s_or_b64 s[42:43], s[4:5], exec
; %bb.152:
	s_or_b64 exec, exec, s[40:41]
	s_andn2_b64 s[4:5], s[4:5], exec
	s_and_b64 s[40:41], s[42:43], exec
	s_or_b64 s[4:5], s[4:5], s[40:41]
	s_or_b64 exec, exec, s[70:71]
	s_and_saveexec_b64 s[70:71], s[72:73]
	s_cbranch_execz .LBB694_86
.LBB694_153:
	global_load_ubyte v32, v[4:5], off offset:1216
	s_mov_b64 s[42:43], s[4:5]
	s_waitcnt vmcnt(0)
	v_and_b32_e32 v32, 1, v32
	v_cmp_eq_u32_e32 vcc, 1, v32
	s_xor_b64 vcc, vcc, -1
	s_and_saveexec_b64 s[40:41], vcc
; %bb.154:
	v_cmp_gt_f64_e32 vcc, v[30:31], v[28:29]
	s_and_b64 vcc, s[4:5], vcc
	v_cndmask_b32_e32 v31, v29, v31, vcc
	v_cndmask_b32_e32 v30, v28, v30, vcc
	s_or_b64 s[42:43], s[4:5], exec
; %bb.155:
	s_or_b64 exec, exec, s[40:41]
	s_andn2_b64 s[4:5], s[4:5], exec
	s_and_b64 s[40:41], s[42:43], exec
	s_or_b64 s[4:5], s[4:5], s[40:41]
	s_or_b64 exec, exec, s[70:71]
	s_and_saveexec_b64 s[70:71], s[94:95]
	s_cbranch_execz .LBB694_87
.LBB694_156:
	global_load_ubyte v32, v[4:5], off offset:1280
	s_mov_b64 s[42:43], s[4:5]
	s_waitcnt vmcnt(0)
	v_and_b32_e32 v32, 1, v32
	v_cmp_eq_u32_e32 vcc, 1, v32
	s_xor_b64 vcc, vcc, -1
	s_and_saveexec_b64 s[40:41], vcc
; %bb.157:
	v_cmp_gt_f64_e32 vcc, v[30:31], v[26:27]
	s_and_b64 vcc, s[4:5], vcc
	v_cndmask_b32_e32 v31, v27, v31, vcc
	v_cndmask_b32_e32 v30, v26, v30, vcc
	s_or_b64 s[42:43], s[4:5], exec
; %bb.158:
	s_or_b64 exec, exec, s[40:41]
	s_andn2_b64 s[4:5], s[4:5], exec
	s_and_b64 s[40:41], s[42:43], exec
	s_or_b64 s[4:5], s[4:5], s[40:41]
	s_or_b64 exec, exec, s[70:71]
	s_and_saveexec_b64 s[70:71], s[92:93]
	s_cbranch_execz .LBB694_88
.LBB694_159:
	global_load_ubyte v32, v[4:5], off offset:1344
	s_mov_b64 s[42:43], s[4:5]
	s_waitcnt vmcnt(0)
	v_and_b32_e32 v32, 1, v32
	v_cmp_eq_u32_e32 vcc, 1, v32
	s_xor_b64 vcc, vcc, -1
	s_and_saveexec_b64 s[40:41], vcc
; %bb.160:
	v_cmp_gt_f64_e32 vcc, v[30:31], v[24:25]
	s_and_b64 vcc, s[4:5], vcc
	v_cndmask_b32_e32 v31, v25, v31, vcc
	v_cndmask_b32_e32 v30, v24, v30, vcc
	s_or_b64 s[42:43], s[4:5], exec
; %bb.161:
	s_or_b64 exec, exec, s[40:41]
	s_andn2_b64 s[4:5], s[4:5], exec
	s_and_b64 s[40:41], s[42:43], exec
	s_or_b64 s[4:5], s[4:5], s[40:41]
	s_or_b64 exec, exec, s[70:71]
	s_and_saveexec_b64 s[70:71], s[90:91]
	s_cbranch_execz .LBB694_89
.LBB694_162:
	global_load_ubyte v32, v[4:5], off offset:1408
	s_mov_b64 s[42:43], s[4:5]
	s_waitcnt vmcnt(0)
	v_and_b32_e32 v32, 1, v32
	v_cmp_eq_u32_e32 vcc, 1, v32
	s_xor_b64 vcc, vcc, -1
	s_and_saveexec_b64 s[40:41], vcc
; %bb.163:
	v_cmp_gt_f64_e32 vcc, v[30:31], v[22:23]
	s_and_b64 vcc, s[4:5], vcc
	v_cndmask_b32_e32 v31, v23, v31, vcc
	v_cndmask_b32_e32 v30, v22, v30, vcc
	s_or_b64 s[42:43], s[4:5], exec
; %bb.164:
	s_or_b64 exec, exec, s[40:41]
	s_andn2_b64 s[4:5], s[4:5], exec
	s_and_b64 s[40:41], s[42:43], exec
	s_or_b64 s[4:5], s[4:5], s[40:41]
	s_or_b64 exec, exec, s[70:71]
	s_and_saveexec_b64 s[70:71], s[88:89]
	s_cbranch_execz .LBB694_90
.LBB694_165:
	global_load_ubyte v32, v[4:5], off offset:1472
	s_mov_b64 s[42:43], s[4:5]
	s_waitcnt vmcnt(0)
	v_and_b32_e32 v32, 1, v32
	v_cmp_eq_u32_e32 vcc, 1, v32
	s_xor_b64 vcc, vcc, -1
	s_and_saveexec_b64 s[40:41], vcc
; %bb.166:
	v_cmp_gt_f64_e32 vcc, v[30:31], v[20:21]
	s_and_b64 vcc, s[4:5], vcc
	v_cndmask_b32_e32 v31, v21, v31, vcc
	v_cndmask_b32_e32 v30, v20, v30, vcc
	s_or_b64 s[42:43], s[4:5], exec
; %bb.167:
	s_or_b64 exec, exec, s[40:41]
	s_andn2_b64 s[4:5], s[4:5], exec
	s_and_b64 s[40:41], s[42:43], exec
	s_or_b64 s[4:5], s[4:5], s[40:41]
	s_or_b64 exec, exec, s[70:71]
	s_and_saveexec_b64 s[70:71], s[86:87]
	s_cbranch_execz .LBB694_91
.LBB694_168:
	global_load_ubyte v32, v[4:5], off offset:1536
	s_mov_b64 s[42:43], s[4:5]
	s_waitcnt vmcnt(0)
	v_and_b32_e32 v32, 1, v32
	v_cmp_eq_u32_e32 vcc, 1, v32
	s_xor_b64 vcc, vcc, -1
	s_and_saveexec_b64 s[40:41], vcc
; %bb.169:
	v_cmp_gt_f64_e32 vcc, v[30:31], v[18:19]
	s_and_b64 vcc, s[4:5], vcc
	v_cndmask_b32_e32 v31, v19, v31, vcc
	v_cndmask_b32_e32 v30, v18, v30, vcc
	s_or_b64 s[42:43], s[4:5], exec
; %bb.170:
	s_or_b64 exec, exec, s[40:41]
	s_andn2_b64 s[4:5], s[4:5], exec
	s_and_b64 s[40:41], s[42:43], exec
	s_or_b64 s[4:5], s[4:5], s[40:41]
	s_or_b64 exec, exec, s[70:71]
	s_and_saveexec_b64 s[70:71], s[84:85]
	s_cbranch_execz .LBB694_92
.LBB694_171:
	global_load_ubyte v32, v[4:5], off offset:1600
	s_mov_b64 s[42:43], s[4:5]
	s_waitcnt vmcnt(0)
	v_and_b32_e32 v32, 1, v32
	v_cmp_eq_u32_e32 vcc, 1, v32
	s_xor_b64 vcc, vcc, -1
	s_and_saveexec_b64 s[40:41], vcc
; %bb.172:
	v_cmp_gt_f64_e32 vcc, v[30:31], v[16:17]
	s_and_b64 vcc, s[4:5], vcc
	v_cndmask_b32_e32 v31, v17, v31, vcc
	v_cndmask_b32_e32 v30, v16, v30, vcc
	s_or_b64 s[42:43], s[4:5], exec
; %bb.173:
	s_or_b64 exec, exec, s[40:41]
	s_andn2_b64 s[4:5], s[4:5], exec
	s_and_b64 s[40:41], s[42:43], exec
	s_or_b64 s[4:5], s[4:5], s[40:41]
	s_or_b64 exec, exec, s[70:71]
	s_and_saveexec_b64 s[70:71], s[82:83]
	s_cbranch_execz .LBB694_93
.LBB694_174:
	global_load_ubyte v32, v[4:5], off offset:1664
	s_mov_b64 s[42:43], s[4:5]
	s_waitcnt vmcnt(0)
	v_and_b32_e32 v32, 1, v32
	v_cmp_eq_u32_e32 vcc, 1, v32
	s_xor_b64 vcc, vcc, -1
	s_and_saveexec_b64 s[40:41], vcc
; %bb.175:
	v_cmp_gt_f64_e32 vcc, v[30:31], v[14:15]
	s_and_b64 vcc, s[4:5], vcc
	v_cndmask_b32_e32 v31, v15, v31, vcc
	v_cndmask_b32_e32 v30, v14, v30, vcc
	s_or_b64 s[42:43], s[4:5], exec
; %bb.176:
	s_or_b64 exec, exec, s[40:41]
	s_andn2_b64 s[4:5], s[4:5], exec
	s_and_b64 s[40:41], s[42:43], exec
	s_or_b64 s[4:5], s[4:5], s[40:41]
	s_or_b64 exec, exec, s[70:71]
	s_and_saveexec_b64 s[70:71], s[80:81]
	s_cbranch_execz .LBB694_94
.LBB694_177:
	global_load_ubyte v32, v[4:5], off offset:1728
	s_mov_b64 s[42:43], s[4:5]
	s_waitcnt vmcnt(0)
	v_and_b32_e32 v32, 1, v32
	v_cmp_eq_u32_e32 vcc, 1, v32
	s_xor_b64 vcc, vcc, -1
	s_and_saveexec_b64 s[40:41], vcc
; %bb.178:
	v_cmp_gt_f64_e32 vcc, v[30:31], v[12:13]
	s_and_b64 vcc, s[4:5], vcc
	v_cndmask_b32_e32 v31, v13, v31, vcc
	v_cndmask_b32_e32 v30, v12, v30, vcc
	s_or_b64 s[42:43], s[4:5], exec
; %bb.179:
	s_or_b64 exec, exec, s[40:41]
	s_andn2_b64 s[4:5], s[4:5], exec
	s_and_b64 s[40:41], s[42:43], exec
	s_or_b64 s[4:5], s[4:5], s[40:41]
	s_or_b64 exec, exec, s[70:71]
	s_and_saveexec_b64 s[70:71], s[78:79]
	s_cbranch_execz .LBB694_95
.LBB694_180:
	global_load_ubyte v32, v[4:5], off offset:1792
	s_mov_b64 s[42:43], s[4:5]
	s_waitcnt vmcnt(0)
	v_and_b32_e32 v32, 1, v32
	v_cmp_eq_u32_e32 vcc, 1, v32
	s_xor_b64 vcc, vcc, -1
	s_and_saveexec_b64 s[40:41], vcc
; %bb.181:
	v_cmp_gt_f64_e32 vcc, v[30:31], v[10:11]
	s_and_b64 vcc, s[4:5], vcc
	v_cndmask_b32_e32 v31, v11, v31, vcc
	v_cndmask_b32_e32 v30, v10, v30, vcc
	s_or_b64 s[42:43], s[4:5], exec
; %bb.182:
	s_or_b64 exec, exec, s[40:41]
	s_andn2_b64 s[4:5], s[4:5], exec
	s_and_b64 s[40:41], s[42:43], exec
	s_or_b64 s[4:5], s[4:5], s[40:41]
	s_or_b64 exec, exec, s[70:71]
	s_and_saveexec_b64 s[70:71], s[76:77]
	s_cbranch_execz .LBB694_96
.LBB694_183:
	global_load_ubyte v32, v[4:5], off offset:1856
	s_mov_b64 s[42:43], s[4:5]
	s_waitcnt vmcnt(0)
	v_and_b32_e32 v32, 1, v32
	v_cmp_eq_u32_e32 vcc, 1, v32
	s_xor_b64 vcc, vcc, -1
	s_and_saveexec_b64 s[40:41], vcc
; %bb.184:
	v_cmp_gt_f64_e32 vcc, v[30:31], v[8:9]
	s_and_b64 vcc, s[4:5], vcc
	v_cndmask_b32_e32 v31, v9, v31, vcc
	v_cndmask_b32_e32 v30, v8, v30, vcc
	s_or_b64 s[42:43], s[4:5], exec
; %bb.185:
	s_or_b64 exec, exec, s[40:41]
	s_andn2_b64 s[4:5], s[4:5], exec
	s_and_b64 s[40:41], s[42:43], exec
	s_or_b64 s[4:5], s[4:5], s[40:41]
	s_or_b64 exec, exec, s[70:71]
	s_and_saveexec_b64 s[70:71], s[74:75]
	s_cbranch_execz .LBB694_97
.LBB694_186:
	global_load_ubyte v32, v[4:5], off offset:1920
	s_mov_b64 s[42:43], s[4:5]
	s_waitcnt vmcnt(0)
	v_and_b32_e32 v32, 1, v32
	v_cmp_eq_u32_e32 vcc, 1, v32
	s_xor_b64 vcc, vcc, -1
	s_and_saveexec_b64 s[40:41], vcc
; %bb.187:
	v_cmp_gt_f64_e32 vcc, v[30:31], v[6:7]
	s_and_b64 vcc, s[4:5], vcc
	v_cndmask_b32_e32 v31, v7, v31, vcc
	v_cndmask_b32_e32 v30, v6, v30, vcc
	s_or_b64 s[42:43], s[4:5], exec
; %bb.188:
	s_or_b64 exec, exec, s[40:41]
	s_andn2_b64 s[4:5], s[4:5], exec
	s_and_b64 s[40:41], s[42:43], exec
	s_or_b64 s[4:5], s[4:5], s[40:41]
	s_or_b64 exec, exec, s[70:71]
	s_and_saveexec_b64 s[70:71], s[68:69]
	s_cbranch_execz .LBB694_192
.LBB694_189:
	global_load_ubyte v32, v[4:5], off offset:1984
	s_mov_b64 s[42:43], s[4:5]
	s_waitcnt vmcnt(0)
	v_and_b32_e32 v32, 1, v32
	v_cmp_eq_u32_e32 vcc, 1, v32
	s_xor_b64 vcc, vcc, -1
	s_and_saveexec_b64 s[40:41], vcc
; %bb.190:
	v_cmp_gt_f64_e32 vcc, v[30:31], v[2:3]
	s_and_b64 vcc, s[4:5], vcc
	v_cndmask_b32_e32 v31, v3, v31, vcc
	v_cndmask_b32_e32 v30, v2, v30, vcc
	s_or_b64 s[42:43], s[4:5], exec
; %bb.191:
	s_or_b64 exec, exec, s[40:41]
	s_andn2_b64 s[4:5], s[4:5], exec
	s_and_b64 s[40:41], s[42:43], exec
	s_or_b64 s[4:5], s[4:5], s[40:41]
.LBB694_192:
	s_or_b64 exec, exec, s[70:71]
	v_mov_b32_e32 v32, 0xfff00000
	v_cndmask_b32_e64 v31, v32, v31, s[4:5]
	v_mbcnt_lo_u32_b32 v32, -1, 0
	v_mbcnt_hi_u32_b32 v36, -1, v32
	v_and_b32_e32 v32, 64, v36
	v_add_u32_e32 v37, 64, v32
	v_xor_b32_e32 v32, 32, v36
	v_cmp_lt_i32_e32 vcc, v32, v37
	v_cndmask_b32_e32 v32, v36, v32, vcc
	v_cndmask_b32_e64 v30, 0, v30, s[4:5]
	v_lshlrev_b32_e32 v77, 2, v32
	ds_bpermute_b32 v32, v77, v30
	ds_bpermute_b32 v33, v77, v31
	s_waitcnt lgkmcnt(0)
	v_cmp_lt_f64_e32 vcc, v[30:31], v[32:33]
	v_cndmask_b32_e32 v30, v30, v32, vcc
	v_xor_b32_e32 v32, 16, v36
	v_cndmask_b32_e32 v31, v31, v33, vcc
	v_cmp_lt_i32_e32 vcc, v32, v37
	v_cndmask_b32_e32 v32, v36, v32, vcc
	v_lshlrev_b32_e32 v78, 2, v32
	ds_bpermute_b32 v32, v78, v30
	ds_bpermute_b32 v33, v78, v31
	s_waitcnt lgkmcnt(0)
	v_cmp_lt_f64_e32 vcc, v[30:31], v[32:33]
	v_cndmask_b32_e32 v30, v30, v32, vcc
	v_xor_b32_e32 v32, 8, v36
	v_cndmask_b32_e32 v31, v31, v33, vcc
	v_cmp_lt_i32_e32 vcc, v32, v37
	v_cndmask_b32_e32 v32, v36, v32, vcc
	;; [unrolled: 10-line block ×5, first 2 shown]
	v_lshlrev_b32_e32 v82, 2, v32
	ds_bpermute_b32 v32, v82, v30
	ds_bpermute_b32 v33, v82, v31
	s_waitcnt lgkmcnt(0)
	v_cmp_lt_f64_e32 vcc, v[30:31], v[32:33]
	v_cndmask_b32_e32 v39, v31, v33, vcc
	v_cndmask_b32_e32 v38, v30, v32, vcc
	v_pk_mov_b32 v[30:31], 0, 0
	v_pk_mov_b32 v[32:33], v[30:31], v[30:31] op_sel:[0,1]
	v_pk_mov_b32 v[36:37], v[30:31], v[30:31] op_sel:[0,1]
	s_and_saveexec_b64 s[70:71], s[38:39]
	s_cbranch_execnz .LBB694_195
; %bb.193:
	s_or_b64 exec, exec, s[70:71]
	v_pk_mov_b32 v[40:41], v[30:31], v[30:31] op_sel:[0,1]
	s_and_saveexec_b64 s[38:39], s[36:37]
	s_cbranch_execnz .LBB694_198
.LBB694_194:
	s_or_b64 exec, exec, s[38:39]
	s_and_saveexec_b64 s[36:37], s[34:35]
	s_cbranch_execnz .LBB694_201
	s_branch .LBB694_204
.LBB694_195:
	global_load_ubyte v32, v[4:5], off
	v_pk_mov_b32 v[36:37], 0, 0
	s_waitcnt vmcnt(0)
	v_and_b32_e32 v32, 1, v32
	v_cmp_eq_u32_e32 vcc, 1, v32
	s_xor_b64 s[4:5], vcc, -1
	v_pk_mov_b32 v[32:33], v[36:37], v[36:37] op_sel:[0,1]
	s_and_saveexec_b64 s[38:39], s[4:5]
	s_cbranch_execz .LBB694_197
; %bb.196:
	s_mov_b32 s4, 0x652b82fe
	v_add_f64 v[32:33], v[40:41], -v[38:39]
	s_mov_b32 s5, 0x3ff71547
	v_mul_f64 v[36:37], v[32:33], s[4:5]
	s_mov_b32 s4, 0xfefa39ef
	v_rndne_f64_e32 v[36:37], v[36:37]
	s_mov_b32 s5, 0xbfe62e42
	v_fma_f64 v[40:41], s[4:5], v[36:37], v[32:33]
	s_mov_b32 s4, 0x3b39803f
	s_mov_b32 s5, 0xbc7abc9e
	v_fmac_f64_e32 v[40:41], s[4:5], v[36:37]
	s_mov_b32 s4, 0x6a5dcb37
	v_mov_b32_e32 v84, 0xfca7ab0c
	v_mov_b32_e32 v85, 0x3e928af3
	s_mov_b32 s5, 0x3e5ade15
	v_fmac_f64_e32 v[84:85], s[4:5], v[40:41]
	v_mov_b32_e32 v86, 0x623fde64
	v_mov_b32_e32 v87, 0x3ec71dee
	v_fmac_f64_e32 v[86:87], v[40:41], v[84:85]
	v_mov_b32_e32 v84, 0x7c89e6b0
	v_mov_b32_e32 v85, 0x3efa0199
	;; [unrolled: 3-line block ×8, first 2 shown]
	s_mov_b32 s4, 0
	v_fmac_f64_e32 v[84:85], v[40:41], v[86:87]
	s_mov_b32 s5, 0x40900000
	v_fma_f64 v[84:85], v[40:41], v[84:85], 1.0
	v_cmp_nlt_f64_e32 vcc, s[4:5], v[32:33]
	s_mov_b32 s4, 0
	v_fma_f64 v[40:41], v[40:41], v[84:85], 1.0
	v_cvt_i32_f64_e32 v36, v[36:37]
	s_mov_b32 s5, 0xc090cc00
	v_ldexp_f64 v[36:37], v[40:41], v36
	v_mov_b32_e32 v40, 0x7ff00000
	v_cmp_ngt_f64_e64 s[4:5], s[4:5], v[32:33]
	v_cndmask_b32_e32 v37, v40, v37, vcc
	s_and_b64 vcc, s[4:5], vcc
	v_cndmask_b32_e64 v33, 0, v37, s[4:5]
	v_cndmask_b32_e32 v32, 0, v36, vcc
	v_add_f64 v[36:37], v[32:33], 0
.LBB694_197:
	s_or_b64 exec, exec, s[38:39]
	s_or_b64 exec, exec, s[70:71]
	v_pk_mov_b32 v[40:41], v[30:31], v[30:31] op_sel:[0,1]
	s_and_saveexec_b64 s[38:39], s[36:37]
	s_cbranch_execz .LBB694_194
.LBB694_198:
	global_load_ubyte v40, v[4:5], off offset:64
	s_waitcnt vmcnt(0)
	v_and_b32_e32 v40, 1, v40
	v_cmp_eq_u32_e32 vcc, 1, v40
	s_xor_b64 s[4:5], vcc, -1
	v_pk_mov_b32 v[40:41], 0, 0
	s_and_saveexec_b64 s[36:37], s[4:5]
	s_cbranch_execz .LBB694_200
; %bb.199:
	s_mov_b32 s4, 0x652b82fe
	v_add_f64 v[40:41], v[48:49], -v[38:39]
	s_mov_b32 s5, 0x3ff71547
	v_mul_f64 v[48:49], v[40:41], s[4:5]
	s_mov_b32 s4, 0xfefa39ef
	v_rndne_f64_e32 v[48:49], v[48:49]
	s_mov_b32 s5, 0xbfe62e42
	v_fma_f64 v[84:85], s[4:5], v[48:49], v[40:41]
	s_mov_b32 s4, 0x3b39803f
	s_mov_b32 s5, 0xbc7abc9e
	v_fmac_f64_e32 v[84:85], s[4:5], v[48:49]
	s_mov_b32 s4, 0x6a5dcb37
	v_mov_b32_e32 v86, 0xfca7ab0c
	v_mov_b32_e32 v87, 0x3e928af3
	s_mov_b32 s5, 0x3e5ade15
	v_fmac_f64_e32 v[86:87], s[4:5], v[84:85]
	v_mov_b32_e32 v88, 0x623fde64
	v_mov_b32_e32 v89, 0x3ec71dee
	v_fmac_f64_e32 v[88:89], v[84:85], v[86:87]
	v_mov_b32_e32 v86, 0x7c89e6b0
	v_mov_b32_e32 v87, 0x3efa0199
	;; [unrolled: 3-line block ×8, first 2 shown]
	s_mov_b32 s4, 0
	v_fmac_f64_e32 v[86:87], v[84:85], v[88:89]
	s_mov_b32 s5, 0x40900000
	v_fma_f64 v[86:87], v[84:85], v[86:87], 1.0
	v_cmp_nlt_f64_e32 vcc, s[4:5], v[40:41]
	s_mov_b32 s4, 0
	v_fma_f64 v[84:85], v[84:85], v[86:87], 1.0
	v_cvt_i32_f64_e32 v48, v[48:49]
	s_mov_b32 s5, 0xc090cc00
	v_ldexp_f64 v[48:49], v[84:85], v48
	v_mov_b32_e32 v83, 0x7ff00000
	v_cmp_ngt_f64_e64 s[4:5], s[4:5], v[40:41]
	v_cndmask_b32_e32 v49, v83, v49, vcc
	s_and_b64 vcc, s[4:5], vcc
	v_cndmask_b32_e64 v41, 0, v49, s[4:5]
	v_cndmask_b32_e32 v40, 0, v48, vcc
	v_add_f64 v[36:37], v[36:37], v[40:41]
.LBB694_200:
	s_or_b64 exec, exec, s[36:37]
	s_or_b64 exec, exec, s[38:39]
	s_and_saveexec_b64 s[36:37], s[34:35]
	s_cbranch_execz .LBB694_204
.LBB694_201:
	global_load_ubyte v30, v[4:5], off offset:128
	s_waitcnt vmcnt(0)
	v_and_b32_e32 v30, 1, v30
	v_cmp_eq_u32_e32 vcc, 1, v30
	s_xor_b64 s[4:5], vcc, -1
	v_pk_mov_b32 v[30:31], 0, 0
	s_and_saveexec_b64 s[34:35], s[4:5]
	s_cbranch_execz .LBB694_203
; %bb.202:
	s_mov_b32 s4, 0x652b82fe
	v_add_f64 v[30:31], v[46:47], -v[38:39]
	s_mov_b32 s5, 0x3ff71547
	v_mul_f64 v[46:47], v[30:31], s[4:5]
	s_mov_b32 s4, 0xfefa39ef
	v_rndne_f64_e32 v[46:47], v[46:47]
	s_mov_b32 s5, 0xbfe62e42
	v_fma_f64 v[48:49], s[4:5], v[46:47], v[30:31]
	s_mov_b32 s4, 0x3b39803f
	s_mov_b32 s5, 0xbc7abc9e
	v_fmac_f64_e32 v[48:49], s[4:5], v[46:47]
	s_mov_b32 s4, 0x6a5dcb37
	v_mov_b32_e32 v84, 0xfca7ab0c
	v_mov_b32_e32 v85, 0x3e928af3
	s_mov_b32 s5, 0x3e5ade15
	v_fmac_f64_e32 v[84:85], s[4:5], v[48:49]
	v_mov_b32_e32 v86, 0x623fde64
	v_mov_b32_e32 v87, 0x3ec71dee
	v_fmac_f64_e32 v[86:87], v[48:49], v[84:85]
	v_mov_b32_e32 v84, 0x7c89e6b0
	v_mov_b32_e32 v85, 0x3efa0199
	;; [unrolled: 3-line block ×8, first 2 shown]
	s_mov_b32 s4, 0
	v_fmac_f64_e32 v[84:85], v[48:49], v[86:87]
	s_mov_b32 s5, 0x40900000
	v_fma_f64 v[84:85], v[48:49], v[84:85], 1.0
	v_cmp_nlt_f64_e32 vcc, s[4:5], v[30:31]
	s_mov_b32 s4, 0
	v_fma_f64 v[48:49], v[48:49], v[84:85], 1.0
	v_cvt_i32_f64_e32 v46, v[46:47]
	s_mov_b32 s5, 0xc090cc00
	v_ldexp_f64 v[46:47], v[48:49], v46
	v_mov_b32_e32 v48, 0x7ff00000
	v_cmp_ngt_f64_e64 s[4:5], s[4:5], v[30:31]
	v_cndmask_b32_e32 v47, v48, v47, vcc
	s_and_b64 vcc, s[4:5], vcc
	v_cndmask_b32_e64 v31, 0, v47, s[4:5]
	v_cndmask_b32_e32 v30, 0, v46, vcc
	v_add_f64 v[36:37], v[36:37], v[30:31]
.LBB694_203:
	s_or_b64 exec, exec, s[34:35]
.LBB694_204:
	s_or_b64 exec, exec, s[36:37]
	v_pk_mov_b32 v[46:47], 0, 0
	v_pk_mov_b32 v[48:49], v[46:47], v[46:47] op_sel:[0,1]
	s_and_saveexec_b64 s[34:35], s[30:31]
	s_cbranch_execz .LBB694_208
; %bb.205:
	global_load_ubyte v48, v[4:5], off offset:192
	s_waitcnt vmcnt(0)
	v_and_b32_e32 v48, 1, v48
	v_cmp_eq_u32_e32 vcc, 1, v48
	s_xor_b64 s[4:5], vcc, -1
	v_pk_mov_b32 v[48:49], 0, 0
	s_and_saveexec_b64 s[30:31], s[4:5]
	s_cbranch_execz .LBB694_207
; %bb.206:
	s_mov_b32 s4, 0x652b82fe
	v_add_f64 v[48:49], v[56:57], -v[38:39]
	s_mov_b32 s5, 0x3ff71547
	v_mul_f64 v[56:57], v[48:49], s[4:5]
	s_mov_b32 s4, 0xfefa39ef
	v_rndne_f64_e32 v[56:57], v[56:57]
	s_mov_b32 s5, 0xbfe62e42
	v_fma_f64 v[84:85], s[4:5], v[56:57], v[48:49]
	s_mov_b32 s4, 0x3b39803f
	s_mov_b32 s5, 0xbc7abc9e
	v_fmac_f64_e32 v[84:85], s[4:5], v[56:57]
	s_mov_b32 s4, 0x6a5dcb37
	v_mov_b32_e32 v86, 0xfca7ab0c
	v_mov_b32_e32 v87, 0x3e928af3
	s_mov_b32 s5, 0x3e5ade15
	v_fmac_f64_e32 v[86:87], s[4:5], v[84:85]
	v_mov_b32_e32 v88, 0x623fde64
	v_mov_b32_e32 v89, 0x3ec71dee
	v_fmac_f64_e32 v[88:89], v[84:85], v[86:87]
	v_mov_b32_e32 v86, 0x7c89e6b0
	v_mov_b32_e32 v87, 0x3efa0199
	;; [unrolled: 3-line block ×8, first 2 shown]
	s_mov_b32 s4, 0
	v_fmac_f64_e32 v[86:87], v[84:85], v[88:89]
	s_mov_b32 s5, 0x40900000
	v_fma_f64 v[86:87], v[84:85], v[86:87], 1.0
	v_cmp_nlt_f64_e32 vcc, s[4:5], v[48:49]
	s_mov_b32 s4, 0
	v_fma_f64 v[84:85], v[84:85], v[86:87], 1.0
	v_cvt_i32_f64_e32 v56, v[56:57]
	s_mov_b32 s5, 0xc090cc00
	v_ldexp_f64 v[56:57], v[84:85], v56
	v_mov_b32_e32 v83, 0x7ff00000
	v_cmp_ngt_f64_e64 s[4:5], s[4:5], v[48:49]
	v_cndmask_b32_e32 v57, v83, v57, vcc
	s_and_b64 vcc, s[4:5], vcc
	v_cndmask_b32_e64 v49, 0, v57, s[4:5]
	v_cndmask_b32_e32 v48, 0, v56, vcc
	v_add_f64 v[36:37], v[36:37], v[48:49]
.LBB694_207:
	s_or_b64 exec, exec, s[30:31]
.LBB694_208:
	s_or_b64 exec, exec, s[34:35]
	s_and_saveexec_b64 s[30:31], s[28:29]
	s_cbranch_execz .LBB694_212
; %bb.209:
	global_load_ubyte v46, v[4:5], off offset:256
	s_waitcnt vmcnt(0)
	v_and_b32_e32 v46, 1, v46
	v_cmp_eq_u32_e32 vcc, 1, v46
	s_xor_b64 s[4:5], vcc, -1
	v_pk_mov_b32 v[46:47], 0, 0
	s_and_saveexec_b64 s[28:29], s[4:5]
	s_cbranch_execz .LBB694_211
; %bb.210:
	s_mov_b32 s4, 0x652b82fe
	v_add_f64 v[46:47], v[54:55], -v[38:39]
	s_mov_b32 s5, 0x3ff71547
	v_mul_f64 v[54:55], v[46:47], s[4:5]
	s_mov_b32 s4, 0xfefa39ef
	v_rndne_f64_e32 v[54:55], v[54:55]
	s_mov_b32 s5, 0xbfe62e42
	v_fma_f64 v[56:57], s[4:5], v[54:55], v[46:47]
	s_mov_b32 s4, 0x3b39803f
	s_mov_b32 s5, 0xbc7abc9e
	v_fmac_f64_e32 v[56:57], s[4:5], v[54:55]
	s_mov_b32 s4, 0x6a5dcb37
	v_mov_b32_e32 v84, 0xfca7ab0c
	v_mov_b32_e32 v85, 0x3e928af3
	s_mov_b32 s5, 0x3e5ade15
	v_fmac_f64_e32 v[84:85], s[4:5], v[56:57]
	v_mov_b32_e32 v86, 0x623fde64
	v_mov_b32_e32 v87, 0x3ec71dee
	v_fmac_f64_e32 v[86:87], v[56:57], v[84:85]
	v_mov_b32_e32 v84, 0x7c89e6b0
	v_mov_b32_e32 v85, 0x3efa0199
	;; [unrolled: 3-line block ×8, first 2 shown]
	s_mov_b32 s4, 0
	v_fmac_f64_e32 v[84:85], v[56:57], v[86:87]
	s_mov_b32 s5, 0x40900000
	v_fma_f64 v[84:85], v[56:57], v[84:85], 1.0
	v_cmp_nlt_f64_e32 vcc, s[4:5], v[46:47]
	s_mov_b32 s4, 0
	v_fma_f64 v[56:57], v[56:57], v[84:85], 1.0
	v_cvt_i32_f64_e32 v54, v[54:55]
	s_mov_b32 s5, 0xc090cc00
	v_ldexp_f64 v[54:55], v[56:57], v54
	v_mov_b32_e32 v56, 0x7ff00000
	v_cmp_ngt_f64_e64 s[4:5], s[4:5], v[46:47]
	v_cndmask_b32_e32 v55, v56, v55, vcc
	s_and_b64 vcc, s[4:5], vcc
	v_cndmask_b32_e64 v47, 0, v55, s[4:5]
	v_cndmask_b32_e32 v46, 0, v54, vcc
	v_add_f64 v[36:37], v[36:37], v[46:47]
.LBB694_211:
	s_or_b64 exec, exec, s[28:29]
.LBB694_212:
	s_or_b64 exec, exec, s[30:31]
	v_pk_mov_b32 v[54:55], 0, 0
	v_pk_mov_b32 v[56:57], v[54:55], v[54:55] op_sel:[0,1]
	s_and_saveexec_b64 s[28:29], s[26:27]
	s_cbranch_execz .LBB694_216
; %bb.213:
	global_load_ubyte v56, v[4:5], off offset:320
	s_waitcnt vmcnt(0)
	v_and_b32_e32 v56, 1, v56
	v_cmp_eq_u32_e32 vcc, 1, v56
	s_xor_b64 s[4:5], vcc, -1
	v_pk_mov_b32 v[56:57], 0, 0
	s_and_saveexec_b64 s[26:27], s[4:5]
	s_cbranch_execz .LBB694_215
; %bb.214:
	s_mov_b32 s4, 0x652b82fe
	v_add_f64 v[56:57], v[64:65], -v[38:39]
	s_mov_b32 s5, 0x3ff71547
	v_mul_f64 v[64:65], v[56:57], s[4:5]
	s_mov_b32 s4, 0xfefa39ef
	v_rndne_f64_e32 v[64:65], v[64:65]
	s_mov_b32 s5, 0xbfe62e42
	v_fma_f64 v[84:85], s[4:5], v[64:65], v[56:57]
	s_mov_b32 s4, 0x3b39803f
	s_mov_b32 s5, 0xbc7abc9e
	v_fmac_f64_e32 v[84:85], s[4:5], v[64:65]
	s_mov_b32 s4, 0x6a5dcb37
	v_mov_b32_e32 v86, 0xfca7ab0c
	v_mov_b32_e32 v87, 0x3e928af3
	s_mov_b32 s5, 0x3e5ade15
	v_fmac_f64_e32 v[86:87], s[4:5], v[84:85]
	v_mov_b32_e32 v88, 0x623fde64
	v_mov_b32_e32 v89, 0x3ec71dee
	v_fmac_f64_e32 v[88:89], v[84:85], v[86:87]
	v_mov_b32_e32 v86, 0x7c89e6b0
	v_mov_b32_e32 v87, 0x3efa0199
	;; [unrolled: 3-line block ×8, first 2 shown]
	s_mov_b32 s4, 0
	v_fmac_f64_e32 v[86:87], v[84:85], v[88:89]
	s_mov_b32 s5, 0x40900000
	v_fma_f64 v[86:87], v[84:85], v[86:87], 1.0
	v_cmp_nlt_f64_e32 vcc, s[4:5], v[56:57]
	s_mov_b32 s4, 0
	v_fma_f64 v[84:85], v[84:85], v[86:87], 1.0
	v_cvt_i32_f64_e32 v64, v[64:65]
	s_mov_b32 s5, 0xc090cc00
	v_ldexp_f64 v[64:65], v[84:85], v64
	v_mov_b32_e32 v83, 0x7ff00000
	v_cmp_ngt_f64_e64 s[4:5], s[4:5], v[56:57]
	v_cndmask_b32_e32 v65, v83, v65, vcc
	s_and_b64 vcc, s[4:5], vcc
	v_cndmask_b32_e64 v57, 0, v65, s[4:5]
	v_cndmask_b32_e32 v56, 0, v64, vcc
	v_add_f64 v[36:37], v[36:37], v[56:57]
.LBB694_215:
	s_or_b64 exec, exec, s[26:27]
.LBB694_216:
	s_or_b64 exec, exec, s[28:29]
	s_and_saveexec_b64 s[26:27], s[24:25]
	s_cbranch_execz .LBB694_220
; %bb.217:
	global_load_ubyte v54, v[4:5], off offset:384
	s_waitcnt vmcnt(0)
	v_and_b32_e32 v54, 1, v54
	v_cmp_eq_u32_e32 vcc, 1, v54
	s_xor_b64 s[4:5], vcc, -1
	v_pk_mov_b32 v[54:55], 0, 0
	s_and_saveexec_b64 s[24:25], s[4:5]
	s_cbranch_execz .LBB694_219
; %bb.218:
	s_mov_b32 s4, 0x652b82fe
	v_add_f64 v[54:55], v[62:63], -v[38:39]
	s_mov_b32 s5, 0x3ff71547
	v_mul_f64 v[62:63], v[54:55], s[4:5]
	s_mov_b32 s4, 0xfefa39ef
	v_rndne_f64_e32 v[62:63], v[62:63]
	s_mov_b32 s5, 0xbfe62e42
	v_fma_f64 v[64:65], s[4:5], v[62:63], v[54:55]
	s_mov_b32 s4, 0x3b39803f
	s_mov_b32 s5, 0xbc7abc9e
	v_fmac_f64_e32 v[64:65], s[4:5], v[62:63]
	s_mov_b32 s4, 0x6a5dcb37
	v_mov_b32_e32 v84, 0xfca7ab0c
	v_mov_b32_e32 v85, 0x3e928af3
	s_mov_b32 s5, 0x3e5ade15
	v_fmac_f64_e32 v[84:85], s[4:5], v[64:65]
	v_mov_b32_e32 v86, 0x623fde64
	v_mov_b32_e32 v87, 0x3ec71dee
	v_fmac_f64_e32 v[86:87], v[64:65], v[84:85]
	v_mov_b32_e32 v84, 0x7c89e6b0
	v_mov_b32_e32 v85, 0x3efa0199
	;; [unrolled: 3-line block ×8, first 2 shown]
	s_mov_b32 s4, 0
	v_fmac_f64_e32 v[84:85], v[64:65], v[86:87]
	s_mov_b32 s5, 0x40900000
	v_fma_f64 v[84:85], v[64:65], v[84:85], 1.0
	v_cmp_nlt_f64_e32 vcc, s[4:5], v[54:55]
	s_mov_b32 s4, 0
	v_fma_f64 v[64:65], v[64:65], v[84:85], 1.0
	v_cvt_i32_f64_e32 v62, v[62:63]
	s_mov_b32 s5, 0xc090cc00
	v_ldexp_f64 v[62:63], v[64:65], v62
	v_mov_b32_e32 v64, 0x7ff00000
	v_cmp_ngt_f64_e64 s[4:5], s[4:5], v[54:55]
	v_cndmask_b32_e32 v63, v64, v63, vcc
	s_and_b64 vcc, s[4:5], vcc
	v_cndmask_b32_e64 v55, 0, v63, s[4:5]
	v_cndmask_b32_e32 v54, 0, v62, vcc
	v_add_f64 v[36:37], v[36:37], v[54:55]
.LBB694_219:
	s_or_b64 exec, exec, s[24:25]
.LBB694_220:
	s_or_b64 exec, exec, s[26:27]
	v_pk_mov_b32 v[62:63], 0, 0
	v_pk_mov_b32 v[64:65], v[62:63], v[62:63] op_sel:[0,1]
	s_and_saveexec_b64 s[24:25], s[22:23]
	s_cbranch_execz .LBB694_224
; %bb.221:
	global_load_ubyte v64, v[4:5], off offset:448
	s_waitcnt vmcnt(0)
	v_and_b32_e32 v64, 1, v64
	v_cmp_eq_u32_e32 vcc, 1, v64
	s_xor_b64 s[4:5], vcc, -1
	v_pk_mov_b32 v[64:65], 0, 0
	s_and_saveexec_b64 s[22:23], s[4:5]
	s_cbranch_execz .LBB694_223
; %bb.222:
	s_mov_b32 s4, 0x652b82fe
	v_add_f64 v[64:65], v[72:73], -v[38:39]
	s_mov_b32 s5, 0x3ff71547
	v_mul_f64 v[72:73], v[64:65], s[4:5]
	s_mov_b32 s4, 0xfefa39ef
	v_rndne_f64_e32 v[72:73], v[72:73]
	s_mov_b32 s5, 0xbfe62e42
	v_fma_f64 v[84:85], s[4:5], v[72:73], v[64:65]
	s_mov_b32 s4, 0x3b39803f
	s_mov_b32 s5, 0xbc7abc9e
	v_fmac_f64_e32 v[84:85], s[4:5], v[72:73]
	s_mov_b32 s4, 0x6a5dcb37
	v_mov_b32_e32 v86, 0xfca7ab0c
	v_mov_b32_e32 v87, 0x3e928af3
	s_mov_b32 s5, 0x3e5ade15
	v_fmac_f64_e32 v[86:87], s[4:5], v[84:85]
	v_mov_b32_e32 v88, 0x623fde64
	v_mov_b32_e32 v89, 0x3ec71dee
	v_fmac_f64_e32 v[88:89], v[84:85], v[86:87]
	v_mov_b32_e32 v86, 0x7c89e6b0
	v_mov_b32_e32 v87, 0x3efa0199
	v_fmac_f64_e32 v[86:87], v[84:85], v[88:89]
	v_mov_b32_e32 v88, 0x14761f6e
	v_mov_b32_e32 v89, 0x3f2a01a0
	v_fmac_f64_e32 v[88:89], v[84:85], v[86:87]
	v_mov_b32_e32 v86, 0x1852b7b0
	v_mov_b32_e32 v87, 0x3f56c16c
	v_fmac_f64_e32 v[86:87], v[84:85], v[88:89]
	v_mov_b32_e32 v88, 0x11122322
	v_mov_b32_e32 v89, 0x3f811111
	v_fmac_f64_e32 v[88:89], v[84:85], v[86:87]
	v_mov_b32_e32 v86, 0x555502a1
	v_mov_b32_e32 v87, 0x3fa55555
	v_fmac_f64_e32 v[86:87], v[84:85], v[88:89]
	v_mov_b32_e32 v88, 0x55555511
	v_mov_b32_e32 v89, 0x3fc55555
	v_fmac_f64_e32 v[88:89], v[84:85], v[86:87]
	v_mov_b32_e32 v86, 11
	v_mov_b32_e32 v87, 0x3fe00000
	s_mov_b32 s4, 0
	v_fmac_f64_e32 v[86:87], v[84:85], v[88:89]
	s_mov_b32 s5, 0x40900000
	v_fma_f64 v[86:87], v[84:85], v[86:87], 1.0
	v_cmp_nlt_f64_e32 vcc, s[4:5], v[64:65]
	s_mov_b32 s4, 0
	v_fma_f64 v[84:85], v[84:85], v[86:87], 1.0
	v_cvt_i32_f64_e32 v72, v[72:73]
	s_mov_b32 s5, 0xc090cc00
	v_ldexp_f64 v[72:73], v[84:85], v72
	v_mov_b32_e32 v83, 0x7ff00000
	v_cmp_ngt_f64_e64 s[4:5], s[4:5], v[64:65]
	v_cndmask_b32_e32 v73, v83, v73, vcc
	s_and_b64 vcc, s[4:5], vcc
	v_cndmask_b32_e64 v65, 0, v73, s[4:5]
	v_cndmask_b32_e32 v64, 0, v72, vcc
	v_add_f64 v[36:37], v[36:37], v[64:65]
.LBB694_223:
	s_or_b64 exec, exec, s[22:23]
.LBB694_224:
	s_or_b64 exec, exec, s[24:25]
	s_and_saveexec_b64 s[22:23], s[20:21]
	s_cbranch_execz .LBB694_228
; %bb.225:
	global_load_ubyte v62, v[4:5], off offset:512
	s_waitcnt vmcnt(0)
	v_and_b32_e32 v62, 1, v62
	v_cmp_eq_u32_e32 vcc, 1, v62
	s_xor_b64 s[4:5], vcc, -1
	v_pk_mov_b32 v[62:63], 0, 0
	s_and_saveexec_b64 s[20:21], s[4:5]
	s_cbranch_execz .LBB694_227
; %bb.226:
	s_mov_b32 s4, 0x652b82fe
	v_add_f64 v[62:63], v[68:69], -v[38:39]
	s_mov_b32 s5, 0x3ff71547
	v_mul_f64 v[68:69], v[62:63], s[4:5]
	s_mov_b32 s4, 0xfefa39ef
	v_rndne_f64_e32 v[68:69], v[68:69]
	s_mov_b32 s5, 0xbfe62e42
	v_fma_f64 v[72:73], s[4:5], v[68:69], v[62:63]
	s_mov_b32 s4, 0x3b39803f
	s_mov_b32 s5, 0xbc7abc9e
	v_fmac_f64_e32 v[72:73], s[4:5], v[68:69]
	s_mov_b32 s4, 0x6a5dcb37
	v_mov_b32_e32 v84, 0xfca7ab0c
	v_mov_b32_e32 v85, 0x3e928af3
	s_mov_b32 s5, 0x3e5ade15
	v_fmac_f64_e32 v[84:85], s[4:5], v[72:73]
	v_mov_b32_e32 v86, 0x623fde64
	v_mov_b32_e32 v87, 0x3ec71dee
	v_fmac_f64_e32 v[86:87], v[72:73], v[84:85]
	v_mov_b32_e32 v84, 0x7c89e6b0
	v_mov_b32_e32 v85, 0x3efa0199
	;; [unrolled: 3-line block ×8, first 2 shown]
	s_mov_b32 s4, 0
	v_fmac_f64_e32 v[84:85], v[72:73], v[86:87]
	s_mov_b32 s5, 0x40900000
	v_fma_f64 v[84:85], v[72:73], v[84:85], 1.0
	v_cmp_nlt_f64_e32 vcc, s[4:5], v[62:63]
	s_mov_b32 s4, 0
	v_fma_f64 v[72:73], v[72:73], v[84:85], 1.0
	v_cvt_i32_f64_e32 v68, v[68:69]
	s_mov_b32 s5, 0xc090cc00
	v_ldexp_f64 v[68:69], v[72:73], v68
	v_mov_b32_e32 v72, 0x7ff00000
	v_cmp_ngt_f64_e64 s[4:5], s[4:5], v[62:63]
	v_cndmask_b32_e32 v69, v72, v69, vcc
	s_and_b64 vcc, s[4:5], vcc
	v_cndmask_b32_e64 v63, 0, v69, s[4:5]
	v_cndmask_b32_e32 v62, 0, v68, vcc
	v_add_f64 v[36:37], v[36:37], v[62:63]
.LBB694_227:
	s_or_b64 exec, exec, s[20:21]
.LBB694_228:
	s_or_b64 exec, exec, s[22:23]
	v_pk_mov_b32 v[68:69], 0, 0
	v_pk_mov_b32 v[72:73], v[68:69], v[68:69] op_sel:[0,1]
	s_and_saveexec_b64 s[20:21], s[18:19]
	s_cbranch_execz .LBB694_232
; %bb.229:
	global_load_ubyte v72, v[4:5], off offset:576
	s_waitcnt vmcnt(0)
	v_and_b32_e32 v72, 1, v72
	v_cmp_eq_u32_e32 vcc, 1, v72
	s_xor_b64 s[4:5], vcc, -1
	v_pk_mov_b32 v[72:73], 0, 0
	s_and_saveexec_b64 s[18:19], s[4:5]
	s_cbranch_execz .LBB694_231
; %bb.230:
	s_mov_b32 s4, 0x652b82fe
	v_add_f64 v[72:73], v[74:75], -v[38:39]
	s_mov_b32 s5, 0x3ff71547
	v_mul_f64 v[74:75], v[72:73], s[4:5]
	s_mov_b32 s4, 0xfefa39ef
	v_rndne_f64_e32 v[74:75], v[74:75]
	s_mov_b32 s5, 0xbfe62e42
	v_fma_f64 v[84:85], s[4:5], v[74:75], v[72:73]
	s_mov_b32 s4, 0x3b39803f
	s_mov_b32 s5, 0xbc7abc9e
	v_fmac_f64_e32 v[84:85], s[4:5], v[74:75]
	s_mov_b32 s4, 0x6a5dcb37
	v_mov_b32_e32 v86, 0xfca7ab0c
	v_mov_b32_e32 v87, 0x3e928af3
	s_mov_b32 s5, 0x3e5ade15
	v_fmac_f64_e32 v[86:87], s[4:5], v[84:85]
	v_mov_b32_e32 v88, 0x623fde64
	v_mov_b32_e32 v89, 0x3ec71dee
	v_fmac_f64_e32 v[88:89], v[84:85], v[86:87]
	v_mov_b32_e32 v86, 0x7c89e6b0
	v_mov_b32_e32 v87, 0x3efa0199
	;; [unrolled: 3-line block ×8, first 2 shown]
	s_mov_b32 s4, 0
	v_fmac_f64_e32 v[86:87], v[84:85], v[88:89]
	s_mov_b32 s5, 0x40900000
	v_fma_f64 v[86:87], v[84:85], v[86:87], 1.0
	v_cmp_nlt_f64_e32 vcc, s[4:5], v[72:73]
	s_mov_b32 s4, 0
	v_fma_f64 v[84:85], v[84:85], v[86:87], 1.0
	v_cvt_i32_f64_e32 v74, v[74:75]
	s_mov_b32 s5, 0xc090cc00
	v_ldexp_f64 v[74:75], v[84:85], v74
	v_mov_b32_e32 v83, 0x7ff00000
	v_cmp_ngt_f64_e64 s[4:5], s[4:5], v[72:73]
	v_cndmask_b32_e32 v75, v83, v75, vcc
	s_and_b64 vcc, s[4:5], vcc
	v_cndmask_b32_e64 v73, 0, v75, s[4:5]
	v_cndmask_b32_e32 v72, 0, v74, vcc
	v_add_f64 v[36:37], v[36:37], v[72:73]
.LBB694_231:
	s_or_b64 exec, exec, s[18:19]
.LBB694_232:
	s_or_b64 exec, exec, s[20:21]
	s_and_saveexec_b64 s[18:19], s[16:17]
	s_cbranch_execz .LBB694_236
; %bb.233:
	global_load_ubyte v68, v[4:5], off offset:640
	s_waitcnt vmcnt(0)
	v_and_b32_e32 v68, 1, v68
	v_cmp_eq_u32_e32 vcc, 1, v68
	s_xor_b64 s[4:5], vcc, -1
	v_pk_mov_b32 v[68:69], 0, 0
	s_and_saveexec_b64 s[16:17], s[4:5]
	s_cbranch_execz .LBB694_235
; %bb.234:
	s_mov_b32 s4, 0x652b82fe
	v_add_f64 v[68:69], v[70:71], -v[38:39]
	s_mov_b32 s5, 0x3ff71547
	v_mul_f64 v[70:71], v[68:69], s[4:5]
	s_mov_b32 s4, 0xfefa39ef
	v_rndne_f64_e32 v[70:71], v[70:71]
	s_mov_b32 s5, 0xbfe62e42
	v_fma_f64 v[74:75], s[4:5], v[70:71], v[68:69]
	s_mov_b32 s4, 0x3b39803f
	s_mov_b32 s5, 0xbc7abc9e
	v_fmac_f64_e32 v[74:75], s[4:5], v[70:71]
	s_mov_b32 s4, 0x6a5dcb37
	v_mov_b32_e32 v84, 0xfca7ab0c
	v_mov_b32_e32 v85, 0x3e928af3
	s_mov_b32 s5, 0x3e5ade15
	v_fmac_f64_e32 v[84:85], s[4:5], v[74:75]
	v_mov_b32_e32 v86, 0x623fde64
	v_mov_b32_e32 v87, 0x3ec71dee
	v_fmac_f64_e32 v[86:87], v[74:75], v[84:85]
	v_mov_b32_e32 v84, 0x7c89e6b0
	v_mov_b32_e32 v85, 0x3efa0199
	;; [unrolled: 3-line block ×8, first 2 shown]
	s_mov_b32 s4, 0
	v_fmac_f64_e32 v[84:85], v[74:75], v[86:87]
	s_mov_b32 s5, 0x40900000
	v_fma_f64 v[84:85], v[74:75], v[84:85], 1.0
	v_cmp_nlt_f64_e32 vcc, s[4:5], v[68:69]
	s_mov_b32 s4, 0
	v_fma_f64 v[74:75], v[74:75], v[84:85], 1.0
	v_cvt_i32_f64_e32 v70, v[70:71]
	s_mov_b32 s5, 0xc090cc00
	v_ldexp_f64 v[70:71], v[74:75], v70
	v_mov_b32_e32 v74, 0x7ff00000
	v_cmp_ngt_f64_e64 s[4:5], s[4:5], v[68:69]
	v_cndmask_b32_e32 v71, v74, v71, vcc
	s_and_b64 vcc, s[4:5], vcc
	v_cndmask_b32_e64 v69, 0, v71, s[4:5]
	v_cndmask_b32_e32 v68, 0, v70, vcc
	v_add_f64 v[36:37], v[36:37], v[68:69]
.LBB694_235:
	s_or_b64 exec, exec, s[16:17]
.LBB694_236:
	s_or_b64 exec, exec, s[18:19]
	v_pk_mov_b32 v[70:71], 0, 0
	v_pk_mov_b32 v[74:75], v[70:71], v[70:71] op_sel:[0,1]
	s_and_saveexec_b64 s[16:17], s[14:15]
	s_cbranch_execz .LBB694_240
; %bb.237:
	global_load_ubyte v74, v[4:5], off offset:704
	s_waitcnt vmcnt(0)
	v_and_b32_e32 v74, 1, v74
	v_cmp_eq_u32_e32 vcc, 1, v74
	s_xor_b64 s[4:5], vcc, -1
	v_pk_mov_b32 v[74:75], 0, 0
	s_and_saveexec_b64 s[14:15], s[4:5]
	s_cbranch_execz .LBB694_239
; %bb.238:
	s_mov_b32 s4, 0x652b82fe
	v_add_f64 v[66:67], v[66:67], -v[38:39]
	s_mov_b32 s5, 0x3ff71547
	v_mul_f64 v[74:75], v[66:67], s[4:5]
	s_mov_b32 s4, 0xfefa39ef
	v_rndne_f64_e32 v[74:75], v[74:75]
	s_mov_b32 s5, 0xbfe62e42
	v_fma_f64 v[84:85], s[4:5], v[74:75], v[66:67]
	s_mov_b32 s4, 0x3b39803f
	s_mov_b32 s5, 0xbc7abc9e
	v_fmac_f64_e32 v[84:85], s[4:5], v[74:75]
	s_mov_b32 s4, 0x6a5dcb37
	v_mov_b32_e32 v86, 0xfca7ab0c
	v_mov_b32_e32 v87, 0x3e928af3
	s_mov_b32 s5, 0x3e5ade15
	v_fmac_f64_e32 v[86:87], s[4:5], v[84:85]
	v_mov_b32_e32 v88, 0x623fde64
	v_mov_b32_e32 v89, 0x3ec71dee
	v_fmac_f64_e32 v[88:89], v[84:85], v[86:87]
	v_mov_b32_e32 v86, 0x7c89e6b0
	v_mov_b32_e32 v87, 0x3efa0199
	;; [unrolled: 3-line block ×8, first 2 shown]
	s_mov_b32 s4, 0
	v_fmac_f64_e32 v[86:87], v[84:85], v[88:89]
	s_mov_b32 s5, 0x40900000
	v_fma_f64 v[86:87], v[84:85], v[86:87], 1.0
	v_cmp_nlt_f64_e32 vcc, s[4:5], v[66:67]
	s_mov_b32 s4, 0
	v_fma_f64 v[84:85], v[84:85], v[86:87], 1.0
	v_cvt_i32_f64_e32 v74, v[74:75]
	s_mov_b32 s5, 0xc090cc00
	v_ldexp_f64 v[74:75], v[84:85], v74
	v_mov_b32_e32 v83, 0x7ff00000
	v_cmp_ngt_f64_e64 s[4:5], s[4:5], v[66:67]
	v_cndmask_b32_e32 v75, v83, v75, vcc
	s_and_b64 vcc, s[4:5], vcc
	v_cndmask_b32_e64 v75, 0, v75, s[4:5]
	v_cndmask_b32_e32 v74, 0, v74, vcc
	v_add_f64 v[36:37], v[36:37], v[74:75]
.LBB694_239:
	s_or_b64 exec, exec, s[14:15]
.LBB694_240:
	s_or_b64 exec, exec, s[16:17]
	s_and_saveexec_b64 s[14:15], s[12:13]
	s_cbranch_execz .LBB694_244
; %bb.241:
	global_load_ubyte v66, v[4:5], off offset:768
	v_pk_mov_b32 v[70:71], 0, 0
	s_waitcnt vmcnt(0)
	v_and_b32_e32 v66, 1, v66
	v_cmp_eq_u32_e32 vcc, 1, v66
	s_xor_b64 s[4:5], vcc, -1
	s_and_saveexec_b64 s[12:13], s[4:5]
	s_cbranch_execz .LBB694_243
; %bb.242:
	s_mov_b32 s4, 0x652b82fe
	v_add_f64 v[60:61], v[60:61], -v[38:39]
	s_mov_b32 s5, 0x3ff71547
	v_mul_f64 v[66:67], v[60:61], s[4:5]
	s_mov_b32 s4, 0xfefa39ef
	v_rndne_f64_e32 v[66:67], v[66:67]
	s_mov_b32 s5, 0xbfe62e42
	v_fma_f64 v[70:71], s[4:5], v[66:67], v[60:61]
	s_mov_b32 s4, 0x3b39803f
	s_mov_b32 s5, 0xbc7abc9e
	v_fmac_f64_e32 v[70:71], s[4:5], v[66:67]
	s_mov_b32 s4, 0x6a5dcb37
	v_mov_b32_e32 v84, 0xfca7ab0c
	v_mov_b32_e32 v85, 0x3e928af3
	s_mov_b32 s5, 0x3e5ade15
	v_fmac_f64_e32 v[84:85], s[4:5], v[70:71]
	v_mov_b32_e32 v86, 0x623fde64
	v_mov_b32_e32 v87, 0x3ec71dee
	v_fmac_f64_e32 v[86:87], v[70:71], v[84:85]
	v_mov_b32_e32 v84, 0x7c89e6b0
	v_mov_b32_e32 v85, 0x3efa0199
	;; [unrolled: 3-line block ×8, first 2 shown]
	s_mov_b32 s4, 0
	v_fmac_f64_e32 v[84:85], v[70:71], v[86:87]
	s_mov_b32 s5, 0x40900000
	v_fma_f64 v[84:85], v[70:71], v[84:85], 1.0
	v_cmp_nlt_f64_e32 vcc, s[4:5], v[60:61]
	s_mov_b32 s4, 0
	v_fma_f64 v[70:71], v[70:71], v[84:85], 1.0
	v_cvt_i32_f64_e32 v66, v[66:67]
	s_mov_b32 s5, 0xc090cc00
	v_ldexp_f64 v[66:67], v[70:71], v66
	v_mov_b32_e32 v70, 0x7ff00000
	v_cmp_ngt_f64_e64 s[4:5], s[4:5], v[60:61]
	v_cndmask_b32_e32 v67, v70, v67, vcc
	s_and_b64 vcc, s[4:5], vcc
	v_cndmask_b32_e64 v71, 0, v67, s[4:5]
	v_cndmask_b32_e32 v70, 0, v66, vcc
	v_add_f64 v[36:37], v[36:37], v[70:71]
.LBB694_243:
	s_or_b64 exec, exec, s[12:13]
.LBB694_244:
	s_or_b64 exec, exec, s[14:15]
	v_pk_mov_b32 v[60:61], 0, 0
	v_pk_mov_b32 v[66:67], v[60:61], v[60:61] op_sel:[0,1]
	s_and_saveexec_b64 s[12:13], s[10:11]
	s_cbranch_execz .LBB694_248
; %bb.245:
	global_load_ubyte v66, v[4:5], off offset:832
	s_waitcnt vmcnt(0)
	v_and_b32_e32 v66, 1, v66
	v_cmp_eq_u32_e32 vcc, 1, v66
	s_xor_b64 s[4:5], vcc, -1
	v_pk_mov_b32 v[66:67], 0, 0
	s_and_saveexec_b64 s[10:11], s[4:5]
	s_cbranch_execz .LBB694_247
; %bb.246:
	s_mov_b32 s4, 0x652b82fe
	v_add_f64 v[58:59], v[58:59], -v[38:39]
	s_mov_b32 s5, 0x3ff71547
	v_mul_f64 v[66:67], v[58:59], s[4:5]
	s_mov_b32 s4, 0xfefa39ef
	v_rndne_f64_e32 v[66:67], v[66:67]
	s_mov_b32 s5, 0xbfe62e42
	v_fma_f64 v[84:85], s[4:5], v[66:67], v[58:59]
	s_mov_b32 s4, 0x3b39803f
	s_mov_b32 s5, 0xbc7abc9e
	v_fmac_f64_e32 v[84:85], s[4:5], v[66:67]
	s_mov_b32 s4, 0x6a5dcb37
	v_mov_b32_e32 v86, 0xfca7ab0c
	v_mov_b32_e32 v87, 0x3e928af3
	s_mov_b32 s5, 0x3e5ade15
	v_fmac_f64_e32 v[86:87], s[4:5], v[84:85]
	v_mov_b32_e32 v88, 0x623fde64
	v_mov_b32_e32 v89, 0x3ec71dee
	v_fmac_f64_e32 v[88:89], v[84:85], v[86:87]
	v_mov_b32_e32 v86, 0x7c89e6b0
	v_mov_b32_e32 v87, 0x3efa0199
	;; [unrolled: 3-line block ×8, first 2 shown]
	s_mov_b32 s4, 0
	v_fmac_f64_e32 v[86:87], v[84:85], v[88:89]
	s_mov_b32 s5, 0x40900000
	v_fma_f64 v[86:87], v[84:85], v[86:87], 1.0
	v_cmp_nlt_f64_e32 vcc, s[4:5], v[58:59]
	s_mov_b32 s4, 0
	v_fma_f64 v[84:85], v[84:85], v[86:87], 1.0
	v_cvt_i32_f64_e32 v66, v[66:67]
	s_mov_b32 s5, 0xc090cc00
	v_ldexp_f64 v[66:67], v[84:85], v66
	v_mov_b32_e32 v83, 0x7ff00000
	v_cmp_ngt_f64_e64 s[4:5], s[4:5], v[58:59]
	v_cndmask_b32_e32 v67, v83, v67, vcc
	s_and_b64 vcc, s[4:5], vcc
	v_cndmask_b32_e64 v67, 0, v67, s[4:5]
	v_cndmask_b32_e32 v66, 0, v66, vcc
	v_add_f64 v[36:37], v[36:37], v[66:67]
.LBB694_247:
	s_or_b64 exec, exec, s[10:11]
.LBB694_248:
	s_or_b64 exec, exec, s[12:13]
	s_and_saveexec_b64 s[10:11], s[8:9]
	s_cbranch_execz .LBB694_252
; %bb.249:
	global_load_ubyte v58, v[4:5], off offset:896
	v_pk_mov_b32 v[60:61], 0, 0
	s_waitcnt vmcnt(0)
	v_and_b32_e32 v58, 1, v58
	v_cmp_eq_u32_e32 vcc, 1, v58
	s_xor_b64 s[4:5], vcc, -1
	s_and_saveexec_b64 s[8:9], s[4:5]
	s_cbranch_execz .LBB694_251
; %bb.250:
	s_mov_b32 s4, 0x652b82fe
	v_add_f64 v[52:53], v[52:53], -v[38:39]
	s_mov_b32 s5, 0x3ff71547
	v_mul_f64 v[58:59], v[52:53], s[4:5]
	s_mov_b32 s4, 0xfefa39ef
	v_rndne_f64_e32 v[58:59], v[58:59]
	s_mov_b32 s5, 0xbfe62e42
	v_fma_f64 v[60:61], s[4:5], v[58:59], v[52:53]
	s_mov_b32 s4, 0x3b39803f
	s_mov_b32 s5, 0xbc7abc9e
	v_fmac_f64_e32 v[60:61], s[4:5], v[58:59]
	s_mov_b32 s4, 0x6a5dcb37
	v_mov_b32_e32 v84, 0xfca7ab0c
	v_mov_b32_e32 v85, 0x3e928af3
	s_mov_b32 s5, 0x3e5ade15
	v_fmac_f64_e32 v[84:85], s[4:5], v[60:61]
	v_mov_b32_e32 v86, 0x623fde64
	v_mov_b32_e32 v87, 0x3ec71dee
	v_fmac_f64_e32 v[86:87], v[60:61], v[84:85]
	v_mov_b32_e32 v84, 0x7c89e6b0
	v_mov_b32_e32 v85, 0x3efa0199
	;; [unrolled: 3-line block ×8, first 2 shown]
	s_mov_b32 s4, 0
	v_fmac_f64_e32 v[84:85], v[60:61], v[86:87]
	s_mov_b32 s5, 0x40900000
	v_fma_f64 v[84:85], v[60:61], v[84:85], 1.0
	v_cmp_nlt_f64_e32 vcc, s[4:5], v[52:53]
	s_mov_b32 s4, 0
	v_fma_f64 v[60:61], v[60:61], v[84:85], 1.0
	v_cvt_i32_f64_e32 v58, v[58:59]
	s_mov_b32 s5, 0xc090cc00
	v_ldexp_f64 v[58:59], v[60:61], v58
	v_mov_b32_e32 v60, 0x7ff00000
	v_cmp_ngt_f64_e64 s[4:5], s[4:5], v[52:53]
	v_cndmask_b32_e32 v59, v60, v59, vcc
	s_and_b64 vcc, s[4:5], vcc
	v_cndmask_b32_e64 v61, 0, v59, s[4:5]
	v_cndmask_b32_e32 v60, 0, v58, vcc
	v_add_f64 v[36:37], v[36:37], v[60:61]
.LBB694_251:
	s_or_b64 exec, exec, s[8:9]
.LBB694_252:
	s_or_b64 exec, exec, s[10:11]
	v_pk_mov_b32 v[52:53], 0, 0
	v_pk_mov_b32 v[58:59], v[52:53], v[52:53] op_sel:[0,1]
	s_and_saveexec_b64 s[8:9], s[6:7]
	s_cbranch_execz .LBB694_256
; %bb.253:
	global_load_ubyte v58, v[4:5], off offset:960
	s_waitcnt vmcnt(0)
	v_and_b32_e32 v58, 1, v58
	v_cmp_eq_u32_e32 vcc, 1, v58
	s_xor_b64 s[4:5], vcc, -1
	v_pk_mov_b32 v[58:59], 0, 0
	s_and_saveexec_b64 s[6:7], s[4:5]
	s_cbranch_execz .LBB694_255
; %bb.254:
	s_mov_b32 s4, 0x652b82fe
	v_add_f64 v[50:51], v[50:51], -v[38:39]
	s_mov_b32 s5, 0x3ff71547
	v_mul_f64 v[58:59], v[50:51], s[4:5]
	s_mov_b32 s4, 0xfefa39ef
	v_rndne_f64_e32 v[58:59], v[58:59]
	s_mov_b32 s5, 0xbfe62e42
	v_fma_f64 v[84:85], s[4:5], v[58:59], v[50:51]
	s_mov_b32 s4, 0x3b39803f
	s_mov_b32 s5, 0xbc7abc9e
	v_fmac_f64_e32 v[84:85], s[4:5], v[58:59]
	s_mov_b32 s4, 0x6a5dcb37
	v_mov_b32_e32 v86, 0xfca7ab0c
	v_mov_b32_e32 v87, 0x3e928af3
	s_mov_b32 s5, 0x3e5ade15
	v_fmac_f64_e32 v[86:87], s[4:5], v[84:85]
	v_mov_b32_e32 v88, 0x623fde64
	v_mov_b32_e32 v89, 0x3ec71dee
	v_fmac_f64_e32 v[88:89], v[84:85], v[86:87]
	v_mov_b32_e32 v86, 0x7c89e6b0
	v_mov_b32_e32 v87, 0x3efa0199
	;; [unrolled: 3-line block ×8, first 2 shown]
	s_mov_b32 s4, 0
	v_fmac_f64_e32 v[86:87], v[84:85], v[88:89]
	s_mov_b32 s5, 0x40900000
	v_fma_f64 v[86:87], v[84:85], v[86:87], 1.0
	v_cmp_nlt_f64_e32 vcc, s[4:5], v[50:51]
	s_mov_b32 s4, 0
	v_fma_f64 v[84:85], v[84:85], v[86:87], 1.0
	v_cvt_i32_f64_e32 v58, v[58:59]
	s_mov_b32 s5, 0xc090cc00
	v_ldexp_f64 v[58:59], v[84:85], v58
	v_mov_b32_e32 v83, 0x7ff00000
	v_cmp_ngt_f64_e64 s[4:5], s[4:5], v[50:51]
	v_cndmask_b32_e32 v59, v83, v59, vcc
	s_and_b64 vcc, s[4:5], vcc
	v_cndmask_b32_e64 v59, 0, v59, s[4:5]
	v_cndmask_b32_e32 v58, 0, v58, vcc
	v_add_f64 v[36:37], v[36:37], v[58:59]
.LBB694_255:
	s_or_b64 exec, exec, s[6:7]
.LBB694_256:
	s_or_b64 exec, exec, s[8:9]
	s_and_saveexec_b64 s[6:7], s[66:67]
	s_cbranch_execz .LBB694_260
; %bb.257:
	global_load_ubyte v50, v[4:5], off offset:1024
	v_pk_mov_b32 v[52:53], 0, 0
	s_waitcnt vmcnt(0)
	v_and_b32_e32 v50, 1, v50
	v_cmp_eq_u32_e32 vcc, 1, v50
	s_xor_b64 s[4:5], vcc, -1
	s_and_saveexec_b64 s[8:9], s[4:5]
	s_cbranch_execz .LBB694_259
; %bb.258:
	s_mov_b32 s4, 0x652b82fe
	v_add_f64 v[44:45], v[44:45], -v[38:39]
	s_mov_b32 s5, 0x3ff71547
	v_mul_f64 v[50:51], v[44:45], s[4:5]
	s_mov_b32 s4, 0xfefa39ef
	v_rndne_f64_e32 v[50:51], v[50:51]
	s_mov_b32 s5, 0xbfe62e42
	v_fma_f64 v[52:53], s[4:5], v[50:51], v[44:45]
	s_mov_b32 s4, 0x3b39803f
	s_mov_b32 s5, 0xbc7abc9e
	v_fmac_f64_e32 v[52:53], s[4:5], v[50:51]
	s_mov_b32 s4, 0x6a5dcb37
	v_mov_b32_e32 v84, 0xfca7ab0c
	v_mov_b32_e32 v85, 0x3e928af3
	s_mov_b32 s5, 0x3e5ade15
	v_fmac_f64_e32 v[84:85], s[4:5], v[52:53]
	v_mov_b32_e32 v86, 0x623fde64
	v_mov_b32_e32 v87, 0x3ec71dee
	v_fmac_f64_e32 v[86:87], v[52:53], v[84:85]
	v_mov_b32_e32 v84, 0x7c89e6b0
	v_mov_b32_e32 v85, 0x3efa0199
	;; [unrolled: 3-line block ×8, first 2 shown]
	s_mov_b32 s4, 0
	v_fmac_f64_e32 v[84:85], v[52:53], v[86:87]
	s_mov_b32 s5, 0x40900000
	v_fma_f64 v[84:85], v[52:53], v[84:85], 1.0
	v_cmp_nlt_f64_e32 vcc, s[4:5], v[44:45]
	s_mov_b32 s4, 0
	v_fma_f64 v[52:53], v[52:53], v[84:85], 1.0
	v_cvt_i32_f64_e32 v50, v[50:51]
	s_mov_b32 s5, 0xc090cc00
	v_ldexp_f64 v[50:51], v[52:53], v50
	v_mov_b32_e32 v52, 0x7ff00000
	v_cmp_ngt_f64_e64 s[4:5], s[4:5], v[44:45]
	v_cndmask_b32_e32 v51, v52, v51, vcc
	s_and_b64 vcc, s[4:5], vcc
	v_cndmask_b32_e64 v53, 0, v51, s[4:5]
	v_cndmask_b32_e32 v52, 0, v50, vcc
	v_add_f64 v[36:37], v[36:37], v[52:53]
.LBB694_259:
	s_or_b64 exec, exec, s[8:9]
.LBB694_260:
	s_or_b64 exec, exec, s[6:7]
	v_pk_mov_b32 v[44:45], 0, 0
	v_pk_mov_b32 v[50:51], v[44:45], v[44:45] op_sel:[0,1]
	s_and_saveexec_b64 s[6:7], s[2:3]
	s_cbranch_execz .LBB694_264
; %bb.261:
	global_load_ubyte v50, v[4:5], off offset:1088
	s_waitcnt vmcnt(0)
	v_and_b32_e32 v50, 1, v50
	v_cmp_eq_u32_e32 vcc, 1, v50
	s_xor_b64 s[4:5], vcc, -1
	v_pk_mov_b32 v[50:51], 0, 0
	s_and_saveexec_b64 s[2:3], s[4:5]
	s_cbranch_execz .LBB694_263
; %bb.262:
	s_mov_b32 s4, 0x652b82fe
	v_add_f64 v[42:43], v[42:43], -v[38:39]
	s_mov_b32 s5, 0x3ff71547
	v_mul_f64 v[50:51], v[42:43], s[4:5]
	s_mov_b32 s4, 0xfefa39ef
	v_rndne_f64_e32 v[50:51], v[50:51]
	s_mov_b32 s5, 0xbfe62e42
	v_fma_f64 v[84:85], s[4:5], v[50:51], v[42:43]
	s_mov_b32 s4, 0x3b39803f
	s_mov_b32 s5, 0xbc7abc9e
	v_fmac_f64_e32 v[84:85], s[4:5], v[50:51]
	s_mov_b32 s4, 0x6a5dcb37
	v_mov_b32_e32 v86, 0xfca7ab0c
	v_mov_b32_e32 v87, 0x3e928af3
	s_mov_b32 s5, 0x3e5ade15
	v_fmac_f64_e32 v[86:87], s[4:5], v[84:85]
	v_mov_b32_e32 v88, 0x623fde64
	v_mov_b32_e32 v89, 0x3ec71dee
	v_fmac_f64_e32 v[88:89], v[84:85], v[86:87]
	v_mov_b32_e32 v86, 0x7c89e6b0
	v_mov_b32_e32 v87, 0x3efa0199
	;; [unrolled: 3-line block ×8, first 2 shown]
	s_mov_b32 s4, 0
	v_fmac_f64_e32 v[86:87], v[84:85], v[88:89]
	s_mov_b32 s5, 0x40900000
	v_fma_f64 v[86:87], v[84:85], v[86:87], 1.0
	v_cmp_nlt_f64_e32 vcc, s[4:5], v[42:43]
	s_mov_b32 s4, 0
	v_fma_f64 v[84:85], v[84:85], v[86:87], 1.0
	v_cvt_i32_f64_e32 v50, v[50:51]
	s_mov_b32 s5, 0xc090cc00
	v_ldexp_f64 v[50:51], v[84:85], v50
	v_mov_b32_e32 v83, 0x7ff00000
	v_cmp_ngt_f64_e64 s[4:5], s[4:5], v[42:43]
	v_cndmask_b32_e32 v51, v83, v51, vcc
	s_and_b64 vcc, s[4:5], vcc
	v_cndmask_b32_e64 v51, 0, v51, s[4:5]
	v_cndmask_b32_e32 v50, 0, v50, vcc
	v_add_f64 v[36:37], v[36:37], v[50:51]
.LBB694_263:
	s_or_b64 exec, exec, s[2:3]
.LBB694_264:
	s_or_b64 exec, exec, s[6:7]
	s_and_saveexec_b64 s[2:3], s[0:1]
	s_cbranch_execz .LBB694_268
; %bb.265:
	global_load_ubyte v42, v[4:5], off offset:1152
	v_pk_mov_b32 v[44:45], 0, 0
	s_waitcnt vmcnt(0)
	v_and_b32_e32 v42, 1, v42
	v_cmp_eq_u32_e32 vcc, 1, v42
	s_xor_b64 s[4:5], vcc, -1
	s_and_saveexec_b64 s[0:1], s[4:5]
	s_cbranch_execz .LBB694_267
; %bb.266:
	s_mov_b32 s4, 0x652b82fe
	v_add_f64 v[34:35], v[34:35], -v[38:39]
	s_mov_b32 s5, 0x3ff71547
	v_mul_f64 v[42:43], v[34:35], s[4:5]
	s_mov_b32 s4, 0xfefa39ef
	v_rndne_f64_e32 v[42:43], v[42:43]
	s_mov_b32 s5, 0xbfe62e42
	v_fma_f64 v[44:45], s[4:5], v[42:43], v[34:35]
	s_mov_b32 s4, 0x3b39803f
	s_mov_b32 s5, 0xbc7abc9e
	v_fmac_f64_e32 v[44:45], s[4:5], v[42:43]
	s_mov_b32 s4, 0x6a5dcb37
	v_mov_b32_e32 v84, 0xfca7ab0c
	v_mov_b32_e32 v85, 0x3e928af3
	s_mov_b32 s5, 0x3e5ade15
	v_fmac_f64_e32 v[84:85], s[4:5], v[44:45]
	v_mov_b32_e32 v86, 0x623fde64
	v_mov_b32_e32 v87, 0x3ec71dee
	v_fmac_f64_e32 v[86:87], v[44:45], v[84:85]
	v_mov_b32_e32 v84, 0x7c89e6b0
	v_mov_b32_e32 v85, 0x3efa0199
	;; [unrolled: 3-line block ×8, first 2 shown]
	s_mov_b32 s4, 0
	v_fmac_f64_e32 v[84:85], v[44:45], v[86:87]
	s_mov_b32 s5, 0x40900000
	v_fma_f64 v[84:85], v[44:45], v[84:85], 1.0
	v_cmp_nlt_f64_e32 vcc, s[4:5], v[34:35]
	s_mov_b32 s4, 0
	v_fma_f64 v[44:45], v[44:45], v[84:85], 1.0
	v_cvt_i32_f64_e32 v42, v[42:43]
	s_mov_b32 s5, 0xc090cc00
	v_ldexp_f64 v[42:43], v[44:45], v42
	v_mov_b32_e32 v44, 0x7ff00000
	v_cmp_ngt_f64_e64 s[4:5], s[4:5], v[34:35]
	v_cndmask_b32_e32 v43, v44, v43, vcc
	s_and_b64 vcc, s[4:5], vcc
	v_cndmask_b32_e64 v45, 0, v43, s[4:5]
	v_cndmask_b32_e32 v44, 0, v42, vcc
	v_add_f64 v[36:37], v[36:37], v[44:45]
.LBB694_267:
	s_or_b64 exec, exec, s[0:1]
.LBB694_268:
	s_or_b64 exec, exec, s[2:3]
	v_pk_mov_b32 v[34:35], 0, 0
	v_pk_mov_b32 v[42:43], v[34:35], v[34:35] op_sel:[0,1]
	s_and_saveexec_b64 s[0:1], s[72:73]
	s_cbranch_execz .LBB694_272
; %bb.269:
	global_load_ubyte v42, v[4:5], off offset:1216
	s_waitcnt vmcnt(0)
	v_and_b32_e32 v42, 1, v42
	v_cmp_eq_u32_e32 vcc, 1, v42
	s_xor_b64 s[4:5], vcc, -1
	v_pk_mov_b32 v[42:43], 0, 0
	s_and_saveexec_b64 s[2:3], s[4:5]
	s_cbranch_execz .LBB694_271
; %bb.270:
	s_mov_b32 s4, 0x652b82fe
	v_add_f64 v[28:29], v[28:29], -v[38:39]
	s_mov_b32 s5, 0x3ff71547
	v_mul_f64 v[42:43], v[28:29], s[4:5]
	s_mov_b32 s4, 0xfefa39ef
	v_rndne_f64_e32 v[42:43], v[42:43]
	s_mov_b32 s5, 0xbfe62e42
	v_fma_f64 v[84:85], s[4:5], v[42:43], v[28:29]
	s_mov_b32 s4, 0x3b39803f
	s_mov_b32 s5, 0xbc7abc9e
	v_fmac_f64_e32 v[84:85], s[4:5], v[42:43]
	s_mov_b32 s4, 0x6a5dcb37
	v_mov_b32_e32 v86, 0xfca7ab0c
	v_mov_b32_e32 v87, 0x3e928af3
	s_mov_b32 s5, 0x3e5ade15
	v_fmac_f64_e32 v[86:87], s[4:5], v[84:85]
	v_mov_b32_e32 v88, 0x623fde64
	v_mov_b32_e32 v89, 0x3ec71dee
	v_fmac_f64_e32 v[88:89], v[84:85], v[86:87]
	v_mov_b32_e32 v86, 0x7c89e6b0
	v_mov_b32_e32 v87, 0x3efa0199
	;; [unrolled: 3-line block ×8, first 2 shown]
	s_mov_b32 s4, 0
	v_fmac_f64_e32 v[86:87], v[84:85], v[88:89]
	s_mov_b32 s5, 0x40900000
	v_fma_f64 v[86:87], v[84:85], v[86:87], 1.0
	v_cmp_nlt_f64_e32 vcc, s[4:5], v[28:29]
	s_mov_b32 s4, 0
	v_fma_f64 v[84:85], v[84:85], v[86:87], 1.0
	v_cvt_i32_f64_e32 v42, v[42:43]
	s_mov_b32 s5, 0xc090cc00
	v_ldexp_f64 v[42:43], v[84:85], v42
	v_mov_b32_e32 v83, 0x7ff00000
	v_cmp_ngt_f64_e64 s[4:5], s[4:5], v[28:29]
	v_cndmask_b32_e32 v43, v83, v43, vcc
	s_and_b64 vcc, s[4:5], vcc
	v_cndmask_b32_e64 v43, 0, v43, s[4:5]
	v_cndmask_b32_e32 v42, 0, v42, vcc
	v_add_f64 v[36:37], v[36:37], v[42:43]
.LBB694_271:
	s_or_b64 exec, exec, s[2:3]
.LBB694_272:
	s_or_b64 exec, exec, s[0:1]
	s_and_saveexec_b64 s[0:1], s[94:95]
	s_cbranch_execz .LBB694_276
; %bb.273:
	global_load_ubyte v28, v[4:5], off offset:1280
	v_pk_mov_b32 v[34:35], 0, 0
	s_waitcnt vmcnt(0)
	v_and_b32_e32 v28, 1, v28
	v_cmp_eq_u32_e32 vcc, 1, v28
	s_xor_b64 s[4:5], vcc, -1
	s_and_saveexec_b64 s[2:3], s[4:5]
	s_cbranch_execz .LBB694_275
; %bb.274:
	s_mov_b32 s4, 0x652b82fe
	v_add_f64 v[26:27], v[26:27], -v[38:39]
	s_mov_b32 s5, 0x3ff71547
	v_mul_f64 v[28:29], v[26:27], s[4:5]
	s_mov_b32 s4, 0xfefa39ef
	v_rndne_f64_e32 v[28:29], v[28:29]
	s_mov_b32 s5, 0xbfe62e42
	v_fma_f64 v[34:35], s[4:5], v[28:29], v[26:27]
	s_mov_b32 s4, 0x3b39803f
	s_mov_b32 s5, 0xbc7abc9e
	v_fmac_f64_e32 v[34:35], s[4:5], v[28:29]
	s_mov_b32 s4, 0x6a5dcb37
	v_mov_b32_e32 v84, 0xfca7ab0c
	v_mov_b32_e32 v85, 0x3e928af3
	s_mov_b32 s5, 0x3e5ade15
	v_fmac_f64_e32 v[84:85], s[4:5], v[34:35]
	v_mov_b32_e32 v86, 0x623fde64
	v_mov_b32_e32 v87, 0x3ec71dee
	v_fmac_f64_e32 v[86:87], v[34:35], v[84:85]
	v_mov_b32_e32 v84, 0x7c89e6b0
	v_mov_b32_e32 v85, 0x3efa0199
	;; [unrolled: 3-line block ×8, first 2 shown]
	s_mov_b32 s4, 0
	v_fmac_f64_e32 v[84:85], v[34:35], v[86:87]
	s_mov_b32 s5, 0x40900000
	v_fma_f64 v[84:85], v[34:35], v[84:85], 1.0
	v_cmp_nlt_f64_e32 vcc, s[4:5], v[26:27]
	s_mov_b32 s4, 0
	v_fma_f64 v[34:35], v[34:35], v[84:85], 1.0
	v_cvt_i32_f64_e32 v28, v[28:29]
	s_mov_b32 s5, 0xc090cc00
	v_ldexp_f64 v[28:29], v[34:35], v28
	v_mov_b32_e32 v34, 0x7ff00000
	v_cmp_ngt_f64_e64 s[4:5], s[4:5], v[26:27]
	v_cndmask_b32_e32 v29, v34, v29, vcc
	s_and_b64 vcc, s[4:5], vcc
	v_cndmask_b32_e64 v35, 0, v29, s[4:5]
	v_cndmask_b32_e32 v34, 0, v28, vcc
	v_add_f64 v[36:37], v[36:37], v[34:35]
.LBB694_275:
	s_or_b64 exec, exec, s[2:3]
.LBB694_276:
	s_or_b64 exec, exec, s[0:1]
	v_pk_mov_b32 v[26:27], 0, 0
	v_pk_mov_b32 v[28:29], v[26:27], v[26:27] op_sel:[0,1]
	s_and_saveexec_b64 s[0:1], s[92:93]
	s_cbranch_execz .LBB694_280
; %bb.277:
	global_load_ubyte v28, v[4:5], off offset:1344
	s_waitcnt vmcnt(0)
	v_and_b32_e32 v28, 1, v28
	v_cmp_eq_u32_e32 vcc, 1, v28
	s_xor_b64 s[4:5], vcc, -1
	v_pk_mov_b32 v[28:29], 0, 0
	s_and_saveexec_b64 s[2:3], s[4:5]
	s_cbranch_execz .LBB694_279
; %bb.278:
	s_mov_b32 s4, 0x652b82fe
	v_add_f64 v[24:25], v[24:25], -v[38:39]
	s_mov_b32 s5, 0x3ff71547
	v_mul_f64 v[28:29], v[24:25], s[4:5]
	s_mov_b32 s4, 0xfefa39ef
	v_rndne_f64_e32 v[28:29], v[28:29]
	s_mov_b32 s5, 0xbfe62e42
	v_fma_f64 v[84:85], s[4:5], v[28:29], v[24:25]
	s_mov_b32 s4, 0x3b39803f
	s_mov_b32 s5, 0xbc7abc9e
	v_fmac_f64_e32 v[84:85], s[4:5], v[28:29]
	s_mov_b32 s4, 0x6a5dcb37
	v_mov_b32_e32 v86, 0xfca7ab0c
	v_mov_b32_e32 v87, 0x3e928af3
	s_mov_b32 s5, 0x3e5ade15
	v_fmac_f64_e32 v[86:87], s[4:5], v[84:85]
	v_mov_b32_e32 v88, 0x623fde64
	v_mov_b32_e32 v89, 0x3ec71dee
	v_fmac_f64_e32 v[88:89], v[84:85], v[86:87]
	v_mov_b32_e32 v86, 0x7c89e6b0
	v_mov_b32_e32 v87, 0x3efa0199
	;; [unrolled: 3-line block ×8, first 2 shown]
	s_mov_b32 s4, 0
	v_fmac_f64_e32 v[86:87], v[84:85], v[88:89]
	s_mov_b32 s5, 0x40900000
	v_fma_f64 v[86:87], v[84:85], v[86:87], 1.0
	v_cmp_nlt_f64_e32 vcc, s[4:5], v[24:25]
	s_mov_b32 s4, 0
	v_fma_f64 v[84:85], v[84:85], v[86:87], 1.0
	v_cvt_i32_f64_e32 v28, v[28:29]
	s_mov_b32 s5, 0xc090cc00
	v_ldexp_f64 v[28:29], v[84:85], v28
	v_mov_b32_e32 v83, 0x7ff00000
	v_cmp_ngt_f64_e64 s[4:5], s[4:5], v[24:25]
	v_cndmask_b32_e32 v29, v83, v29, vcc
	s_and_b64 vcc, s[4:5], vcc
	v_cndmask_b32_e64 v29, 0, v29, s[4:5]
	v_cndmask_b32_e32 v28, 0, v28, vcc
	v_add_f64 v[36:37], v[36:37], v[28:29]
.LBB694_279:
	s_or_b64 exec, exec, s[2:3]
.LBB694_280:
	s_or_b64 exec, exec, s[0:1]
	s_and_saveexec_b64 s[0:1], s[90:91]
	s_cbranch_execz .LBB694_284
; %bb.281:
	global_load_ubyte v24, v[4:5], off offset:1408
	v_pk_mov_b32 v[26:27], 0, 0
	s_waitcnt vmcnt(0)
	v_and_b32_e32 v24, 1, v24
	v_cmp_eq_u32_e32 vcc, 1, v24
	s_xor_b64 s[4:5], vcc, -1
	s_and_saveexec_b64 s[2:3], s[4:5]
	s_cbranch_execz .LBB694_283
; %bb.282:
	s_mov_b32 s4, 0x652b82fe
	v_add_f64 v[22:23], v[22:23], -v[38:39]
	s_mov_b32 s5, 0x3ff71547
	v_mul_f64 v[24:25], v[22:23], s[4:5]
	s_mov_b32 s4, 0xfefa39ef
	v_rndne_f64_e32 v[24:25], v[24:25]
	s_mov_b32 s5, 0xbfe62e42
	v_fma_f64 v[26:27], s[4:5], v[24:25], v[22:23]
	s_mov_b32 s4, 0x3b39803f
	s_mov_b32 s5, 0xbc7abc9e
	v_fmac_f64_e32 v[26:27], s[4:5], v[24:25]
	s_mov_b32 s4, 0x6a5dcb37
	v_mov_b32_e32 v84, 0xfca7ab0c
	v_mov_b32_e32 v85, 0x3e928af3
	s_mov_b32 s5, 0x3e5ade15
	v_fmac_f64_e32 v[84:85], s[4:5], v[26:27]
	v_mov_b32_e32 v86, 0x623fde64
	v_mov_b32_e32 v87, 0x3ec71dee
	v_fmac_f64_e32 v[86:87], v[26:27], v[84:85]
	v_mov_b32_e32 v84, 0x7c89e6b0
	v_mov_b32_e32 v85, 0x3efa0199
	;; [unrolled: 3-line block ×8, first 2 shown]
	s_mov_b32 s4, 0
	v_fmac_f64_e32 v[84:85], v[26:27], v[86:87]
	s_mov_b32 s5, 0x40900000
	v_fma_f64 v[84:85], v[26:27], v[84:85], 1.0
	v_cmp_nlt_f64_e32 vcc, s[4:5], v[22:23]
	s_mov_b32 s4, 0
	v_fma_f64 v[26:27], v[26:27], v[84:85], 1.0
	v_cvt_i32_f64_e32 v24, v[24:25]
	s_mov_b32 s5, 0xc090cc00
	v_ldexp_f64 v[24:25], v[26:27], v24
	v_mov_b32_e32 v26, 0x7ff00000
	v_cmp_ngt_f64_e64 s[4:5], s[4:5], v[22:23]
	v_cndmask_b32_e32 v25, v26, v25, vcc
	s_and_b64 vcc, s[4:5], vcc
	v_cndmask_b32_e64 v27, 0, v25, s[4:5]
	v_cndmask_b32_e32 v26, 0, v24, vcc
	v_add_f64 v[36:37], v[36:37], v[26:27]
.LBB694_283:
	s_or_b64 exec, exec, s[2:3]
.LBB694_284:
	s_or_b64 exec, exec, s[0:1]
	v_pk_mov_b32 v[22:23], 0, 0
	v_pk_mov_b32 v[24:25], v[22:23], v[22:23] op_sel:[0,1]
	s_and_saveexec_b64 s[0:1], s[88:89]
	s_cbranch_execz .LBB694_288
; %bb.285:
	global_load_ubyte v24, v[4:5], off offset:1472
	s_waitcnt vmcnt(0)
	v_and_b32_e32 v24, 1, v24
	v_cmp_eq_u32_e32 vcc, 1, v24
	s_xor_b64 s[4:5], vcc, -1
	v_pk_mov_b32 v[24:25], 0, 0
	s_and_saveexec_b64 s[2:3], s[4:5]
	s_cbranch_execz .LBB694_287
; %bb.286:
	s_mov_b32 s4, 0x652b82fe
	v_add_f64 v[20:21], v[20:21], -v[38:39]
	s_mov_b32 s5, 0x3ff71547
	v_mul_f64 v[24:25], v[20:21], s[4:5]
	s_mov_b32 s4, 0xfefa39ef
	v_rndne_f64_e32 v[24:25], v[24:25]
	s_mov_b32 s5, 0xbfe62e42
	v_fma_f64 v[84:85], s[4:5], v[24:25], v[20:21]
	s_mov_b32 s4, 0x3b39803f
	s_mov_b32 s5, 0xbc7abc9e
	v_fmac_f64_e32 v[84:85], s[4:5], v[24:25]
	s_mov_b32 s4, 0x6a5dcb37
	v_mov_b32_e32 v86, 0xfca7ab0c
	v_mov_b32_e32 v87, 0x3e928af3
	s_mov_b32 s5, 0x3e5ade15
	v_fmac_f64_e32 v[86:87], s[4:5], v[84:85]
	v_mov_b32_e32 v88, 0x623fde64
	v_mov_b32_e32 v89, 0x3ec71dee
	v_fmac_f64_e32 v[88:89], v[84:85], v[86:87]
	v_mov_b32_e32 v86, 0x7c89e6b0
	v_mov_b32_e32 v87, 0x3efa0199
	v_fmac_f64_e32 v[86:87], v[84:85], v[88:89]
	v_mov_b32_e32 v88, 0x14761f6e
	v_mov_b32_e32 v89, 0x3f2a01a0
	v_fmac_f64_e32 v[88:89], v[84:85], v[86:87]
	v_mov_b32_e32 v86, 0x1852b7b0
	v_mov_b32_e32 v87, 0x3f56c16c
	v_fmac_f64_e32 v[86:87], v[84:85], v[88:89]
	v_mov_b32_e32 v88, 0x11122322
	v_mov_b32_e32 v89, 0x3f811111
	v_fmac_f64_e32 v[88:89], v[84:85], v[86:87]
	v_mov_b32_e32 v86, 0x555502a1
	v_mov_b32_e32 v87, 0x3fa55555
	v_fmac_f64_e32 v[86:87], v[84:85], v[88:89]
	v_mov_b32_e32 v88, 0x55555511
	v_mov_b32_e32 v89, 0x3fc55555
	v_fmac_f64_e32 v[88:89], v[84:85], v[86:87]
	v_mov_b32_e32 v86, 11
	v_mov_b32_e32 v87, 0x3fe00000
	s_mov_b32 s4, 0
	v_fmac_f64_e32 v[86:87], v[84:85], v[88:89]
	s_mov_b32 s5, 0x40900000
	v_fma_f64 v[86:87], v[84:85], v[86:87], 1.0
	v_cmp_nlt_f64_e32 vcc, s[4:5], v[20:21]
	s_mov_b32 s4, 0
	v_fma_f64 v[84:85], v[84:85], v[86:87], 1.0
	v_cvt_i32_f64_e32 v24, v[24:25]
	s_mov_b32 s5, 0xc090cc00
	v_ldexp_f64 v[24:25], v[84:85], v24
	v_mov_b32_e32 v83, 0x7ff00000
	v_cmp_ngt_f64_e64 s[4:5], s[4:5], v[20:21]
	v_cndmask_b32_e32 v25, v83, v25, vcc
	s_and_b64 vcc, s[4:5], vcc
	v_cndmask_b32_e64 v25, 0, v25, s[4:5]
	v_cndmask_b32_e32 v24, 0, v24, vcc
	v_add_f64 v[36:37], v[36:37], v[24:25]
.LBB694_287:
	s_or_b64 exec, exec, s[2:3]
.LBB694_288:
	s_or_b64 exec, exec, s[0:1]
	s_and_saveexec_b64 s[0:1], s[86:87]
	s_cbranch_execz .LBB694_292
; %bb.289:
	global_load_ubyte v20, v[4:5], off offset:1536
	v_pk_mov_b32 v[22:23], 0, 0
	s_waitcnt vmcnt(0)
	v_and_b32_e32 v20, 1, v20
	v_cmp_eq_u32_e32 vcc, 1, v20
	s_xor_b64 s[4:5], vcc, -1
	s_and_saveexec_b64 s[2:3], s[4:5]
	s_cbranch_execz .LBB694_291
; %bb.290:
	s_mov_b32 s4, 0x652b82fe
	v_add_f64 v[18:19], v[18:19], -v[38:39]
	s_mov_b32 s5, 0x3ff71547
	v_mul_f64 v[20:21], v[18:19], s[4:5]
	s_mov_b32 s4, 0xfefa39ef
	v_rndne_f64_e32 v[20:21], v[20:21]
	s_mov_b32 s5, 0xbfe62e42
	v_fma_f64 v[22:23], s[4:5], v[20:21], v[18:19]
	s_mov_b32 s4, 0x3b39803f
	s_mov_b32 s5, 0xbc7abc9e
	v_fmac_f64_e32 v[22:23], s[4:5], v[20:21]
	s_mov_b32 s4, 0x6a5dcb37
	v_mov_b32_e32 v84, 0xfca7ab0c
	v_mov_b32_e32 v85, 0x3e928af3
	s_mov_b32 s5, 0x3e5ade15
	v_fmac_f64_e32 v[84:85], s[4:5], v[22:23]
	v_mov_b32_e32 v86, 0x623fde64
	v_mov_b32_e32 v87, 0x3ec71dee
	v_fmac_f64_e32 v[86:87], v[22:23], v[84:85]
	v_mov_b32_e32 v84, 0x7c89e6b0
	v_mov_b32_e32 v85, 0x3efa0199
	;; [unrolled: 3-line block ×8, first 2 shown]
	s_mov_b32 s4, 0
	v_fmac_f64_e32 v[84:85], v[22:23], v[86:87]
	s_mov_b32 s5, 0x40900000
	v_fma_f64 v[84:85], v[22:23], v[84:85], 1.0
	v_cmp_nlt_f64_e32 vcc, s[4:5], v[18:19]
	s_mov_b32 s4, 0
	v_fma_f64 v[22:23], v[22:23], v[84:85], 1.0
	v_cvt_i32_f64_e32 v20, v[20:21]
	s_mov_b32 s5, 0xc090cc00
	v_ldexp_f64 v[20:21], v[22:23], v20
	v_mov_b32_e32 v22, 0x7ff00000
	v_cmp_ngt_f64_e64 s[4:5], s[4:5], v[18:19]
	v_cndmask_b32_e32 v21, v22, v21, vcc
	s_and_b64 vcc, s[4:5], vcc
	v_cndmask_b32_e64 v23, 0, v21, s[4:5]
	v_cndmask_b32_e32 v22, 0, v20, vcc
	v_add_f64 v[36:37], v[36:37], v[22:23]
.LBB694_291:
	s_or_b64 exec, exec, s[2:3]
.LBB694_292:
	s_or_b64 exec, exec, s[0:1]
	v_pk_mov_b32 v[18:19], 0, 0
	v_pk_mov_b32 v[20:21], v[18:19], v[18:19] op_sel:[0,1]
	s_and_saveexec_b64 s[0:1], s[84:85]
	s_cbranch_execz .LBB694_296
; %bb.293:
	global_load_ubyte v20, v[4:5], off offset:1600
	s_waitcnt vmcnt(0)
	v_and_b32_e32 v20, 1, v20
	v_cmp_eq_u32_e32 vcc, 1, v20
	s_xor_b64 s[4:5], vcc, -1
	v_pk_mov_b32 v[20:21], 0, 0
	s_and_saveexec_b64 s[2:3], s[4:5]
	s_cbranch_execz .LBB694_295
; %bb.294:
	s_mov_b32 s4, 0x652b82fe
	v_add_f64 v[16:17], v[16:17], -v[38:39]
	s_mov_b32 s5, 0x3ff71547
	v_mul_f64 v[20:21], v[16:17], s[4:5]
	s_mov_b32 s4, 0xfefa39ef
	v_rndne_f64_e32 v[20:21], v[20:21]
	s_mov_b32 s5, 0xbfe62e42
	v_fma_f64 v[84:85], s[4:5], v[20:21], v[16:17]
	s_mov_b32 s4, 0x3b39803f
	s_mov_b32 s5, 0xbc7abc9e
	v_fmac_f64_e32 v[84:85], s[4:5], v[20:21]
	s_mov_b32 s4, 0x6a5dcb37
	v_mov_b32_e32 v86, 0xfca7ab0c
	v_mov_b32_e32 v87, 0x3e928af3
	s_mov_b32 s5, 0x3e5ade15
	v_fmac_f64_e32 v[86:87], s[4:5], v[84:85]
	v_mov_b32_e32 v88, 0x623fde64
	v_mov_b32_e32 v89, 0x3ec71dee
	v_fmac_f64_e32 v[88:89], v[84:85], v[86:87]
	v_mov_b32_e32 v86, 0x7c89e6b0
	v_mov_b32_e32 v87, 0x3efa0199
	;; [unrolled: 3-line block ×8, first 2 shown]
	s_mov_b32 s4, 0
	v_fmac_f64_e32 v[86:87], v[84:85], v[88:89]
	s_mov_b32 s5, 0x40900000
	v_fma_f64 v[86:87], v[84:85], v[86:87], 1.0
	v_cmp_nlt_f64_e32 vcc, s[4:5], v[16:17]
	s_mov_b32 s4, 0
	v_fma_f64 v[84:85], v[84:85], v[86:87], 1.0
	v_cvt_i32_f64_e32 v20, v[20:21]
	s_mov_b32 s5, 0xc090cc00
	v_ldexp_f64 v[20:21], v[84:85], v20
	v_mov_b32_e32 v83, 0x7ff00000
	v_cmp_ngt_f64_e64 s[4:5], s[4:5], v[16:17]
	v_cndmask_b32_e32 v21, v83, v21, vcc
	s_and_b64 vcc, s[4:5], vcc
	v_cndmask_b32_e64 v21, 0, v21, s[4:5]
	v_cndmask_b32_e32 v20, 0, v20, vcc
	v_add_f64 v[36:37], v[36:37], v[20:21]
.LBB694_295:
	s_or_b64 exec, exec, s[2:3]
.LBB694_296:
	s_or_b64 exec, exec, s[0:1]
	s_and_saveexec_b64 s[0:1], s[82:83]
	s_cbranch_execz .LBB694_300
; %bb.297:
	global_load_ubyte v16, v[4:5], off offset:1664
	v_pk_mov_b32 v[18:19], 0, 0
	s_waitcnt vmcnt(0)
	v_and_b32_e32 v16, 1, v16
	v_cmp_eq_u32_e32 vcc, 1, v16
	s_xor_b64 s[4:5], vcc, -1
	s_and_saveexec_b64 s[2:3], s[4:5]
	s_cbranch_execz .LBB694_299
; %bb.298:
	s_mov_b32 s4, 0x652b82fe
	v_add_f64 v[14:15], v[14:15], -v[38:39]
	s_mov_b32 s5, 0x3ff71547
	v_mul_f64 v[16:17], v[14:15], s[4:5]
	s_mov_b32 s4, 0xfefa39ef
	v_rndne_f64_e32 v[16:17], v[16:17]
	s_mov_b32 s5, 0xbfe62e42
	v_fma_f64 v[18:19], s[4:5], v[16:17], v[14:15]
	s_mov_b32 s4, 0x3b39803f
	s_mov_b32 s5, 0xbc7abc9e
	v_fmac_f64_e32 v[18:19], s[4:5], v[16:17]
	s_mov_b32 s4, 0x6a5dcb37
	v_mov_b32_e32 v84, 0xfca7ab0c
	v_mov_b32_e32 v85, 0x3e928af3
	s_mov_b32 s5, 0x3e5ade15
	v_fmac_f64_e32 v[84:85], s[4:5], v[18:19]
	v_mov_b32_e32 v86, 0x623fde64
	v_mov_b32_e32 v87, 0x3ec71dee
	v_fmac_f64_e32 v[86:87], v[18:19], v[84:85]
	v_mov_b32_e32 v84, 0x7c89e6b0
	v_mov_b32_e32 v85, 0x3efa0199
	;; [unrolled: 3-line block ×8, first 2 shown]
	s_mov_b32 s4, 0
	v_fmac_f64_e32 v[84:85], v[18:19], v[86:87]
	s_mov_b32 s5, 0x40900000
	v_fma_f64 v[84:85], v[18:19], v[84:85], 1.0
	v_cmp_nlt_f64_e32 vcc, s[4:5], v[14:15]
	s_mov_b32 s4, 0
	v_fma_f64 v[18:19], v[18:19], v[84:85], 1.0
	v_cvt_i32_f64_e32 v16, v[16:17]
	s_mov_b32 s5, 0xc090cc00
	v_ldexp_f64 v[16:17], v[18:19], v16
	v_mov_b32_e32 v18, 0x7ff00000
	v_cmp_ngt_f64_e64 s[4:5], s[4:5], v[14:15]
	v_cndmask_b32_e32 v17, v18, v17, vcc
	s_and_b64 vcc, s[4:5], vcc
	v_cndmask_b32_e64 v19, 0, v17, s[4:5]
	v_cndmask_b32_e32 v18, 0, v16, vcc
	v_add_f64 v[36:37], v[36:37], v[18:19]
.LBB694_299:
	s_or_b64 exec, exec, s[2:3]
.LBB694_300:
	s_or_b64 exec, exec, s[0:1]
	v_pk_mov_b32 v[14:15], 0, 0
	v_pk_mov_b32 v[16:17], v[14:15], v[14:15] op_sel:[0,1]
	s_and_saveexec_b64 s[0:1], s[80:81]
	s_cbranch_execz .LBB694_304
; %bb.301:
	global_load_ubyte v16, v[4:5], off offset:1728
	s_waitcnt vmcnt(0)
	v_and_b32_e32 v16, 1, v16
	v_cmp_eq_u32_e32 vcc, 1, v16
	s_xor_b64 s[4:5], vcc, -1
	v_pk_mov_b32 v[16:17], 0, 0
	s_and_saveexec_b64 s[2:3], s[4:5]
	s_cbranch_execz .LBB694_303
; %bb.302:
	s_mov_b32 s4, 0x652b82fe
	v_add_f64 v[12:13], v[12:13], -v[38:39]
	s_mov_b32 s5, 0x3ff71547
	v_mul_f64 v[16:17], v[12:13], s[4:5]
	s_mov_b32 s4, 0xfefa39ef
	v_rndne_f64_e32 v[16:17], v[16:17]
	s_mov_b32 s5, 0xbfe62e42
	v_fma_f64 v[84:85], s[4:5], v[16:17], v[12:13]
	s_mov_b32 s4, 0x3b39803f
	s_mov_b32 s5, 0xbc7abc9e
	v_fmac_f64_e32 v[84:85], s[4:5], v[16:17]
	s_mov_b32 s4, 0x6a5dcb37
	v_mov_b32_e32 v86, 0xfca7ab0c
	v_mov_b32_e32 v87, 0x3e928af3
	s_mov_b32 s5, 0x3e5ade15
	v_fmac_f64_e32 v[86:87], s[4:5], v[84:85]
	v_mov_b32_e32 v88, 0x623fde64
	v_mov_b32_e32 v89, 0x3ec71dee
	v_fmac_f64_e32 v[88:89], v[84:85], v[86:87]
	v_mov_b32_e32 v86, 0x7c89e6b0
	v_mov_b32_e32 v87, 0x3efa0199
	;; [unrolled: 3-line block ×8, first 2 shown]
	s_mov_b32 s4, 0
	v_fmac_f64_e32 v[86:87], v[84:85], v[88:89]
	s_mov_b32 s5, 0x40900000
	v_fma_f64 v[86:87], v[84:85], v[86:87], 1.0
	v_cmp_nlt_f64_e32 vcc, s[4:5], v[12:13]
	s_mov_b32 s4, 0
	v_fma_f64 v[84:85], v[84:85], v[86:87], 1.0
	v_cvt_i32_f64_e32 v16, v[16:17]
	s_mov_b32 s5, 0xc090cc00
	v_ldexp_f64 v[16:17], v[84:85], v16
	v_mov_b32_e32 v83, 0x7ff00000
	v_cmp_ngt_f64_e64 s[4:5], s[4:5], v[12:13]
	v_cndmask_b32_e32 v17, v83, v17, vcc
	s_and_b64 vcc, s[4:5], vcc
	v_cndmask_b32_e64 v17, 0, v17, s[4:5]
	v_cndmask_b32_e32 v16, 0, v16, vcc
	v_add_f64 v[36:37], v[36:37], v[16:17]
.LBB694_303:
	s_or_b64 exec, exec, s[2:3]
.LBB694_304:
	s_or_b64 exec, exec, s[0:1]
	s_and_saveexec_b64 s[0:1], s[78:79]
	s_cbranch_execz .LBB694_308
; %bb.305:
	global_load_ubyte v12, v[4:5], off offset:1792
	v_pk_mov_b32 v[14:15], 0, 0
	s_waitcnt vmcnt(0)
	v_and_b32_e32 v12, 1, v12
	v_cmp_eq_u32_e32 vcc, 1, v12
	s_xor_b64 s[4:5], vcc, -1
	s_and_saveexec_b64 s[2:3], s[4:5]
	s_cbranch_execz .LBB694_307
; %bb.306:
	s_mov_b32 s4, 0x652b82fe
	v_add_f64 v[10:11], v[10:11], -v[38:39]
	s_mov_b32 s5, 0x3ff71547
	v_mul_f64 v[12:13], v[10:11], s[4:5]
	s_mov_b32 s4, 0xfefa39ef
	v_rndne_f64_e32 v[12:13], v[12:13]
	s_mov_b32 s5, 0xbfe62e42
	v_fma_f64 v[14:15], s[4:5], v[12:13], v[10:11]
	s_mov_b32 s4, 0x3b39803f
	s_mov_b32 s5, 0xbc7abc9e
	v_fmac_f64_e32 v[14:15], s[4:5], v[12:13]
	s_mov_b32 s4, 0x6a5dcb37
	v_mov_b32_e32 v84, 0xfca7ab0c
	v_mov_b32_e32 v85, 0x3e928af3
	s_mov_b32 s5, 0x3e5ade15
	v_fmac_f64_e32 v[84:85], s[4:5], v[14:15]
	v_mov_b32_e32 v86, 0x623fde64
	v_mov_b32_e32 v87, 0x3ec71dee
	v_fmac_f64_e32 v[86:87], v[14:15], v[84:85]
	v_mov_b32_e32 v84, 0x7c89e6b0
	v_mov_b32_e32 v85, 0x3efa0199
	;; [unrolled: 3-line block ×8, first 2 shown]
	s_mov_b32 s4, 0
	v_fmac_f64_e32 v[84:85], v[14:15], v[86:87]
	s_mov_b32 s5, 0x40900000
	v_fma_f64 v[84:85], v[14:15], v[84:85], 1.0
	v_cmp_nlt_f64_e32 vcc, s[4:5], v[10:11]
	s_mov_b32 s4, 0
	v_fma_f64 v[14:15], v[14:15], v[84:85], 1.0
	v_cvt_i32_f64_e32 v12, v[12:13]
	s_mov_b32 s5, 0xc090cc00
	v_ldexp_f64 v[12:13], v[14:15], v12
	v_mov_b32_e32 v14, 0x7ff00000
	v_cmp_ngt_f64_e64 s[4:5], s[4:5], v[10:11]
	v_cndmask_b32_e32 v13, v14, v13, vcc
	s_and_b64 vcc, s[4:5], vcc
	v_cndmask_b32_e64 v15, 0, v13, s[4:5]
	v_cndmask_b32_e32 v14, 0, v12, vcc
	v_add_f64 v[36:37], v[36:37], v[14:15]
.LBB694_307:
	s_or_b64 exec, exec, s[2:3]
.LBB694_308:
	s_or_b64 exec, exec, s[0:1]
	v_pk_mov_b32 v[10:11], 0, 0
	v_pk_mov_b32 v[12:13], v[10:11], v[10:11] op_sel:[0,1]
	s_and_saveexec_b64 s[0:1], s[76:77]
	s_cbranch_execnz .LBB694_311
; %bb.309:
	s_or_b64 exec, exec, s[0:1]
	s_and_saveexec_b64 s[0:1], s[74:75]
	s_cbranch_execnz .LBB694_314
.LBB694_310:
	s_or_b64 exec, exec, s[0:1]
	v_pk_mov_b32 v[6:7], 0, 0
	s_and_saveexec_b64 s[0:1], s[68:69]
	s_cbranch_execnz .LBB694_317
	s_branch .LBB694_320
.LBB694_311:
	global_load_ubyte v12, v[4:5], off offset:1856
	s_waitcnt vmcnt(0)
	v_and_b32_e32 v12, 1, v12
	v_cmp_eq_u32_e32 vcc, 1, v12
	s_xor_b64 s[4:5], vcc, -1
	v_pk_mov_b32 v[12:13], 0, 0
	s_and_saveexec_b64 s[2:3], s[4:5]
	s_cbranch_execz .LBB694_313
; %bb.312:
	s_mov_b32 s4, 0x652b82fe
	v_add_f64 v[8:9], v[8:9], -v[38:39]
	s_mov_b32 s5, 0x3ff71547
	v_mul_f64 v[12:13], v[8:9], s[4:5]
	s_mov_b32 s4, 0xfefa39ef
	v_rndne_f64_e32 v[12:13], v[12:13]
	s_mov_b32 s5, 0xbfe62e42
	v_fma_f64 v[84:85], s[4:5], v[12:13], v[8:9]
	s_mov_b32 s4, 0x3b39803f
	s_mov_b32 s5, 0xbc7abc9e
	v_fmac_f64_e32 v[84:85], s[4:5], v[12:13]
	s_mov_b32 s4, 0x6a5dcb37
	v_mov_b32_e32 v86, 0xfca7ab0c
	v_mov_b32_e32 v87, 0x3e928af3
	s_mov_b32 s5, 0x3e5ade15
	v_fmac_f64_e32 v[86:87], s[4:5], v[84:85]
	v_mov_b32_e32 v88, 0x623fde64
	v_mov_b32_e32 v89, 0x3ec71dee
	v_fmac_f64_e32 v[88:89], v[84:85], v[86:87]
	v_mov_b32_e32 v86, 0x7c89e6b0
	v_mov_b32_e32 v87, 0x3efa0199
	;; [unrolled: 3-line block ×8, first 2 shown]
	s_mov_b32 s4, 0
	v_fmac_f64_e32 v[86:87], v[84:85], v[88:89]
	s_mov_b32 s5, 0x40900000
	v_fma_f64 v[86:87], v[84:85], v[86:87], 1.0
	v_cmp_nlt_f64_e32 vcc, s[4:5], v[8:9]
	s_mov_b32 s4, 0
	v_fma_f64 v[84:85], v[84:85], v[86:87], 1.0
	v_cvt_i32_f64_e32 v12, v[12:13]
	s_mov_b32 s5, 0xc090cc00
	v_ldexp_f64 v[12:13], v[84:85], v12
	v_mov_b32_e32 v83, 0x7ff00000
	v_cmp_ngt_f64_e64 s[4:5], s[4:5], v[8:9]
	v_cndmask_b32_e32 v13, v83, v13, vcc
	s_and_b64 vcc, s[4:5], vcc
	v_cndmask_b32_e64 v13, 0, v13, s[4:5]
	v_cndmask_b32_e32 v12, 0, v12, vcc
	v_add_f64 v[36:37], v[36:37], v[12:13]
.LBB694_313:
	s_or_b64 exec, exec, s[2:3]
	s_or_b64 exec, exec, s[0:1]
	s_and_saveexec_b64 s[0:1], s[74:75]
	s_cbranch_execz .LBB694_310
.LBB694_314:
	global_load_ubyte v8, v[4:5], off offset:1920
	v_pk_mov_b32 v[10:11], 0, 0
	s_waitcnt vmcnt(0)
	v_and_b32_e32 v8, 1, v8
	v_cmp_eq_u32_e32 vcc, 1, v8
	s_xor_b64 s[4:5], vcc, -1
	s_and_saveexec_b64 s[2:3], s[4:5]
	s_cbranch_execz .LBB694_316
; %bb.315:
	s_mov_b32 s4, 0x652b82fe
	v_add_f64 v[6:7], v[6:7], -v[38:39]
	s_mov_b32 s5, 0x3ff71547
	v_mul_f64 v[8:9], v[6:7], s[4:5]
	s_mov_b32 s4, 0xfefa39ef
	v_rndne_f64_e32 v[8:9], v[8:9]
	s_mov_b32 s5, 0xbfe62e42
	v_fma_f64 v[10:11], s[4:5], v[8:9], v[6:7]
	s_mov_b32 s4, 0x3b39803f
	s_mov_b32 s5, 0xbc7abc9e
	v_fmac_f64_e32 v[10:11], s[4:5], v[8:9]
	s_mov_b32 s4, 0x6a5dcb37
	v_mov_b32_e32 v84, 0xfca7ab0c
	v_mov_b32_e32 v85, 0x3e928af3
	s_mov_b32 s5, 0x3e5ade15
	v_fmac_f64_e32 v[84:85], s[4:5], v[10:11]
	v_mov_b32_e32 v86, 0x623fde64
	v_mov_b32_e32 v87, 0x3ec71dee
	v_fmac_f64_e32 v[86:87], v[10:11], v[84:85]
	v_mov_b32_e32 v84, 0x7c89e6b0
	v_mov_b32_e32 v85, 0x3efa0199
	;; [unrolled: 3-line block ×8, first 2 shown]
	s_mov_b32 s4, 0
	v_fmac_f64_e32 v[84:85], v[10:11], v[86:87]
	s_mov_b32 s5, 0x40900000
	v_fma_f64 v[84:85], v[10:11], v[84:85], 1.0
	v_cmp_nlt_f64_e32 vcc, s[4:5], v[6:7]
	s_mov_b32 s4, 0
	v_fma_f64 v[10:11], v[10:11], v[84:85], 1.0
	v_cvt_i32_f64_e32 v8, v[8:9]
	s_mov_b32 s5, 0xc090cc00
	v_ldexp_f64 v[8:9], v[10:11], v8
	v_mov_b32_e32 v10, 0x7ff00000
	v_cmp_ngt_f64_e64 s[4:5], s[4:5], v[6:7]
	v_cndmask_b32_e32 v9, v10, v9, vcc
	s_and_b64 vcc, s[4:5], vcc
	v_cndmask_b32_e64 v11, 0, v9, s[4:5]
	v_cndmask_b32_e32 v10, 0, v8, vcc
	v_add_f64 v[36:37], v[36:37], v[10:11]
.LBB694_316:
	s_or_b64 exec, exec, s[2:3]
	s_or_b64 exec, exec, s[0:1]
	v_pk_mov_b32 v[6:7], 0, 0
	s_and_saveexec_b64 s[0:1], s[68:69]
	s_cbranch_execz .LBB694_320
.LBB694_317:
	global_load_ubyte v4, v[4:5], off offset:1984
	v_pk_mov_b32 v[6:7], 0, 0
	s_waitcnt vmcnt(0)
	v_and_b32_e32 v4, 1, v4
	v_cmp_eq_u32_e32 vcc, 1, v4
	s_xor_b64 s[4:5], vcc, -1
	s_and_saveexec_b64 s[2:3], s[4:5]
	s_cbranch_execz .LBB694_319
; %bb.318:
	s_mov_b32 s4, 0x652b82fe
	v_add_f64 v[2:3], v[2:3], -v[38:39]
	s_mov_b32 s5, 0x3ff71547
	v_mul_f64 v[4:5], v[2:3], s[4:5]
	s_mov_b32 s4, 0xfefa39ef
	v_rndne_f64_e32 v[4:5], v[4:5]
	s_mov_b32 s5, 0xbfe62e42
	v_fma_f64 v[6:7], s[4:5], v[4:5], v[2:3]
	s_mov_b32 s4, 0x3b39803f
	s_mov_b32 s5, 0xbc7abc9e
	v_fmac_f64_e32 v[6:7], s[4:5], v[4:5]
	s_mov_b32 s4, 0x6a5dcb37
	v_mov_b32_e32 v8, 0xfca7ab0c
	v_mov_b32_e32 v9, 0x3e928af3
	s_mov_b32 s5, 0x3e5ade15
	v_fmac_f64_e32 v[8:9], s[4:5], v[6:7]
	v_mov_b32_e32 v38, 0x623fde64
	v_mov_b32_e32 v39, 0x3ec71dee
	v_fmac_f64_e32 v[38:39], v[6:7], v[8:9]
	v_mov_b32_e32 v8, 0x7c89e6b0
	v_mov_b32_e32 v9, 0x3efa0199
	;; [unrolled: 3-line block ×8, first 2 shown]
	s_mov_b32 s4, 0
	v_fmac_f64_e32 v[8:9], v[6:7], v[38:39]
	s_mov_b32 s5, 0x40900000
	v_fma_f64 v[8:9], v[6:7], v[8:9], 1.0
	v_cmp_nlt_f64_e32 vcc, s[4:5], v[2:3]
	s_mov_b32 s4, 0
	v_fma_f64 v[6:7], v[6:7], v[8:9], 1.0
	v_cvt_i32_f64_e32 v4, v[4:5]
	s_mov_b32 s5, 0xc090cc00
	v_ldexp_f64 v[4:5], v[6:7], v4
	v_mov_b32_e32 v6, 0x7ff00000
	v_cmp_ngt_f64_e64 s[4:5], s[4:5], v[2:3]
	v_cndmask_b32_e32 v5, v6, v5, vcc
	s_and_b64 vcc, s[4:5], vcc
	v_cndmask_b32_e64 v7, 0, v5, s[4:5]
	v_cndmask_b32_e32 v6, 0, v4, vcc
	v_add_f64 v[36:37], v[36:37], v[6:7]
.LBB694_319:
	s_or_b64 exec, exec, s[2:3]
.LBB694_320:
	s_or_b64 exec, exec, s[0:1]
	ds_bpermute_b32 v2, v77, v36
	ds_bpermute_b32 v3, v77, v37
	v_cmp_lt_i32_e32 vcc, 0, v76
	s_waitcnt lgkmcnt(0)
	v_add_f64 v[2:3], v[36:37], v[2:3]
	ds_bpermute_b32 v4, v78, v2
	ds_bpermute_b32 v5, v78, v3
	s_waitcnt lgkmcnt(0)
	v_add_f64 v[2:3], v[2:3], v[4:5]
	ds_bpermute_b32 v4, v79, v2
	ds_bpermute_b32 v5, v79, v3
	;; [unrolled: 4-line block ×5, first 2 shown]
	s_and_saveexec_b64 s[0:1], vcc
	s_cbranch_execz .LBB694_354
; %bb.321:
	s_and_b64 exec, exec, s[64:65]
	s_cbranch_execz .LBB694_354
; %bb.322:
	v_readlane_b32 s0, v90, 0
	s_waitcnt lgkmcnt(0)
	v_add_f64 v[2:3], v[2:3], v[4:5]
	v_readlane_b32 s1, v90, 1
	s_mov_b64 s[4:5], s[0:1]
	v_div_scale_f64 v[4:5], s[0:1], v[2:3], v[2:3], v[32:33]
	v_rcp_f64_e32 v[8:9], v[4:5]
	v_mov_b32_e32 v36, s5
	v_add_co_u32_e32 v0, vcc, s4, v0
	v_addc_co_u32_e32 v1, vcc, v36, v1, vcc
	v_fma_f64 v[36:37], -v[4:5], v[8:9], 1.0
	v_fmac_f64_e32 v[8:9], v[8:9], v[36:37]
	v_fma_f64 v[36:37], -v[4:5], v[8:9], 1.0
	v_fmac_f64_e32 v[8:9], v[8:9], v[36:37]
	v_div_scale_f64 v[36:37], vcc, v[32:33], v[2:3], v[32:33]
	v_mul_f64 v[38:39], v[36:37], v[8:9]
	v_fma_f64 v[4:5], -v[4:5], v[38:39], v[36:37]
	v_cmp_eq_f64_e64 s[64:65], 0, v[2:3]
	s_nop 0
	v_div_fmas_f64 v[4:5], v[4:5], v[8:9], v[38:39]
	v_div_fixup_f64 v[8:9], v[4:5], v[2:3], v[32:33]
	v_mov_b32_e32 v4, 0x7ff80000
	v_cndmask_b32_e64 v9, v9, v4, s[64:65]
	v_cndmask_b32_e64 v8, v8, 0, s[64:65]
	v_readlane_b32 s2, v90, 2
	v_readlane_b32 s3, v90, 3
	global_store_dwordx2 v[0:1], v[8:9], off
	s_and_b64 exec, exec, s[62:63]
	s_cbranch_execz .LBB694_354
; %bb.323:
	v_div_scale_f64 v[8:9], s[0:1], v[2:3], v[2:3], v[40:41]
	v_rcp_f64_e32 v[32:33], v[8:9]
	v_div_scale_f64 v[36:37], vcc, v[40:41], v[2:3], v[40:41]
	v_fma_f64 v[38:39], -v[8:9], v[32:33], 1.0
	v_fmac_f64_e32 v[32:33], v[32:33], v[38:39]
	v_fma_f64 v[38:39], -v[8:9], v[32:33], 1.0
	v_fmac_f64_e32 v[32:33], v[32:33], v[38:39]
	v_mul_f64 v[38:39], v[36:37], v[32:33]
	v_fma_f64 v[8:9], -v[8:9], v[38:39], v[36:37]
	v_div_fmas_f64 v[8:9], v[8:9], v[32:33], v[38:39]
	v_div_fixup_f64 v[8:9], v[8:9], v[2:3], v[40:41]
	v_cndmask_b32_e64 v5, v9, v4, s[64:65]
	v_cndmask_b32_e64 v4, v8, 0, s[64:65]
	global_store_dwordx2 v[0:1], v[4:5], off offset:512
	s_and_b64 exec, exec, s[60:61]
	s_cbranch_execz .LBB694_354
; %bb.324:
	v_div_scale_f64 v[4:5], s[0:1], v[2:3], v[2:3], v[30:31]
	v_rcp_f64_e32 v[8:9], v[4:5]
	v_div_scale_f64 v[32:33], vcc, v[30:31], v[2:3], v[30:31]
	v_fma_f64 v[36:37], -v[4:5], v[8:9], 1.0
	v_fmac_f64_e32 v[8:9], v[8:9], v[36:37]
	v_fma_f64 v[36:37], -v[4:5], v[8:9], 1.0
	v_fmac_f64_e32 v[8:9], v[8:9], v[36:37]
	v_mul_f64 v[36:37], v[32:33], v[8:9]
	v_fma_f64 v[4:5], -v[4:5], v[36:37], v[32:33]
	v_div_fmas_f64 v[4:5], v[4:5], v[8:9], v[36:37]
	v_div_fixup_f64 v[8:9], v[4:5], v[2:3], v[30:31]
	v_mov_b32_e32 v4, 0x7ff80000
	v_cndmask_b32_e64 v9, v9, v4, s[64:65]
	v_cndmask_b32_e64 v8, v8, 0, s[64:65]
	global_store_dwordx2 v[0:1], v[8:9], off offset:1024
	s_and_b64 exec, exec, s[58:59]
	s_cbranch_execz .LBB694_354
; %bb.325:
	v_div_scale_f64 v[8:9], s[0:1], v[2:3], v[2:3], v[48:49]
	v_rcp_f64_e32 v[30:31], v[8:9]
	v_div_scale_f64 v[32:33], vcc, v[48:49], v[2:3], v[48:49]
	v_fma_f64 v[36:37], -v[8:9], v[30:31], 1.0
	v_fmac_f64_e32 v[30:31], v[30:31], v[36:37]
	v_fma_f64 v[36:37], -v[8:9], v[30:31], 1.0
	v_fmac_f64_e32 v[30:31], v[30:31], v[36:37]
	v_mul_f64 v[36:37], v[32:33], v[30:31]
	v_fma_f64 v[8:9], -v[8:9], v[36:37], v[32:33]
	v_div_fmas_f64 v[8:9], v[8:9], v[30:31], v[36:37]
	v_div_fixup_f64 v[8:9], v[8:9], v[2:3], v[48:49]
	v_cndmask_b32_e64 v5, v9, v4, s[64:65]
	v_cndmask_b32_e64 v4, v8, 0, s[64:65]
	global_store_dwordx2 v[0:1], v[4:5], off offset:1536
	s_and_b64 exec, exec, s[56:57]
	s_cbranch_execz .LBB694_354
; %bb.326:
	v_div_scale_f64 v[4:5], s[0:1], v[2:3], v[2:3], v[46:47]
	v_rcp_f64_e32 v[8:9], v[4:5]
	v_div_scale_f64 v[30:31], vcc, v[46:47], v[2:3], v[46:47]
	v_fma_f64 v[32:33], -v[4:5], v[8:9], 1.0
	v_fmac_f64_e32 v[8:9], v[8:9], v[32:33]
	v_fma_f64 v[32:33], -v[4:5], v[8:9], 1.0
	v_fmac_f64_e32 v[8:9], v[8:9], v[32:33]
	v_mul_f64 v[32:33], v[30:31], v[8:9]
	v_fma_f64 v[4:5], -v[4:5], v[32:33], v[30:31]
	v_div_fmas_f64 v[4:5], v[4:5], v[8:9], v[32:33]
	v_div_fixup_f64 v[8:9], v[4:5], v[2:3], v[46:47]
	v_mov_b32_e32 v4, 0x7ff80000
	v_cndmask_b32_e64 v9, v9, v4, s[64:65]
	v_cndmask_b32_e64 v8, v8, 0, s[64:65]
	global_store_dwordx2 v[0:1], v[8:9], off offset:2048
	;; [unrolled: 35-line block ×3, first 2 shown]
	s_and_b64 exec, exec, s[50:51]
	s_cbranch_execz .LBB694_354
; %bb.329:
	v_div_scale_f64 v[8:9], s[0:1], v[2:3], v[2:3], v[64:65]
	v_rcp_f64_e32 v[30:31], v[8:9]
	v_div_scale_f64 v[32:33], vcc, v[64:65], v[2:3], v[64:65]
	v_fma_f64 v[36:37], -v[8:9], v[30:31], 1.0
	v_fmac_f64_e32 v[30:31], v[30:31], v[36:37]
	v_fma_f64 v[36:37], -v[8:9], v[30:31], 1.0
	v_fmac_f64_e32 v[30:31], v[30:31], v[36:37]
	v_mul_f64 v[36:37], v[32:33], v[30:31]
	v_fma_f64 v[8:9], -v[8:9], v[36:37], v[32:33]
	v_div_fmas_f64 v[8:9], v[8:9], v[30:31], v[36:37]
	v_div_fixup_f64 v[8:9], v[8:9], v[2:3], v[64:65]
	v_cndmask_b32_e64 v5, v9, v4, s[64:65]
	v_cndmask_b32_e64 v4, v8, 0, s[64:65]
	global_store_dwordx2 v[0:1], v[4:5], off offset:3584
	s_and_b64 exec, exec, s[48:49]
	s_cbranch_execz .LBB694_354
; %bb.330:
	v_div_scale_f64 v[4:5], s[0:1], v[2:3], v[2:3], v[62:63]
	v_rcp_f64_e32 v[8:9], v[4:5]
	v_div_scale_f64 v[30:31], vcc, v[62:63], v[2:3], v[62:63]
	v_fma_f64 v[32:33], -v[4:5], v[8:9], 1.0
	v_fmac_f64_e32 v[8:9], v[8:9], v[32:33]
	v_fma_f64 v[32:33], -v[4:5], v[8:9], 1.0
	v_fmac_f64_e32 v[8:9], v[8:9], v[32:33]
	v_mul_f64 v[32:33], v[30:31], v[8:9]
	v_fma_f64 v[4:5], -v[4:5], v[32:33], v[30:31]
	v_div_fmas_f64 v[4:5], v[4:5], v[8:9], v[32:33]
	v_div_fixup_f64 v[8:9], v[4:5], v[2:3], v[62:63]
	v_mov_b32_e32 v4, 0x7ff80000
	v_add_co_u32_e32 v30, vcc, 0x1000, v0
	v_cndmask_b32_e64 v9, v9, v4, s[64:65]
	v_cndmask_b32_e64 v8, v8, 0, s[64:65]
	v_addc_co_u32_e32 v31, vcc, 0, v1, vcc
	global_store_dwordx2 v[30:31], v[8:9], off
	s_and_b64 exec, exec, s[46:47]
	s_cbranch_execz .LBB694_354
; %bb.331:
	v_div_scale_f64 v[8:9], s[0:1], v[2:3], v[2:3], v[72:73]
	v_rcp_f64_e32 v[30:31], v[8:9]
	v_div_scale_f64 v[32:33], vcc, v[72:73], v[2:3], v[72:73]
	v_fma_f64 v[36:37], -v[8:9], v[30:31], 1.0
	v_fmac_f64_e32 v[30:31], v[30:31], v[36:37]
	v_fma_f64 v[36:37], -v[8:9], v[30:31], 1.0
	v_fmac_f64_e32 v[30:31], v[30:31], v[36:37]
	v_mul_f64 v[36:37], v[32:33], v[30:31]
	v_fma_f64 v[8:9], -v[8:9], v[36:37], v[32:33]
	v_div_fmas_f64 v[8:9], v[8:9], v[30:31], v[36:37]
	v_div_fixup_f64 v[8:9], v[8:9], v[2:3], v[72:73]
	v_cndmask_b32_e64 v5, v9, v4, s[64:65]
	v_cndmask_b32_e64 v4, v8, 0, s[64:65]
	v_add_co_u32_e32 v8, vcc, 0x1000, v0
	v_addc_co_u32_e32 v9, vcc, 0, v1, vcc
	global_store_dwordx2 v[8:9], v[4:5], off offset:512
	s_and_b64 exec, exec, s[44:45]
	s_cbranch_execz .LBB694_354
; %bb.332:
	v_div_scale_f64 v[4:5], s[0:1], v[2:3], v[2:3], v[68:69]
	v_rcp_f64_e32 v[8:9], v[4:5]
	v_div_scale_f64 v[30:31], vcc, v[68:69], v[2:3], v[68:69]
	v_readlane_b32 s0, v90, 4
	v_fma_f64 v[32:33], -v[4:5], v[8:9], 1.0
	v_fmac_f64_e32 v[8:9], v[8:9], v[32:33]
	v_fma_f64 v[32:33], -v[4:5], v[8:9], 1.0
	v_fmac_f64_e32 v[8:9], v[8:9], v[32:33]
	v_mul_f64 v[32:33], v[30:31], v[8:9]
	v_fma_f64 v[4:5], -v[4:5], v[32:33], v[30:31]
	v_div_fmas_f64 v[4:5], v[4:5], v[8:9], v[32:33]
	v_div_fixup_f64 v[8:9], v[4:5], v[2:3], v[68:69]
	v_mov_b32_e32 v4, 0x7ff80000
	v_add_co_u32_e32 v30, vcc, 0x1000, v0
	v_cndmask_b32_e64 v9, v9, v4, s[64:65]
	v_cndmask_b32_e64 v8, v8, 0, s[64:65]
	v_addc_co_u32_e32 v31, vcc, 0, v1, vcc
	v_readlane_b32 s1, v90, 5
	global_store_dwordx2 v[30:31], v[8:9], off offset:1024
	s_and_b64 exec, exec, s[0:1]
	s_cbranch_execz .LBB694_354
; %bb.333:
	v_div_scale_f64 v[8:9], s[0:1], v[2:3], v[2:3], v[74:75]
	v_rcp_f64_e32 v[30:31], v[8:9]
	v_div_scale_f64 v[32:33], vcc, v[74:75], v[2:3], v[74:75]
	v_readlane_b32 s0, v90, 6
	v_fma_f64 v[36:37], -v[8:9], v[30:31], 1.0
	v_fmac_f64_e32 v[30:31], v[30:31], v[36:37]
	v_fma_f64 v[36:37], -v[8:9], v[30:31], 1.0
	v_fmac_f64_e32 v[30:31], v[30:31], v[36:37]
	v_mul_f64 v[36:37], v[32:33], v[30:31]
	v_fma_f64 v[8:9], -v[8:9], v[36:37], v[32:33]
	v_div_fmas_f64 v[8:9], v[8:9], v[30:31], v[36:37]
	v_div_fixup_f64 v[8:9], v[8:9], v[2:3], v[74:75]
	v_cndmask_b32_e64 v5, v9, v4, s[64:65]
	v_cndmask_b32_e64 v4, v8, 0, s[64:65]
	v_add_co_u32_e32 v8, vcc, 0x1000, v0
	v_addc_co_u32_e32 v9, vcc, 0, v1, vcc
	v_readlane_b32 s1, v90, 7
	global_store_dwordx2 v[8:9], v[4:5], off offset:1536
	s_and_b64 exec, exec, s[0:1]
	s_cbranch_execz .LBB694_354
; %bb.334:
	v_div_scale_f64 v[4:5], s[0:1], v[2:3], v[2:3], v[70:71]
	v_rcp_f64_e32 v[8:9], v[4:5]
	v_div_scale_f64 v[30:31], vcc, v[70:71], v[2:3], v[70:71]
	v_readlane_b32 s0, v90, 8
	v_fma_f64 v[32:33], -v[4:5], v[8:9], 1.0
	v_fmac_f64_e32 v[8:9], v[8:9], v[32:33]
	v_fma_f64 v[32:33], -v[4:5], v[8:9], 1.0
	v_fmac_f64_e32 v[8:9], v[8:9], v[32:33]
	v_mul_f64 v[32:33], v[30:31], v[8:9]
	v_fma_f64 v[4:5], -v[4:5], v[32:33], v[30:31]
	v_div_fmas_f64 v[4:5], v[4:5], v[8:9], v[32:33]
	v_div_fixup_f64 v[8:9], v[4:5], v[2:3], v[70:71]
	v_mov_b32_e32 v4, 0x7ff80000
	v_add_co_u32_e32 v30, vcc, 0x1000, v0
	v_cndmask_b32_e64 v9, v9, v4, s[64:65]
	v_cndmask_b32_e64 v8, v8, 0, s[64:65]
	v_addc_co_u32_e32 v31, vcc, 0, v1, vcc
	v_readlane_b32 s1, v90, 9
	global_store_dwordx2 v[30:31], v[8:9], off offset:2048
	s_and_b64 exec, exec, s[0:1]
	s_cbranch_execz .LBB694_354
; %bb.335:
	v_div_scale_f64 v[8:9], s[0:1], v[2:3], v[2:3], v[66:67]
	v_rcp_f64_e32 v[30:31], v[8:9]
	v_div_scale_f64 v[32:33], vcc, v[66:67], v[2:3], v[66:67]
	v_readlane_b32 s0, v90, 10
	v_fma_f64 v[36:37], -v[8:9], v[30:31], 1.0
	v_fmac_f64_e32 v[30:31], v[30:31], v[36:37]
	v_fma_f64 v[36:37], -v[8:9], v[30:31], 1.0
	v_fmac_f64_e32 v[30:31], v[30:31], v[36:37]
	v_mul_f64 v[36:37], v[32:33], v[30:31]
	v_fma_f64 v[8:9], -v[8:9], v[36:37], v[32:33]
	v_div_fmas_f64 v[8:9], v[8:9], v[30:31], v[36:37]
	v_div_fixup_f64 v[8:9], v[8:9], v[2:3], v[66:67]
	v_cndmask_b32_e64 v5, v9, v4, s[64:65]
	v_cndmask_b32_e64 v4, v8, 0, s[64:65]
	v_add_co_u32_e32 v8, vcc, 0x1000, v0
	v_addc_co_u32_e32 v9, vcc, 0, v1, vcc
	v_readlane_b32 s1, v90, 11
	;; [unrolled: 43-line block ×3, first 2 shown]
	global_store_dwordx2 v[8:9], v[4:5], off offset:3584
	s_and_b64 exec, exec, s[0:1]
	s_cbranch_execz .LBB694_354
; %bb.338:
	v_div_scale_f64 v[4:5], s[0:1], v[2:3], v[2:3], v[52:53]
	v_rcp_f64_e32 v[8:9], v[4:5]
	v_div_scale_f64 v[30:31], vcc, v[52:53], v[2:3], v[52:53]
	v_readlane_b32 s0, v90, 16
	v_fma_f64 v[32:33], -v[4:5], v[8:9], 1.0
	v_fmac_f64_e32 v[8:9], v[8:9], v[32:33]
	v_fma_f64 v[32:33], -v[4:5], v[8:9], 1.0
	v_fmac_f64_e32 v[8:9], v[8:9], v[32:33]
	v_mul_f64 v[32:33], v[30:31], v[8:9]
	v_fma_f64 v[4:5], -v[4:5], v[32:33], v[30:31]
	v_div_fmas_f64 v[4:5], v[4:5], v[8:9], v[32:33]
	v_div_fixup_f64 v[8:9], v[4:5], v[2:3], v[52:53]
	v_mov_b32_e32 v4, 0x7ff80000
	v_add_co_u32_e32 v30, vcc, 0x2000, v0
	v_cndmask_b32_e64 v9, v9, v4, s[64:65]
	v_cndmask_b32_e64 v8, v8, 0, s[64:65]
	v_addc_co_u32_e32 v31, vcc, 0, v1, vcc
	v_readlane_b32 s1, v90, 17
	global_store_dwordx2 v[30:31], v[8:9], off
	s_and_b64 exec, exec, s[0:1]
	s_cbranch_execz .LBB694_354
; %bb.339:
	v_div_scale_f64 v[8:9], s[0:1], v[2:3], v[2:3], v[50:51]
	v_rcp_f64_e32 v[30:31], v[8:9]
	v_div_scale_f64 v[32:33], vcc, v[50:51], v[2:3], v[50:51]
	v_readlane_b32 s0, v90, 18
	v_fma_f64 v[36:37], -v[8:9], v[30:31], 1.0
	v_fmac_f64_e32 v[30:31], v[30:31], v[36:37]
	v_fma_f64 v[36:37], -v[8:9], v[30:31], 1.0
	v_fmac_f64_e32 v[30:31], v[30:31], v[36:37]
	v_mul_f64 v[36:37], v[32:33], v[30:31]
	v_fma_f64 v[8:9], -v[8:9], v[36:37], v[32:33]
	v_div_fmas_f64 v[8:9], v[8:9], v[30:31], v[36:37]
	v_div_fixup_f64 v[8:9], v[8:9], v[2:3], v[50:51]
	v_cndmask_b32_e64 v5, v9, v4, s[64:65]
	v_cndmask_b32_e64 v4, v8, 0, s[64:65]
	v_add_co_u32_e32 v8, vcc, 0x2000, v0
	v_addc_co_u32_e32 v9, vcc, 0, v1, vcc
	v_readlane_b32 s1, v90, 19
	global_store_dwordx2 v[8:9], v[4:5], off offset:512
	s_and_b64 exec, exec, s[0:1]
	s_cbranch_execz .LBB694_354
; %bb.340:
	v_div_scale_f64 v[4:5], s[0:1], v[2:3], v[2:3], v[44:45]
	v_rcp_f64_e32 v[8:9], v[4:5]
	v_div_scale_f64 v[30:31], vcc, v[44:45], v[2:3], v[44:45]
	v_readlane_b32 s0, v90, 20
	v_fma_f64 v[32:33], -v[4:5], v[8:9], 1.0
	v_fmac_f64_e32 v[8:9], v[8:9], v[32:33]
	v_fma_f64 v[32:33], -v[4:5], v[8:9], 1.0
	v_fmac_f64_e32 v[8:9], v[8:9], v[32:33]
	v_mul_f64 v[32:33], v[30:31], v[8:9]
	v_fma_f64 v[4:5], -v[4:5], v[32:33], v[30:31]
	v_div_fmas_f64 v[4:5], v[4:5], v[8:9], v[32:33]
	v_div_fixup_f64 v[8:9], v[4:5], v[2:3], v[44:45]
	v_mov_b32_e32 v4, 0x7ff80000
	v_add_co_u32_e32 v30, vcc, 0x2000, v0
	v_cndmask_b32_e64 v9, v9, v4, s[64:65]
	v_cndmask_b32_e64 v8, v8, 0, s[64:65]
	v_addc_co_u32_e32 v31, vcc, 0, v1, vcc
	v_readlane_b32 s1, v90, 21
	global_store_dwordx2 v[30:31], v[8:9], off offset:1024
	s_and_b64 exec, exec, s[0:1]
	s_cbranch_execz .LBB694_354
; %bb.341:
	v_div_scale_f64 v[8:9], s[0:1], v[2:3], v[2:3], v[42:43]
	v_rcp_f64_e32 v[30:31], v[8:9]
	v_div_scale_f64 v[32:33], vcc, v[42:43], v[2:3], v[42:43]
	v_readlane_b32 s0, v90, 22
	v_fma_f64 v[36:37], -v[8:9], v[30:31], 1.0
	v_fmac_f64_e32 v[30:31], v[30:31], v[36:37]
	v_fma_f64 v[36:37], -v[8:9], v[30:31], 1.0
	v_fmac_f64_e32 v[30:31], v[30:31], v[36:37]
	v_mul_f64 v[36:37], v[32:33], v[30:31]
	v_fma_f64 v[8:9], -v[8:9], v[36:37], v[32:33]
	v_div_fmas_f64 v[8:9], v[8:9], v[30:31], v[36:37]
	v_div_fixup_f64 v[8:9], v[8:9], v[2:3], v[42:43]
	v_cndmask_b32_e64 v5, v9, v4, s[64:65]
	v_cndmask_b32_e64 v4, v8, 0, s[64:65]
	v_add_co_u32_e32 v8, vcc, 0x2000, v0
	v_addc_co_u32_e32 v9, vcc, 0, v1, vcc
	v_readlane_b32 s1, v90, 23
	global_store_dwordx2 v[8:9], v[4:5], off offset:1536
	s_and_b64 exec, exec, s[0:1]
	s_cbranch_execz .LBB694_354
; %bb.342:
	v_div_scale_f64 v[4:5], s[0:1], v[2:3], v[2:3], v[34:35]
	v_rcp_f64_e32 v[8:9], v[4:5]
	v_div_scale_f64 v[30:31], vcc, v[34:35], v[2:3], v[34:35]
	v_readlane_b32 s0, v90, 24
	v_fma_f64 v[32:33], -v[4:5], v[8:9], 1.0
	v_fmac_f64_e32 v[8:9], v[8:9], v[32:33]
	v_fma_f64 v[32:33], -v[4:5], v[8:9], 1.0
	v_fmac_f64_e32 v[8:9], v[8:9], v[32:33]
	v_mul_f64 v[32:33], v[30:31], v[8:9]
	v_fma_f64 v[4:5], -v[4:5], v[32:33], v[30:31]
	v_div_fmas_f64 v[4:5], v[4:5], v[8:9], v[32:33]
	v_div_fixup_f64 v[8:9], v[4:5], v[2:3], v[34:35]
	v_mov_b32_e32 v4, 0x7ff80000
	v_add_co_u32_e32 v30, vcc, 0x2000, v0
	v_cndmask_b32_e64 v9, v9, v4, s[64:65]
	v_cndmask_b32_e64 v8, v8, 0, s[64:65]
	v_addc_co_u32_e32 v31, vcc, 0, v1, vcc
	v_readlane_b32 s1, v90, 25
	global_store_dwordx2 v[30:31], v[8:9], off offset:2048
	;; [unrolled: 43-line block ×3, first 2 shown]
	s_and_b64 exec, exec, s[0:1]
	s_cbranch_execz .LBB694_354
; %bb.345:
	v_div_scale_f64 v[8:9], s[0:1], v[2:3], v[2:3], v[24:25]
	v_rcp_f64_e32 v[26:27], v[8:9]
	v_div_scale_f64 v[28:29], vcc, v[24:25], v[2:3], v[24:25]
	v_readlane_b32 s0, v90, 30
	v_fma_f64 v[30:31], -v[8:9], v[26:27], 1.0
	v_fmac_f64_e32 v[26:27], v[26:27], v[30:31]
	v_fma_f64 v[30:31], -v[8:9], v[26:27], 1.0
	v_fmac_f64_e32 v[26:27], v[26:27], v[30:31]
	v_mul_f64 v[30:31], v[28:29], v[26:27]
	v_fma_f64 v[8:9], -v[8:9], v[30:31], v[28:29]
	v_div_fmas_f64 v[8:9], v[8:9], v[26:27], v[30:31]
	v_div_fixup_f64 v[8:9], v[8:9], v[2:3], v[24:25]
	v_cndmask_b32_e64 v5, v9, v4, s[64:65]
	v_cndmask_b32_e64 v4, v8, 0, s[64:65]
	v_add_co_u32_e32 v8, vcc, 0x2000, v0
	v_addc_co_u32_e32 v9, vcc, 0, v1, vcc
	v_readlane_b32 s1, v90, 31
	global_store_dwordx2 v[8:9], v[4:5], off offset:3584
	s_and_b64 exec, exec, s[0:1]
	s_cbranch_execz .LBB694_354
; %bb.346:
	v_div_scale_f64 v[4:5], s[0:1], v[2:3], v[2:3], v[22:23]
	v_rcp_f64_e32 v[8:9], v[4:5]
	v_div_scale_f64 v[24:25], vcc, v[22:23], v[2:3], v[22:23]
	v_readlane_b32 s0, v90, 32
	v_fma_f64 v[26:27], -v[4:5], v[8:9], 1.0
	v_fmac_f64_e32 v[8:9], v[8:9], v[26:27]
	v_fma_f64 v[26:27], -v[4:5], v[8:9], 1.0
	v_fmac_f64_e32 v[8:9], v[8:9], v[26:27]
	v_mul_f64 v[26:27], v[24:25], v[8:9]
	v_fma_f64 v[4:5], -v[4:5], v[26:27], v[24:25]
	v_div_fmas_f64 v[4:5], v[4:5], v[8:9], v[26:27]
	v_div_fixup_f64 v[8:9], v[4:5], v[2:3], v[22:23]
	v_mov_b32_e32 v4, 0x7ff80000
	v_add_co_u32_e32 v22, vcc, 0x3000, v0
	v_cndmask_b32_e64 v9, v9, v4, s[64:65]
	v_cndmask_b32_e64 v8, v8, 0, s[64:65]
	v_addc_co_u32_e32 v23, vcc, 0, v1, vcc
	v_readlane_b32 s1, v90, 33
	global_store_dwordx2 v[22:23], v[8:9], off
	s_and_b64 exec, exec, s[0:1]
	s_cbranch_execz .LBB694_354
; %bb.347:
	v_div_scale_f64 v[8:9], s[0:1], v[2:3], v[2:3], v[20:21]
	v_rcp_f64_e32 v[22:23], v[8:9]
	v_div_scale_f64 v[24:25], vcc, v[20:21], v[2:3], v[20:21]
	v_readlane_b32 s0, v90, 34
	v_fma_f64 v[26:27], -v[8:9], v[22:23], 1.0
	v_fmac_f64_e32 v[22:23], v[22:23], v[26:27]
	v_fma_f64 v[26:27], -v[8:9], v[22:23], 1.0
	v_fmac_f64_e32 v[22:23], v[22:23], v[26:27]
	v_mul_f64 v[26:27], v[24:25], v[22:23]
	v_fma_f64 v[8:9], -v[8:9], v[26:27], v[24:25]
	v_div_fmas_f64 v[8:9], v[8:9], v[22:23], v[26:27]
	v_div_fixup_f64 v[8:9], v[8:9], v[2:3], v[20:21]
	v_cndmask_b32_e64 v5, v9, v4, s[64:65]
	v_cndmask_b32_e64 v4, v8, 0, s[64:65]
	v_add_co_u32_e32 v8, vcc, 0x3000, v0
	v_addc_co_u32_e32 v9, vcc, 0, v1, vcc
	v_readlane_b32 s1, v90, 35
	global_store_dwordx2 v[8:9], v[4:5], off offset:512
	s_and_b64 exec, exec, s[0:1]
	s_cbranch_execz .LBB694_354
; %bb.348:
	v_div_scale_f64 v[4:5], s[0:1], v[2:3], v[2:3], v[18:19]
	v_rcp_f64_e32 v[8:9], v[4:5]
	v_div_scale_f64 v[20:21], vcc, v[18:19], v[2:3], v[18:19]
	v_readlane_b32 s0, v90, 36
	v_fma_f64 v[22:23], -v[4:5], v[8:9], 1.0
	v_fmac_f64_e32 v[8:9], v[8:9], v[22:23]
	v_fma_f64 v[22:23], -v[4:5], v[8:9], 1.0
	v_fmac_f64_e32 v[8:9], v[8:9], v[22:23]
	v_mul_f64 v[22:23], v[20:21], v[8:9]
	v_fma_f64 v[4:5], -v[4:5], v[22:23], v[20:21]
	v_div_fmas_f64 v[4:5], v[4:5], v[8:9], v[22:23]
	v_div_fixup_f64 v[8:9], v[4:5], v[2:3], v[18:19]
	v_mov_b32_e32 v4, 0x7ff80000
	v_add_co_u32_e32 v18, vcc, 0x3000, v0
	v_cndmask_b32_e64 v9, v9, v4, s[64:65]
	v_cndmask_b32_e64 v8, v8, 0, s[64:65]
	v_addc_co_u32_e32 v19, vcc, 0, v1, vcc
	v_readlane_b32 s1, v90, 37
	global_store_dwordx2 v[18:19], v[8:9], off offset:1024
	s_and_b64 exec, exec, s[0:1]
	s_cbranch_execz .LBB694_354
; %bb.349:
	v_div_scale_f64 v[8:9], s[0:1], v[2:3], v[2:3], v[16:17]
	v_rcp_f64_e32 v[18:19], v[8:9]
	v_div_scale_f64 v[20:21], vcc, v[16:17], v[2:3], v[16:17]
	v_readlane_b32 s0, v90, 38
	v_fma_f64 v[22:23], -v[8:9], v[18:19], 1.0
	v_fmac_f64_e32 v[18:19], v[18:19], v[22:23]
	v_fma_f64 v[22:23], -v[8:9], v[18:19], 1.0
	v_fmac_f64_e32 v[18:19], v[18:19], v[22:23]
	v_mul_f64 v[22:23], v[20:21], v[18:19]
	v_fma_f64 v[8:9], -v[8:9], v[22:23], v[20:21]
	v_div_fmas_f64 v[8:9], v[8:9], v[18:19], v[22:23]
	v_div_fixup_f64 v[8:9], v[8:9], v[2:3], v[16:17]
	v_cndmask_b32_e64 v5, v9, v4, s[64:65]
	v_cndmask_b32_e64 v4, v8, 0, s[64:65]
	v_add_co_u32_e32 v8, vcc, 0x3000, v0
	v_addc_co_u32_e32 v9, vcc, 0, v1, vcc
	v_readlane_b32 s1, v90, 39
	global_store_dwordx2 v[8:9], v[4:5], off offset:1536
	s_and_b64 exec, exec, s[0:1]
	s_cbranch_execz .LBB694_354
; %bb.350:
	v_div_scale_f64 v[4:5], s[0:1], v[2:3], v[2:3], v[14:15]
	v_rcp_f64_e32 v[8:9], v[4:5]
	v_div_scale_f64 v[16:17], vcc, v[14:15], v[2:3], v[14:15]
	v_readlane_b32 s0, v90, 40
	v_fma_f64 v[18:19], -v[4:5], v[8:9], 1.0
	v_fmac_f64_e32 v[8:9], v[8:9], v[18:19]
	v_fma_f64 v[18:19], -v[4:5], v[8:9], 1.0
	v_fmac_f64_e32 v[8:9], v[8:9], v[18:19]
	v_mul_f64 v[18:19], v[16:17], v[8:9]
	v_fma_f64 v[4:5], -v[4:5], v[18:19], v[16:17]
	v_div_fmas_f64 v[4:5], v[4:5], v[8:9], v[18:19]
	v_div_fixup_f64 v[8:9], v[4:5], v[2:3], v[14:15]
	v_mov_b32_e32 v4, 0x7ff80000
	v_add_co_u32_e32 v14, vcc, 0x3000, v0
	v_cndmask_b32_e64 v9, v9, v4, s[64:65]
	v_cndmask_b32_e64 v8, v8, 0, s[64:65]
	v_addc_co_u32_e32 v15, vcc, 0, v1, vcc
	v_readlane_b32 s1, v90, 41
	global_store_dwordx2 v[14:15], v[8:9], off offset:2048
	;; [unrolled: 43-line block ×3, first 2 shown]
	s_and_b64 exec, exec, s[0:1]
	s_cbranch_execz .LBB694_354
; %bb.353:
	v_div_scale_f64 v[8:9], s[0:1], v[2:3], v[2:3], v[6:7]
	v_rcp_f64_e32 v[10:11], v[8:9]
	v_div_scale_f64 v[12:13], vcc, v[6:7], v[2:3], v[6:7]
	v_fma_f64 v[14:15], -v[8:9], v[10:11], 1.0
	v_fmac_f64_e32 v[10:11], v[10:11], v[14:15]
	v_fma_f64 v[14:15], -v[8:9], v[10:11], 1.0
	v_fmac_f64_e32 v[10:11], v[10:11], v[14:15]
	v_mul_f64 v[14:15], v[12:13], v[10:11]
	v_fma_f64 v[8:9], -v[8:9], v[14:15], v[12:13]
	v_div_fmas_f64 v[8:9], v[8:9], v[10:11], v[14:15]
	v_div_fixup_f64 v[2:3], v[8:9], v[2:3], v[6:7]
	v_add_co_u32_e32 v0, vcc, 0x3000, v0
	v_cndmask_b32_e64 v3, v3, v4, s[64:65]
	v_cndmask_b32_e64 v2, v2, 0, s[64:65]
	v_addc_co_u32_e32 v1, vcc, 0, v1, vcc
	global_store_dwordx2 v[0:1], v[2:3], off offset:3584
.LBB694_354:
	s_endpgm
	.section	.rodata,"a",@progbits
	.p2align	6, 0x0
	.amdhsa_kernel _ZN12_GLOBAL__N_120softmax_warp_forwardIdddLi11ELb0ELb1ELi64EEEvPT0_PKT_iiiPKbib
		.amdhsa_group_segment_fixed_size 0
		.amdhsa_private_segment_fixed_size 0
		.amdhsa_kernarg_size 304
		.amdhsa_user_sgpr_count 6
		.amdhsa_user_sgpr_private_segment_buffer 1
		.amdhsa_user_sgpr_dispatch_ptr 0
		.amdhsa_user_sgpr_queue_ptr 0
		.amdhsa_user_sgpr_kernarg_segment_ptr 1
		.amdhsa_user_sgpr_dispatch_id 0
		.amdhsa_user_sgpr_flat_scratch_init 0
		.amdhsa_user_sgpr_kernarg_preload_length 0
		.amdhsa_user_sgpr_kernarg_preload_offset 0
		.amdhsa_user_sgpr_private_segment_size 0
		.amdhsa_uses_dynamic_stack 0
		.amdhsa_system_sgpr_private_segment_wavefront_offset 0
		.amdhsa_system_sgpr_workgroup_id_x 1
		.amdhsa_system_sgpr_workgroup_id_y 0
		.amdhsa_system_sgpr_workgroup_id_z 0
		.amdhsa_system_sgpr_workgroup_info 0
		.amdhsa_system_vgpr_workitem_id 1
		.amdhsa_next_free_vgpr 91
		.amdhsa_next_free_sgpr 96
		.amdhsa_accum_offset 92
		.amdhsa_reserve_vcc 1
		.amdhsa_reserve_flat_scratch 0
		.amdhsa_float_round_mode_32 0
		.amdhsa_float_round_mode_16_64 0
		.amdhsa_float_denorm_mode_32 3
		.amdhsa_float_denorm_mode_16_64 3
		.amdhsa_dx10_clamp 1
		.amdhsa_ieee_mode 1
		.amdhsa_fp16_overflow 0
		.amdhsa_tg_split 0
		.amdhsa_exception_fp_ieee_invalid_op 0
		.amdhsa_exception_fp_denorm_src 0
		.amdhsa_exception_fp_ieee_div_zero 0
		.amdhsa_exception_fp_ieee_overflow 0
		.amdhsa_exception_fp_ieee_underflow 0
		.amdhsa_exception_fp_ieee_inexact 0
		.amdhsa_exception_int_div_zero 0
	.end_amdhsa_kernel
	.section	.text._ZN12_GLOBAL__N_120softmax_warp_forwardIdddLi11ELb0ELb1ELi64EEEvPT0_PKT_iiiPKbib,"axG",@progbits,_ZN12_GLOBAL__N_120softmax_warp_forwardIdddLi11ELb0ELb1ELi64EEEvPT0_PKT_iiiPKbib,comdat
.Lfunc_end694:
	.size	_ZN12_GLOBAL__N_120softmax_warp_forwardIdddLi11ELb0ELb1ELi64EEEvPT0_PKT_iiiPKbib, .Lfunc_end694-_ZN12_GLOBAL__N_120softmax_warp_forwardIdddLi11ELb0ELb1ELi64EEEvPT0_PKT_iiiPKbib
                                        ; -- End function
	.section	.AMDGPU.csdata,"",@progbits
; Kernel info:
; codeLenInByte = 24292
; NumSgprs: 100
; NumVgprs: 91
; NumAgprs: 0
; TotalNumVgprs: 91
; ScratchSize: 0
; MemoryBound: 0
; FloatMode: 240
; IeeeMode: 1
; LDSByteSize: 0 bytes/workgroup (compile time only)
; SGPRBlocks: 12
; VGPRBlocks: 11
; NumSGPRsForWavesPerEU: 100
; NumVGPRsForWavesPerEU: 91
; AccumOffset: 92
; Occupancy: 5
; WaveLimiterHint : 0
; COMPUTE_PGM_RSRC2:SCRATCH_EN: 0
; COMPUTE_PGM_RSRC2:USER_SGPR: 6
; COMPUTE_PGM_RSRC2:TRAP_HANDLER: 0
; COMPUTE_PGM_RSRC2:TGID_X_EN: 1
; COMPUTE_PGM_RSRC2:TGID_Y_EN: 0
; COMPUTE_PGM_RSRC2:TGID_Z_EN: 0
; COMPUTE_PGM_RSRC2:TIDIG_COMP_CNT: 1
; COMPUTE_PGM_RSRC3_GFX90A:ACCUM_OFFSET: 22
; COMPUTE_PGM_RSRC3_GFX90A:TG_SPLIT: 0
	.section	.text._ZN12_GLOBAL__N_120softmax_warp_forwardIdddLi11ELb0ELb1ELi32EEEvPT0_PKT_iiiPKbib,"axG",@progbits,_ZN12_GLOBAL__N_120softmax_warp_forwardIdddLi11ELb0ELb1ELi32EEEvPT0_PKT_iiiPKbib,comdat
	.globl	_ZN12_GLOBAL__N_120softmax_warp_forwardIdddLi11ELb0ELb1ELi32EEEvPT0_PKT_iiiPKbib ; -- Begin function _ZN12_GLOBAL__N_120softmax_warp_forwardIdddLi11ELb0ELb1ELi32EEEvPT0_PKT_iiiPKbib
	.p2align	8
	.type	_ZN12_GLOBAL__N_120softmax_warp_forwardIdddLi11ELb0ELb1ELi32EEEvPT0_PKT_iiiPKbib,@function
_ZN12_GLOBAL__N_120softmax_warp_forwardIdddLi11ELb0ELb1ELi32EEEvPT0_PKT_iiiPKbib: ; @_ZN12_GLOBAL__N_120softmax_warp_forwardIdddLi11ELb0ELb1ELi32EEEvPT0_PKT_iiiPKbib
; %bb.0:
	s_mov_b64 s[98:99], s[2:3]
	s_mov_b64 s[96:97], s[0:1]
	s_load_dword s2, s[4:5], 0x3c
	s_load_dwordx4 s[40:43], s[4:5], 0x10
	s_load_dwordx2 s[0:1], s[4:5], 0x28
	s_add_u32 s96, s96, s7
	s_addc_u32 s97, s97, 0
	s_waitcnt lgkmcnt(0)
	s_lshr_b32 s2, s2, 16
	s_mul_i32 s6, s6, s2
	v_bfe_u32 v1, v0, 10, 10
	v_add_u32_e32 v3, s6, v1
	v_and_b32_e32 v2, 0x3ff, v0
	v_mul_lo_u32 v6, v3, s41
	v_add_u32_e32 v0, v6, v2
	v_ashrrev_i32_e32 v1, 31, v0
	s_bitcmp0_b32 s1, 0
	v_pk_mov_b32 v[4:5], v[0:1], v[0:1] op_sel:[0,1]
	s_cbranch_scc1 .LBB695_2
; %bb.1:
	s_abs_i32 s1, s0
	v_cvt_f32_u32_e32 v4, s1
	v_xor_b32_e32 v5, s0, v6
	v_sub_u32_e32 v7, 0, v6
	s_sub_i32 s0, 0, s1
	v_rcp_iflag_f32_e32 v4, v4
	v_max_i32_e32 v6, v6, v7
	v_ashrrev_i32_e32 v5, 31, v5
	v_mul_f32_e32 v4, 0x4f7ffffe, v4
	v_cvt_u32_f32_e32 v4, v4
	v_mul_lo_u32 v7, s0, v4
	v_mul_hi_u32 v7, v4, v7
	v_add_u32_e32 v4, v4, v7
	v_mul_hi_u32 v4, v6, v4
	v_mul_lo_u32 v7, v4, s1
	v_sub_u32_e32 v6, v6, v7
	v_add_u32_e32 v8, 1, v4
	v_cmp_le_u32_e32 vcc, s1, v6
	v_subrev_u32_e32 v7, s1, v6
	v_cndmask_b32_e32 v4, v4, v8, vcc
	v_cndmask_b32_e32 v6, v6, v7, vcc
	v_add_u32_e32 v7, 1, v4
	v_cmp_le_u32_e32 vcc, s1, v6
	v_cndmask_b32_e32 v4, v4, v7, vcc
	v_xor_b32_e32 v4, v4, v5
	v_sub_u32_e32 v4, v4, v5
	v_mad_u64_u32 v[4:5], s[0:1], v4, s41, v[2:3]
	v_ashrrev_i32_e32 v5, 31, v4
.LBB695_2:
	s_load_dwordx4 s[0:3], s[4:5], 0x0
	v_lshlrev_b64 v[6:7], 3, v[0:1]
                                        ; implicit-def: $vgpr127 : SGPR spill to VGPR lane
	v_sub_u32_e32 v3, s40, v3
	v_mov_b32_e32 v74, 0
	v_cmp_lt_i32_e64 s[38:39], 0, v3
	s_waitcnt lgkmcnt(0)
	v_mov_b32_e32 v0, s3
	v_writelane_b32 v127, s0, 0
	v_add_co_u32_e32 v8, vcc, s2, v6
	buffer_store_dword v6, off, s[96:99], 0 offset:168 ; 4-byte Folded Spill
	s_nop 0
	buffer_store_dword v7, off, s[96:99], 0 offset:172 ; 4-byte Folded Spill
	v_writelane_b32 v127, s1, 1
	v_writelane_b32 v127, s2, 2
	;; [unrolled: 1-line block ×3, first 2 shown]
	v_cmp_gt_i32_e64 s[0:1], s42, v2
	v_writelane_b32 v127, s0, 4
	v_mov_b32_e32 v75, 0xfff00000
	v_writelane_b32 v127, s1, 5
	s_and_b64 s[78:79], s[38:39], s[0:1]
	v_pk_mov_b32 v[66:67], v[74:75], v[74:75] op_sel:[0,1]
	buffer_store_dword v3, off, s[96:99], 0 ; 4-byte Folded Spill
	v_addc_co_u32_e32 v9, vcc, v0, v7, vcc
	s_and_saveexec_b64 s[0:1], s[78:79]
	s_cbranch_execz .LBB695_4
; %bb.3:
	global_load_dwordx2 v[66:67], v[8:9], off
.LBB695_4:
	s_or_b64 exec, exec, s[0:1]
	v_add_u32_e32 v0, 32, v2
	v_cmp_gt_i32_e64 s[0:1], s42, v0
	v_writelane_b32 v127, s0, 6
	v_writelane_b32 v127, s1, 7
	s_and_b64 s[76:77], s[38:39], s[0:1]
	s_and_saveexec_b64 s[0:1], s[76:77]
	s_cbranch_execz .LBB695_6
; %bb.5:
	global_load_dwordx2 v[74:75], v[8:9], off offset:256
.LBB695_6:
	s_or_b64 exec, exec, s[0:1]
	v_add_u32_e32 v0, 64, v2
	v_cmp_gt_i32_e64 s[0:1], s42, v0
	v_mov_b32_e32 v82, 0
	v_writelane_b32 v127, s0, 8
	v_mov_b32_e32 v83, 0xfff00000
	v_writelane_b32 v127, s1, 9
	s_and_b64 s[74:75], s[38:39], s[0:1]
	v_pk_mov_b32 v[72:73], v[82:83], v[82:83] op_sel:[0,1]
	s_and_saveexec_b64 s[0:1], s[74:75]
	s_cbranch_execz .LBB695_8
; %bb.7:
	global_load_dwordx2 v[72:73], v[8:9], off offset:512
.LBB695_8:
	s_or_b64 exec, exec, s[0:1]
	v_add_u32_e32 v0, 0x60, v2
	v_cmp_gt_i32_e64 s[0:1], s42, v0
	v_writelane_b32 v127, s0, 10
	v_writelane_b32 v127, s1, 11
	s_and_b64 s[72:73], s[38:39], s[0:1]
	s_and_saveexec_b64 s[0:1], s[72:73]
	s_cbranch_execz .LBB695_10
; %bb.9:
	global_load_dwordx2 v[82:83], v[8:9], off offset:768
.LBB695_10:
	s_or_b64 exec, exec, s[0:1]
	v_add_u32_e32 v0, 0x80, v2
	v_cmp_gt_i32_e64 s[0:1], s42, v0
	v_mov_b32_e32 v90, 0
	v_writelane_b32 v127, s0, 12
	v_mov_b32_e32 v91, 0xfff00000
	v_writelane_b32 v127, s1, 13
	s_and_b64 s[70:71], s[38:39], s[0:1]
	v_pk_mov_b32 v[80:81], v[90:91], v[90:91] op_sel:[0,1]
	s_and_saveexec_b64 s[0:1], s[70:71]
	s_cbranch_execz .LBB695_12
; %bb.11:
	global_load_dwordx2 v[80:81], v[8:9], off offset:1024
.LBB695_12:
	s_or_b64 exec, exec, s[0:1]
	v_add_u32_e32 v0, 0xa0, v2
	v_cmp_gt_i32_e64 s[0:1], s42, v0
	v_writelane_b32 v127, s0, 14
	v_writelane_b32 v127, s1, 15
	s_and_b64 s[68:69], s[38:39], s[0:1]
	s_and_saveexec_b64 s[0:1], s[68:69]
	s_cbranch_execz .LBB695_14
; %bb.13:
	global_load_dwordx2 v[90:91], v[8:9], off offset:1280
.LBB695_14:
	s_or_b64 exec, exec, s[0:1]
	v_add_u32_e32 v0, 0xc0, v2
	v_cmp_gt_i32_e64 s[0:1], s42, v0
	v_mov_b32_e32 v98, 0
	v_writelane_b32 v127, s0, 16
	v_mov_b32_e32 v99, 0xfff00000
	v_writelane_b32 v127, s1, 17
	s_and_b64 s[66:67], s[38:39], s[0:1]
	v_pk_mov_b32 v[88:89], v[98:99], v[98:99] op_sel:[0,1]
	s_and_saveexec_b64 s[0:1], s[66:67]
	s_cbranch_execz .LBB695_16
; %bb.15:
	global_load_dwordx2 v[88:89], v[8:9], off offset:1536
.LBB695_16:
	s_or_b64 exec, exec, s[0:1]
	v_add_u32_e32 v0, 0xe0, v2
	v_cmp_gt_i32_e64 s[0:1], s42, v0
	v_writelane_b32 v127, s0, 18
	v_writelane_b32 v127, s1, 19
	s_and_b64 s[64:65], s[38:39], s[0:1]
	s_and_saveexec_b64 s[0:1], s[64:65]
	s_cbranch_execz .LBB695_18
; %bb.17:
	global_load_dwordx2 v[98:99], v[8:9], off offset:1792
.LBB695_18:
	s_or_b64 exec, exec, s[0:1]
	v_add_u32_e32 v0, 0x100, v2
	v_cmp_gt_i32_e64 s[0:1], s42, v0
	v_mov_b32_e32 v106, 0
	v_writelane_b32 v127, s0, 20
	v_mov_b32_e32 v107, 0xfff00000
	v_writelane_b32 v127, s1, 21
	s_and_b64 s[62:63], s[38:39], s[0:1]
	v_pk_mov_b32 v[96:97], v[106:107], v[106:107] op_sel:[0,1]
	s_and_saveexec_b64 s[0:1], s[62:63]
	s_cbranch_execz .LBB695_20
; %bb.19:
	global_load_dwordx2 v[96:97], v[8:9], off offset:2048
.LBB695_20:
	s_or_b64 exec, exec, s[0:1]
	v_add_u32_e32 v0, 0x120, v2
	v_cmp_gt_i32_e64 s[0:1], s42, v0
	v_writelane_b32 v127, s0, 22
	v_writelane_b32 v127, s1, 23
	s_and_b64 s[60:61], s[38:39], s[0:1]
	s_and_saveexec_b64 s[0:1], s[60:61]
	s_cbranch_execz .LBB695_22
; %bb.21:
	global_load_dwordx2 v[106:107], v[8:9], off offset:2304
.LBB695_22:
	s_or_b64 exec, exec, s[0:1]
	v_add_u32_e32 v0, 0x140, v2
	v_cmp_gt_i32_e64 s[0:1], s42, v0
	v_mov_b32_e32 v114, 0
	v_writelane_b32 v127, s0, 24
	v_mov_b32_e32 v115, 0xfff00000
	v_writelane_b32 v127, s1, 25
	s_and_b64 s[58:59], s[38:39], s[0:1]
	v_pk_mov_b32 v[104:105], v[114:115], v[114:115] op_sel:[0,1]
	s_and_saveexec_b64 s[0:1], s[58:59]
	s_cbranch_execz .LBB695_24
; %bb.23:
	global_load_dwordx2 v[104:105], v[8:9], off offset:2560
.LBB695_24:
	s_or_b64 exec, exec, s[0:1]
	v_add_u32_e32 v0, 0x160, v2
	v_cmp_gt_i32_e64 s[0:1], s42, v0
	v_writelane_b32 v127, s0, 26
	v_writelane_b32 v127, s1, 27
	s_and_b64 s[56:57], s[38:39], s[0:1]
	s_and_saveexec_b64 s[0:1], s[56:57]
	s_cbranch_execz .LBB695_26
; %bb.25:
	global_load_dwordx2 v[114:115], v[8:9], off offset:2816
.LBB695_26:
	s_or_b64 exec, exec, s[0:1]
	v_add_u32_e32 v0, 0x180, v2
	v_cmp_gt_i32_e64 s[0:1], s42, v0
	v_mov_b32_e32 v122, 0
	v_writelane_b32 v127, s0, 28
	v_mov_b32_e32 v123, 0xfff00000
	v_writelane_b32 v127, s1, 29
	s_and_b64 s[54:55], s[38:39], s[0:1]
	v_pk_mov_b32 v[112:113], v[122:123], v[122:123] op_sel:[0,1]
	s_and_saveexec_b64 s[0:1], s[54:55]
	s_cbranch_execz .LBB695_28
; %bb.27:
	global_load_dwordx2 v[112:113], v[8:9], off offset:3072
.LBB695_28:
	s_or_b64 exec, exec, s[0:1]
	v_add_u32_e32 v0, 0x1a0, v2
	v_cmp_gt_i32_e64 s[0:1], s42, v0
	v_writelane_b32 v127, s0, 30
	v_writelane_b32 v127, s1, 31
	s_and_b64 s[52:53], s[38:39], s[0:1]
	s_and_saveexec_b64 s[0:1], s[52:53]
	s_cbranch_execz .LBB695_30
; %bb.29:
	global_load_dwordx2 v[122:123], v[8:9], off offset:3328
.LBB695_30:
	s_or_b64 exec, exec, s[0:1]
	v_add_u32_e32 v0, 0x1c0, v2
	v_cmp_gt_i32_e64 s[0:1], s42, v0
	v_mov_b32_e32 v14, 0
	v_writelane_b32 v127, s0, 32
	v_mov_b32_e32 v15, 0xfff00000
	v_writelane_b32 v127, s1, 33
	s_and_b64 s[50:51], s[38:39], s[0:1]
	v_pk_mov_b32 v[120:121], v[14:15], v[14:15] op_sel:[0,1]
	s_and_saveexec_b64 s[0:1], s[50:51]
	s_cbranch_execz .LBB695_32
; %bb.31:
	global_load_dwordx2 v[120:121], v[8:9], off offset:3584
.LBB695_32:
	s_or_b64 exec, exec, s[0:1]
	v_add_u32_e32 v0, 0x1e0, v2
	v_cmp_gt_i32_e64 s[0:1], s42, v0
	v_writelane_b32 v127, s0, 34
	v_writelane_b32 v127, s1, 35
	s_and_b64 s[48:49], s[38:39], s[0:1]
	s_and_saveexec_b64 s[0:1], s[48:49]
	s_cbranch_execz .LBB695_34
; %bb.33:
	global_load_dwordx2 v[14:15], v[8:9], off offset:3840
.LBB695_34:
	s_or_b64 exec, exec, s[0:1]
	v_add_u32_e32 v0, 0x200, v2
	v_cmp_gt_i32_e64 s[0:1], s42, v0
	v_mov_b32_e32 v26, 0
	v_writelane_b32 v127, s0, 36
	v_mov_b32_e32 v27, 0xfff00000
	v_writelane_b32 v127, s1, 37
	s_and_b64 s[46:47], s[38:39], s[0:1]
	v_pk_mov_b32 v[6:7], v[26:27], v[26:27] op_sel:[0,1]
	s_and_saveexec_b64 s[0:1], s[46:47]
	s_cbranch_execz .LBB695_36
; %bb.35:
	v_add_co_u32_e32 v0, vcc, 0x1000, v8
	v_addc_co_u32_e32 v1, vcc, 0, v9, vcc
	global_load_dwordx2 v[6:7], v[0:1], off
.LBB695_36:
	s_or_b64 exec, exec, s[0:1]
	v_add_u32_e32 v0, 0x220, v2
	v_cmp_gt_i32_e64 s[0:1], s42, v0
	v_writelane_b32 v127, s0, 38
	v_writelane_b32 v127, s1, 39
	s_and_b64 s[44:45], s[38:39], s[0:1]
	s_and_saveexec_b64 s[0:1], s[44:45]
	s_cbranch_execz .LBB695_38
; %bb.37:
	v_add_co_u32_e32 v0, vcc, 0x1000, v8
	v_addc_co_u32_e32 v1, vcc, 0, v9, vcc
	global_load_dwordx2 v[26:27], v[0:1], off offset:256
.LBB695_38:
	s_or_b64 exec, exec, s[0:1]
	v_add_u32_e32 v0, 0x240, v2
	v_cmp_gt_i32_e64 s[0:1], s42, v0
	v_mov_b32_e32 v30, 0
	v_writelane_b32 v127, s0, 40
	v_mov_b32_e32 v31, 0xfff00000
	v_writelane_b32 v127, s1, 41
	s_and_b64 s[40:41], s[38:39], s[0:1]
	v_pk_mov_b32 v[22:23], v[30:31], v[30:31] op_sel:[0,1]
	s_and_saveexec_b64 s[0:1], s[40:41]
	s_cbranch_execz .LBB695_40
; %bb.39:
	v_add_co_u32_e32 v0, vcc, 0x1000, v8
	v_addc_co_u32_e32 v1, vcc, 0, v9, vcc
	global_load_dwordx2 v[22:23], v[0:1], off offset:512
.LBB695_40:
	s_or_b64 exec, exec, s[0:1]
	v_add_u32_e32 v0, 0x260, v2
	v_cmp_gt_i32_e64 s[0:1], s42, v0
	v_writelane_b32 v127, s0, 42
	v_writelane_b32 v127, s1, 43
	s_and_b64 s[34:35], s[38:39], s[0:1]
	s_and_saveexec_b64 s[0:1], s[34:35]
	s_cbranch_execz .LBB695_42
; %bb.41:
	v_add_co_u32_e32 v0, vcc, 0x1000, v8
	v_addc_co_u32_e32 v1, vcc, 0, v9, vcc
	global_load_dwordx2 v[30:31], v[0:1], off offset:768
.LBB695_42:
	s_or_b64 exec, exec, s[0:1]
	v_add_u32_e32 v0, 0x280, v2
	v_cmp_gt_i32_e64 s[0:1], s42, v0
	v_mov_b32_e32 v10, 0
	v_writelane_b32 v127, s0, 44
	v_mov_b32_e32 v11, 0xfff00000
	v_writelane_b32 v127, s1, 45
	s_and_b64 s[30:31], s[38:39], s[0:1]
	v_pk_mov_b32 v[18:19], v[10:11], v[10:11] op_sel:[0,1]
	s_and_saveexec_b64 s[0:1], s[30:31]
	s_cbranch_execz .LBB695_44
; %bb.43:
	v_add_co_u32_e32 v0, vcc, 0x1000, v8
	v_addc_co_u32_e32 v1, vcc, 0, v9, vcc
	global_load_dwordx2 v[18:19], v[0:1], off offset:1024
.LBB695_44:
	;; [unrolled: 29-line block ×6, first 2 shown]
	s_or_b64 exec, exec, s[0:1]
	v_add_u32_e32 v3, 0x3a0, v2
	v_cmp_gt_i32_e64 s[0:1], s42, v3
	v_writelane_b32 v127, s0, 62
	v_writelane_b32 v127, s1, 63
	s_and_b64 s[12:13], s[38:39], s[0:1]
	s_and_saveexec_b64 s[0:1], s[12:13]
	s_cbranch_execz .LBB695_62
; %bb.61:
	v_add_co_u32_e32 v12, vcc, 0x1000, v8
	v_addc_co_u32_e32 v13, vcc, 0, v9, vcc
	global_load_dwordx2 v[94:95], v[12:13], off offset:3328
.LBB695_62:
	s_or_b64 exec, exec, s[0:1]
	v_add_u32_e32 v3, 0x3c0, v2
	v_cmp_gt_i32_e64 s[0:1], s42, v3
                                        ; implicit-def: $vgpr125 : SGPR spill to VGPR lane
	v_mov_b32_e32 v86, 0
	v_writelane_b32 v125, s0, 0
	v_mov_b32_e32 v87, 0xfff00000
	v_writelane_b32 v125, s1, 1
	s_and_b64 s[10:11], s[38:39], s[0:1]
	v_pk_mov_b32 v[92:93], v[86:87], v[86:87] op_sel:[0,1]
	s_and_saveexec_b64 s[0:1], s[10:11]
	s_cbranch_execz .LBB695_64
; %bb.63:
	v_add_co_u32_e32 v12, vcc, 0x1000, v8
	v_addc_co_u32_e32 v13, vcc, 0, v9, vcc
	global_load_dwordx2 v[92:93], v[12:13], off offset:3584
.LBB695_64:
	s_or_b64 exec, exec, s[0:1]
	v_add_u32_e32 v3, 0x3e0, v2
	v_cmp_gt_i32_e64 s[0:1], s42, v3
	v_writelane_b32 v125, s0, 2
	v_writelane_b32 v125, s1, 3
	s_and_b64 s[8:9], s[38:39], s[0:1]
	s_and_saveexec_b64 s[0:1], s[8:9]
	s_cbranch_execz .LBB695_66
; %bb.65:
	v_add_co_u32_e32 v12, vcc, 0x1000, v8
	v_addc_co_u32_e32 v13, vcc, 0, v9, vcc
	global_load_dwordx2 v[86:87], v[12:13], off offset:3840
.LBB695_66:
	s_or_b64 exec, exec, s[0:1]
	v_or_b32_e32 v3, 0x400, v2
	v_cmp_gt_i32_e64 s[0:1], s42, v3
	v_mov_b32_e32 v78, 0
	v_writelane_b32 v125, s0, 4
	v_mov_b32_e32 v79, 0xfff00000
	v_writelane_b32 v125, s1, 5
	s_and_b64 s[6:7], s[38:39], s[0:1]
	v_pk_mov_b32 v[84:85], v[78:79], v[78:79] op_sel:[0,1]
	s_and_saveexec_b64 s[0:1], s[6:7]
	s_cbranch_execz .LBB695_68
; %bb.67:
	v_add_co_u32_e32 v12, vcc, 0x2000, v8
	v_addc_co_u32_e32 v13, vcc, 0, v9, vcc
	global_load_dwordx2 v[84:85], v[12:13], off
.LBB695_68:
	s_or_b64 exec, exec, s[0:1]
	v_add_u32_e32 v3, 0x420, v2
	v_cmp_gt_i32_e64 s[0:1], s42, v3
	v_writelane_b32 v125, s0, 6
	v_writelane_b32 v125, s1, 7
	s_and_b64 s[36:37], s[38:39], s[0:1]
	s_and_saveexec_b64 s[0:1], s[36:37]
	s_cbranch_execz .LBB695_70
; %bb.69:
	v_add_co_u32_e32 v12, vcc, 0x2000, v8
	v_addc_co_u32_e32 v13, vcc, 0, v9, vcc
	global_load_dwordx2 v[78:79], v[12:13], off offset:256
.LBB695_70:
	s_or_b64 exec, exec, s[0:1]
	v_add_u32_e32 v3, 0x440, v2
	v_cmp_gt_i32_e64 s[0:1], s42, v3
	v_mov_b32_e32 v70, 0
	v_writelane_b32 v125, s0, 8
	v_mov_b32_e32 v71, 0xfff00000
	v_writelane_b32 v125, s1, 9
	s_and_b64 s[2:3], s[38:39], s[0:1]
	v_pk_mov_b32 v[76:77], v[70:71], v[70:71] op_sel:[0,1]
	s_and_saveexec_b64 s[0:1], s[2:3]
	s_cbranch_execz .LBB695_72
; %bb.71:
	v_add_co_u32_e32 v12, vcc, 0x2000, v8
	v_addc_co_u32_e32 v13, vcc, 0, v9, vcc
	global_load_dwordx2 v[76:77], v[12:13], off offset:512
.LBB695_72:
	s_or_b64 exec, exec, s[0:1]
	v_add_u32_e32 v3, 0x460, v2
	v_cmp_gt_i32_e64 s[0:1], s42, v3
	v_writelane_b32 v125, s0, 10
	v_writelane_b32 v125, s1, 11
	s_and_b64 s[0:1], s[38:39], s[0:1]
	s_and_saveexec_b64 s[80:81], s[0:1]
	s_cbranch_execz .LBB695_74
; %bb.73:
	v_add_co_u32_e32 v12, vcc, 0x2000, v8
	v_addc_co_u32_e32 v13, vcc, 0, v9, vcc
	global_load_dwordx2 v[70:71], v[12:13], off offset:768
.LBB695_74:
	s_or_b64 exec, exec, s[80:81]
	v_add_u32_e32 v3, 0x480, v2
	v_cmp_gt_i32_e64 s[80:81], s42, v3
	v_mov_b32_e32 v58, 0
	v_writelane_b32 v125, s80, 12
	v_mov_b32_e32 v59, 0xfff00000
	v_writelane_b32 v125, s81, 13
	s_and_b64 s[94:95], s[38:39], s[80:81]
	v_pk_mov_b32 v[68:69], v[58:59], v[58:59] op_sel:[0,1]
	s_and_saveexec_b64 s[80:81], s[94:95]
	s_cbranch_execz .LBB695_76
; %bb.75:
	v_add_co_u32_e32 v12, vcc, 0x2000, v8
	v_addc_co_u32_e32 v13, vcc, 0, v9, vcc
	global_load_dwordx2 v[68:69], v[12:13], off offset:1024
.LBB695_76:
	;; [unrolled: 29-line block ×5, first 2 shown]
	s_or_b64 exec, exec, s[80:81]
	v_add_u32_e32 v3, 0x560, v2
	v_cmp_gt_i32_e64 s[80:81], s42, v3
	v_writelane_b32 v125, s80, 26
	v_writelane_b32 v125, s81, 27
	s_and_b64 vcc, s[38:39], s[80:81]
	s_mov_b64 s[80:81], exec
	v_writelane_b32 v125, vcc_lo, 28
	v_writelane_b32 v125, vcc_hi, 29
	s_and_b64 vcc, s[80:81], vcc
	s_mov_b64 exec, vcc
	s_cbranch_execz .LBB695_90
; %bb.89:
	v_add_co_u32_e32 v12, vcc, 0x2000, v8
	v_addc_co_u32_e32 v13, vcc, 0, v9, vcc
	global_load_dwordx2 v[44:45], v[12:13], off offset:2816
.LBB695_90:
	s_or_b64 exec, exec, s[80:81]
	v_add_u32_e32 v3, 0x580, v2
	v_cmp_gt_i32_e64 s[80:81], s42, v3
	v_mov_b32_e32 v40, 0
	v_writelane_b32 v125, s80, 30
	v_mov_b32_e32 v41, 0xfff00000
	v_writelane_b32 v125, s81, 31
	v_pk_mov_b32 v[42:43], v[40:41], v[40:41] op_sel:[0,1]
	s_and_b64 vcc, s[38:39], s[80:81]
	s_mov_b64 s[80:81], exec
	v_writelane_b32 v125, vcc_lo, 32
	v_writelane_b32 v125, vcc_hi, 33
	s_and_b64 vcc, s[80:81], vcc
	s_mov_b64 exec, vcc
	s_cbranch_execz .LBB695_92
; %bb.91:
	v_add_co_u32_e32 v12, vcc, 0x2000, v8
	v_addc_co_u32_e32 v13, vcc, 0, v9, vcc
	global_load_dwordx2 v[42:43], v[12:13], off offset:3072
.LBB695_92:
	s_or_b64 exec, exec, s[80:81]
	v_add_u32_e32 v3, 0x5a0, v2
	v_cmp_gt_i32_e64 s[80:81], s42, v3
	v_writelane_b32 v125, s80, 34
	v_writelane_b32 v125, s81, 35
	s_and_b64 vcc, s[38:39], s[80:81]
	s_mov_b64 s[80:81], exec
	v_writelane_b32 v125, vcc_lo, 36
	v_writelane_b32 v125, vcc_hi, 37
	s_and_b64 vcc, s[80:81], vcc
	s_mov_b64 exec, vcc
	s_cbranch_execz .LBB695_94
; %bb.93:
	v_add_co_u32_e32 v12, vcc, 0x2000, v8
	v_addc_co_u32_e32 v13, vcc, 0, v9, vcc
	global_load_dwordx2 v[40:41], v[12:13], off offset:3328
.LBB695_94:
	s_or_b64 exec, exec, s[80:81]
	v_add_u32_e32 v3, 0x5c0, v2
	v_cmp_gt_i32_e64 s[80:81], s42, v3
	v_mov_b32_e32 v36, 0
	v_writelane_b32 v125, s80, 38
	v_mov_b32_e32 v37, 0xfff00000
	v_writelane_b32 v125, s81, 39
	v_pk_mov_b32 v[38:39], v[36:37], v[36:37] op_sel:[0,1]
	s_and_b64 vcc, s[38:39], s[80:81]
	s_mov_b64 s[80:81], exec
	v_writelane_b32 v125, vcc_lo, 40
	v_writelane_b32 v125, vcc_hi, 41
	s_and_b64 vcc, s[80:81], vcc
	s_mov_b64 exec, vcc
	s_cbranch_execz .LBB695_96
; %bb.95:
	v_add_co_u32_e32 v12, vcc, 0x2000, v8
	v_addc_co_u32_e32 v13, vcc, 0, v9, vcc
	global_load_dwordx2 v[38:39], v[12:13], off offset:3584
.LBB695_96:
	s_or_b64 exec, exec, s[80:81]
	v_add_u32_e32 v3, 0x5e0, v2
	v_cmp_gt_i32_e64 s[80:81], s42, v3
	v_writelane_b32 v125, s80, 42
	v_writelane_b32 v125, s81, 43
	s_and_b64 vcc, s[38:39], s[80:81]
	s_mov_b64 s[80:81], exec
	v_writelane_b32 v125, vcc_lo, 44
	v_writelane_b32 v125, vcc_hi, 45
	s_and_b64 vcc, s[80:81], vcc
	s_mov_b64 exec, vcc
	s_cbranch_execz .LBB695_98
; %bb.97:
	v_add_co_u32_e32 v12, vcc, 0x2000, v8
	v_addc_co_u32_e32 v13, vcc, 0, v9, vcc
	global_load_dwordx2 v[36:37], v[12:13], off offset:3840
.LBB695_98:
	s_or_b64 exec, exec, s[80:81]
	v_add_u32_e32 v3, 0x600, v2
	v_cmp_gt_i32_e64 s[80:81], s42, v3
	v_writelane_b32 v125, s80, 46
	v_mov_b32_e32 v32, 0
	v_writelane_b32 v125, s81, 47
	v_mov_b32_e32 v33, 0xfff00000
	s_and_b64 vcc, s[38:39], s[80:81]
	buffer_store_dword v32, off, s[96:99], 0 offset:80 ; 4-byte Folded Spill
	s_nop 0
	buffer_store_dword v33, off, s[96:99], 0 offset:84 ; 4-byte Folded Spill
	s_mov_b64 s[80:81], exec
	v_writelane_b32 v125, vcc_lo, 48
	v_writelane_b32 v125, vcc_hi, 49
	s_and_b64 vcc, s[80:81], vcc
	s_mov_b64 exec, vcc
	s_cbranch_execz .LBB695_100
; %bb.99:
	v_add_co_u32_e32 v12, vcc, 0x3000, v8
	v_addc_co_u32_e32 v13, vcc, 0, v9, vcc
	global_load_dwordx2 v[12:13], v[12:13], off
	s_waitcnt vmcnt(0)
	buffer_store_dword v12, off, s[96:99], 0 offset:80 ; 4-byte Folded Spill
	s_nop 0
	buffer_store_dword v13, off, s[96:99], 0 offset:84 ; 4-byte Folded Spill
.LBB695_100:
	s_or_b64 exec, exec, s[80:81]
	v_add_u32_e32 v3, 0x620, v2
	v_cmp_gt_i32_e64 s[80:81], s42, v3
	v_writelane_b32 v125, s80, 50
	v_writelane_b32 v125, s81, 51
	s_and_b64 vcc, s[38:39], s[80:81]
	s_mov_b64 s[80:81], exec
	v_writelane_b32 v125, vcc_lo, 52
	v_writelane_b32 v125, vcc_hi, 53
	s_and_b64 vcc, s[80:81], vcc
	s_mov_b64 exec, vcc
	s_cbranch_execz .LBB695_102
; %bb.101:
	v_add_co_u32_e32 v12, vcc, 0x3000, v8
	v_addc_co_u32_e32 v13, vcc, 0, v9, vcc
	global_load_dwordx2 v[32:33], v[12:13], off offset:256
.LBB695_102:
	s_or_b64 exec, exec, s[80:81]
	v_add_u32_e32 v3, 0x640, v2
	v_cmp_gt_i32_e64 s[80:81], s42, v3
	v_writelane_b32 v125, s80, 54
	v_mov_b32_e32 v28, 0
	v_writelane_b32 v125, s81, 55
	v_mov_b32_e32 v29, 0xfff00000
	s_and_b64 vcc, s[38:39], s[80:81]
	buffer_store_dword v28, off, s[96:99], 0 offset:72 ; 4-byte Folded Spill
	s_nop 0
	buffer_store_dword v29, off, s[96:99], 0 offset:76 ; 4-byte Folded Spill
	s_mov_b64 s[80:81], exec
	v_writelane_b32 v125, vcc_lo, 56
	v_writelane_b32 v125, vcc_hi, 57
	s_and_b64 vcc, s[80:81], vcc
	s_mov_b64 exec, vcc
	s_cbranch_execz .LBB695_104
; %bb.103:
	v_add_co_u32_e32 v12, vcc, 0x3000, v8
	v_addc_co_u32_e32 v13, vcc, 0, v9, vcc
	global_load_dwordx2 v[12:13], v[12:13], off offset:512
	s_waitcnt vmcnt(0)
	buffer_store_dword v12, off, s[96:99], 0 offset:72 ; 4-byte Folded Spill
	s_nop 0
	buffer_store_dword v13, off, s[96:99], 0 offset:76 ; 4-byte Folded Spill
.LBB695_104:
	s_or_b64 exec, exec, s[80:81]
	v_add_u32_e32 v3, 0x660, v2
	v_cmp_gt_i32_e64 s[80:81], s42, v3
	v_writelane_b32 v125, s80, 58
	v_writelane_b32 v125, s81, 59
	s_and_b64 vcc, s[38:39], s[80:81]
	s_mov_b64 s[80:81], exec
	v_writelane_b32 v125, vcc_lo, 60
	v_writelane_b32 v125, vcc_hi, 61
	s_and_b64 vcc, s[80:81], vcc
	s_mov_b64 exec, vcc
	s_cbranch_execz .LBB695_106
; %bb.105:
	v_add_co_u32_e32 v12, vcc, 0x3000, v8
	v_addc_co_u32_e32 v13, vcc, 0, v9, vcc
	global_load_dwordx2 v[28:29], v[12:13], off offset:768
.LBB695_106:
	s_or_b64 exec, exec, s[80:81]
	v_add_u32_e32 v3, 0x680, v2
	v_cmp_gt_i32_e64 s[80:81], s42, v3
	v_writelane_b32 v125, s80, 62
	v_mov_b32_e32 v24, 0
	v_writelane_b32 v125, s81, 63
	v_mov_b32_e32 v25, 0xfff00000
	s_and_b64 vcc, s[38:39], s[80:81]
	buffer_store_dword v24, off, s[96:99], 0 offset:64 ; 4-byte Folded Spill
	s_nop 0
	buffer_store_dword v25, off, s[96:99], 0 offset:68 ; 4-byte Folded Spill
	s_mov_b64 s[80:81], exec
                                        ; implicit-def: $vgpr126 : SGPR spill to VGPR lane
	v_writelane_b32 v126, vcc_lo, 0
	v_writelane_b32 v126, vcc_hi, 1
	s_and_b64 vcc, s[80:81], vcc
	s_mov_b64 exec, vcc
	s_cbranch_execz .LBB695_108
; %bb.107:
	v_add_co_u32_e32 v12, vcc, 0x3000, v8
	v_addc_co_u32_e32 v13, vcc, 0, v9, vcc
	global_load_dwordx2 v[12:13], v[12:13], off offset:1024
	s_waitcnt vmcnt(0)
	buffer_store_dword v12, off, s[96:99], 0 offset:64 ; 4-byte Folded Spill
	s_nop 0
	buffer_store_dword v13, off, s[96:99], 0 offset:68 ; 4-byte Folded Spill
.LBB695_108:
	s_or_b64 exec, exec, s[80:81]
	v_add_u32_e32 v3, 0x6a0, v2
	v_cmp_gt_i32_e64 s[80:81], s42, v3
	v_writelane_b32 v126, s80, 2
	v_writelane_b32 v126, s81, 3
	s_and_b64 vcc, s[38:39], s[80:81]
	s_mov_b64 s[80:81], exec
	v_writelane_b32 v126, vcc_lo, 4
	v_writelane_b32 v126, vcc_hi, 5
	s_and_b64 vcc, s[80:81], vcc
	s_mov_b64 exec, vcc
	s_cbranch_execz .LBB695_110
; %bb.109:
	v_add_co_u32_e32 v12, vcc, 0x3000, v8
	v_addc_co_u32_e32 v13, vcc, 0, v9, vcc
	global_load_dwordx2 v[24:25], v[12:13], off offset:1280
.LBB695_110:
	s_or_b64 exec, exec, s[80:81]
	v_add_u32_e32 v3, 0x6c0, v2
	v_cmp_gt_i32_e64 s[80:81], s42, v3
	v_writelane_b32 v126, s80, 6
	v_mov_b32_e32 v20, 0
	v_writelane_b32 v126, s81, 7
	v_mov_b32_e32 v21, 0xfff00000
	s_and_b64 vcc, s[38:39], s[80:81]
	buffer_store_dword v20, off, s[96:99], 0 offset:56 ; 4-byte Folded Spill
	s_nop 0
	buffer_store_dword v21, off, s[96:99], 0 offset:60 ; 4-byte Folded Spill
	s_mov_b64 s[80:81], exec
	v_writelane_b32 v126, vcc_lo, 8
	v_writelane_b32 v126, vcc_hi, 9
	s_and_b64 vcc, s[80:81], vcc
	s_mov_b64 exec, vcc
	s_cbranch_execz .LBB695_112
; %bb.111:
	v_add_co_u32_e32 v12, vcc, 0x3000, v8
	v_addc_co_u32_e32 v13, vcc, 0, v9, vcc
	global_load_dwordx2 v[12:13], v[12:13], off offset:1536
	s_waitcnt vmcnt(0)
	buffer_store_dword v12, off, s[96:99], 0 offset:56 ; 4-byte Folded Spill
	s_nop 0
	buffer_store_dword v13, off, s[96:99], 0 offset:60 ; 4-byte Folded Spill
.LBB695_112:
	s_or_b64 exec, exec, s[80:81]
	v_add_u32_e32 v3, 0x6e0, v2
	v_cmp_gt_i32_e64 s[80:81], s42, v3
	v_writelane_b32 v126, s80, 10
	v_writelane_b32 v126, s81, 11
	s_and_b64 vcc, s[38:39], s[80:81]
	s_mov_b64 s[80:81], exec
	v_writelane_b32 v126, vcc_lo, 12
	v_writelane_b32 v126, vcc_hi, 13
	s_and_b64 vcc, s[80:81], vcc
	s_mov_b64 exec, vcc
	s_cbranch_execz .LBB695_114
; %bb.113:
	v_add_co_u32_e32 v12, vcc, 0x3000, v8
	v_addc_co_u32_e32 v13, vcc, 0, v9, vcc
	global_load_dwordx2 v[20:21], v[12:13], off offset:1792
.LBB695_114:
	s_or_b64 exec, exec, s[80:81]
	v_add_u32_e32 v3, 0x700, v2
	v_cmp_gt_i32_e64 s[80:81], s42, v3
	v_writelane_b32 v126, s80, 14
	v_mov_b32_e32 v16, 0
	v_writelane_b32 v126, s81, 15
	v_mov_b32_e32 v17, 0xfff00000
	s_and_b64 vcc, s[38:39], s[80:81]
	buffer_store_dword v16, off, s[96:99], 0 offset:48 ; 4-byte Folded Spill
	s_nop 0
	buffer_store_dword v17, off, s[96:99], 0 offset:52 ; 4-byte Folded Spill
	s_mov_b64 s[80:81], exec
	;; [unrolled: 43-line block ×3, first 2 shown]
	v_writelane_b32 v126, vcc_lo, 24
	v_writelane_b32 v126, vcc_hi, 25
	s_and_b64 vcc, s[80:81], vcc
	s_mov_b64 exec, vcc
	s_cbranch_execz .LBB695_120
; %bb.119:
	v_add_co_u32_e32 v56, vcc, 0x3000, v8
	v_addc_co_u32_e32 v57, vcc, 0, v9, vcc
	global_load_dwordx2 v[34:35], v[56:57], off offset:2560
	s_waitcnt vmcnt(0)
	buffer_store_dword v34, off, s[96:99], 0 offset:40 ; 4-byte Folded Spill
	s_nop 0
	buffer_store_dword v35, off, s[96:99], 0 offset:44 ; 4-byte Folded Spill
.LBB695_120:
	s_or_b64 exec, exec, s[80:81]
	v_add_u32_e32 v3, 0x760, v2
	v_cmp_gt_i32_e64 s[80:81], s42, v3
	v_writelane_b32 v126, s80, 26
	v_writelane_b32 v126, s81, 27
	s_and_b64 vcc, s[38:39], s[80:81]
	s_mov_b64 s[80:81], exec
	v_writelane_b32 v126, vcc_lo, 28
	v_writelane_b32 v126, vcc_hi, 29
	s_and_b64 vcc, s[80:81], vcc
	s_mov_b64 exec, vcc
	s_cbranch_execz .LBB695_122
; %bb.121:
	v_add_co_u32_e32 v12, vcc, 0x3000, v8
	v_addc_co_u32_e32 v13, vcc, 0, v9, vcc
	global_load_dwordx2 v[12:13], v[12:13], off offset:2816
.LBB695_122:
	s_or_b64 exec, exec, s[80:81]
	v_add_u32_e32 v3, 0x780, v2
	v_cmp_gt_i32_e64 s[80:81], s42, v3
	v_writelane_b32 v126, s80, 30
	v_mov_b32_e32 v34, 0
	v_writelane_b32 v126, s81, 31
	v_mov_b32_e32 v35, 0xfff00000
	s_and_b64 vcc, s[38:39], s[80:81]
	buffer_store_dword v34, off, s[96:99], 0 offset:24 ; 4-byte Folded Spill
	s_nop 0
	buffer_store_dword v35, off, s[96:99], 0 offset:28 ; 4-byte Folded Spill
	buffer_store_dword v34, off, s[96:99], 0 offset:32 ; 4-byte Folded Spill
	s_nop 0
	buffer_store_dword v35, off, s[96:99], 0 offset:36 ; 4-byte Folded Spill
	s_mov_b64 s[80:81], exec
	v_writelane_b32 v126, vcc_lo, 32
	v_writelane_b32 v126, vcc_hi, 33
	s_and_b64 vcc, s[80:81], vcc
	s_mov_b64 exec, vcc
	s_cbranch_execz .LBB695_124
; %bb.123:
	v_add_co_u32_e32 v56, vcc, 0x3000, v8
	v_addc_co_u32_e32 v57, vcc, 0, v9, vcc
	global_load_dwordx2 v[34:35], v[56:57], off offset:3072
	s_waitcnt vmcnt(0)
	buffer_store_dword v34, off, s[96:99], 0 offset:32 ; 4-byte Folded Spill
	s_nop 0
	buffer_store_dword v35, off, s[96:99], 0 offset:36 ; 4-byte Folded Spill
.LBB695_124:
	s_or_b64 exec, exec, s[80:81]
	v_add_u32_e32 v3, 0x7a0, v2
	v_cmp_gt_i32_e64 s[80:81], s42, v3
	v_writelane_b32 v126, s80, 34
	v_writelane_b32 v126, s81, 35
	s_and_b64 vcc, s[38:39], s[80:81]
	s_mov_b64 s[80:81], exec
	v_writelane_b32 v126, vcc_lo, 36
	v_writelane_b32 v126, vcc_hi, 37
	s_and_b64 vcc, s[80:81], vcc
	s_mov_b64 exec, vcc
	s_cbranch_execz .LBB695_126
; %bb.125:
	v_add_co_u32_e32 v56, vcc, 0x3000, v8
	v_addc_co_u32_e32 v57, vcc, 0, v9, vcc
	global_load_dwordx2 v[34:35], v[56:57], off offset:3328
	s_waitcnt vmcnt(0)
	buffer_store_dword v34, off, s[96:99], 0 offset:24 ; 4-byte Folded Spill
	s_nop 0
	buffer_store_dword v35, off, s[96:99], 0 offset:28 ; 4-byte Folded Spill
.LBB695_126:
	s_or_b64 exec, exec, s[80:81]
	v_add_u32_e32 v3, 0x7c0, v2
	v_cmp_gt_i32_e64 s[80:81], s42, v3
	v_writelane_b32 v126, s80, 38
	v_mov_b32_e32 v34, 0
	v_writelane_b32 v126, s81, 39
	v_mov_b32_e32 v35, 0xfff00000
	s_and_b64 vcc, s[38:39], s[80:81]
	buffer_store_dword v34, off, s[96:99], 0 offset:8 ; 4-byte Folded Spill
	s_nop 0
	buffer_store_dword v35, off, s[96:99], 0 offset:12 ; 4-byte Folded Spill
	buffer_store_dword v34, off, s[96:99], 0 offset:16 ; 4-byte Folded Spill
	s_nop 0
	buffer_store_dword v35, off, s[96:99], 0 offset:20 ; 4-byte Folded Spill
	s_mov_b64 s[80:81], exec
	v_writelane_b32 v126, vcc_lo, 40
	v_writelane_b32 v126, vcc_hi, 41
	s_and_b64 vcc, s[80:81], vcc
	s_mov_b64 exec, vcc
	s_cbranch_execz .LBB695_128
; %bb.127:
	v_add_co_u32_e32 v56, vcc, 0x3000, v8
	v_addc_co_u32_e32 v57, vcc, 0, v9, vcc
	global_load_dwordx2 v[34:35], v[56:57], off offset:3584
	s_waitcnt vmcnt(0)
	buffer_store_dword v34, off, s[96:99], 0 offset:16 ; 4-byte Folded Spill
	s_nop 0
	buffer_store_dword v35, off, s[96:99], 0 offset:20 ; 4-byte Folded Spill
.LBB695_128:
	s_or_b64 exec, exec, s[80:81]
	v_add_u32_e32 v2, 0x7e0, v2
	v_cmp_gt_i32_e64 s[42:43], s42, v2
	v_writelane_b32 v126, s42, 42
	v_writelane_b32 v126, s43, 43
	s_and_b64 s[38:39], s[38:39], s[42:43]
	v_writelane_b32 v126, s38, 44
	v_writelane_b32 v126, s39, 45
	s_and_saveexec_b64 s[42:43], s[38:39]
	s_cbranch_execz .LBB695_130
; %bb.129:
	v_add_co_u32_e32 v2, vcc, 0x3000, v8
	v_addc_co_u32_e32 v3, vcc, 0, v9, vcc
	global_load_dwordx2 v[2:3], v[2:3], off offset:3840
	s_waitcnt vmcnt(0)
	buffer_store_dword v2, off, s[96:99], 0 offset:8 ; 4-byte Folded Spill
	s_nop 0
	buffer_store_dword v3, off, s[96:99], 0 offset:12 ; 4-byte Folded Spill
.LBB695_130:
	s_or_b64 exec, exec, s[42:43]
	s_load_dwordx2 s[4:5], s[4:5], 0x20
	s_waitcnt lgkmcnt(0)
	v_mov_b32_e32 v2, s5
	v_add_co_u32_e32 v4, vcc, s4, v4
	v_addc_co_u32_e32 v5, vcc, v2, v5, vcc
	s_mov_b64 s[4:5], 0
	s_and_saveexec_b64 s[42:43], s[78:79]
	s_cbranch_execnz .LBB695_173
; %bb.131:
	s_or_b64 exec, exec, s[42:43]
	s_waitcnt vmcnt(20)
	v_pk_mov_b32 v[2:3], v[66:67], v[66:67] op_sel:[0,1]
	s_and_saveexec_b64 s[42:43], s[76:77]
	s_cbranch_execnz .LBB695_174
.LBB695_132:
	s_or_b64 exec, exec, s[42:43]
	s_and_saveexec_b64 s[42:43], s[74:75]
	s_cbranch_execnz .LBB695_177
.LBB695_133:
	s_or_b64 exec, exec, s[42:43]
	s_and_saveexec_b64 s[42:43], s[72:73]
	s_cbranch_execnz .LBB695_180
.LBB695_134:
	s_or_b64 exec, exec, s[42:43]
	s_and_saveexec_b64 s[42:43], s[70:71]
	s_cbranch_execnz .LBB695_183
.LBB695_135:
	s_or_b64 exec, exec, s[42:43]
	s_and_saveexec_b64 s[42:43], s[68:69]
	s_cbranch_execnz .LBB695_186
.LBB695_136:
	s_or_b64 exec, exec, s[42:43]
	s_and_saveexec_b64 s[42:43], s[66:67]
	s_cbranch_execnz .LBB695_189
.LBB695_137:
	s_or_b64 exec, exec, s[42:43]
	s_and_saveexec_b64 s[42:43], s[64:65]
	s_cbranch_execnz .LBB695_192
.LBB695_138:
	s_or_b64 exec, exec, s[42:43]
	s_and_saveexec_b64 s[42:43], s[62:63]
	s_cbranch_execnz .LBB695_195
.LBB695_139:
	s_or_b64 exec, exec, s[42:43]
	s_and_saveexec_b64 s[42:43], s[60:61]
	s_cbranch_execnz .LBB695_198
.LBB695_140:
	s_or_b64 exec, exec, s[42:43]
	s_and_saveexec_b64 s[42:43], s[58:59]
	s_cbranch_execnz .LBB695_201
.LBB695_141:
	s_or_b64 exec, exec, s[42:43]
	s_and_saveexec_b64 s[42:43], s[56:57]
	s_cbranch_execnz .LBB695_204
.LBB695_142:
	s_or_b64 exec, exec, s[42:43]
	s_and_saveexec_b64 s[42:43], s[54:55]
	s_cbranch_execnz .LBB695_207
.LBB695_143:
	s_or_b64 exec, exec, s[42:43]
	s_and_saveexec_b64 s[42:43], s[52:53]
	s_cbranch_execnz .LBB695_210
.LBB695_144:
	s_or_b64 exec, exec, s[42:43]
	s_and_saveexec_b64 s[42:43], s[50:51]
	s_cbranch_execnz .LBB695_213
.LBB695_145:
	s_or_b64 exec, exec, s[42:43]
	s_and_saveexec_b64 s[42:43], s[48:49]
	s_cbranch_execnz .LBB695_216
.LBB695_146:
	s_or_b64 exec, exec, s[42:43]
	s_and_saveexec_b64 s[42:43], s[46:47]
	s_cbranch_execnz .LBB695_219
.LBB695_147:
	s_or_b64 exec, exec, s[42:43]
	s_and_saveexec_b64 s[42:43], s[44:45]
	s_cbranch_execnz .LBB695_222
.LBB695_148:
	s_or_b64 exec, exec, s[42:43]
	s_and_saveexec_b64 s[42:43], s[40:41]
	s_cbranch_execnz .LBB695_225
.LBB695_149:
	s_or_b64 exec, exec, s[42:43]
	s_and_saveexec_b64 s[42:43], s[34:35]
	s_cbranch_execnz .LBB695_228
.LBB695_150:
	s_or_b64 exec, exec, s[42:43]
	s_and_saveexec_b64 s[42:43], s[30:31]
	s_cbranch_execnz .LBB695_231
.LBB695_151:
	s_or_b64 exec, exec, s[42:43]
	s_and_saveexec_b64 s[42:43], s[28:29]
	s_cbranch_execnz .LBB695_234
.LBB695_152:
	s_or_b64 exec, exec, s[42:43]
	s_and_saveexec_b64 s[42:43], s[26:27]
	s_cbranch_execnz .LBB695_237
.LBB695_153:
	s_or_b64 exec, exec, s[42:43]
	s_and_saveexec_b64 s[42:43], s[24:25]
	s_cbranch_execnz .LBB695_240
.LBB695_154:
	s_or_b64 exec, exec, s[42:43]
	s_and_saveexec_b64 s[42:43], s[22:23]
	s_cbranch_execnz .LBB695_243
.LBB695_155:
	s_or_b64 exec, exec, s[42:43]
	s_and_saveexec_b64 s[42:43], s[20:21]
	s_cbranch_execnz .LBB695_246
.LBB695_156:
	s_or_b64 exec, exec, s[42:43]
	s_and_saveexec_b64 s[42:43], s[18:19]
	s_cbranch_execnz .LBB695_249
.LBB695_157:
	s_or_b64 exec, exec, s[42:43]
	s_and_saveexec_b64 s[42:43], s[16:17]
	s_cbranch_execnz .LBB695_252
.LBB695_158:
	s_or_b64 exec, exec, s[42:43]
	s_and_saveexec_b64 s[42:43], s[14:15]
	s_cbranch_execnz .LBB695_255
.LBB695_159:
	s_or_b64 exec, exec, s[42:43]
	s_and_saveexec_b64 s[42:43], s[12:13]
	s_cbranch_execnz .LBB695_258
.LBB695_160:
	s_or_b64 exec, exec, s[42:43]
	s_and_saveexec_b64 s[42:43], s[10:11]
	s_cbranch_execnz .LBB695_261
.LBB695_161:
	s_or_b64 exec, exec, s[42:43]
	s_and_saveexec_b64 s[42:43], s[8:9]
	s_cbranch_execnz .LBB695_264
.LBB695_162:
	s_or_b64 exec, exec, s[42:43]
	s_and_saveexec_b64 s[42:43], s[6:7]
	s_cbranch_execnz .LBB695_267
.LBB695_163:
	s_or_b64 exec, exec, s[42:43]
	s_and_saveexec_b64 s[42:43], s[36:37]
	s_cbranch_execnz .LBB695_270
.LBB695_164:
	s_or_b64 exec, exec, s[42:43]
	s_and_saveexec_b64 s[42:43], s[2:3]
	s_cbranch_execnz .LBB695_273
.LBB695_165:
	s_or_b64 exec, exec, s[42:43]
	s_and_saveexec_b64 s[42:43], s[0:1]
	s_cbranch_execnz .LBB695_276
.LBB695_166:
	s_or_b64 exec, exec, s[42:43]
	s_and_saveexec_b64 s[42:43], s[94:95]
	s_cbranch_execnz .LBB695_279
.LBB695_167:
	s_or_b64 exec, exec, s[42:43]
	s_and_saveexec_b64 s[42:43], s[92:93]
	s_cbranch_execnz .LBB695_282
.LBB695_168:
	s_or_b64 exec, exec, s[42:43]
	s_and_saveexec_b64 s[42:43], s[90:91]
	s_cbranch_execnz .LBB695_285
.LBB695_169:
	s_or_b64 exec, exec, s[42:43]
	s_and_saveexec_b64 s[42:43], s[88:89]
	s_cbranch_execnz .LBB695_288
.LBB695_170:
	s_or_b64 exec, exec, s[42:43]
	s_and_saveexec_b64 s[42:43], s[86:87]
	s_cbranch_execnz .LBB695_291
.LBB695_171:
	s_or_b64 exec, exec, s[42:43]
	s_and_saveexec_b64 s[42:43], s[84:85]
	s_cbranch_execnz .LBB695_294
.LBB695_172:
	s_or_b64 exec, exec, s[42:43]
	s_and_saveexec_b64 s[42:43], s[82:83]
	s_cbranch_execnz .LBB695_297
	s_branch .LBB695_300
.LBB695_173:
	global_load_ubyte v2, v[4:5], off
	s_waitcnt vmcnt(0)
	v_and_b32_e32 v2, 1, v2
	v_cmp_eq_u32_e32 vcc, 1, v2
	s_xor_b64 s[4:5], vcc, -1
	s_and_b64 s[4:5], s[4:5], exec
	s_or_b64 exec, exec, s[42:43]
	v_pk_mov_b32 v[2:3], v[66:67], v[66:67] op_sel:[0,1]
	s_and_saveexec_b64 s[42:43], s[76:77]
	s_cbranch_execz .LBB695_132
.LBB695_174:
	global_load_ubyte v2, v[4:5], off offset:32
	s_waitcnt vmcnt(0)
	v_and_b32_e32 v2, 1, v2
	v_cmp_eq_u32_e32 vcc, 1, v2
	s_xor_b64 s[38:39], vcc, -1
	s_mov_b64 vcc, s[4:5]
	v_pk_mov_b32 v[2:3], v[66:67], v[66:67] op_sel:[0,1]
	s_and_saveexec_b64 s[80:81], s[38:39]
; %bb.175:
	v_cmp_gt_f64_e32 vcc, v[66:67], v[74:75]
	s_and_b64 vcc, s[4:5], vcc
	v_cndmask_b32_e32 v3, v75, v67, vcc
	v_cndmask_b32_e32 v2, v74, v66, vcc
	s_or_b64 vcc, s[4:5], exec
; %bb.176:
	s_or_b64 exec, exec, s[80:81]
	s_andn2_b64 s[4:5], s[4:5], exec
	s_and_b64 s[38:39], vcc, exec
	s_or_b64 s[4:5], s[4:5], s[38:39]
	s_or_b64 exec, exec, s[42:43]
	s_and_saveexec_b64 s[42:43], s[74:75]
	s_cbranch_execz .LBB695_133
.LBB695_177:
	global_load_ubyte v8, v[4:5], off offset:64
	s_waitcnt vmcnt(0)
	v_and_b32_e32 v8, 1, v8
	v_cmp_eq_u32_e32 vcc, 1, v8
	s_xor_b64 s[38:39], vcc, -1
	s_mov_b64 vcc, s[4:5]
	s_and_saveexec_b64 s[80:81], s[38:39]
; %bb.178:
	v_cmp_gt_f64_e32 vcc, v[2:3], v[72:73]
	s_and_b64 vcc, s[4:5], vcc
	v_cndmask_b32_e32 v3, v73, v3, vcc
	v_cndmask_b32_e32 v2, v72, v2, vcc
	s_or_b64 vcc, s[4:5], exec
; %bb.179:
	s_or_b64 exec, exec, s[80:81]
	s_andn2_b64 s[4:5], s[4:5], exec
	s_and_b64 s[38:39], vcc, exec
	s_or_b64 s[4:5], s[4:5], s[38:39]
	s_or_b64 exec, exec, s[42:43]
	s_and_saveexec_b64 s[42:43], s[72:73]
	s_cbranch_execz .LBB695_134
.LBB695_180:
	global_load_ubyte v8, v[4:5], off offset:96
	s_waitcnt vmcnt(0)
	v_and_b32_e32 v8, 1, v8
	v_cmp_eq_u32_e32 vcc, 1, v8
	s_xor_b64 s[38:39], vcc, -1
	s_mov_b64 vcc, s[4:5]
	s_and_saveexec_b64 s[80:81], s[38:39]
; %bb.181:
	v_cmp_gt_f64_e32 vcc, v[2:3], v[82:83]
	s_and_b64 vcc, s[4:5], vcc
	v_cndmask_b32_e32 v3, v83, v3, vcc
	v_cndmask_b32_e32 v2, v82, v2, vcc
	s_or_b64 vcc, s[4:5], exec
; %bb.182:
	s_or_b64 exec, exec, s[80:81]
	s_andn2_b64 s[4:5], s[4:5], exec
	s_and_b64 s[38:39], vcc, exec
	s_or_b64 s[4:5], s[4:5], s[38:39]
	s_or_b64 exec, exec, s[42:43]
	s_and_saveexec_b64 s[42:43], s[70:71]
	s_cbranch_execz .LBB695_135
.LBB695_183:
	global_load_ubyte v8, v[4:5], off offset:128
	s_waitcnt vmcnt(0)
	v_and_b32_e32 v8, 1, v8
	v_cmp_eq_u32_e32 vcc, 1, v8
	s_xor_b64 s[38:39], vcc, -1
	s_mov_b64 vcc, s[4:5]
	s_and_saveexec_b64 s[80:81], s[38:39]
; %bb.184:
	v_cmp_gt_f64_e32 vcc, v[2:3], v[80:81]
	s_and_b64 vcc, s[4:5], vcc
	v_cndmask_b32_e32 v3, v81, v3, vcc
	v_cndmask_b32_e32 v2, v80, v2, vcc
	s_or_b64 vcc, s[4:5], exec
; %bb.185:
	s_or_b64 exec, exec, s[80:81]
	s_andn2_b64 s[4:5], s[4:5], exec
	s_and_b64 s[38:39], vcc, exec
	s_or_b64 s[4:5], s[4:5], s[38:39]
	s_or_b64 exec, exec, s[42:43]
	s_and_saveexec_b64 s[42:43], s[68:69]
	s_cbranch_execz .LBB695_136
.LBB695_186:
	global_load_ubyte v8, v[4:5], off offset:160
	s_waitcnt vmcnt(0)
	v_and_b32_e32 v8, 1, v8
	v_cmp_eq_u32_e32 vcc, 1, v8
	s_xor_b64 s[38:39], vcc, -1
	s_mov_b64 vcc, s[4:5]
	s_and_saveexec_b64 s[80:81], s[38:39]
; %bb.187:
	v_cmp_gt_f64_e32 vcc, v[2:3], v[90:91]
	s_and_b64 vcc, s[4:5], vcc
	v_cndmask_b32_e32 v3, v91, v3, vcc
	v_cndmask_b32_e32 v2, v90, v2, vcc
	s_or_b64 vcc, s[4:5], exec
; %bb.188:
	s_or_b64 exec, exec, s[80:81]
	s_andn2_b64 s[4:5], s[4:5], exec
	s_and_b64 s[38:39], vcc, exec
	s_or_b64 s[4:5], s[4:5], s[38:39]
	s_or_b64 exec, exec, s[42:43]
	s_and_saveexec_b64 s[42:43], s[66:67]
	s_cbranch_execz .LBB695_137
.LBB695_189:
	global_load_ubyte v8, v[4:5], off offset:192
	s_waitcnt vmcnt(0)
	v_and_b32_e32 v8, 1, v8
	v_cmp_eq_u32_e32 vcc, 1, v8
	s_xor_b64 s[38:39], vcc, -1
	s_mov_b64 vcc, s[4:5]
	s_and_saveexec_b64 s[80:81], s[38:39]
; %bb.190:
	v_cmp_gt_f64_e32 vcc, v[2:3], v[88:89]
	s_and_b64 vcc, s[4:5], vcc
	v_cndmask_b32_e32 v3, v89, v3, vcc
	v_cndmask_b32_e32 v2, v88, v2, vcc
	s_or_b64 vcc, s[4:5], exec
; %bb.191:
	s_or_b64 exec, exec, s[80:81]
	s_andn2_b64 s[4:5], s[4:5], exec
	s_and_b64 s[38:39], vcc, exec
	s_or_b64 s[4:5], s[4:5], s[38:39]
	s_or_b64 exec, exec, s[42:43]
	s_and_saveexec_b64 s[42:43], s[64:65]
	s_cbranch_execz .LBB695_138
.LBB695_192:
	global_load_ubyte v8, v[4:5], off offset:224
	s_waitcnt vmcnt(0)
	v_and_b32_e32 v8, 1, v8
	v_cmp_eq_u32_e32 vcc, 1, v8
	s_xor_b64 s[38:39], vcc, -1
	s_mov_b64 vcc, s[4:5]
	s_and_saveexec_b64 s[80:81], s[38:39]
; %bb.193:
	v_cmp_gt_f64_e32 vcc, v[2:3], v[98:99]
	s_and_b64 vcc, s[4:5], vcc
	v_cndmask_b32_e32 v3, v99, v3, vcc
	v_cndmask_b32_e32 v2, v98, v2, vcc
	s_or_b64 vcc, s[4:5], exec
; %bb.194:
	s_or_b64 exec, exec, s[80:81]
	s_andn2_b64 s[4:5], s[4:5], exec
	s_and_b64 s[38:39], vcc, exec
	s_or_b64 s[4:5], s[4:5], s[38:39]
	s_or_b64 exec, exec, s[42:43]
	s_and_saveexec_b64 s[42:43], s[62:63]
	s_cbranch_execz .LBB695_139
.LBB695_195:
	global_load_ubyte v8, v[4:5], off offset:256
	s_waitcnt vmcnt(0)
	v_and_b32_e32 v8, 1, v8
	v_cmp_eq_u32_e32 vcc, 1, v8
	s_xor_b64 s[38:39], vcc, -1
	s_mov_b64 vcc, s[4:5]
	s_and_saveexec_b64 s[80:81], s[38:39]
; %bb.196:
	v_cmp_gt_f64_e32 vcc, v[2:3], v[96:97]
	s_and_b64 vcc, s[4:5], vcc
	v_cndmask_b32_e32 v3, v97, v3, vcc
	v_cndmask_b32_e32 v2, v96, v2, vcc
	s_or_b64 vcc, s[4:5], exec
; %bb.197:
	s_or_b64 exec, exec, s[80:81]
	s_andn2_b64 s[4:5], s[4:5], exec
	s_and_b64 s[38:39], vcc, exec
	s_or_b64 s[4:5], s[4:5], s[38:39]
	s_or_b64 exec, exec, s[42:43]
	s_and_saveexec_b64 s[42:43], s[60:61]
	s_cbranch_execz .LBB695_140
.LBB695_198:
	global_load_ubyte v8, v[4:5], off offset:288
	s_waitcnt vmcnt(0)
	v_and_b32_e32 v8, 1, v8
	v_cmp_eq_u32_e32 vcc, 1, v8
	s_xor_b64 s[38:39], vcc, -1
	s_mov_b64 vcc, s[4:5]
	s_and_saveexec_b64 s[80:81], s[38:39]
; %bb.199:
	v_cmp_gt_f64_e32 vcc, v[2:3], v[106:107]
	s_and_b64 vcc, s[4:5], vcc
	v_cndmask_b32_e32 v3, v107, v3, vcc
	v_cndmask_b32_e32 v2, v106, v2, vcc
	s_or_b64 vcc, s[4:5], exec
; %bb.200:
	s_or_b64 exec, exec, s[80:81]
	s_andn2_b64 s[4:5], s[4:5], exec
	s_and_b64 s[38:39], vcc, exec
	s_or_b64 s[4:5], s[4:5], s[38:39]
	s_or_b64 exec, exec, s[42:43]
	s_and_saveexec_b64 s[42:43], s[58:59]
	s_cbranch_execz .LBB695_141
.LBB695_201:
	global_load_ubyte v8, v[4:5], off offset:320
	s_waitcnt vmcnt(0)
	v_and_b32_e32 v8, 1, v8
	v_cmp_eq_u32_e32 vcc, 1, v8
	s_xor_b64 s[38:39], vcc, -1
	s_mov_b64 vcc, s[4:5]
	s_and_saveexec_b64 s[80:81], s[38:39]
; %bb.202:
	v_cmp_gt_f64_e32 vcc, v[2:3], v[104:105]
	s_and_b64 vcc, s[4:5], vcc
	v_cndmask_b32_e32 v3, v105, v3, vcc
	v_cndmask_b32_e32 v2, v104, v2, vcc
	s_or_b64 vcc, s[4:5], exec
; %bb.203:
	s_or_b64 exec, exec, s[80:81]
	s_andn2_b64 s[4:5], s[4:5], exec
	s_and_b64 s[38:39], vcc, exec
	s_or_b64 s[4:5], s[4:5], s[38:39]
	s_or_b64 exec, exec, s[42:43]
	s_and_saveexec_b64 s[42:43], s[56:57]
	s_cbranch_execz .LBB695_142
.LBB695_204:
	global_load_ubyte v8, v[4:5], off offset:352
	s_waitcnt vmcnt(0)
	v_and_b32_e32 v8, 1, v8
	v_cmp_eq_u32_e32 vcc, 1, v8
	s_xor_b64 s[38:39], vcc, -1
	s_mov_b64 vcc, s[4:5]
	s_and_saveexec_b64 s[80:81], s[38:39]
; %bb.205:
	v_cmp_gt_f64_e32 vcc, v[2:3], v[114:115]
	s_and_b64 vcc, s[4:5], vcc
	v_cndmask_b32_e32 v3, v115, v3, vcc
	v_cndmask_b32_e32 v2, v114, v2, vcc
	s_or_b64 vcc, s[4:5], exec
; %bb.206:
	s_or_b64 exec, exec, s[80:81]
	s_andn2_b64 s[4:5], s[4:5], exec
	s_and_b64 s[38:39], vcc, exec
	s_or_b64 s[4:5], s[4:5], s[38:39]
	s_or_b64 exec, exec, s[42:43]
	s_and_saveexec_b64 s[42:43], s[54:55]
	s_cbranch_execz .LBB695_143
.LBB695_207:
	global_load_ubyte v8, v[4:5], off offset:384
	s_waitcnt vmcnt(0)
	v_and_b32_e32 v8, 1, v8
	v_cmp_eq_u32_e32 vcc, 1, v8
	s_xor_b64 s[38:39], vcc, -1
	s_mov_b64 vcc, s[4:5]
	s_and_saveexec_b64 s[80:81], s[38:39]
; %bb.208:
	v_cmp_gt_f64_e32 vcc, v[2:3], v[112:113]
	s_and_b64 vcc, s[4:5], vcc
	v_cndmask_b32_e32 v3, v113, v3, vcc
	v_cndmask_b32_e32 v2, v112, v2, vcc
	s_or_b64 vcc, s[4:5], exec
; %bb.209:
	s_or_b64 exec, exec, s[80:81]
	s_andn2_b64 s[4:5], s[4:5], exec
	s_and_b64 s[38:39], vcc, exec
	s_or_b64 s[4:5], s[4:5], s[38:39]
	s_or_b64 exec, exec, s[42:43]
	s_and_saveexec_b64 s[42:43], s[52:53]
	s_cbranch_execz .LBB695_144
.LBB695_210:
	global_load_ubyte v8, v[4:5], off offset:416
	s_waitcnt vmcnt(0)
	v_and_b32_e32 v8, 1, v8
	v_cmp_eq_u32_e32 vcc, 1, v8
	s_xor_b64 s[38:39], vcc, -1
	s_mov_b64 vcc, s[4:5]
	s_and_saveexec_b64 s[80:81], s[38:39]
; %bb.211:
	v_cmp_gt_f64_e32 vcc, v[2:3], v[122:123]
	s_and_b64 vcc, s[4:5], vcc
	v_cndmask_b32_e32 v3, v123, v3, vcc
	v_cndmask_b32_e32 v2, v122, v2, vcc
	s_or_b64 vcc, s[4:5], exec
; %bb.212:
	s_or_b64 exec, exec, s[80:81]
	s_andn2_b64 s[4:5], s[4:5], exec
	s_and_b64 s[38:39], vcc, exec
	s_or_b64 s[4:5], s[4:5], s[38:39]
	s_or_b64 exec, exec, s[42:43]
	s_and_saveexec_b64 s[42:43], s[50:51]
	s_cbranch_execz .LBB695_145
.LBB695_213:
	global_load_ubyte v8, v[4:5], off offset:448
	s_waitcnt vmcnt(0)
	v_and_b32_e32 v8, 1, v8
	v_cmp_eq_u32_e32 vcc, 1, v8
	s_xor_b64 s[38:39], vcc, -1
	s_mov_b64 vcc, s[4:5]
	s_and_saveexec_b64 s[80:81], s[38:39]
; %bb.214:
	v_cmp_gt_f64_e32 vcc, v[2:3], v[120:121]
	s_and_b64 vcc, s[4:5], vcc
	v_cndmask_b32_e32 v3, v121, v3, vcc
	v_cndmask_b32_e32 v2, v120, v2, vcc
	s_or_b64 vcc, s[4:5], exec
; %bb.215:
	s_or_b64 exec, exec, s[80:81]
	s_andn2_b64 s[4:5], s[4:5], exec
	s_and_b64 s[38:39], vcc, exec
	s_or_b64 s[4:5], s[4:5], s[38:39]
	s_or_b64 exec, exec, s[42:43]
	s_and_saveexec_b64 s[42:43], s[48:49]
	s_cbranch_execz .LBB695_146
.LBB695_216:
	global_load_ubyte v8, v[4:5], off offset:480
	s_waitcnt vmcnt(0)
	v_and_b32_e32 v8, 1, v8
	v_cmp_eq_u32_e32 vcc, 1, v8
	s_xor_b64 s[38:39], vcc, -1
	s_mov_b64 vcc, s[4:5]
	s_and_saveexec_b64 s[80:81], s[38:39]
; %bb.217:
	v_cmp_gt_f64_e32 vcc, v[2:3], v[14:15]
	s_and_b64 vcc, s[4:5], vcc
	v_cndmask_b32_e32 v3, v15, v3, vcc
	v_cndmask_b32_e32 v2, v14, v2, vcc
	s_or_b64 vcc, s[4:5], exec
; %bb.218:
	s_or_b64 exec, exec, s[80:81]
	s_andn2_b64 s[4:5], s[4:5], exec
	s_and_b64 s[38:39], vcc, exec
	s_or_b64 s[4:5], s[4:5], s[38:39]
	s_or_b64 exec, exec, s[42:43]
	s_and_saveexec_b64 s[42:43], s[46:47]
	s_cbranch_execz .LBB695_147
.LBB695_219:
	global_load_ubyte v8, v[4:5], off offset:512
	s_waitcnt vmcnt(0)
	v_and_b32_e32 v8, 1, v8
	v_cmp_eq_u32_e32 vcc, 1, v8
	s_xor_b64 s[38:39], vcc, -1
	s_mov_b64 vcc, s[4:5]
	s_and_saveexec_b64 s[80:81], s[38:39]
; %bb.220:
	v_cmp_gt_f64_e32 vcc, v[2:3], v[6:7]
	s_and_b64 vcc, s[4:5], vcc
	v_cndmask_b32_e32 v3, v7, v3, vcc
	v_cndmask_b32_e32 v2, v6, v2, vcc
	s_or_b64 vcc, s[4:5], exec
; %bb.221:
	s_or_b64 exec, exec, s[80:81]
	s_andn2_b64 s[4:5], s[4:5], exec
	s_and_b64 s[38:39], vcc, exec
	s_or_b64 s[4:5], s[4:5], s[38:39]
	s_or_b64 exec, exec, s[42:43]
	s_and_saveexec_b64 s[42:43], s[44:45]
	s_cbranch_execz .LBB695_148
.LBB695_222:
	global_load_ubyte v8, v[4:5], off offset:544
	s_waitcnt vmcnt(0)
	v_and_b32_e32 v8, 1, v8
	v_cmp_eq_u32_e32 vcc, 1, v8
	s_xor_b64 s[38:39], vcc, -1
	s_mov_b64 vcc, s[4:5]
	s_and_saveexec_b64 s[80:81], s[38:39]
; %bb.223:
	v_cmp_gt_f64_e32 vcc, v[2:3], v[26:27]
	s_and_b64 vcc, s[4:5], vcc
	v_cndmask_b32_e32 v3, v27, v3, vcc
	v_cndmask_b32_e32 v2, v26, v2, vcc
	s_or_b64 vcc, s[4:5], exec
; %bb.224:
	s_or_b64 exec, exec, s[80:81]
	s_andn2_b64 s[4:5], s[4:5], exec
	s_and_b64 s[38:39], vcc, exec
	s_or_b64 s[4:5], s[4:5], s[38:39]
	s_or_b64 exec, exec, s[42:43]
	s_and_saveexec_b64 s[42:43], s[40:41]
	s_cbranch_execz .LBB695_149
.LBB695_225:
	global_load_ubyte v8, v[4:5], off offset:576
	s_waitcnt vmcnt(0)
	v_and_b32_e32 v8, 1, v8
	v_cmp_eq_u32_e32 vcc, 1, v8
	s_xor_b64 s[38:39], vcc, -1
	s_mov_b64 vcc, s[4:5]
	s_and_saveexec_b64 s[80:81], s[38:39]
; %bb.226:
	v_cmp_gt_f64_e32 vcc, v[2:3], v[22:23]
	s_and_b64 vcc, s[4:5], vcc
	v_cndmask_b32_e32 v3, v23, v3, vcc
	v_cndmask_b32_e32 v2, v22, v2, vcc
	s_or_b64 vcc, s[4:5], exec
; %bb.227:
	s_or_b64 exec, exec, s[80:81]
	s_andn2_b64 s[4:5], s[4:5], exec
	s_and_b64 s[38:39], vcc, exec
	s_or_b64 s[4:5], s[4:5], s[38:39]
	s_or_b64 exec, exec, s[42:43]
	s_and_saveexec_b64 s[42:43], s[34:35]
	s_cbranch_execz .LBB695_150
.LBB695_228:
	global_load_ubyte v8, v[4:5], off offset:608
	s_waitcnt vmcnt(0)
	v_and_b32_e32 v8, 1, v8
	v_cmp_eq_u32_e32 vcc, 1, v8
	s_xor_b64 s[38:39], vcc, -1
	s_mov_b64 vcc, s[4:5]
	s_and_saveexec_b64 s[80:81], s[38:39]
; %bb.229:
	v_cmp_gt_f64_e32 vcc, v[2:3], v[30:31]
	s_and_b64 vcc, s[4:5], vcc
	v_cndmask_b32_e32 v3, v31, v3, vcc
	v_cndmask_b32_e32 v2, v30, v2, vcc
	s_or_b64 vcc, s[4:5], exec
; %bb.230:
	s_or_b64 exec, exec, s[80:81]
	s_andn2_b64 s[4:5], s[4:5], exec
	s_and_b64 s[38:39], vcc, exec
	s_or_b64 s[4:5], s[4:5], s[38:39]
	s_or_b64 exec, exec, s[42:43]
	s_and_saveexec_b64 s[42:43], s[30:31]
	s_cbranch_execz .LBB695_151
.LBB695_231:
	global_load_ubyte v8, v[4:5], off offset:640
	s_waitcnt vmcnt(0)
	v_and_b32_e32 v8, 1, v8
	v_cmp_eq_u32_e32 vcc, 1, v8
	s_xor_b64 s[38:39], vcc, -1
	s_mov_b64 vcc, s[4:5]
	s_and_saveexec_b64 s[80:81], s[38:39]
; %bb.232:
	v_cmp_gt_f64_e32 vcc, v[2:3], v[18:19]
	s_and_b64 vcc, s[4:5], vcc
	v_cndmask_b32_e32 v3, v19, v3, vcc
	v_cndmask_b32_e32 v2, v18, v2, vcc
	s_or_b64 vcc, s[4:5], exec
; %bb.233:
	s_or_b64 exec, exec, s[80:81]
	s_andn2_b64 s[4:5], s[4:5], exec
	s_and_b64 s[38:39], vcc, exec
	s_or_b64 s[4:5], s[4:5], s[38:39]
	s_or_b64 exec, exec, s[42:43]
	s_and_saveexec_b64 s[42:43], s[28:29]
	s_cbranch_execz .LBB695_152
.LBB695_234:
	global_load_ubyte v8, v[4:5], off offset:672
	s_waitcnt vmcnt(0)
	v_and_b32_e32 v8, 1, v8
	v_cmp_eq_u32_e32 vcc, 1, v8
	s_xor_b64 s[38:39], vcc, -1
	s_mov_b64 vcc, s[4:5]
	s_and_saveexec_b64 s[80:81], s[38:39]
; %bb.235:
	v_cmp_gt_f64_e32 vcc, v[2:3], v[10:11]
	s_and_b64 vcc, s[4:5], vcc
	v_cndmask_b32_e32 v3, v11, v3, vcc
	v_cndmask_b32_e32 v2, v10, v2, vcc
	s_or_b64 vcc, s[4:5], exec
; %bb.236:
	s_or_b64 exec, exec, s[80:81]
	s_andn2_b64 s[4:5], s[4:5], exec
	s_and_b64 s[38:39], vcc, exec
	s_or_b64 s[4:5], s[4:5], s[38:39]
	s_or_b64 exec, exec, s[42:43]
	s_and_saveexec_b64 s[42:43], s[26:27]
	s_cbranch_execz .LBB695_153
.LBB695_237:
	global_load_ubyte v8, v[4:5], off offset:704
	s_waitcnt vmcnt(0)
	v_and_b32_e32 v8, 1, v8
	v_cmp_eq_u32_e32 vcc, 1, v8
	s_xor_b64 s[38:39], vcc, -1
	s_mov_b64 vcc, s[4:5]
	s_and_saveexec_b64 s[80:81], s[38:39]
; %bb.238:
	v_cmp_gt_f64_e32 vcc, v[2:3], v[0:1]
	s_and_b64 vcc, s[4:5], vcc
	v_cndmask_b32_e32 v3, v1, v3, vcc
	v_cndmask_b32_e32 v2, v0, v2, vcc
	s_or_b64 vcc, s[4:5], exec
; %bb.239:
	s_or_b64 exec, exec, s[80:81]
	s_andn2_b64 s[4:5], s[4:5], exec
	s_and_b64 s[38:39], vcc, exec
	s_or_b64 s[4:5], s[4:5], s[38:39]
	s_or_b64 exec, exec, s[42:43]
	s_and_saveexec_b64 s[42:43], s[24:25]
	s_cbranch_execz .LBB695_154
.LBB695_240:
	global_load_ubyte v8, v[4:5], off offset:736
	s_waitcnt vmcnt(0)
	v_and_b32_e32 v8, 1, v8
	v_cmp_eq_u32_e32 vcc, 1, v8
	s_xor_b64 s[38:39], vcc, -1
	s_mov_b64 vcc, s[4:5]
	s_and_saveexec_b64 s[80:81], s[38:39]
; %bb.241:
	v_cmp_gt_f64_e32 vcc, v[2:3], v[118:119]
	s_and_b64 vcc, s[4:5], vcc
	v_cndmask_b32_e32 v3, v119, v3, vcc
	v_cndmask_b32_e32 v2, v118, v2, vcc
	s_or_b64 vcc, s[4:5], exec
; %bb.242:
	s_or_b64 exec, exec, s[80:81]
	s_andn2_b64 s[4:5], s[4:5], exec
	s_and_b64 s[38:39], vcc, exec
	s_or_b64 s[4:5], s[4:5], s[38:39]
	s_or_b64 exec, exec, s[42:43]
	s_and_saveexec_b64 s[42:43], s[22:23]
	s_cbranch_execz .LBB695_155
.LBB695_243:
	global_load_ubyte v8, v[4:5], off offset:768
	s_waitcnt vmcnt(0)
	v_and_b32_e32 v8, 1, v8
	v_cmp_eq_u32_e32 vcc, 1, v8
	s_xor_b64 s[38:39], vcc, -1
	s_mov_b64 vcc, s[4:5]
	s_and_saveexec_b64 s[80:81], s[38:39]
; %bb.244:
	v_cmp_gt_f64_e32 vcc, v[2:3], v[116:117]
	s_and_b64 vcc, s[4:5], vcc
	v_cndmask_b32_e32 v3, v117, v3, vcc
	v_cndmask_b32_e32 v2, v116, v2, vcc
	s_or_b64 vcc, s[4:5], exec
; %bb.245:
	s_or_b64 exec, exec, s[80:81]
	s_andn2_b64 s[4:5], s[4:5], exec
	s_and_b64 s[38:39], vcc, exec
	s_or_b64 s[4:5], s[4:5], s[38:39]
	s_or_b64 exec, exec, s[42:43]
	s_and_saveexec_b64 s[42:43], s[20:21]
	s_cbranch_execz .LBB695_156
.LBB695_246:
	global_load_ubyte v8, v[4:5], off offset:800
	s_waitcnt vmcnt(0)
	v_and_b32_e32 v8, 1, v8
	v_cmp_eq_u32_e32 vcc, 1, v8
	s_xor_b64 s[38:39], vcc, -1
	s_mov_b64 vcc, s[4:5]
	s_and_saveexec_b64 s[80:81], s[38:39]
; %bb.247:
	v_cmp_gt_f64_e32 vcc, v[2:3], v[110:111]
	s_and_b64 vcc, s[4:5], vcc
	v_cndmask_b32_e32 v3, v111, v3, vcc
	v_cndmask_b32_e32 v2, v110, v2, vcc
	s_or_b64 vcc, s[4:5], exec
; %bb.248:
	s_or_b64 exec, exec, s[80:81]
	s_andn2_b64 s[4:5], s[4:5], exec
	s_and_b64 s[38:39], vcc, exec
	s_or_b64 s[4:5], s[4:5], s[38:39]
	s_or_b64 exec, exec, s[42:43]
	s_and_saveexec_b64 s[42:43], s[18:19]
	s_cbranch_execz .LBB695_157
.LBB695_249:
	global_load_ubyte v8, v[4:5], off offset:832
	s_waitcnt vmcnt(0)
	v_and_b32_e32 v8, 1, v8
	v_cmp_eq_u32_e32 vcc, 1, v8
	s_xor_b64 s[38:39], vcc, -1
	s_mov_b64 vcc, s[4:5]
	s_and_saveexec_b64 s[80:81], s[38:39]
; %bb.250:
	v_cmp_gt_f64_e32 vcc, v[2:3], v[108:109]
	s_and_b64 vcc, s[4:5], vcc
	v_cndmask_b32_e32 v3, v109, v3, vcc
	v_cndmask_b32_e32 v2, v108, v2, vcc
	s_or_b64 vcc, s[4:5], exec
; %bb.251:
	s_or_b64 exec, exec, s[80:81]
	s_andn2_b64 s[4:5], s[4:5], exec
	s_and_b64 s[38:39], vcc, exec
	s_or_b64 s[4:5], s[4:5], s[38:39]
	s_or_b64 exec, exec, s[42:43]
	s_and_saveexec_b64 s[42:43], s[16:17]
	s_cbranch_execz .LBB695_158
.LBB695_252:
	global_load_ubyte v8, v[4:5], off offset:864
	s_waitcnt vmcnt(0)
	v_and_b32_e32 v8, 1, v8
	v_cmp_eq_u32_e32 vcc, 1, v8
	s_xor_b64 s[38:39], vcc, -1
	s_mov_b64 vcc, s[4:5]
	s_and_saveexec_b64 s[80:81], s[38:39]
; %bb.253:
	v_cmp_gt_f64_e32 vcc, v[2:3], v[102:103]
	s_and_b64 vcc, s[4:5], vcc
	v_cndmask_b32_e32 v3, v103, v3, vcc
	v_cndmask_b32_e32 v2, v102, v2, vcc
	s_or_b64 vcc, s[4:5], exec
; %bb.254:
	s_or_b64 exec, exec, s[80:81]
	s_andn2_b64 s[4:5], s[4:5], exec
	s_and_b64 s[38:39], vcc, exec
	s_or_b64 s[4:5], s[4:5], s[38:39]
	s_or_b64 exec, exec, s[42:43]
	s_and_saveexec_b64 s[42:43], s[14:15]
	s_cbranch_execz .LBB695_159
.LBB695_255:
	global_load_ubyte v8, v[4:5], off offset:896
	s_waitcnt vmcnt(0)
	v_and_b32_e32 v8, 1, v8
	v_cmp_eq_u32_e32 vcc, 1, v8
	s_xor_b64 s[38:39], vcc, -1
	s_mov_b64 vcc, s[4:5]
	s_and_saveexec_b64 s[80:81], s[38:39]
; %bb.256:
	v_cmp_gt_f64_e32 vcc, v[2:3], v[100:101]
	s_and_b64 vcc, s[4:5], vcc
	v_cndmask_b32_e32 v3, v101, v3, vcc
	v_cndmask_b32_e32 v2, v100, v2, vcc
	s_or_b64 vcc, s[4:5], exec
; %bb.257:
	s_or_b64 exec, exec, s[80:81]
	s_andn2_b64 s[4:5], s[4:5], exec
	s_and_b64 s[38:39], vcc, exec
	s_or_b64 s[4:5], s[4:5], s[38:39]
	s_or_b64 exec, exec, s[42:43]
	s_and_saveexec_b64 s[42:43], s[12:13]
	s_cbranch_execz .LBB695_160
.LBB695_258:
	global_load_ubyte v8, v[4:5], off offset:928
	s_waitcnt vmcnt(0)
	v_and_b32_e32 v8, 1, v8
	v_cmp_eq_u32_e32 vcc, 1, v8
	s_xor_b64 s[38:39], vcc, -1
	s_mov_b64 vcc, s[4:5]
	s_and_saveexec_b64 s[80:81], s[38:39]
; %bb.259:
	v_cmp_gt_f64_e32 vcc, v[2:3], v[94:95]
	s_and_b64 vcc, s[4:5], vcc
	v_cndmask_b32_e32 v3, v95, v3, vcc
	v_cndmask_b32_e32 v2, v94, v2, vcc
	s_or_b64 vcc, s[4:5], exec
; %bb.260:
	s_or_b64 exec, exec, s[80:81]
	s_andn2_b64 s[4:5], s[4:5], exec
	s_and_b64 s[38:39], vcc, exec
	s_or_b64 s[4:5], s[4:5], s[38:39]
	s_or_b64 exec, exec, s[42:43]
	s_and_saveexec_b64 s[42:43], s[10:11]
	s_cbranch_execz .LBB695_161
.LBB695_261:
	global_load_ubyte v8, v[4:5], off offset:960
	s_waitcnt vmcnt(0)
	v_and_b32_e32 v8, 1, v8
	v_cmp_eq_u32_e32 vcc, 1, v8
	s_xor_b64 s[38:39], vcc, -1
	s_mov_b64 vcc, s[4:5]
	s_and_saveexec_b64 s[80:81], s[38:39]
; %bb.262:
	v_cmp_gt_f64_e32 vcc, v[2:3], v[92:93]
	s_and_b64 vcc, s[4:5], vcc
	v_cndmask_b32_e32 v3, v93, v3, vcc
	v_cndmask_b32_e32 v2, v92, v2, vcc
	s_or_b64 vcc, s[4:5], exec
; %bb.263:
	s_or_b64 exec, exec, s[80:81]
	s_andn2_b64 s[4:5], s[4:5], exec
	s_and_b64 s[38:39], vcc, exec
	s_or_b64 s[4:5], s[4:5], s[38:39]
	s_or_b64 exec, exec, s[42:43]
	s_and_saveexec_b64 s[42:43], s[8:9]
	s_cbranch_execz .LBB695_162
.LBB695_264:
	global_load_ubyte v8, v[4:5], off offset:992
	s_waitcnt vmcnt(0)
	v_and_b32_e32 v8, 1, v8
	v_cmp_eq_u32_e32 vcc, 1, v8
	s_xor_b64 s[38:39], vcc, -1
	s_mov_b64 vcc, s[4:5]
	s_and_saveexec_b64 s[80:81], s[38:39]
; %bb.265:
	v_cmp_gt_f64_e32 vcc, v[2:3], v[86:87]
	s_and_b64 vcc, s[4:5], vcc
	v_cndmask_b32_e32 v3, v87, v3, vcc
	v_cndmask_b32_e32 v2, v86, v2, vcc
	s_or_b64 vcc, s[4:5], exec
; %bb.266:
	s_or_b64 exec, exec, s[80:81]
	s_andn2_b64 s[4:5], s[4:5], exec
	s_and_b64 s[38:39], vcc, exec
	s_or_b64 s[4:5], s[4:5], s[38:39]
	s_or_b64 exec, exec, s[42:43]
	s_and_saveexec_b64 s[42:43], s[6:7]
	s_cbranch_execz .LBB695_163
.LBB695_267:
	global_load_ubyte v8, v[4:5], off offset:1024
	s_waitcnt vmcnt(0)
	v_and_b32_e32 v8, 1, v8
	v_cmp_eq_u32_e32 vcc, 1, v8
	s_xor_b64 s[38:39], vcc, -1
	s_mov_b64 vcc, s[4:5]
	s_and_saveexec_b64 s[80:81], s[38:39]
; %bb.268:
	v_cmp_gt_f64_e32 vcc, v[2:3], v[84:85]
	s_and_b64 vcc, s[4:5], vcc
	v_cndmask_b32_e32 v3, v85, v3, vcc
	v_cndmask_b32_e32 v2, v84, v2, vcc
	s_or_b64 vcc, s[4:5], exec
; %bb.269:
	s_or_b64 exec, exec, s[80:81]
	s_andn2_b64 s[4:5], s[4:5], exec
	s_and_b64 s[38:39], vcc, exec
	s_or_b64 s[4:5], s[4:5], s[38:39]
	s_or_b64 exec, exec, s[42:43]
	s_and_saveexec_b64 s[42:43], s[36:37]
	s_cbranch_execz .LBB695_164
.LBB695_270:
	global_load_ubyte v8, v[4:5], off offset:1056
	s_waitcnt vmcnt(0)
	v_and_b32_e32 v8, 1, v8
	v_cmp_eq_u32_e32 vcc, 1, v8
	s_xor_b64 s[38:39], vcc, -1
	s_mov_b64 vcc, s[4:5]
	s_and_saveexec_b64 s[80:81], s[38:39]
; %bb.271:
	v_cmp_gt_f64_e32 vcc, v[2:3], v[78:79]
	s_and_b64 vcc, s[4:5], vcc
	v_cndmask_b32_e32 v3, v79, v3, vcc
	v_cndmask_b32_e32 v2, v78, v2, vcc
	s_or_b64 vcc, s[4:5], exec
; %bb.272:
	s_or_b64 exec, exec, s[80:81]
	s_andn2_b64 s[4:5], s[4:5], exec
	s_and_b64 s[38:39], vcc, exec
	s_or_b64 s[4:5], s[4:5], s[38:39]
	s_or_b64 exec, exec, s[42:43]
	s_and_saveexec_b64 s[42:43], s[2:3]
	s_cbranch_execz .LBB695_165
.LBB695_273:
	global_load_ubyte v8, v[4:5], off offset:1088
	s_waitcnt vmcnt(0)
	v_and_b32_e32 v8, 1, v8
	v_cmp_eq_u32_e32 vcc, 1, v8
	s_xor_b64 s[38:39], vcc, -1
	s_mov_b64 vcc, s[4:5]
	s_and_saveexec_b64 s[80:81], s[38:39]
; %bb.274:
	v_cmp_gt_f64_e32 vcc, v[2:3], v[76:77]
	s_and_b64 vcc, s[4:5], vcc
	v_cndmask_b32_e32 v3, v77, v3, vcc
	v_cndmask_b32_e32 v2, v76, v2, vcc
	s_or_b64 vcc, s[4:5], exec
; %bb.275:
	s_or_b64 exec, exec, s[80:81]
	s_andn2_b64 s[4:5], s[4:5], exec
	s_and_b64 s[38:39], vcc, exec
	s_or_b64 s[4:5], s[4:5], s[38:39]
	s_or_b64 exec, exec, s[42:43]
	s_and_saveexec_b64 s[42:43], s[0:1]
	s_cbranch_execz .LBB695_166
.LBB695_276:
	global_load_ubyte v8, v[4:5], off offset:1120
	s_waitcnt vmcnt(0)
	v_and_b32_e32 v8, 1, v8
	v_cmp_eq_u32_e32 vcc, 1, v8
	s_xor_b64 s[38:39], vcc, -1
	s_mov_b64 vcc, s[4:5]
	s_and_saveexec_b64 s[80:81], s[38:39]
; %bb.277:
	v_cmp_gt_f64_e32 vcc, v[2:3], v[70:71]
	s_and_b64 vcc, s[4:5], vcc
	v_cndmask_b32_e32 v3, v71, v3, vcc
	v_cndmask_b32_e32 v2, v70, v2, vcc
	s_or_b64 vcc, s[4:5], exec
; %bb.278:
	s_or_b64 exec, exec, s[80:81]
	s_andn2_b64 s[4:5], s[4:5], exec
	s_and_b64 s[38:39], vcc, exec
	s_or_b64 s[4:5], s[4:5], s[38:39]
	s_or_b64 exec, exec, s[42:43]
	s_and_saveexec_b64 s[42:43], s[94:95]
	s_cbranch_execz .LBB695_167
.LBB695_279:
	global_load_ubyte v8, v[4:5], off offset:1152
	s_waitcnt vmcnt(0)
	v_and_b32_e32 v8, 1, v8
	v_cmp_eq_u32_e32 vcc, 1, v8
	s_xor_b64 s[38:39], vcc, -1
	s_mov_b64 vcc, s[4:5]
	s_and_saveexec_b64 s[80:81], s[38:39]
; %bb.280:
	v_cmp_gt_f64_e32 vcc, v[2:3], v[68:69]
	s_and_b64 vcc, s[4:5], vcc
	v_cndmask_b32_e32 v3, v69, v3, vcc
	v_cndmask_b32_e32 v2, v68, v2, vcc
	s_or_b64 vcc, s[4:5], exec
; %bb.281:
	s_or_b64 exec, exec, s[80:81]
	s_andn2_b64 s[4:5], s[4:5], exec
	s_and_b64 s[38:39], vcc, exec
	s_or_b64 s[4:5], s[4:5], s[38:39]
	s_or_b64 exec, exec, s[42:43]
	s_and_saveexec_b64 s[42:43], s[92:93]
	s_cbranch_execz .LBB695_168
.LBB695_282:
	global_load_ubyte v8, v[4:5], off offset:1184
	s_waitcnt vmcnt(0)
	v_and_b32_e32 v8, 1, v8
	v_cmp_eq_u32_e32 vcc, 1, v8
	s_xor_b64 s[38:39], vcc, -1
	s_mov_b64 vcc, s[4:5]
	s_and_saveexec_b64 s[80:81], s[38:39]
; %bb.283:
	v_cmp_gt_f64_e32 vcc, v[2:3], v[58:59]
	s_and_b64 vcc, s[4:5], vcc
	v_cndmask_b32_e32 v3, v59, v3, vcc
	v_cndmask_b32_e32 v2, v58, v2, vcc
	s_or_b64 vcc, s[4:5], exec
; %bb.284:
	s_or_b64 exec, exec, s[80:81]
	s_andn2_b64 s[4:5], s[4:5], exec
	s_and_b64 s[38:39], vcc, exec
	s_or_b64 s[4:5], s[4:5], s[38:39]
	s_or_b64 exec, exec, s[42:43]
	s_and_saveexec_b64 s[42:43], s[90:91]
	s_cbranch_execz .LBB695_169
.LBB695_285:
	global_load_ubyte v8, v[4:5], off offset:1216
	s_waitcnt vmcnt(0)
	v_and_b32_e32 v8, 1, v8
	v_cmp_eq_u32_e32 vcc, 1, v8
	s_xor_b64 s[38:39], vcc, -1
	s_mov_b64 vcc, s[4:5]
	s_and_saveexec_b64 s[80:81], s[38:39]
; %bb.286:
	v_cmp_gt_f64_e32 vcc, v[2:3], v[54:55]
	s_and_b64 vcc, s[4:5], vcc
	v_cndmask_b32_e32 v3, v55, v3, vcc
	v_cndmask_b32_e32 v2, v54, v2, vcc
	s_or_b64 vcc, s[4:5], exec
; %bb.287:
	s_or_b64 exec, exec, s[80:81]
	s_andn2_b64 s[4:5], s[4:5], exec
	s_and_b64 s[38:39], vcc, exec
	s_or_b64 s[4:5], s[4:5], s[38:39]
	s_or_b64 exec, exec, s[42:43]
	s_and_saveexec_b64 s[42:43], s[88:89]
	s_cbranch_execz .LBB695_170
.LBB695_288:
	global_load_ubyte v8, v[4:5], off offset:1248
	s_waitcnt vmcnt(0)
	v_and_b32_e32 v8, 1, v8
	v_cmp_eq_u32_e32 vcc, 1, v8
	s_xor_b64 s[38:39], vcc, -1
	s_mov_b64 vcc, s[4:5]
	s_and_saveexec_b64 s[80:81], s[38:39]
; %bb.289:
	v_cmp_gt_f64_e32 vcc, v[2:3], v[52:53]
	s_and_b64 vcc, s[4:5], vcc
	v_cndmask_b32_e32 v3, v53, v3, vcc
	v_cndmask_b32_e32 v2, v52, v2, vcc
	s_or_b64 vcc, s[4:5], exec
; %bb.290:
	s_or_b64 exec, exec, s[80:81]
	s_andn2_b64 s[4:5], s[4:5], exec
	s_and_b64 s[38:39], vcc, exec
	s_or_b64 s[4:5], s[4:5], s[38:39]
	s_or_b64 exec, exec, s[42:43]
	s_and_saveexec_b64 s[42:43], s[86:87]
	s_cbranch_execz .LBB695_171
.LBB695_291:
	global_load_ubyte v8, v[4:5], off offset:1280
	s_waitcnt vmcnt(0)
	v_and_b32_e32 v8, 1, v8
	v_cmp_eq_u32_e32 vcc, 1, v8
	s_xor_b64 s[38:39], vcc, -1
	s_mov_b64 vcc, s[4:5]
	s_and_saveexec_b64 s[80:81], s[38:39]
; %bb.292:
	v_cmp_gt_f64_e32 vcc, v[2:3], v[50:51]
	s_and_b64 vcc, s[4:5], vcc
	v_cndmask_b32_e32 v3, v51, v3, vcc
	v_cndmask_b32_e32 v2, v50, v2, vcc
	s_or_b64 vcc, s[4:5], exec
; %bb.293:
	s_or_b64 exec, exec, s[80:81]
	s_andn2_b64 s[4:5], s[4:5], exec
	s_and_b64 s[38:39], vcc, exec
	s_or_b64 s[4:5], s[4:5], s[38:39]
	s_or_b64 exec, exec, s[42:43]
	s_and_saveexec_b64 s[42:43], s[84:85]
	s_cbranch_execz .LBB695_172
.LBB695_294:
	global_load_ubyte v8, v[4:5], off offset:1312
	s_waitcnt vmcnt(0)
	v_and_b32_e32 v8, 1, v8
	v_cmp_eq_u32_e32 vcc, 1, v8
	s_xor_b64 s[38:39], vcc, -1
	s_mov_b64 vcc, s[4:5]
	s_and_saveexec_b64 s[80:81], s[38:39]
; %bb.295:
	v_cmp_gt_f64_e32 vcc, v[2:3], v[48:49]
	s_and_b64 vcc, s[4:5], vcc
	v_cndmask_b32_e32 v3, v49, v3, vcc
	v_cndmask_b32_e32 v2, v48, v2, vcc
	s_or_b64 vcc, s[4:5], exec
; %bb.296:
	s_or_b64 exec, exec, s[80:81]
	s_andn2_b64 s[4:5], s[4:5], exec
	s_and_b64 s[38:39], vcc, exec
	s_or_b64 s[4:5], s[4:5], s[38:39]
	s_or_b64 exec, exec, s[42:43]
	s_and_saveexec_b64 s[42:43], s[82:83]
	s_cbranch_execz .LBB695_300
.LBB695_297:
	global_load_ubyte v8, v[4:5], off offset:1344
	s_waitcnt vmcnt(0)
	v_and_b32_e32 v8, 1, v8
	v_cmp_eq_u32_e32 vcc, 1, v8
	s_xor_b64 s[38:39], vcc, -1
	s_mov_b64 vcc, s[4:5]
	s_and_saveexec_b64 s[80:81], s[38:39]
; %bb.298:
	v_cmp_gt_f64_e32 vcc, v[2:3], v[46:47]
	s_and_b64 vcc, s[4:5], vcc
	v_cndmask_b32_e32 v3, v47, v3, vcc
	v_cndmask_b32_e32 v2, v46, v2, vcc
	s_or_b64 vcc, s[4:5], exec
; %bb.299:
	s_or_b64 exec, exec, s[80:81]
	s_andn2_b64 s[4:5], s[4:5], exec
	s_and_b64 s[38:39], vcc, exec
	s_or_b64 s[4:5], s[4:5], s[38:39]
.LBB695_300:
	s_or_b64 exec, exec, s[42:43]
	s_mov_b64 s[42:43], exec
	v_readlane_b32 s38, v125, 28
	v_readlane_b32 s39, v125, 29
	s_and_b64 s[38:39], s[42:43], s[38:39]
	s_mov_b64 exec, s[38:39]
	s_cbranch_execz .LBB695_304
; %bb.301:
	global_load_ubyte v8, v[4:5], off offset:1376
	s_waitcnt vmcnt(0)
	v_and_b32_e32 v8, 1, v8
	v_cmp_eq_u32_e32 vcc, 1, v8
	s_xor_b64 s[38:39], vcc, -1
	s_mov_b64 vcc, s[4:5]
	s_and_saveexec_b64 s[80:81], s[38:39]
; %bb.302:
	v_cmp_gt_f64_e32 vcc, v[2:3], v[44:45]
	s_and_b64 vcc, s[4:5], vcc
	v_cndmask_b32_e32 v3, v45, v3, vcc
	v_cndmask_b32_e32 v2, v44, v2, vcc
	s_or_b64 vcc, s[4:5], exec
; %bb.303:
	s_or_b64 exec, exec, s[80:81]
	s_andn2_b64 s[4:5], s[4:5], exec
	s_and_b64 s[38:39], vcc, exec
	s_or_b64 s[4:5], s[4:5], s[38:39]
.LBB695_304:
	s_or_b64 exec, exec, s[42:43]
	s_mov_b64 s[42:43], exec
	v_readlane_b32 s38, v125, 32
	v_readlane_b32 s39, v125, 33
	s_and_b64 s[38:39], s[42:43], s[38:39]
	s_mov_b64 exec, s[38:39]
	s_cbranch_execz .LBB695_308
; %bb.305:
	global_load_ubyte v8, v[4:5], off offset:1408
	s_waitcnt vmcnt(0)
	v_and_b32_e32 v8, 1, v8
	v_cmp_eq_u32_e32 vcc, 1, v8
	s_xor_b64 s[38:39], vcc, -1
	s_mov_b64 vcc, s[4:5]
	s_and_saveexec_b64 s[80:81], s[38:39]
; %bb.306:
	v_cmp_gt_f64_e32 vcc, v[2:3], v[42:43]
	s_and_b64 vcc, s[4:5], vcc
	v_cndmask_b32_e32 v3, v43, v3, vcc
	v_cndmask_b32_e32 v2, v42, v2, vcc
	s_or_b64 vcc, s[4:5], exec
; %bb.307:
	s_or_b64 exec, exec, s[80:81]
	s_andn2_b64 s[4:5], s[4:5], exec
	s_and_b64 s[38:39], vcc, exec
	s_or_b64 s[4:5], s[4:5], s[38:39]
.LBB695_308:
	;; [unrolled: 27-line block ×5, first 2 shown]
	s_or_b64 exec, exec, s[42:43]
	s_mov_b64 s[42:43], exec
	v_readlane_b32 s38, v125, 48
	v_readlane_b32 s39, v125, 49
	s_and_b64 s[38:39], s[42:43], s[38:39]
	s_mov_b64 exec, s[38:39]
	s_cbranch_execz .LBB695_324
; %bb.321:
	global_load_ubyte v8, v[4:5], off offset:1536
	s_waitcnt vmcnt(0)
	v_and_b32_e32 v8, 1, v8
	v_cmp_eq_u32_e32 vcc, 1, v8
	s_xor_b64 s[38:39], vcc, -1
	s_mov_b64 vcc, s[4:5]
	s_and_saveexec_b64 s[80:81], s[38:39]
	s_cbranch_execz .LBB695_323
; %bb.322:
	buffer_load_dword v8, off, s[96:99], 0 offset:80 ; 4-byte Folded Reload
	buffer_load_dword v9, off, s[96:99], 0 offset:84 ; 4-byte Folded Reload
	s_waitcnt vmcnt(0)
	v_cmp_gt_f64_e32 vcc, v[2:3], v[8:9]
	s_and_b64 vcc, s[4:5], vcc
	v_cndmask_b32_e32 v3, v9, v3, vcc
	v_cndmask_b32_e32 v2, v8, v2, vcc
	s_or_b64 vcc, s[4:5], exec
.LBB695_323:
	s_or_b64 exec, exec, s[80:81]
	s_andn2_b64 s[4:5], s[4:5], exec
	s_and_b64 s[38:39], vcc, exec
	s_or_b64 s[4:5], s[4:5], s[38:39]
.LBB695_324:
	s_or_b64 exec, exec, s[42:43]
	s_mov_b64 s[42:43], exec
	v_readlane_b32 s38, v125, 52
	v_readlane_b32 s39, v125, 53
	s_and_b64 s[38:39], s[42:43], s[38:39]
	s_mov_b64 exec, s[38:39]
	s_cbranch_execz .LBB695_328
; %bb.325:
	global_load_ubyte v8, v[4:5], off offset:1568
	s_waitcnt vmcnt(0)
	v_and_b32_e32 v8, 1, v8
	v_cmp_eq_u32_e32 vcc, 1, v8
	s_xor_b64 s[38:39], vcc, -1
	s_mov_b64 vcc, s[4:5]
	s_and_saveexec_b64 s[80:81], s[38:39]
; %bb.326:
	v_cmp_gt_f64_e32 vcc, v[2:3], v[32:33]
	s_and_b64 vcc, s[4:5], vcc
	v_cndmask_b32_e32 v3, v33, v3, vcc
	v_cndmask_b32_e32 v2, v32, v2, vcc
	s_or_b64 vcc, s[4:5], exec
; %bb.327:
	s_or_b64 exec, exec, s[80:81]
	s_andn2_b64 s[4:5], s[4:5], exec
	s_and_b64 s[38:39], vcc, exec
	s_or_b64 s[4:5], s[4:5], s[38:39]
.LBB695_328:
	s_or_b64 exec, exec, s[42:43]
	s_mov_b64 s[42:43], exec
	v_readlane_b32 s38, v125, 56
	v_readlane_b32 s39, v125, 57
	s_and_b64 s[38:39], s[42:43], s[38:39]
	s_mov_b64 exec, s[38:39]
	s_cbranch_execz .LBB695_332
; %bb.329:
	global_load_ubyte v8, v[4:5], off offset:1600
	s_waitcnt vmcnt(0)
	v_and_b32_e32 v8, 1, v8
	v_cmp_eq_u32_e32 vcc, 1, v8
	s_xor_b64 s[38:39], vcc, -1
	s_mov_b64 vcc, s[4:5]
	s_and_saveexec_b64 s[80:81], s[38:39]
	s_cbranch_execz .LBB695_331
; %bb.330:
	buffer_load_dword v8, off, s[96:99], 0 offset:72 ; 4-byte Folded Reload
	buffer_load_dword v9, off, s[96:99], 0 offset:76 ; 4-byte Folded Reload
	s_waitcnt vmcnt(0)
	v_cmp_gt_f64_e32 vcc, v[2:3], v[8:9]
	s_and_b64 vcc, s[4:5], vcc
	v_cndmask_b32_e32 v3, v9, v3, vcc
	v_cndmask_b32_e32 v2, v8, v2, vcc
	s_or_b64 vcc, s[4:5], exec
.LBB695_331:
	s_or_b64 exec, exec, s[80:81]
	s_andn2_b64 s[4:5], s[4:5], exec
	s_and_b64 s[38:39], vcc, exec
	s_or_b64 s[4:5], s[4:5], s[38:39]
.LBB695_332:
	s_or_b64 exec, exec, s[42:43]
	s_mov_b64 s[42:43], exec
	v_readlane_b32 s38, v125, 60
	v_readlane_b32 s39, v125, 61
	s_and_b64 s[38:39], s[42:43], s[38:39]
	s_mov_b64 exec, s[38:39]
	s_cbranch_execz .LBB695_336
; %bb.333:
	global_load_ubyte v8, v[4:5], off offset:1632
	s_waitcnt vmcnt(0)
	v_and_b32_e32 v8, 1, v8
	v_cmp_eq_u32_e32 vcc, 1, v8
	s_xor_b64 s[38:39], vcc, -1
	s_mov_b64 vcc, s[4:5]
	s_and_saveexec_b64 s[80:81], s[38:39]
; %bb.334:
	v_cmp_gt_f64_e32 vcc, v[2:3], v[28:29]
	s_and_b64 vcc, s[4:5], vcc
	v_cndmask_b32_e32 v3, v29, v3, vcc
	v_cndmask_b32_e32 v2, v28, v2, vcc
	s_or_b64 vcc, s[4:5], exec
; %bb.335:
	s_or_b64 exec, exec, s[80:81]
	s_andn2_b64 s[4:5], s[4:5], exec
	s_and_b64 s[38:39], vcc, exec
	s_or_b64 s[4:5], s[4:5], s[38:39]
.LBB695_336:
	;; [unrolled: 58-line block ×6, first 2 shown]
	s_or_b64 exec, exec, s[42:43]
	s_mov_b64 s[42:43], exec
	v_readlane_b32 s38, v126, 32
	v_readlane_b32 s39, v126, 33
	s_and_b64 s[38:39], s[42:43], s[38:39]
	s_mov_b64 exec, s[38:39]
	s_cbranch_execz .LBB695_372
; %bb.369:
	global_load_ubyte v8, v[4:5], off offset:1920
	s_waitcnt vmcnt(0)
	v_and_b32_e32 v8, 1, v8
	v_cmp_eq_u32_e32 vcc, 1, v8
	s_xor_b64 s[38:39], vcc, -1
	s_mov_b64 vcc, s[4:5]
	s_and_saveexec_b64 s[80:81], s[38:39]
	s_cbranch_execz .LBB695_371
; %bb.370:
	buffer_load_dword v8, off, s[96:99], 0 offset:32 ; 4-byte Folded Reload
	buffer_load_dword v9, off, s[96:99], 0 offset:36 ; 4-byte Folded Reload
	s_waitcnt vmcnt(0)
	v_cmp_gt_f64_e32 vcc, v[2:3], v[8:9]
	s_and_b64 vcc, s[4:5], vcc
	v_cndmask_b32_e32 v3, v9, v3, vcc
	v_cndmask_b32_e32 v2, v8, v2, vcc
	s_or_b64 vcc, s[4:5], exec
.LBB695_371:
	s_or_b64 exec, exec, s[80:81]
	s_andn2_b64 s[4:5], s[4:5], exec
	s_and_b64 s[38:39], vcc, exec
	s_or_b64 s[4:5], s[4:5], s[38:39]
.LBB695_372:
	s_or_b64 exec, exec, s[42:43]
	s_mov_b64 s[42:43], exec
	v_readlane_b32 s38, v126, 36
	v_readlane_b32 s39, v126, 37
	s_and_b64 s[38:39], s[42:43], s[38:39]
	s_mov_b64 exec, s[38:39]
	s_cbranch_execz .LBB695_376
; %bb.373:
	global_load_ubyte v8, v[4:5], off offset:1952
	s_waitcnt vmcnt(0)
	v_and_b32_e32 v8, 1, v8
	v_cmp_eq_u32_e32 vcc, 1, v8
	s_xor_b64 s[38:39], vcc, -1
	s_mov_b64 vcc, s[4:5]
	s_and_saveexec_b64 s[80:81], s[38:39]
	s_cbranch_execz .LBB695_375
; %bb.374:
	buffer_load_dword v8, off, s[96:99], 0 offset:24 ; 4-byte Folded Reload
	buffer_load_dword v9, off, s[96:99], 0 offset:28 ; 4-byte Folded Reload
	s_waitcnt vmcnt(0)
	v_cmp_gt_f64_e32 vcc, v[2:3], v[8:9]
	s_and_b64 vcc, s[4:5], vcc
	v_cndmask_b32_e32 v3, v9, v3, vcc
	v_cndmask_b32_e32 v2, v8, v2, vcc
	s_or_b64 vcc, s[4:5], exec
.LBB695_375:
	s_or_b64 exec, exec, s[80:81]
	s_andn2_b64 s[4:5], s[4:5], exec
	s_and_b64 s[38:39], vcc, exec
	s_or_b64 s[4:5], s[4:5], s[38:39]
.LBB695_376:
	;; [unrolled: 31-line block ×4, first 2 shown]
	s_or_b64 exec, exec, s[42:43]
	v_mov_b32_e32 v8, 0xfff00000
	v_cndmask_b32_e64 v3, v8, v3, s[4:5]
	v_mbcnt_lo_u32_b32 v8, -1, 0
	v_mbcnt_hi_u32_b32 v34, -1, v8
	v_and_b32_e32 v8, 0x60, v34
	v_add_u32_e32 v35, 32, v8
	v_xor_b32_e32 v8, 16, v34
	v_cmp_lt_i32_e32 vcc, v8, v35
	v_cndmask_b32_e32 v8, v34, v8, vcc
	v_cndmask_b32_e64 v2, 0, v2, s[4:5]
	v_lshlrev_b32_e32 v9, 2, v8
	ds_bpermute_b32 v8, v9, v2
	buffer_store_dword v9, off, s[96:99], 0 offset:88 ; 4-byte Folded Spill
	ds_bpermute_b32 v9, v9, v3
	v_pk_mov_b32 v[56:57], 0, 0
	v_pk_mov_b32 v[60:61], v[56:57], v[56:57] op_sel:[0,1]
	v_pk_mov_b32 v[62:63], v[56:57], v[56:57] op_sel:[0,1]
	s_waitcnt lgkmcnt(0)
	v_cmp_lt_f64_e32 vcc, v[2:3], v[8:9]
	v_cndmask_b32_e32 v2, v2, v8, vcc
	v_xor_b32_e32 v8, 8, v34
	v_cndmask_b32_e32 v3, v3, v9, vcc
	v_cmp_lt_i32_e32 vcc, v8, v35
	v_cndmask_b32_e32 v8, v34, v8, vcc
	v_lshlrev_b32_e32 v9, 2, v8
	ds_bpermute_b32 v8, v9, v2
	buffer_store_dword v9, off, s[96:99], 0 offset:92 ; 4-byte Folded Spill
	ds_bpermute_b32 v9, v9, v3
	s_waitcnt lgkmcnt(0)
	v_cmp_lt_f64_e32 vcc, v[2:3], v[8:9]
	v_cndmask_b32_e32 v2, v2, v8, vcc
	v_xor_b32_e32 v8, 4, v34
	v_cndmask_b32_e32 v3, v3, v9, vcc
	v_cmp_lt_i32_e32 vcc, v8, v35
	v_cndmask_b32_e32 v8, v34, v8, vcc
	v_lshlrev_b32_e32 v9, 2, v8
	ds_bpermute_b32 v8, v9, v2
	buffer_store_dword v9, off, s[96:99], 0 offset:96 ; 4-byte Folded Spill
	ds_bpermute_b32 v9, v9, v3
	s_waitcnt lgkmcnt(0)
	v_cmp_lt_f64_e32 vcc, v[2:3], v[8:9]
	v_cndmask_b32_e32 v2, v2, v8, vcc
	v_xor_b32_e32 v8, 2, v34
	v_cndmask_b32_e32 v3, v3, v9, vcc
	v_cmp_lt_i32_e32 vcc, v8, v35
	v_cndmask_b32_e32 v8, v34, v8, vcc
	v_lshlrev_b32_e32 v9, 2, v8
	ds_bpermute_b32 v8, v9, v2
	buffer_store_dword v9, off, s[96:99], 0 offset:100 ; 4-byte Folded Spill
	ds_bpermute_b32 v9, v9, v3
	s_waitcnt lgkmcnt(0)
	v_cmp_lt_f64_e32 vcc, v[2:3], v[8:9]
	v_cndmask_b32_e32 v2, v2, v8, vcc
	v_xor_b32_e32 v8, 1, v34
	v_cndmask_b32_e32 v3, v3, v9, vcc
	v_cmp_lt_i32_e32 vcc, v8, v35
	v_cndmask_b32_e32 v8, v34, v8, vcc
	v_lshlrev_b32_e32 v124, 2, v8
	ds_bpermute_b32 v8, v124, v2
	ds_bpermute_b32 v9, v124, v3
	s_waitcnt lgkmcnt(0)
	v_cmp_lt_f64_e32 vcc, v[2:3], v[8:9]
	v_cndmask_b32_e32 v65, v3, v9, vcc
	v_cndmask_b32_e32 v64, v2, v8, vcc
	s_and_saveexec_b64 s[42:43], s[78:79]
	s_cbranch_execz .LBB695_388
; %bb.385:
	global_load_ubyte v2, v[4:5], off
	v_pk_mov_b32 v[62:63], 0, 0
	v_pk_mov_b32 v[60:61], v[62:63], v[62:63] op_sel:[0,1]
	s_waitcnt vmcnt(0)
	v_and_b32_e32 v2, 1, v2
	v_cmp_eq_u32_e32 vcc, 1, v2
	s_xor_b64 s[4:5], vcc, -1
	s_and_saveexec_b64 s[78:79], s[4:5]
	s_cbranch_execz .LBB695_387
; %bb.386:
	s_mov_b32 s4, 0x652b82fe
	v_add_f64 v[2:3], v[66:67], -v[64:65]
	s_mov_b32 s5, 0x3ff71547
	v_mul_f64 v[8:9], v[2:3], s[4:5]
	s_mov_b32 s4, 0xfefa39ef
	v_rndne_f64_e32 v[8:9], v[8:9]
	s_mov_b32 s5, 0xbfe62e42
	v_fma_f64 v[60:61], s[4:5], v[8:9], v[2:3]
	s_mov_b32 s4, 0x3b39803f
	s_mov_b32 s5, 0xbc7abc9e
	v_fmac_f64_e32 v[60:61], s[4:5], v[8:9]
	s_mov_b32 s4, 0x6a5dcb37
	v_mov_b32_e32 v62, 0xfca7ab0c
	v_mov_b32_e32 v63, 0x3e928af3
	s_mov_b32 s5, 0x3e5ade15
	v_fmac_f64_e32 v[62:63], s[4:5], v[60:61]
	v_mov_b32_e32 v66, 0x623fde64
	v_mov_b32_e32 v67, 0x3ec71dee
	v_fmac_f64_e32 v[66:67], v[60:61], v[62:63]
	v_mov_b32_e32 v62, 0x7c89e6b0
	v_mov_b32_e32 v63, 0x3efa0199
	;; [unrolled: 3-line block ×8, first 2 shown]
	s_mov_b32 s4, 0
	v_fmac_f64_e32 v[62:63], v[60:61], v[66:67]
	s_mov_b32 s5, 0x40900000
	v_fma_f64 v[62:63], v[60:61], v[62:63], 1.0
	v_cmp_nlt_f64_e32 vcc, s[4:5], v[2:3]
	s_mov_b32 s4, 0
	v_fma_f64 v[60:61], v[60:61], v[62:63], 1.0
	v_cvt_i32_f64_e32 v8, v[8:9]
	s_mov_b32 s5, 0xc090cc00
	v_ldexp_f64 v[8:9], v[60:61], v8
	v_mov_b32_e32 v34, 0x7ff00000
	v_cmp_ngt_f64_e64 s[4:5], s[4:5], v[2:3]
	v_cndmask_b32_e32 v9, v34, v9, vcc
	s_and_b64 vcc, s[4:5], vcc
	v_cndmask_b32_e64 v61, 0, v9, s[4:5]
	v_cndmask_b32_e32 v60, 0, v8, vcc
	v_add_f64 v[62:63], v[60:61], 0
.LBB695_387:
	s_or_b64 exec, exec, s[78:79]
.LBB695_388:
	s_or_b64 exec, exec, s[42:43]
	buffer_store_dword v56, off, s[96:99], 0 offset:104 ; 4-byte Folded Spill
	s_nop 0
	buffer_store_dword v57, off, s[96:99], 0 offset:108 ; 4-byte Folded Spill
	s_and_saveexec_b64 s[42:43], s[76:77]
	s_cbranch_execz .LBB695_392
; %bb.389:
	global_load_ubyte v2, v[4:5], off offset:32
	s_waitcnt vmcnt(0)
	v_and_b32_e32 v2, 1, v2
	v_cmp_eq_u32_e32 vcc, 1, v2
	s_xor_b64 s[4:5], vcc, -1
	v_pk_mov_b32 v[2:3], 0, 0
	buffer_store_dword v2, off, s[96:99], 0 offset:104 ; 4-byte Folded Spill
	s_nop 0
	buffer_store_dword v3, off, s[96:99], 0 offset:108 ; 4-byte Folded Spill
	s_and_saveexec_b64 s[76:77], s[4:5]
	s_cbranch_execz .LBB695_391
; %bb.390:
	s_mov_b32 s4, 0x652b82fe
	v_add_f64 v[2:3], v[74:75], -v[64:65]
	s_mov_b32 s5, 0x3ff71547
	v_mul_f64 v[8:9], v[2:3], s[4:5]
	s_mov_b32 s4, 0xfefa39ef
	v_rndne_f64_e32 v[8:9], v[8:9]
	s_mov_b32 s5, 0xbfe62e42
	v_fma_f64 v[66:67], s[4:5], v[8:9], v[2:3]
	s_mov_b32 s4, 0x3b39803f
	s_mov_b32 s5, 0xbc7abc9e
	v_fmac_f64_e32 v[66:67], s[4:5], v[8:9]
	s_mov_b32 s4, 0x6a5dcb37
	v_mov_b32_e32 v74, 0xfca7ab0c
	v_mov_b32_e32 v75, 0x3e928af3
	s_mov_b32 s5, 0x3e5ade15
	v_fmac_f64_e32 v[74:75], s[4:5], v[66:67]
	v_mov_b32_e32 v34, 0x623fde64
	v_mov_b32_e32 v35, 0x3ec71dee
	v_fmac_f64_e32 v[34:35], v[66:67], v[74:75]
	v_mov_b32_e32 v74, 0x7c89e6b0
	v_mov_b32_e32 v75, 0x3efa0199
	;; [unrolled: 3-line block ×8, first 2 shown]
	s_mov_b32 s4, 0
	v_fmac_f64_e32 v[74:75], v[66:67], v[34:35]
	s_mov_b32 s5, 0x40900000
	v_fma_f64 v[34:35], v[66:67], v[74:75], 1.0
	v_cmp_nlt_f64_e32 vcc, s[4:5], v[2:3]
	s_mov_b32 s4, 0
	v_fma_f64 v[34:35], v[66:67], v[34:35], 1.0
	v_cvt_i32_f64_e32 v8, v[8:9]
	s_mov_b32 s5, 0xc090cc00
	v_ldexp_f64 v[8:9], v[34:35], v8
	v_mov_b32_e32 v34, 0x7ff00000
	v_cmp_ngt_f64_e64 s[4:5], s[4:5], v[2:3]
	v_cndmask_b32_e32 v9, v34, v9, vcc
	s_and_b64 vcc, s[4:5], vcc
	v_cndmask_b32_e64 v3, 0, v9, s[4:5]
	v_cndmask_b32_e32 v2, 0, v8, vcc
	buffer_store_dword v2, off, s[96:99], 0 offset:104 ; 4-byte Folded Spill
	s_nop 0
	buffer_store_dword v3, off, s[96:99], 0 offset:108 ; 4-byte Folded Spill
	v_add_f64 v[62:63], v[62:63], v[2:3]
.LBB695_391:
	s_or_b64 exec, exec, s[76:77]
.LBB695_392:
	s_or_b64 exec, exec, s[42:43]
	s_and_saveexec_b64 s[42:43], s[74:75]
	s_cbranch_execz .LBB695_396
; %bb.393:
	global_load_ubyte v2, v[4:5], off offset:64
	v_pk_mov_b32 v[56:57], 0, 0
	s_waitcnt vmcnt(0)
	v_and_b32_e32 v2, 1, v2
	v_cmp_eq_u32_e32 vcc, 1, v2
	s_xor_b64 s[4:5], vcc, -1
	s_and_saveexec_b64 s[74:75], s[4:5]
	s_cbranch_execz .LBB695_395
; %bb.394:
	s_mov_b32 s4, 0x652b82fe
	v_add_f64 v[2:3], v[72:73], -v[64:65]
	s_mov_b32 s5, 0x3ff71547
	v_mul_f64 v[8:9], v[2:3], s[4:5]
	s_mov_b32 s4, 0xfefa39ef
	v_rndne_f64_e32 v[8:9], v[8:9]
	s_mov_b32 s5, 0xbfe62e42
	v_fma_f64 v[34:35], s[4:5], v[8:9], v[2:3]
	s_mov_b32 s4, 0x3b39803f
	s_mov_b32 s5, 0xbc7abc9e
	v_fmac_f64_e32 v[34:35], s[4:5], v[8:9]
	s_mov_b32 s4, 0x6a5dcb37
	v_mov_b32_e32 v56, 0xfca7ab0c
	v_mov_b32_e32 v57, 0x3e928af3
	s_mov_b32 s5, 0x3e5ade15
	v_fmac_f64_e32 v[56:57], s[4:5], v[34:35]
	v_mov_b32_e32 v72, 0x623fde64
	v_mov_b32_e32 v73, 0x3ec71dee
	v_fmac_f64_e32 v[72:73], v[34:35], v[56:57]
	v_mov_b32_e32 v56, 0x7c89e6b0
	v_mov_b32_e32 v57, 0x3efa0199
	;; [unrolled: 3-line block ×8, first 2 shown]
	s_mov_b32 s4, 0
	v_fmac_f64_e32 v[56:57], v[34:35], v[72:73]
	s_mov_b32 s5, 0x40900000
	v_fma_f64 v[56:57], v[34:35], v[56:57], 1.0
	v_cmp_nlt_f64_e32 vcc, s[4:5], v[2:3]
	s_mov_b32 s4, 0
	v_fma_f64 v[34:35], v[34:35], v[56:57], 1.0
	v_cvt_i32_f64_e32 v8, v[8:9]
	s_mov_b32 s5, 0xc090cc00
	v_ldexp_f64 v[8:9], v[34:35], v8
	v_mov_b32_e32 v34, 0x7ff00000
	v_cmp_ngt_f64_e64 s[4:5], s[4:5], v[2:3]
	v_cndmask_b32_e32 v9, v34, v9, vcc
	s_and_b64 vcc, s[4:5], vcc
	v_cndmask_b32_e64 v57, 0, v9, s[4:5]
	v_cndmask_b32_e32 v56, 0, v8, vcc
	v_add_f64 v[62:63], v[62:63], v[56:57]
.LBB695_395:
	s_or_b64 exec, exec, s[74:75]
.LBB695_396:
	s_or_b64 exec, exec, s[42:43]
	v_pk_mov_b32 v[72:73], 0, 0
	buffer_store_dword v72, off, s[96:99], 0 offset:112 ; 4-byte Folded Spill
	s_nop 0
	buffer_store_dword v73, off, s[96:99], 0 offset:116 ; 4-byte Folded Spill
	s_and_saveexec_b64 s[42:43], s[72:73]
	s_cbranch_execz .LBB695_400
; %bb.397:
	global_load_ubyte v2, v[4:5], off offset:96
	s_waitcnt vmcnt(0)
	v_and_b32_e32 v2, 1, v2
	v_cmp_eq_u32_e32 vcc, 1, v2
	s_xor_b64 s[4:5], vcc, -1
	v_pk_mov_b32 v[2:3], 0, 0
	buffer_store_dword v2, off, s[96:99], 0 offset:112 ; 4-byte Folded Spill
	s_nop 0
	buffer_store_dword v3, off, s[96:99], 0 offset:116 ; 4-byte Folded Spill
	s_and_saveexec_b64 s[72:73], s[4:5]
	s_cbranch_execz .LBB695_399
; %bb.398:
	s_mov_b32 s4, 0x652b82fe
	v_add_f64 v[2:3], v[82:83], -v[64:65]
	s_mov_b32 s5, 0x3ff71547
	v_mul_f64 v[8:9], v[2:3], s[4:5]
	s_mov_b32 s4, 0xfefa39ef
	v_rndne_f64_e32 v[8:9], v[8:9]
	s_mov_b32 s5, 0xbfe62e42
	v_fma_f64 v[34:35], s[4:5], v[8:9], v[2:3]
	s_mov_b32 s4, 0x3b39803f
	s_mov_b32 s5, 0xbc7abc9e
	v_fmac_f64_e32 v[34:35], s[4:5], v[8:9]
	s_mov_b32 s4, 0x6a5dcb37
	v_mov_b32_e32 v74, 0xfca7ab0c
	v_mov_b32_e32 v75, 0x3e928af3
	s_mov_b32 s5, 0x3e5ade15
	v_fmac_f64_e32 v[74:75], s[4:5], v[34:35]
	v_mov_b32_e32 v82, 0x623fde64
	v_mov_b32_e32 v83, 0x3ec71dee
	v_fmac_f64_e32 v[82:83], v[34:35], v[74:75]
	v_mov_b32_e32 v74, 0x7c89e6b0
	v_mov_b32_e32 v75, 0x3efa0199
	;; [unrolled: 3-line block ×8, first 2 shown]
	s_mov_b32 s4, 0
	v_fmac_f64_e32 v[74:75], v[34:35], v[82:83]
	s_mov_b32 s5, 0x40900000
	v_fma_f64 v[74:75], v[34:35], v[74:75], 1.0
	v_cmp_nlt_f64_e32 vcc, s[4:5], v[2:3]
	s_mov_b32 s4, 0
	v_fma_f64 v[34:35], v[34:35], v[74:75], 1.0
	v_cvt_i32_f64_e32 v8, v[8:9]
	s_mov_b32 s5, 0xc090cc00
	v_ldexp_f64 v[8:9], v[34:35], v8
	v_mov_b32_e32 v34, 0x7ff00000
	v_cmp_ngt_f64_e64 s[4:5], s[4:5], v[2:3]
	v_cndmask_b32_e32 v9, v34, v9, vcc
	s_and_b64 vcc, s[4:5], vcc
	v_cndmask_b32_e64 v3, 0, v9, s[4:5]
	v_cndmask_b32_e32 v2, 0, v8, vcc
	buffer_store_dword v2, off, s[96:99], 0 offset:112 ; 4-byte Folded Spill
	s_nop 0
	buffer_store_dword v3, off, s[96:99], 0 offset:116 ; 4-byte Folded Spill
	v_add_f64 v[62:63], v[62:63], v[2:3]
.LBB695_399:
	s_or_b64 exec, exec, s[72:73]
.LBB695_400:
	s_or_b64 exec, exec, s[42:43]
	s_and_saveexec_b64 s[42:43], s[70:71]
	s_cbranch_execz .LBB695_404
; %bb.401:
	global_load_ubyte v2, v[4:5], off offset:128
	v_pk_mov_b32 v[72:73], 0, 0
	s_waitcnt vmcnt(0)
	v_and_b32_e32 v2, 1, v2
	v_cmp_eq_u32_e32 vcc, 1, v2
	s_xor_b64 s[4:5], vcc, -1
	s_and_saveexec_b64 s[70:71], s[4:5]
	s_cbranch_execz .LBB695_403
; %bb.402:
	s_mov_b32 s4, 0x652b82fe
	v_add_f64 v[2:3], v[80:81], -v[64:65]
	s_mov_b32 s5, 0x3ff71547
	v_mul_f64 v[8:9], v[2:3], s[4:5]
	s_mov_b32 s4, 0xfefa39ef
	v_rndne_f64_e32 v[8:9], v[8:9]
	s_mov_b32 s5, 0xbfe62e42
	v_fma_f64 v[34:35], s[4:5], v[8:9], v[2:3]
	s_mov_b32 s4, 0x3b39803f
	s_mov_b32 s5, 0xbc7abc9e
	v_fmac_f64_e32 v[34:35], s[4:5], v[8:9]
	s_mov_b32 s4, 0x6a5dcb37
	v_mov_b32_e32 v72, 0xfca7ab0c
	v_mov_b32_e32 v73, 0x3e928af3
	s_mov_b32 s5, 0x3e5ade15
	v_fmac_f64_e32 v[72:73], s[4:5], v[34:35]
	v_mov_b32_e32 v74, 0x623fde64
	v_mov_b32_e32 v75, 0x3ec71dee
	v_fmac_f64_e32 v[74:75], v[34:35], v[72:73]
	v_mov_b32_e32 v72, 0x7c89e6b0
	v_mov_b32_e32 v73, 0x3efa0199
	;; [unrolled: 3-line block ×8, first 2 shown]
	s_mov_b32 s4, 0
	v_fmac_f64_e32 v[72:73], v[34:35], v[74:75]
	s_mov_b32 s5, 0x40900000
	v_fma_f64 v[72:73], v[34:35], v[72:73], 1.0
	v_cmp_nlt_f64_e32 vcc, s[4:5], v[2:3]
	s_mov_b32 s4, 0
	v_fma_f64 v[34:35], v[34:35], v[72:73], 1.0
	v_cvt_i32_f64_e32 v8, v[8:9]
	s_mov_b32 s5, 0xc090cc00
	v_ldexp_f64 v[8:9], v[34:35], v8
	v_mov_b32_e32 v34, 0x7ff00000
	v_cmp_ngt_f64_e64 s[4:5], s[4:5], v[2:3]
	v_cndmask_b32_e32 v9, v34, v9, vcc
	s_and_b64 vcc, s[4:5], vcc
	v_cndmask_b32_e64 v73, 0, v9, s[4:5]
	v_cndmask_b32_e32 v72, 0, v8, vcc
	v_add_f64 v[62:63], v[62:63], v[72:73]
.LBB695_403:
	s_or_b64 exec, exec, s[70:71]
.LBB695_404:
	s_or_b64 exec, exec, s[42:43]
	v_pk_mov_b32 v[80:81], 0, 0
	buffer_store_dword v80, off, s[96:99], 0 offset:120 ; 4-byte Folded Spill
	s_nop 0
	buffer_store_dword v81, off, s[96:99], 0 offset:124 ; 4-byte Folded Spill
	s_and_saveexec_b64 s[42:43], s[68:69]
	s_cbranch_execz .LBB695_408
; %bb.405:
	global_load_ubyte v2, v[4:5], off offset:160
	s_waitcnt vmcnt(0)
	v_and_b32_e32 v2, 1, v2
	v_cmp_eq_u32_e32 vcc, 1, v2
	s_xor_b64 s[4:5], vcc, -1
	v_pk_mov_b32 v[2:3], 0, 0
	buffer_store_dword v2, off, s[96:99], 0 offset:120 ; 4-byte Folded Spill
	s_nop 0
	buffer_store_dword v3, off, s[96:99], 0 offset:124 ; 4-byte Folded Spill
	s_and_saveexec_b64 s[68:69], s[4:5]
	s_cbranch_execz .LBB695_407
; %bb.406:
	s_mov_b32 s4, 0x652b82fe
	v_add_f64 v[2:3], v[90:91], -v[64:65]
	s_mov_b32 s5, 0x3ff71547
	v_mul_f64 v[8:9], v[2:3], s[4:5]
	s_mov_b32 s4, 0xfefa39ef
	v_rndne_f64_e32 v[8:9], v[8:9]
	s_mov_b32 s5, 0xbfe62e42
	v_fma_f64 v[34:35], s[4:5], v[8:9], v[2:3]
	s_mov_b32 s4, 0x3b39803f
	s_mov_b32 s5, 0xbc7abc9e
	v_fmac_f64_e32 v[34:35], s[4:5], v[8:9]
	s_mov_b32 s4, 0x6a5dcb37
	v_mov_b32_e32 v74, 0xfca7ab0c
	v_mov_b32_e32 v75, 0x3e928af3
	s_mov_b32 s5, 0x3e5ade15
	v_fmac_f64_e32 v[74:75], s[4:5], v[34:35]
	v_mov_b32_e32 v82, 0x623fde64
	v_mov_b32_e32 v83, 0x3ec71dee
	v_fmac_f64_e32 v[82:83], v[34:35], v[74:75]
	v_mov_b32_e32 v74, 0x7c89e6b0
	v_mov_b32_e32 v75, 0x3efa0199
	;; [unrolled: 3-line block ×8, first 2 shown]
	s_mov_b32 s4, 0
	v_fmac_f64_e32 v[74:75], v[34:35], v[82:83]
	s_mov_b32 s5, 0x40900000
	v_fma_f64 v[74:75], v[34:35], v[74:75], 1.0
	v_cmp_nlt_f64_e32 vcc, s[4:5], v[2:3]
	s_mov_b32 s4, 0
	v_fma_f64 v[34:35], v[34:35], v[74:75], 1.0
	v_cvt_i32_f64_e32 v8, v[8:9]
	s_mov_b32 s5, 0xc090cc00
	v_ldexp_f64 v[8:9], v[34:35], v8
	v_mov_b32_e32 v34, 0x7ff00000
	v_cmp_ngt_f64_e64 s[4:5], s[4:5], v[2:3]
	v_cndmask_b32_e32 v9, v34, v9, vcc
	s_and_b64 vcc, s[4:5], vcc
	v_cndmask_b32_e64 v3, 0, v9, s[4:5]
	v_cndmask_b32_e32 v2, 0, v8, vcc
	buffer_store_dword v2, off, s[96:99], 0 offset:120 ; 4-byte Folded Spill
	s_nop 0
	buffer_store_dword v3, off, s[96:99], 0 offset:124 ; 4-byte Folded Spill
	v_add_f64 v[62:63], v[62:63], v[2:3]
.LBB695_407:
	s_or_b64 exec, exec, s[68:69]
.LBB695_408:
	s_or_b64 exec, exec, s[42:43]
	s_and_saveexec_b64 s[42:43], s[66:67]
	s_cbranch_execz .LBB695_412
; %bb.409:
	global_load_ubyte v2, v[4:5], off offset:192
	v_pk_mov_b32 v[80:81], 0, 0
	s_waitcnt vmcnt(0)
	v_and_b32_e32 v2, 1, v2
	v_cmp_eq_u32_e32 vcc, 1, v2
	s_xor_b64 s[4:5], vcc, -1
	s_and_saveexec_b64 s[66:67], s[4:5]
	s_cbranch_execz .LBB695_411
; %bb.410:
	s_mov_b32 s4, 0x652b82fe
	v_add_f64 v[2:3], v[88:89], -v[64:65]
	s_mov_b32 s5, 0x3ff71547
	v_mul_f64 v[8:9], v[2:3], s[4:5]
	s_mov_b32 s4, 0xfefa39ef
	v_rndne_f64_e32 v[8:9], v[8:9]
	s_mov_b32 s5, 0xbfe62e42
	v_fma_f64 v[34:35], s[4:5], v[8:9], v[2:3]
	s_mov_b32 s4, 0x3b39803f
	s_mov_b32 s5, 0xbc7abc9e
	v_fmac_f64_e32 v[34:35], s[4:5], v[8:9]
	s_mov_b32 s4, 0x6a5dcb37
	v_mov_b32_e32 v74, 0xfca7ab0c
	v_mov_b32_e32 v75, 0x3e928af3
	s_mov_b32 s5, 0x3e5ade15
	v_fmac_f64_e32 v[74:75], s[4:5], v[34:35]
	v_mov_b32_e32 v80, 0x623fde64
	v_mov_b32_e32 v81, 0x3ec71dee
	v_fmac_f64_e32 v[80:81], v[34:35], v[74:75]
	v_mov_b32_e32 v74, 0x7c89e6b0
	v_mov_b32_e32 v75, 0x3efa0199
	;; [unrolled: 3-line block ×8, first 2 shown]
	s_mov_b32 s4, 0
	v_fmac_f64_e32 v[74:75], v[34:35], v[80:81]
	s_mov_b32 s5, 0x40900000
	v_fma_f64 v[74:75], v[34:35], v[74:75], 1.0
	v_cmp_nlt_f64_e32 vcc, s[4:5], v[2:3]
	s_mov_b32 s4, 0
	v_fma_f64 v[34:35], v[34:35], v[74:75], 1.0
	v_cvt_i32_f64_e32 v8, v[8:9]
	s_mov_b32 s5, 0xc090cc00
	v_ldexp_f64 v[8:9], v[34:35], v8
	v_mov_b32_e32 v34, 0x7ff00000
	v_cmp_ngt_f64_e64 s[4:5], s[4:5], v[2:3]
	v_cndmask_b32_e32 v9, v34, v9, vcc
	s_and_b64 vcc, s[4:5], vcc
	v_cndmask_b32_e64 v81, 0, v9, s[4:5]
	v_cndmask_b32_e32 v80, 0, v8, vcc
	v_add_f64 v[62:63], v[62:63], v[80:81]
.LBB695_411:
	s_or_b64 exec, exec, s[66:67]
.LBB695_412:
	s_or_b64 exec, exec, s[42:43]
	v_pk_mov_b32 v[88:89], 0, 0
	buffer_store_dword v88, off, s[96:99], 0 offset:128 ; 4-byte Folded Spill
	s_nop 0
	buffer_store_dword v89, off, s[96:99], 0 offset:132 ; 4-byte Folded Spill
	s_and_saveexec_b64 s[42:43], s[64:65]
	s_cbranch_execz .LBB695_416
; %bb.413:
	global_load_ubyte v2, v[4:5], off offset:224
	s_waitcnt vmcnt(0)
	v_and_b32_e32 v2, 1, v2
	v_cmp_eq_u32_e32 vcc, 1, v2
	s_xor_b64 s[4:5], vcc, -1
	v_pk_mov_b32 v[2:3], 0, 0
	buffer_store_dword v2, off, s[96:99], 0 offset:128 ; 4-byte Folded Spill
	s_nop 0
	buffer_store_dword v3, off, s[96:99], 0 offset:132 ; 4-byte Folded Spill
	s_and_saveexec_b64 s[64:65], s[4:5]
	s_cbranch_execz .LBB695_415
; %bb.414:
	s_mov_b32 s4, 0x652b82fe
	v_add_f64 v[2:3], v[98:99], -v[64:65]
	s_mov_b32 s5, 0x3ff71547
	v_mul_f64 v[8:9], v[2:3], s[4:5]
	s_mov_b32 s4, 0xfefa39ef
	v_rndne_f64_e32 v[8:9], v[8:9]
	s_mov_b32 s5, 0xbfe62e42
	v_fma_f64 v[34:35], s[4:5], v[8:9], v[2:3]
	s_mov_b32 s4, 0x3b39803f
	s_mov_b32 s5, 0xbc7abc9e
	v_fmac_f64_e32 v[34:35], s[4:5], v[8:9]
	s_mov_b32 s4, 0x6a5dcb37
	v_mov_b32_e32 v74, 0xfca7ab0c
	v_mov_b32_e32 v75, 0x3e928af3
	s_mov_b32 s5, 0x3e5ade15
	v_fmac_f64_e32 v[74:75], s[4:5], v[34:35]
	v_mov_b32_e32 v82, 0x623fde64
	v_mov_b32_e32 v83, 0x3ec71dee
	v_fmac_f64_e32 v[82:83], v[34:35], v[74:75]
	v_mov_b32_e32 v74, 0x7c89e6b0
	v_mov_b32_e32 v75, 0x3efa0199
	;; [unrolled: 3-line block ×8, first 2 shown]
	s_mov_b32 s4, 0
	v_fmac_f64_e32 v[74:75], v[34:35], v[82:83]
	s_mov_b32 s5, 0x40900000
	v_fma_f64 v[74:75], v[34:35], v[74:75], 1.0
	v_cmp_nlt_f64_e32 vcc, s[4:5], v[2:3]
	s_mov_b32 s4, 0
	v_fma_f64 v[34:35], v[34:35], v[74:75], 1.0
	v_cvt_i32_f64_e32 v8, v[8:9]
	s_mov_b32 s5, 0xc090cc00
	v_ldexp_f64 v[8:9], v[34:35], v8
	v_mov_b32_e32 v34, 0x7ff00000
	v_cmp_ngt_f64_e64 s[4:5], s[4:5], v[2:3]
	v_cndmask_b32_e32 v9, v34, v9, vcc
	s_and_b64 vcc, s[4:5], vcc
	v_cndmask_b32_e64 v3, 0, v9, s[4:5]
	v_cndmask_b32_e32 v2, 0, v8, vcc
	buffer_store_dword v2, off, s[96:99], 0 offset:128 ; 4-byte Folded Spill
	s_nop 0
	buffer_store_dword v3, off, s[96:99], 0 offset:132 ; 4-byte Folded Spill
	v_add_f64 v[62:63], v[62:63], v[2:3]
.LBB695_415:
	s_or_b64 exec, exec, s[64:65]
.LBB695_416:
	s_or_b64 exec, exec, s[42:43]
	s_and_saveexec_b64 s[42:43], s[62:63]
	s_cbranch_execz .LBB695_420
; %bb.417:
	global_load_ubyte v2, v[4:5], off offset:256
	v_pk_mov_b32 v[88:89], 0, 0
	s_waitcnt vmcnt(0)
	v_and_b32_e32 v2, 1, v2
	v_cmp_eq_u32_e32 vcc, 1, v2
	s_xor_b64 s[4:5], vcc, -1
	s_and_saveexec_b64 s[62:63], s[4:5]
	s_cbranch_execz .LBB695_419
; %bb.418:
	s_mov_b32 s4, 0x652b82fe
	v_add_f64 v[2:3], v[96:97], -v[64:65]
	s_mov_b32 s5, 0x3ff71547
	v_mul_f64 v[8:9], v[2:3], s[4:5]
	s_mov_b32 s4, 0xfefa39ef
	v_rndne_f64_e32 v[8:9], v[8:9]
	s_mov_b32 s5, 0xbfe62e42
	v_fma_f64 v[34:35], s[4:5], v[8:9], v[2:3]
	s_mov_b32 s4, 0x3b39803f
	s_mov_b32 s5, 0xbc7abc9e
	v_fmac_f64_e32 v[34:35], s[4:5], v[8:9]
	s_mov_b32 s4, 0x6a5dcb37
	v_mov_b32_e32 v74, 0xfca7ab0c
	v_mov_b32_e32 v75, 0x3e928af3
	s_mov_b32 s5, 0x3e5ade15
	v_fmac_f64_e32 v[74:75], s[4:5], v[34:35]
	v_mov_b32_e32 v82, 0x623fde64
	v_mov_b32_e32 v83, 0x3ec71dee
	v_fmac_f64_e32 v[82:83], v[34:35], v[74:75]
	v_mov_b32_e32 v74, 0x7c89e6b0
	v_mov_b32_e32 v75, 0x3efa0199
	;; [unrolled: 3-line block ×8, first 2 shown]
	s_mov_b32 s4, 0
	v_fmac_f64_e32 v[74:75], v[34:35], v[82:83]
	s_mov_b32 s5, 0x40900000
	v_fma_f64 v[74:75], v[34:35], v[74:75], 1.0
	v_cmp_nlt_f64_e32 vcc, s[4:5], v[2:3]
	s_mov_b32 s4, 0
	v_fma_f64 v[34:35], v[34:35], v[74:75], 1.0
	v_cvt_i32_f64_e32 v8, v[8:9]
	s_mov_b32 s5, 0xc090cc00
	v_ldexp_f64 v[8:9], v[34:35], v8
	v_mov_b32_e32 v34, 0x7ff00000
	v_cmp_ngt_f64_e64 s[4:5], s[4:5], v[2:3]
	v_cndmask_b32_e32 v9, v34, v9, vcc
	s_and_b64 vcc, s[4:5], vcc
	v_cndmask_b32_e64 v89, 0, v9, s[4:5]
	v_cndmask_b32_e32 v88, 0, v8, vcc
	v_add_f64 v[62:63], v[62:63], v[88:89]
.LBB695_419:
	s_or_b64 exec, exec, s[62:63]
.LBB695_420:
	s_or_b64 exec, exec, s[42:43]
	v_pk_mov_b32 v[96:97], 0, 0
	buffer_store_dword v96, off, s[96:99], 0 offset:136 ; 4-byte Folded Spill
	s_nop 0
	buffer_store_dword v97, off, s[96:99], 0 offset:140 ; 4-byte Folded Spill
	s_and_saveexec_b64 s[42:43], s[60:61]
	s_cbranch_execz .LBB695_424
; %bb.421:
	global_load_ubyte v2, v[4:5], off offset:288
	s_waitcnt vmcnt(0)
	v_and_b32_e32 v2, 1, v2
	v_cmp_eq_u32_e32 vcc, 1, v2
	s_xor_b64 s[4:5], vcc, -1
	v_pk_mov_b32 v[2:3], 0, 0
	buffer_store_dword v2, off, s[96:99], 0 offset:136 ; 4-byte Folded Spill
	s_nop 0
	buffer_store_dword v3, off, s[96:99], 0 offset:140 ; 4-byte Folded Spill
	s_and_saveexec_b64 s[60:61], s[4:5]
	s_cbranch_execz .LBB695_423
; %bb.422:
	s_mov_b32 s4, 0x652b82fe
	v_add_f64 v[2:3], v[106:107], -v[64:65]
	s_mov_b32 s5, 0x3ff71547
	v_mul_f64 v[8:9], v[2:3], s[4:5]
	s_mov_b32 s4, 0xfefa39ef
	v_rndne_f64_e32 v[8:9], v[8:9]
	s_mov_b32 s5, 0xbfe62e42
	v_fma_f64 v[34:35], s[4:5], v[8:9], v[2:3]
	s_mov_b32 s4, 0x3b39803f
	s_mov_b32 s5, 0xbc7abc9e
	v_fmac_f64_e32 v[34:35], s[4:5], v[8:9]
	s_mov_b32 s4, 0x6a5dcb37
	v_mov_b32_e32 v74, 0xfca7ab0c
	v_mov_b32_e32 v75, 0x3e928af3
	s_mov_b32 s5, 0x3e5ade15
	v_fmac_f64_e32 v[74:75], s[4:5], v[34:35]
	v_mov_b32_e32 v82, 0x623fde64
	v_mov_b32_e32 v83, 0x3ec71dee
	v_fmac_f64_e32 v[82:83], v[34:35], v[74:75]
	v_mov_b32_e32 v74, 0x7c89e6b0
	v_mov_b32_e32 v75, 0x3efa0199
	;; [unrolled: 3-line block ×8, first 2 shown]
	s_mov_b32 s4, 0
	v_fmac_f64_e32 v[74:75], v[34:35], v[82:83]
	s_mov_b32 s5, 0x40900000
	v_fma_f64 v[74:75], v[34:35], v[74:75], 1.0
	v_cmp_nlt_f64_e32 vcc, s[4:5], v[2:3]
	s_mov_b32 s4, 0
	v_fma_f64 v[34:35], v[34:35], v[74:75], 1.0
	v_cvt_i32_f64_e32 v8, v[8:9]
	s_mov_b32 s5, 0xc090cc00
	v_ldexp_f64 v[8:9], v[34:35], v8
	v_mov_b32_e32 v34, 0x7ff00000
	v_cmp_ngt_f64_e64 s[4:5], s[4:5], v[2:3]
	v_cndmask_b32_e32 v9, v34, v9, vcc
	s_and_b64 vcc, s[4:5], vcc
	v_cndmask_b32_e64 v3, 0, v9, s[4:5]
	v_cndmask_b32_e32 v2, 0, v8, vcc
	buffer_store_dword v2, off, s[96:99], 0 offset:136 ; 4-byte Folded Spill
	s_nop 0
	buffer_store_dword v3, off, s[96:99], 0 offset:140 ; 4-byte Folded Spill
	v_add_f64 v[62:63], v[62:63], v[2:3]
.LBB695_423:
	s_or_b64 exec, exec, s[60:61]
.LBB695_424:
	s_or_b64 exec, exec, s[42:43]
	s_and_saveexec_b64 s[42:43], s[58:59]
	s_cbranch_execz .LBB695_428
; %bb.425:
	global_load_ubyte v2, v[4:5], off offset:320
	v_pk_mov_b32 v[96:97], 0, 0
	s_waitcnt vmcnt(0)
	v_and_b32_e32 v2, 1, v2
	v_cmp_eq_u32_e32 vcc, 1, v2
	s_xor_b64 s[4:5], vcc, -1
	s_and_saveexec_b64 s[58:59], s[4:5]
	s_cbranch_execz .LBB695_427
; %bb.426:
	s_mov_b32 s4, 0x652b82fe
	v_add_f64 v[2:3], v[104:105], -v[64:65]
	s_mov_b32 s5, 0x3ff71547
	v_mul_f64 v[8:9], v[2:3], s[4:5]
	s_mov_b32 s4, 0xfefa39ef
	v_rndne_f64_e32 v[8:9], v[8:9]
	s_mov_b32 s5, 0xbfe62e42
	v_fma_f64 v[34:35], s[4:5], v[8:9], v[2:3]
	s_mov_b32 s4, 0x3b39803f
	s_mov_b32 s5, 0xbc7abc9e
	v_fmac_f64_e32 v[34:35], s[4:5], v[8:9]
	s_mov_b32 s4, 0x6a5dcb37
	v_mov_b32_e32 v74, 0xfca7ab0c
	v_mov_b32_e32 v75, 0x3e928af3
	s_mov_b32 s5, 0x3e5ade15
	v_fmac_f64_e32 v[74:75], s[4:5], v[34:35]
	v_mov_b32_e32 v82, 0x623fde64
	v_mov_b32_e32 v83, 0x3ec71dee
	v_fmac_f64_e32 v[82:83], v[34:35], v[74:75]
	v_mov_b32_e32 v74, 0x7c89e6b0
	v_mov_b32_e32 v75, 0x3efa0199
	;; [unrolled: 3-line block ×8, first 2 shown]
	s_mov_b32 s4, 0
	v_fmac_f64_e32 v[74:75], v[34:35], v[82:83]
	s_mov_b32 s5, 0x40900000
	v_fma_f64 v[74:75], v[34:35], v[74:75], 1.0
	v_cmp_nlt_f64_e32 vcc, s[4:5], v[2:3]
	s_mov_b32 s4, 0
	v_fma_f64 v[34:35], v[34:35], v[74:75], 1.0
	v_cvt_i32_f64_e32 v8, v[8:9]
	s_mov_b32 s5, 0xc090cc00
	v_ldexp_f64 v[8:9], v[34:35], v8
	v_mov_b32_e32 v34, 0x7ff00000
	v_cmp_ngt_f64_e64 s[4:5], s[4:5], v[2:3]
	v_cndmask_b32_e32 v9, v34, v9, vcc
	s_and_b64 vcc, s[4:5], vcc
	v_cndmask_b32_e64 v97, 0, v9, s[4:5]
	v_cndmask_b32_e32 v96, 0, v8, vcc
	v_add_f64 v[62:63], v[62:63], v[96:97]
.LBB695_427:
	s_or_b64 exec, exec, s[58:59]
.LBB695_428:
	s_or_b64 exec, exec, s[42:43]
	v_pk_mov_b32 v[104:105], 0, 0
	buffer_store_dword v104, off, s[96:99], 0 offset:144 ; 4-byte Folded Spill
	s_nop 0
	buffer_store_dword v105, off, s[96:99], 0 offset:148 ; 4-byte Folded Spill
	s_and_saveexec_b64 s[42:43], s[56:57]
	s_cbranch_execz .LBB695_432
; %bb.429:
	global_load_ubyte v2, v[4:5], off offset:352
	s_waitcnt vmcnt(0)
	v_and_b32_e32 v2, 1, v2
	v_cmp_eq_u32_e32 vcc, 1, v2
	s_xor_b64 s[4:5], vcc, -1
	v_pk_mov_b32 v[2:3], 0, 0
	buffer_store_dword v2, off, s[96:99], 0 offset:144 ; 4-byte Folded Spill
	s_nop 0
	buffer_store_dword v3, off, s[96:99], 0 offset:148 ; 4-byte Folded Spill
	s_and_saveexec_b64 s[56:57], s[4:5]
	s_cbranch_execz .LBB695_431
; %bb.430:
	s_mov_b32 s4, 0x652b82fe
	v_add_f64 v[2:3], v[114:115], -v[64:65]
	s_mov_b32 s5, 0x3ff71547
	v_mul_f64 v[8:9], v[2:3], s[4:5]
	s_mov_b32 s4, 0xfefa39ef
	v_rndne_f64_e32 v[8:9], v[8:9]
	s_mov_b32 s5, 0xbfe62e42
	v_fma_f64 v[34:35], s[4:5], v[8:9], v[2:3]
	s_mov_b32 s4, 0x3b39803f
	s_mov_b32 s5, 0xbc7abc9e
	v_fmac_f64_e32 v[34:35], s[4:5], v[8:9]
	s_mov_b32 s4, 0x6a5dcb37
	v_mov_b32_e32 v74, 0xfca7ab0c
	v_mov_b32_e32 v75, 0x3e928af3
	s_mov_b32 s5, 0x3e5ade15
	v_fmac_f64_e32 v[74:75], s[4:5], v[34:35]
	v_mov_b32_e32 v82, 0x623fde64
	v_mov_b32_e32 v83, 0x3ec71dee
	v_fmac_f64_e32 v[82:83], v[34:35], v[74:75]
	v_mov_b32_e32 v74, 0x7c89e6b0
	v_mov_b32_e32 v75, 0x3efa0199
	;; [unrolled: 3-line block ×8, first 2 shown]
	s_mov_b32 s4, 0
	v_fmac_f64_e32 v[74:75], v[34:35], v[82:83]
	s_mov_b32 s5, 0x40900000
	v_fma_f64 v[74:75], v[34:35], v[74:75], 1.0
	v_cmp_nlt_f64_e32 vcc, s[4:5], v[2:3]
	s_mov_b32 s4, 0
	v_fma_f64 v[34:35], v[34:35], v[74:75], 1.0
	v_cvt_i32_f64_e32 v8, v[8:9]
	s_mov_b32 s5, 0xc090cc00
	v_ldexp_f64 v[8:9], v[34:35], v8
	v_mov_b32_e32 v34, 0x7ff00000
	v_cmp_ngt_f64_e64 s[4:5], s[4:5], v[2:3]
	v_cndmask_b32_e32 v9, v34, v9, vcc
	s_and_b64 vcc, s[4:5], vcc
	v_cndmask_b32_e64 v3, 0, v9, s[4:5]
	v_cndmask_b32_e32 v2, 0, v8, vcc
	buffer_store_dword v2, off, s[96:99], 0 offset:144 ; 4-byte Folded Spill
	s_nop 0
	buffer_store_dword v3, off, s[96:99], 0 offset:148 ; 4-byte Folded Spill
	v_add_f64 v[62:63], v[62:63], v[2:3]
.LBB695_431:
	s_or_b64 exec, exec, s[56:57]
.LBB695_432:
	s_or_b64 exec, exec, s[42:43]
	s_and_saveexec_b64 s[42:43], s[54:55]
	s_cbranch_execz .LBB695_436
; %bb.433:
	global_load_ubyte v2, v[4:5], off offset:384
	v_pk_mov_b32 v[104:105], 0, 0
	s_waitcnt vmcnt(0)
	v_and_b32_e32 v2, 1, v2
	v_cmp_eq_u32_e32 vcc, 1, v2
	s_xor_b64 s[4:5], vcc, -1
	s_and_saveexec_b64 s[54:55], s[4:5]
	s_cbranch_execz .LBB695_435
; %bb.434:
	s_mov_b32 s4, 0x652b82fe
	v_add_f64 v[2:3], v[112:113], -v[64:65]
	s_mov_b32 s5, 0x3ff71547
	v_mul_f64 v[8:9], v[2:3], s[4:5]
	s_mov_b32 s4, 0xfefa39ef
	v_rndne_f64_e32 v[8:9], v[8:9]
	s_mov_b32 s5, 0xbfe62e42
	v_fma_f64 v[34:35], s[4:5], v[8:9], v[2:3]
	s_mov_b32 s4, 0x3b39803f
	s_mov_b32 s5, 0xbc7abc9e
	v_fmac_f64_e32 v[34:35], s[4:5], v[8:9]
	s_mov_b32 s4, 0x6a5dcb37
	v_mov_b32_e32 v74, 0xfca7ab0c
	v_mov_b32_e32 v75, 0x3e928af3
	s_mov_b32 s5, 0x3e5ade15
	v_fmac_f64_e32 v[74:75], s[4:5], v[34:35]
	v_mov_b32_e32 v82, 0x623fde64
	v_mov_b32_e32 v83, 0x3ec71dee
	v_fmac_f64_e32 v[82:83], v[34:35], v[74:75]
	v_mov_b32_e32 v74, 0x7c89e6b0
	v_mov_b32_e32 v75, 0x3efa0199
	;; [unrolled: 3-line block ×8, first 2 shown]
	s_mov_b32 s4, 0
	v_fmac_f64_e32 v[74:75], v[34:35], v[82:83]
	s_mov_b32 s5, 0x40900000
	v_fma_f64 v[74:75], v[34:35], v[74:75], 1.0
	v_cmp_nlt_f64_e32 vcc, s[4:5], v[2:3]
	s_mov_b32 s4, 0
	v_fma_f64 v[34:35], v[34:35], v[74:75], 1.0
	v_cvt_i32_f64_e32 v8, v[8:9]
	s_mov_b32 s5, 0xc090cc00
	v_ldexp_f64 v[8:9], v[34:35], v8
	v_mov_b32_e32 v34, 0x7ff00000
	v_cmp_ngt_f64_e64 s[4:5], s[4:5], v[2:3]
	v_cndmask_b32_e32 v9, v34, v9, vcc
	s_and_b64 vcc, s[4:5], vcc
	v_cndmask_b32_e64 v105, 0, v9, s[4:5]
	v_cndmask_b32_e32 v104, 0, v8, vcc
	v_add_f64 v[62:63], v[62:63], v[104:105]
.LBB695_435:
	s_or_b64 exec, exec, s[54:55]
.LBB695_436:
	s_or_b64 exec, exec, s[42:43]
	v_pk_mov_b32 v[112:113], 0, 0
	buffer_store_dword v112, off, s[96:99], 0 offset:152 ; 4-byte Folded Spill
	s_nop 0
	buffer_store_dword v113, off, s[96:99], 0 offset:156 ; 4-byte Folded Spill
	s_and_saveexec_b64 s[42:43], s[52:53]
	s_cbranch_execz .LBB695_440
; %bb.437:
	global_load_ubyte v2, v[4:5], off offset:416
	s_waitcnt vmcnt(0)
	v_and_b32_e32 v2, 1, v2
	v_cmp_eq_u32_e32 vcc, 1, v2
	s_xor_b64 s[4:5], vcc, -1
	v_pk_mov_b32 v[2:3], 0, 0
	buffer_store_dword v2, off, s[96:99], 0 offset:152 ; 4-byte Folded Spill
	s_nop 0
	buffer_store_dword v3, off, s[96:99], 0 offset:156 ; 4-byte Folded Spill
	s_and_saveexec_b64 s[52:53], s[4:5]
	s_cbranch_execz .LBB695_439
; %bb.438:
	s_mov_b32 s4, 0x652b82fe
	v_add_f64 v[2:3], v[122:123], -v[64:65]
	s_mov_b32 s5, 0x3ff71547
	v_mul_f64 v[8:9], v[2:3], s[4:5]
	s_mov_b32 s4, 0xfefa39ef
	v_rndne_f64_e32 v[8:9], v[8:9]
	s_mov_b32 s5, 0xbfe62e42
	v_fma_f64 v[34:35], s[4:5], v[8:9], v[2:3]
	s_mov_b32 s4, 0x3b39803f
	s_mov_b32 s5, 0xbc7abc9e
	v_fmac_f64_e32 v[34:35], s[4:5], v[8:9]
	s_mov_b32 s4, 0x6a5dcb37
	v_mov_b32_e32 v74, 0xfca7ab0c
	v_mov_b32_e32 v75, 0x3e928af3
	s_mov_b32 s5, 0x3e5ade15
	v_fmac_f64_e32 v[74:75], s[4:5], v[34:35]
	v_mov_b32_e32 v82, 0x623fde64
	v_mov_b32_e32 v83, 0x3ec71dee
	v_fmac_f64_e32 v[82:83], v[34:35], v[74:75]
	v_mov_b32_e32 v74, 0x7c89e6b0
	v_mov_b32_e32 v75, 0x3efa0199
	;; [unrolled: 3-line block ×8, first 2 shown]
	s_mov_b32 s4, 0
	v_fmac_f64_e32 v[74:75], v[34:35], v[82:83]
	s_mov_b32 s5, 0x40900000
	v_fma_f64 v[74:75], v[34:35], v[74:75], 1.0
	v_cmp_nlt_f64_e32 vcc, s[4:5], v[2:3]
	s_mov_b32 s4, 0
	v_fma_f64 v[34:35], v[34:35], v[74:75], 1.0
	v_cvt_i32_f64_e32 v8, v[8:9]
	s_mov_b32 s5, 0xc090cc00
	v_ldexp_f64 v[8:9], v[34:35], v8
	v_mov_b32_e32 v34, 0x7ff00000
	v_cmp_ngt_f64_e64 s[4:5], s[4:5], v[2:3]
	v_cndmask_b32_e32 v9, v34, v9, vcc
	s_and_b64 vcc, s[4:5], vcc
	v_cndmask_b32_e64 v3, 0, v9, s[4:5]
	v_cndmask_b32_e32 v2, 0, v8, vcc
	buffer_store_dword v2, off, s[96:99], 0 offset:152 ; 4-byte Folded Spill
	s_nop 0
	buffer_store_dword v3, off, s[96:99], 0 offset:156 ; 4-byte Folded Spill
	v_add_f64 v[62:63], v[62:63], v[2:3]
.LBB695_439:
	s_or_b64 exec, exec, s[52:53]
.LBB695_440:
	s_or_b64 exec, exec, s[42:43]
	s_and_saveexec_b64 s[42:43], s[50:51]
	s_cbranch_execz .LBB695_444
; %bb.441:
	global_load_ubyte v2, v[4:5], off offset:448
	v_pk_mov_b32 v[112:113], 0, 0
	s_waitcnt vmcnt(0)
	v_and_b32_e32 v2, 1, v2
	v_cmp_eq_u32_e32 vcc, 1, v2
	s_xor_b64 s[4:5], vcc, -1
	s_and_saveexec_b64 s[50:51], s[4:5]
	s_cbranch_execz .LBB695_443
; %bb.442:
	s_mov_b32 s4, 0x652b82fe
	v_add_f64 v[2:3], v[120:121], -v[64:65]
	s_mov_b32 s5, 0x3ff71547
	v_mul_f64 v[8:9], v[2:3], s[4:5]
	s_mov_b32 s4, 0xfefa39ef
	v_rndne_f64_e32 v[8:9], v[8:9]
	s_mov_b32 s5, 0xbfe62e42
	v_fma_f64 v[34:35], s[4:5], v[8:9], v[2:3]
	s_mov_b32 s4, 0x3b39803f
	s_mov_b32 s5, 0xbc7abc9e
	v_fmac_f64_e32 v[34:35], s[4:5], v[8:9]
	s_mov_b32 s4, 0x6a5dcb37
	v_mov_b32_e32 v74, 0xfca7ab0c
	v_mov_b32_e32 v75, 0x3e928af3
	s_mov_b32 s5, 0x3e5ade15
	v_fmac_f64_e32 v[74:75], s[4:5], v[34:35]
	v_mov_b32_e32 v82, 0x623fde64
	v_mov_b32_e32 v83, 0x3ec71dee
	v_fmac_f64_e32 v[82:83], v[34:35], v[74:75]
	v_mov_b32_e32 v74, 0x7c89e6b0
	v_mov_b32_e32 v75, 0x3efa0199
	;; [unrolled: 3-line block ×8, first 2 shown]
	s_mov_b32 s4, 0
	v_fmac_f64_e32 v[74:75], v[34:35], v[82:83]
	s_mov_b32 s5, 0x40900000
	v_fma_f64 v[74:75], v[34:35], v[74:75], 1.0
	v_cmp_nlt_f64_e32 vcc, s[4:5], v[2:3]
	s_mov_b32 s4, 0
	v_fma_f64 v[34:35], v[34:35], v[74:75], 1.0
	v_cvt_i32_f64_e32 v8, v[8:9]
	s_mov_b32 s5, 0xc090cc00
	v_ldexp_f64 v[8:9], v[34:35], v8
	v_mov_b32_e32 v34, 0x7ff00000
	v_cmp_ngt_f64_e64 s[4:5], s[4:5], v[2:3]
	v_cndmask_b32_e32 v9, v34, v9, vcc
	s_and_b64 vcc, s[4:5], vcc
	v_cndmask_b32_e64 v113, 0, v9, s[4:5]
	v_cndmask_b32_e32 v112, 0, v8, vcc
	v_add_f64 v[62:63], v[62:63], v[112:113]
.LBB695_443:
	s_or_b64 exec, exec, s[50:51]
.LBB695_444:
	s_or_b64 exec, exec, s[42:43]
	v_pk_mov_b32 v[120:121], 0, 0
	v_pk_mov_b32 v[122:123], v[120:121], v[120:121] op_sel:[0,1]
	s_and_saveexec_b64 s[42:43], s[48:49]
	s_cbranch_execz .LBB695_448
; %bb.445:
	global_load_ubyte v2, v[4:5], off offset:480
	v_pk_mov_b32 v[122:123], 0, 0
	s_waitcnt vmcnt(0)
	v_and_b32_e32 v2, 1, v2
	v_cmp_eq_u32_e32 vcc, 1, v2
	s_xor_b64 s[4:5], vcc, -1
	s_and_saveexec_b64 s[48:49], s[4:5]
	s_cbranch_execz .LBB695_447
; %bb.446:
	s_mov_b32 s4, 0x652b82fe
	v_add_f64 v[2:3], v[14:15], -v[64:65]
	s_mov_b32 s5, 0x3ff71547
	v_mul_f64 v[8:9], v[2:3], s[4:5]
	s_mov_b32 s4, 0xfefa39ef
	v_rndne_f64_e32 v[8:9], v[8:9]
	s_mov_b32 s5, 0xbfe62e42
	v_fma_f64 v[14:15], s[4:5], v[8:9], v[2:3]
	s_mov_b32 s4, 0x3b39803f
	s_mov_b32 s5, 0xbc7abc9e
	v_fmac_f64_e32 v[14:15], s[4:5], v[8:9]
	s_mov_b32 s4, 0x6a5dcb37
	v_mov_b32_e32 v34, 0xfca7ab0c
	v_mov_b32_e32 v35, 0x3e928af3
	s_mov_b32 s5, 0x3e5ade15
	v_fmac_f64_e32 v[34:35], s[4:5], v[14:15]
	v_mov_b32_e32 v74, 0x623fde64
	v_mov_b32_e32 v75, 0x3ec71dee
	v_fmac_f64_e32 v[74:75], v[14:15], v[34:35]
	v_mov_b32_e32 v34, 0x7c89e6b0
	v_mov_b32_e32 v35, 0x3efa0199
	;; [unrolled: 3-line block ×8, first 2 shown]
	s_mov_b32 s4, 0
	v_fmac_f64_e32 v[34:35], v[14:15], v[74:75]
	s_mov_b32 s5, 0x40900000
	v_fma_f64 v[34:35], v[14:15], v[34:35], 1.0
	v_cmp_nlt_f64_e32 vcc, s[4:5], v[2:3]
	s_mov_b32 s4, 0
	v_fma_f64 v[14:15], v[14:15], v[34:35], 1.0
	v_cvt_i32_f64_e32 v8, v[8:9]
	s_mov_b32 s5, 0xc090cc00
	v_ldexp_f64 v[8:9], v[14:15], v8
	v_mov_b32_e32 v14, 0x7ff00000
	v_cmp_ngt_f64_e64 s[4:5], s[4:5], v[2:3]
	v_cndmask_b32_e32 v9, v14, v9, vcc
	s_and_b64 vcc, s[4:5], vcc
	v_cndmask_b32_e64 v123, 0, v9, s[4:5]
	v_cndmask_b32_e32 v122, 0, v8, vcc
	v_add_f64 v[62:63], v[62:63], v[122:123]
.LBB695_447:
	s_or_b64 exec, exec, s[48:49]
.LBB695_448:
	s_or_b64 exec, exec, s[42:43]
	s_and_saveexec_b64 s[42:43], s[46:47]
	s_cbranch_execz .LBB695_452
; %bb.449:
	global_load_ubyte v2, v[4:5], off offset:512
	v_pk_mov_b32 v[120:121], 0, 0
	s_waitcnt vmcnt(0)
	v_and_b32_e32 v2, 1, v2
	v_cmp_eq_u32_e32 vcc, 1, v2
	s_xor_b64 s[4:5], vcc, -1
	s_and_saveexec_b64 s[46:47], s[4:5]
	s_cbranch_execz .LBB695_451
; %bb.450:
	s_mov_b32 s4, 0x652b82fe
	v_add_f64 v[2:3], v[6:7], -v[64:65]
	s_mov_b32 s5, 0x3ff71547
	v_mul_f64 v[6:7], v[2:3], s[4:5]
	s_mov_b32 s4, 0xfefa39ef
	v_rndne_f64_e32 v[6:7], v[6:7]
	s_mov_b32 s5, 0xbfe62e42
	v_fma_f64 v[8:9], s[4:5], v[6:7], v[2:3]
	s_mov_b32 s4, 0x3b39803f
	s_mov_b32 s5, 0xbc7abc9e
	v_fmac_f64_e32 v[8:9], s[4:5], v[6:7]
	s_mov_b32 s4, 0x6a5dcb37
	v_mov_b32_e32 v14, 0xfca7ab0c
	v_mov_b32_e32 v15, 0x3e928af3
	s_mov_b32 s5, 0x3e5ade15
	v_fmac_f64_e32 v[14:15], s[4:5], v[8:9]
	v_mov_b32_e32 v34, 0x623fde64
	v_mov_b32_e32 v35, 0x3ec71dee
	v_fmac_f64_e32 v[34:35], v[8:9], v[14:15]
	v_mov_b32_e32 v14, 0x7c89e6b0
	v_mov_b32_e32 v15, 0x3efa0199
	v_fmac_f64_e32 v[14:15], v[8:9], v[34:35]
	v_mov_b32_e32 v34, 0x14761f6e
	v_mov_b32_e32 v35, 0x3f2a01a0
	v_fmac_f64_e32 v[34:35], v[8:9], v[14:15]
	v_mov_b32_e32 v14, 0x1852b7b0
	v_mov_b32_e32 v15, 0x3f56c16c
	v_fmac_f64_e32 v[14:15], v[8:9], v[34:35]
	v_mov_b32_e32 v34, 0x11122322
	v_mov_b32_e32 v35, 0x3f811111
	v_fmac_f64_e32 v[34:35], v[8:9], v[14:15]
	v_mov_b32_e32 v14, 0x555502a1
	v_mov_b32_e32 v15, 0x3fa55555
	v_fmac_f64_e32 v[14:15], v[8:9], v[34:35]
	v_mov_b32_e32 v34, 0x55555511
	v_mov_b32_e32 v35, 0x3fc55555
	v_fmac_f64_e32 v[34:35], v[8:9], v[14:15]
	v_mov_b32_e32 v14, 11
	v_mov_b32_e32 v15, 0x3fe00000
	s_mov_b32 s4, 0
	v_fmac_f64_e32 v[14:15], v[8:9], v[34:35]
	s_mov_b32 s5, 0x40900000
	v_fma_f64 v[14:15], v[8:9], v[14:15], 1.0
	v_cmp_nlt_f64_e32 vcc, s[4:5], v[2:3]
	s_mov_b32 s4, 0
	v_fma_f64 v[8:9], v[8:9], v[14:15], 1.0
	v_cvt_i32_f64_e32 v6, v[6:7]
	s_mov_b32 s5, 0xc090cc00
	v_ldexp_f64 v[6:7], v[8:9], v6
	v_mov_b32_e32 v8, 0x7ff00000
	v_cmp_ngt_f64_e64 s[4:5], s[4:5], v[2:3]
	v_cndmask_b32_e32 v7, v8, v7, vcc
	s_and_b64 vcc, s[4:5], vcc
	v_cndmask_b32_e64 v121, 0, v7, s[4:5]
	v_cndmask_b32_e32 v120, 0, v6, vcc
	v_add_f64 v[62:63], v[62:63], v[120:121]
.LBB695_451:
	s_or_b64 exec, exec, s[46:47]
.LBB695_452:
	s_or_b64 exec, exec, s[42:43]
	v_pk_mov_b32 v[6:7], 0, 0
	v_pk_mov_b32 v[14:15], v[6:7], v[6:7] op_sel:[0,1]
	s_and_saveexec_b64 s[42:43], s[44:45]
	s_cbranch_execz .LBB695_456
; %bb.453:
	global_load_ubyte v2, v[4:5], off offset:544
	v_pk_mov_b32 v[14:15], 0, 0
	s_waitcnt vmcnt(0)
	v_and_b32_e32 v2, 1, v2
	v_cmp_eq_u32_e32 vcc, 1, v2
	s_xor_b64 s[4:5], vcc, -1
	s_and_saveexec_b64 s[44:45], s[4:5]
	s_cbranch_execz .LBB695_455
; %bb.454:
	s_mov_b32 s4, 0x652b82fe
	v_add_f64 v[2:3], v[26:27], -v[64:65]
	s_mov_b32 s5, 0x3ff71547
	v_mul_f64 v[8:9], v[2:3], s[4:5]
	s_mov_b32 s4, 0xfefa39ef
	v_rndne_f64_e32 v[8:9], v[8:9]
	s_mov_b32 s5, 0xbfe62e42
	v_fma_f64 v[14:15], s[4:5], v[8:9], v[2:3]
	s_mov_b32 s4, 0x3b39803f
	s_mov_b32 s5, 0xbc7abc9e
	v_fmac_f64_e32 v[14:15], s[4:5], v[8:9]
	s_mov_b32 s4, 0x6a5dcb37
	v_mov_b32_e32 v26, 0xfca7ab0c
	v_mov_b32_e32 v27, 0x3e928af3
	s_mov_b32 s5, 0x3e5ade15
	v_fmac_f64_e32 v[26:27], s[4:5], v[14:15]
	v_mov_b32_e32 v34, 0x623fde64
	v_mov_b32_e32 v35, 0x3ec71dee
	v_fmac_f64_e32 v[34:35], v[14:15], v[26:27]
	v_mov_b32_e32 v26, 0x7c89e6b0
	v_mov_b32_e32 v27, 0x3efa0199
	;; [unrolled: 3-line block ×8, first 2 shown]
	s_mov_b32 s4, 0
	v_fmac_f64_e32 v[26:27], v[14:15], v[34:35]
	s_mov_b32 s5, 0x40900000
	v_fma_f64 v[26:27], v[14:15], v[26:27], 1.0
	v_cmp_nlt_f64_e32 vcc, s[4:5], v[2:3]
	s_mov_b32 s4, 0
	v_fma_f64 v[14:15], v[14:15], v[26:27], 1.0
	v_cvt_i32_f64_e32 v8, v[8:9]
	s_mov_b32 s5, 0xc090cc00
	v_ldexp_f64 v[8:9], v[14:15], v8
	v_mov_b32_e32 v14, 0x7ff00000
	v_cmp_ngt_f64_e64 s[4:5], s[4:5], v[2:3]
	v_cndmask_b32_e32 v9, v14, v9, vcc
	s_and_b64 vcc, s[4:5], vcc
	v_cndmask_b32_e64 v15, 0, v9, s[4:5]
	v_cndmask_b32_e32 v14, 0, v8, vcc
	v_add_f64 v[62:63], v[62:63], v[14:15]
.LBB695_455:
	s_or_b64 exec, exec, s[44:45]
.LBB695_456:
	s_or_b64 exec, exec, s[42:43]
	s_and_saveexec_b64 s[42:43], s[40:41]
	s_cbranch_execz .LBB695_460
; %bb.457:
	global_load_ubyte v2, v[4:5], off offset:576
	v_pk_mov_b32 v[6:7], 0, 0
	s_waitcnt vmcnt(0)
	v_and_b32_e32 v2, 1, v2
	v_cmp_eq_u32_e32 vcc, 1, v2
	s_xor_b64 s[4:5], vcc, -1
	s_and_saveexec_b64 s[40:41], s[4:5]
	s_cbranch_execz .LBB695_459
; %bb.458:
	s_mov_b32 s4, 0x652b82fe
	v_add_f64 v[2:3], v[22:23], -v[64:65]
	s_mov_b32 s5, 0x3ff71547
	v_mul_f64 v[6:7], v[2:3], s[4:5]
	s_mov_b32 s4, 0xfefa39ef
	v_rndne_f64_e32 v[6:7], v[6:7]
	s_mov_b32 s5, 0xbfe62e42
	v_fma_f64 v[8:9], s[4:5], v[6:7], v[2:3]
	s_mov_b32 s4, 0x3b39803f
	s_mov_b32 s5, 0xbc7abc9e
	v_fmac_f64_e32 v[8:9], s[4:5], v[6:7]
	s_mov_b32 s4, 0x6a5dcb37
	v_mov_b32_e32 v22, 0xfca7ab0c
	v_mov_b32_e32 v23, 0x3e928af3
	s_mov_b32 s5, 0x3e5ade15
	v_fmac_f64_e32 v[22:23], s[4:5], v[8:9]
	v_mov_b32_e32 v26, 0x623fde64
	v_mov_b32_e32 v27, 0x3ec71dee
	v_fmac_f64_e32 v[26:27], v[8:9], v[22:23]
	v_mov_b32_e32 v22, 0x7c89e6b0
	v_mov_b32_e32 v23, 0x3efa0199
	;; [unrolled: 3-line block ×8, first 2 shown]
	s_mov_b32 s4, 0
	v_fmac_f64_e32 v[22:23], v[8:9], v[26:27]
	s_mov_b32 s5, 0x40900000
	v_fma_f64 v[22:23], v[8:9], v[22:23], 1.0
	v_cmp_nlt_f64_e32 vcc, s[4:5], v[2:3]
	s_mov_b32 s4, 0
	v_fma_f64 v[8:9], v[8:9], v[22:23], 1.0
	v_cvt_i32_f64_e32 v6, v[6:7]
	s_mov_b32 s5, 0xc090cc00
	v_ldexp_f64 v[6:7], v[8:9], v6
	v_mov_b32_e32 v8, 0x7ff00000
	v_cmp_ngt_f64_e64 s[4:5], s[4:5], v[2:3]
	v_cndmask_b32_e32 v7, v8, v7, vcc
	s_and_b64 vcc, s[4:5], vcc
	v_cndmask_b32_e64 v7, 0, v7, s[4:5]
	v_cndmask_b32_e32 v6, 0, v6, vcc
	v_add_f64 v[62:63], v[62:63], v[6:7]
.LBB695_459:
	s_or_b64 exec, exec, s[40:41]
.LBB695_460:
	s_or_b64 exec, exec, s[42:43]
	v_pk_mov_b32 v[22:23], 0, 0
	buffer_store_dword v22, off, s[96:99], 0 offset:160 ; 4-byte Folded Spill
	s_nop 0
	buffer_store_dword v23, off, s[96:99], 0 offset:164 ; 4-byte Folded Spill
	s_and_saveexec_b64 s[40:41], s[34:35]
	s_cbranch_execz .LBB695_464
; %bb.461:
	global_load_ubyte v2, v[4:5], off offset:608
	s_waitcnt vmcnt(0)
	v_and_b32_e32 v2, 1, v2
	v_cmp_eq_u32_e32 vcc, 1, v2
	s_xor_b64 s[4:5], vcc, -1
	v_pk_mov_b32 v[2:3], 0, 0
	buffer_store_dword v2, off, s[96:99], 0 offset:160 ; 4-byte Folded Spill
	s_nop 0
	buffer_store_dword v3, off, s[96:99], 0 offset:164 ; 4-byte Folded Spill
	s_and_saveexec_b64 s[34:35], s[4:5]
	s_cbranch_execz .LBB695_463
; %bb.462:
	s_mov_b32 s4, 0x652b82fe
	v_add_f64 v[2:3], v[30:31], -v[64:65]
	s_mov_b32 s5, 0x3ff71547
	v_mul_f64 v[8:9], v[2:3], s[4:5]
	s_mov_b32 s4, 0xfefa39ef
	v_rndne_f64_e32 v[8:9], v[8:9]
	s_mov_b32 s5, 0xbfe62e42
	v_fma_f64 v[26:27], s[4:5], v[8:9], v[2:3]
	s_mov_b32 s4, 0x3b39803f
	s_mov_b32 s5, 0xbc7abc9e
	v_fmac_f64_e32 v[26:27], s[4:5], v[8:9]
	s_mov_b32 s4, 0x6a5dcb37
	v_mov_b32_e32 v30, 0xfca7ab0c
	v_mov_b32_e32 v31, 0x3e928af3
	s_mov_b32 s5, 0x3e5ade15
	v_fmac_f64_e32 v[30:31], s[4:5], v[26:27]
	v_mov_b32_e32 v34, 0x623fde64
	v_mov_b32_e32 v35, 0x3ec71dee
	v_fmac_f64_e32 v[34:35], v[26:27], v[30:31]
	v_mov_b32_e32 v30, 0x7c89e6b0
	v_mov_b32_e32 v31, 0x3efa0199
	;; [unrolled: 3-line block ×8, first 2 shown]
	s_mov_b32 s4, 0
	v_fmac_f64_e32 v[30:31], v[26:27], v[34:35]
	s_mov_b32 s5, 0x40900000
	v_fma_f64 v[30:31], v[26:27], v[30:31], 1.0
	v_cmp_nlt_f64_e32 vcc, s[4:5], v[2:3]
	s_mov_b32 s4, 0
	v_fma_f64 v[26:27], v[26:27], v[30:31], 1.0
	v_cvt_i32_f64_e32 v8, v[8:9]
	s_mov_b32 s5, 0xc090cc00
	v_ldexp_f64 v[8:9], v[26:27], v8
	v_mov_b32_e32 v26, 0x7ff00000
	v_cmp_ngt_f64_e64 s[4:5], s[4:5], v[2:3]
	v_cndmask_b32_e32 v9, v26, v9, vcc
	s_and_b64 vcc, s[4:5], vcc
	v_cndmask_b32_e64 v3, 0, v9, s[4:5]
	v_cndmask_b32_e32 v2, 0, v8, vcc
	buffer_store_dword v2, off, s[96:99], 0 offset:160 ; 4-byte Folded Spill
	s_nop 0
	buffer_store_dword v3, off, s[96:99], 0 offset:164 ; 4-byte Folded Spill
	v_add_f64 v[62:63], v[62:63], v[2:3]
.LBB695_463:
	s_or_b64 exec, exec, s[34:35]
.LBB695_464:
	s_or_b64 exec, exec, s[40:41]
	s_and_saveexec_b64 s[34:35], s[30:31]
	s_cbranch_execz .LBB695_468
; %bb.465:
	global_load_ubyte v2, v[4:5], off offset:640
	v_pk_mov_b32 v[22:23], 0, 0
	s_waitcnt vmcnt(0)
	v_and_b32_e32 v2, 1, v2
	v_cmp_eq_u32_e32 vcc, 1, v2
	s_xor_b64 s[4:5], vcc, -1
	s_and_saveexec_b64 s[30:31], s[4:5]
	s_cbranch_execz .LBB695_467
; %bb.466:
	s_mov_b32 s4, 0x652b82fe
	v_add_f64 v[2:3], v[18:19], -v[64:65]
	s_mov_b32 s5, 0x3ff71547
	v_mul_f64 v[8:9], v[2:3], s[4:5]
	s_mov_b32 s4, 0xfefa39ef
	v_rndne_f64_e32 v[8:9], v[8:9]
	s_mov_b32 s5, 0xbfe62e42
	v_fma_f64 v[18:19], s[4:5], v[8:9], v[2:3]
	s_mov_b32 s4, 0x3b39803f
	s_mov_b32 s5, 0xbc7abc9e
	v_fmac_f64_e32 v[18:19], s[4:5], v[8:9]
	s_mov_b32 s4, 0x6a5dcb37
	v_mov_b32_e32 v22, 0xfca7ab0c
	v_mov_b32_e32 v23, 0x3e928af3
	s_mov_b32 s5, 0x3e5ade15
	v_fmac_f64_e32 v[22:23], s[4:5], v[18:19]
	v_mov_b32_e32 v30, 0x623fde64
	v_mov_b32_e32 v31, 0x3ec71dee
	v_fmac_f64_e32 v[30:31], v[18:19], v[22:23]
	v_mov_b32_e32 v22, 0x7c89e6b0
	v_mov_b32_e32 v23, 0x3efa0199
	;; [unrolled: 3-line block ×8, first 2 shown]
	s_mov_b32 s4, 0
	v_fmac_f64_e32 v[22:23], v[18:19], v[30:31]
	s_mov_b32 s5, 0x40900000
	v_fma_f64 v[22:23], v[18:19], v[22:23], 1.0
	v_cmp_nlt_f64_e32 vcc, s[4:5], v[2:3]
	s_mov_b32 s4, 0
	v_fma_f64 v[18:19], v[18:19], v[22:23], 1.0
	v_cvt_i32_f64_e32 v8, v[8:9]
	s_mov_b32 s5, 0xc090cc00
	v_ldexp_f64 v[8:9], v[18:19], v8
	v_mov_b32_e32 v18, 0x7ff00000
	v_cmp_ngt_f64_e64 s[4:5], s[4:5], v[2:3]
	v_cndmask_b32_e32 v9, v18, v9, vcc
	s_and_b64 vcc, s[4:5], vcc
	v_cndmask_b32_e64 v23, 0, v9, s[4:5]
	v_cndmask_b32_e32 v22, 0, v8, vcc
	v_add_f64 v[62:63], v[62:63], v[22:23]
.LBB695_467:
	s_or_b64 exec, exec, s[30:31]
.LBB695_468:
	s_or_b64 exec, exec, s[34:35]
	v_pk_mov_b32 v[18:19], 0, 0
	v_pk_mov_b32 v[30:31], v[18:19], v[18:19] op_sel:[0,1]
	s_and_saveexec_b64 s[30:31], s[28:29]
	s_cbranch_execz .LBB695_472
; %bb.469:
	global_load_ubyte v2, v[4:5], off offset:672
	v_pk_mov_b32 v[30:31], 0, 0
	s_waitcnt vmcnt(0)
	v_and_b32_e32 v2, 1, v2
	v_cmp_eq_u32_e32 vcc, 1, v2
	s_xor_b64 s[4:5], vcc, -1
	s_and_saveexec_b64 s[28:29], s[4:5]
	s_cbranch_execz .LBB695_471
; %bb.470:
	s_mov_b32 s4, 0x652b82fe
	v_add_f64 v[2:3], v[10:11], -v[64:65]
	s_mov_b32 s5, 0x3ff71547
	v_mul_f64 v[8:9], v[2:3], s[4:5]
	s_mov_b32 s4, 0xfefa39ef
	v_rndne_f64_e32 v[8:9], v[8:9]
	s_mov_b32 s5, 0xbfe62e42
	v_fma_f64 v[10:11], s[4:5], v[8:9], v[2:3]
	s_mov_b32 s4, 0x3b39803f
	s_mov_b32 s5, 0xbc7abc9e
	v_fmac_f64_e32 v[10:11], s[4:5], v[8:9]
	s_mov_b32 s4, 0x6a5dcb37
	v_mov_b32_e32 v30, 0xfca7ab0c
	v_mov_b32_e32 v31, 0x3e928af3
	s_mov_b32 s5, 0x3e5ade15
	v_fmac_f64_e32 v[30:31], s[4:5], v[10:11]
	v_mov_b32_e32 v34, 0x623fde64
	v_mov_b32_e32 v35, 0x3ec71dee
	v_fmac_f64_e32 v[34:35], v[10:11], v[30:31]
	v_mov_b32_e32 v30, 0x7c89e6b0
	v_mov_b32_e32 v31, 0x3efa0199
	;; [unrolled: 3-line block ×8, first 2 shown]
	s_mov_b32 s4, 0
	v_fmac_f64_e32 v[30:31], v[10:11], v[34:35]
	s_mov_b32 s5, 0x40900000
	v_fma_f64 v[30:31], v[10:11], v[30:31], 1.0
	v_cmp_nlt_f64_e32 vcc, s[4:5], v[2:3]
	s_mov_b32 s4, 0
	v_fma_f64 v[10:11], v[10:11], v[30:31], 1.0
	v_cvt_i32_f64_e32 v8, v[8:9]
	s_mov_b32 s5, 0xc090cc00
	v_ldexp_f64 v[8:9], v[10:11], v8
	v_mov_b32_e32 v10, 0x7ff00000
	v_cmp_ngt_f64_e64 s[4:5], s[4:5], v[2:3]
	v_cndmask_b32_e32 v9, v10, v9, vcc
	s_and_b64 vcc, s[4:5], vcc
	v_cndmask_b32_e64 v31, 0, v9, s[4:5]
	v_cndmask_b32_e32 v30, 0, v8, vcc
	v_add_f64 v[62:63], v[62:63], v[30:31]
.LBB695_471:
	s_or_b64 exec, exec, s[28:29]
.LBB695_472:
	s_or_b64 exec, exec, s[30:31]
	s_and_saveexec_b64 s[28:29], s[26:27]
	s_cbranch_execz .LBB695_476
; %bb.473:
	global_load_ubyte v2, v[4:5], off offset:704
	v_pk_mov_b32 v[18:19], 0, 0
	s_waitcnt vmcnt(0)
	v_and_b32_e32 v2, 1, v2
	v_cmp_eq_u32_e32 vcc, 1, v2
	s_xor_b64 s[4:5], vcc, -1
	s_and_saveexec_b64 s[26:27], s[4:5]
	s_cbranch_execz .LBB695_475
; %bb.474:
	s_mov_b32 s4, 0x652b82fe
	v_add_f64 v[0:1], v[0:1], -v[64:65]
	s_mov_b32 s5, 0x3ff71547
	v_mul_f64 v[2:3], v[0:1], s[4:5]
	s_mov_b32 s4, 0xfefa39ef
	v_rndne_f64_e32 v[2:3], v[2:3]
	s_mov_b32 s5, 0xbfe62e42
	v_fma_f64 v[8:9], s[4:5], v[2:3], v[0:1]
	s_mov_b32 s4, 0x3b39803f
	s_mov_b32 s5, 0xbc7abc9e
	v_fmac_f64_e32 v[8:9], s[4:5], v[2:3]
	s_mov_b32 s4, 0x6a5dcb37
	v_mov_b32_e32 v10, 0xfca7ab0c
	v_mov_b32_e32 v11, 0x3e928af3
	s_mov_b32 s5, 0x3e5ade15
	v_fmac_f64_e32 v[10:11], s[4:5], v[8:9]
	v_mov_b32_e32 v18, 0x623fde64
	v_mov_b32_e32 v19, 0x3ec71dee
	v_fmac_f64_e32 v[18:19], v[8:9], v[10:11]
	v_mov_b32_e32 v10, 0x7c89e6b0
	v_mov_b32_e32 v11, 0x3efa0199
	v_fmac_f64_e32 v[10:11], v[8:9], v[18:19]
	v_mov_b32_e32 v18, 0x14761f6e
	v_mov_b32_e32 v19, 0x3f2a01a0
	v_fmac_f64_e32 v[18:19], v[8:9], v[10:11]
	v_mov_b32_e32 v10, 0x1852b7b0
	v_mov_b32_e32 v11, 0x3f56c16c
	v_fmac_f64_e32 v[10:11], v[8:9], v[18:19]
	v_mov_b32_e32 v18, 0x11122322
	v_mov_b32_e32 v19, 0x3f811111
	v_fmac_f64_e32 v[18:19], v[8:9], v[10:11]
	v_mov_b32_e32 v10, 0x555502a1
	v_mov_b32_e32 v11, 0x3fa55555
	v_fmac_f64_e32 v[10:11], v[8:9], v[18:19]
	v_mov_b32_e32 v18, 0x55555511
	v_mov_b32_e32 v19, 0x3fc55555
	v_fmac_f64_e32 v[18:19], v[8:9], v[10:11]
	v_mov_b32_e32 v10, 11
	v_mov_b32_e32 v11, 0x3fe00000
	s_mov_b32 s4, 0
	v_fmac_f64_e32 v[10:11], v[8:9], v[18:19]
	s_mov_b32 s5, 0x40900000
	v_fma_f64 v[10:11], v[8:9], v[10:11], 1.0
	v_cmp_nlt_f64_e32 vcc, s[4:5], v[0:1]
	s_mov_b32 s4, 0
	v_fma_f64 v[8:9], v[8:9], v[10:11], 1.0
	v_cvt_i32_f64_e32 v2, v[2:3]
	s_mov_b32 s5, 0xc090cc00
	v_ldexp_f64 v[2:3], v[8:9], v2
	v_mov_b32_e32 v8, 0x7ff00000
	v_cmp_ngt_f64_e64 s[4:5], s[4:5], v[0:1]
	v_cndmask_b32_e32 v3, v8, v3, vcc
	s_and_b64 vcc, s[4:5], vcc
	v_cndmask_b32_e64 v19, 0, v3, s[4:5]
	v_cndmask_b32_e32 v18, 0, v2, vcc
	v_add_f64 v[62:63], v[62:63], v[18:19]
.LBB695_475:
	s_or_b64 exec, exec, s[26:27]
.LBB695_476:
	s_or_b64 exec, exec, s[28:29]
	v_pk_mov_b32 v[0:1], 0, 0
	v_pk_mov_b32 v[10:11], v[0:1], v[0:1] op_sel:[0,1]
	s_and_saveexec_b64 s[26:27], s[24:25]
	s_cbranch_execz .LBB695_480
; %bb.477:
	global_load_ubyte v2, v[4:5], off offset:736
	v_pk_mov_b32 v[10:11], 0, 0
	s_waitcnt vmcnt(0)
	v_and_b32_e32 v2, 1, v2
	v_cmp_eq_u32_e32 vcc, 1, v2
	s_xor_b64 s[4:5], vcc, -1
	s_and_saveexec_b64 s[24:25], s[4:5]
	s_cbranch_execz .LBB695_479
; %bb.478:
	s_mov_b32 s4, 0x652b82fe
	v_add_f64 v[2:3], v[118:119], -v[64:65]
	s_mov_b32 s5, 0x3ff71547
	v_mul_f64 v[8:9], v[2:3], s[4:5]
	s_mov_b32 s4, 0xfefa39ef
	v_rndne_f64_e32 v[8:9], v[8:9]
	s_mov_b32 s5, 0xbfe62e42
	v_fma_f64 v[10:11], s[4:5], v[8:9], v[2:3]
	s_mov_b32 s4, 0x3b39803f
	s_mov_b32 s5, 0xbc7abc9e
	v_fmac_f64_e32 v[10:11], s[4:5], v[8:9]
	s_mov_b32 s4, 0x6a5dcb37
	v_mov_b32_e32 v34, 0xfca7ab0c
	v_mov_b32_e32 v35, 0x3e928af3
	s_mov_b32 s5, 0x3e5ade15
	v_fmac_f64_e32 v[34:35], s[4:5], v[10:11]
	v_mov_b32_e32 v74, 0x623fde64
	v_mov_b32_e32 v75, 0x3ec71dee
	v_fmac_f64_e32 v[74:75], v[10:11], v[34:35]
	v_mov_b32_e32 v34, 0x7c89e6b0
	v_mov_b32_e32 v35, 0x3efa0199
	;; [unrolled: 3-line block ×8, first 2 shown]
	s_mov_b32 s4, 0
	v_fmac_f64_e32 v[34:35], v[10:11], v[74:75]
	s_mov_b32 s5, 0x40900000
	v_fma_f64 v[34:35], v[10:11], v[34:35], 1.0
	v_cmp_nlt_f64_e32 vcc, s[4:5], v[2:3]
	s_mov_b32 s4, 0
	v_fma_f64 v[10:11], v[10:11], v[34:35], 1.0
	v_cvt_i32_f64_e32 v8, v[8:9]
	s_mov_b32 s5, 0xc090cc00
	v_ldexp_f64 v[8:9], v[10:11], v8
	v_mov_b32_e32 v10, 0x7ff00000
	v_cmp_ngt_f64_e64 s[4:5], s[4:5], v[2:3]
	v_cndmask_b32_e32 v9, v10, v9, vcc
	s_and_b64 vcc, s[4:5], vcc
	v_cndmask_b32_e64 v11, 0, v9, s[4:5]
	v_cndmask_b32_e32 v10, 0, v8, vcc
	v_add_f64 v[62:63], v[62:63], v[10:11]
.LBB695_479:
	s_or_b64 exec, exec, s[24:25]
.LBB695_480:
	s_or_b64 exec, exec, s[26:27]
	s_and_saveexec_b64 s[24:25], s[22:23]
	s_cbranch_execz .LBB695_484
; %bb.481:
	global_load_ubyte v0, v[4:5], off offset:768
	s_waitcnt vmcnt(0)
	v_and_b32_e32 v0, 1, v0
	v_cmp_eq_u32_e32 vcc, 1, v0
	s_xor_b64 s[4:5], vcc, -1
	v_pk_mov_b32 v[0:1], 0, 0
	s_and_saveexec_b64 s[22:23], s[4:5]
	s_cbranch_execz .LBB695_483
; %bb.482:
	s_mov_b32 s4, 0x652b82fe
	v_add_f64 v[0:1], v[116:117], -v[64:65]
	s_mov_b32 s5, 0x3ff71547
	v_mul_f64 v[2:3], v[0:1], s[4:5]
	s_mov_b32 s4, 0xfefa39ef
	v_rndne_f64_e32 v[2:3], v[2:3]
	s_mov_b32 s5, 0xbfe62e42
	v_fma_f64 v[8:9], s[4:5], v[2:3], v[0:1]
	s_mov_b32 s4, 0x3b39803f
	s_mov_b32 s5, 0xbc7abc9e
	v_fmac_f64_e32 v[8:9], s[4:5], v[2:3]
	s_mov_b32 s4, 0x6a5dcb37
	v_mov_b32_e32 v34, 0xfca7ab0c
	v_mov_b32_e32 v35, 0x3e928af3
	s_mov_b32 s5, 0x3e5ade15
	v_fmac_f64_e32 v[34:35], s[4:5], v[8:9]
	v_mov_b32_e32 v74, 0x623fde64
	v_mov_b32_e32 v75, 0x3ec71dee
	v_fmac_f64_e32 v[74:75], v[8:9], v[34:35]
	v_mov_b32_e32 v34, 0x7c89e6b0
	v_mov_b32_e32 v35, 0x3efa0199
	;; [unrolled: 3-line block ×8, first 2 shown]
	s_mov_b32 s4, 0
	v_fmac_f64_e32 v[34:35], v[8:9], v[74:75]
	s_mov_b32 s5, 0x40900000
	v_fma_f64 v[34:35], v[8:9], v[34:35], 1.0
	v_cmp_nlt_f64_e32 vcc, s[4:5], v[0:1]
	s_mov_b32 s4, 0
	v_fma_f64 v[8:9], v[8:9], v[34:35], 1.0
	v_cvt_i32_f64_e32 v2, v[2:3]
	s_mov_b32 s5, 0xc090cc00
	v_ldexp_f64 v[2:3], v[8:9], v2
	v_mov_b32_e32 v8, 0x7ff00000
	v_cmp_ngt_f64_e64 s[4:5], s[4:5], v[0:1]
	v_cndmask_b32_e32 v3, v8, v3, vcc
	s_and_b64 vcc, s[4:5], vcc
	v_cndmask_b32_e64 v1, 0, v3, s[4:5]
	v_cndmask_b32_e32 v0, 0, v2, vcc
	v_add_f64 v[62:63], v[62:63], v[0:1]
.LBB695_483:
	s_or_b64 exec, exec, s[22:23]
.LBB695_484:
	s_or_b64 exec, exec, s[24:25]
	v_pk_mov_b32 v[116:117], 0, 0
	v_pk_mov_b32 v[118:119], v[116:117], v[116:117] op_sel:[0,1]
	s_and_saveexec_b64 s[22:23], s[20:21]
	s_cbranch_execz .LBB695_488
; %bb.485:
	global_load_ubyte v2, v[4:5], off offset:800
	v_pk_mov_b32 v[118:119], 0, 0
	s_waitcnt vmcnt(0)
	v_and_b32_e32 v2, 1, v2
	v_cmp_eq_u32_e32 vcc, 1, v2
	s_xor_b64 s[4:5], vcc, -1
	s_and_saveexec_b64 s[20:21], s[4:5]
	s_cbranch_execz .LBB695_487
; %bb.486:
	s_mov_b32 s4, 0x652b82fe
	v_add_f64 v[2:3], v[110:111], -v[64:65]
	s_mov_b32 s5, 0x3ff71547
	v_mul_f64 v[8:9], v[2:3], s[4:5]
	s_mov_b32 s4, 0xfefa39ef
	v_rndne_f64_e32 v[8:9], v[8:9]
	s_mov_b32 s5, 0xbfe62e42
	v_fma_f64 v[34:35], s[4:5], v[8:9], v[2:3]
	s_mov_b32 s4, 0x3b39803f
	s_mov_b32 s5, 0xbc7abc9e
	v_fmac_f64_e32 v[34:35], s[4:5], v[8:9]
	s_mov_b32 s4, 0x6a5dcb37
	v_mov_b32_e32 v74, 0xfca7ab0c
	v_mov_b32_e32 v75, 0x3e928af3
	s_mov_b32 s5, 0x3e5ade15
	v_fmac_f64_e32 v[74:75], s[4:5], v[34:35]
	v_mov_b32_e32 v82, 0x623fde64
	v_mov_b32_e32 v83, 0x3ec71dee
	v_fmac_f64_e32 v[82:83], v[34:35], v[74:75]
	v_mov_b32_e32 v74, 0x7c89e6b0
	v_mov_b32_e32 v75, 0x3efa0199
	;; [unrolled: 3-line block ×8, first 2 shown]
	s_mov_b32 s4, 0
	v_fmac_f64_e32 v[74:75], v[34:35], v[82:83]
	s_mov_b32 s5, 0x40900000
	v_fma_f64 v[74:75], v[34:35], v[74:75], 1.0
	v_cmp_nlt_f64_e32 vcc, s[4:5], v[2:3]
	s_mov_b32 s4, 0
	v_fma_f64 v[34:35], v[34:35], v[74:75], 1.0
	v_cvt_i32_f64_e32 v8, v[8:9]
	s_mov_b32 s5, 0xc090cc00
	v_ldexp_f64 v[8:9], v[34:35], v8
	v_mov_b32_e32 v34, 0x7ff00000
	v_cmp_ngt_f64_e64 s[4:5], s[4:5], v[2:3]
	v_cndmask_b32_e32 v9, v34, v9, vcc
	s_and_b64 vcc, s[4:5], vcc
	v_cndmask_b32_e64 v119, 0, v9, s[4:5]
	v_cndmask_b32_e32 v118, 0, v8, vcc
	v_add_f64 v[62:63], v[62:63], v[118:119]
.LBB695_487:
	s_or_b64 exec, exec, s[20:21]
.LBB695_488:
	s_or_b64 exec, exec, s[22:23]
	s_and_saveexec_b64 s[20:21], s[18:19]
	s_cbranch_execz .LBB695_492
; %bb.489:
	global_load_ubyte v2, v[4:5], off offset:832
	v_pk_mov_b32 v[116:117], 0, 0
	s_waitcnt vmcnt(0)
	v_and_b32_e32 v2, 1, v2
	v_cmp_eq_u32_e32 vcc, 1, v2
	s_xor_b64 s[4:5], vcc, -1
	s_and_saveexec_b64 s[18:19], s[4:5]
	s_cbranch_execz .LBB695_491
; %bb.490:
	s_mov_b32 s4, 0x652b82fe
	v_add_f64 v[2:3], v[108:109], -v[64:65]
	s_mov_b32 s5, 0x3ff71547
	v_mul_f64 v[8:9], v[2:3], s[4:5]
	s_mov_b32 s4, 0xfefa39ef
	v_rndne_f64_e32 v[8:9], v[8:9]
	s_mov_b32 s5, 0xbfe62e42
	v_fma_f64 v[34:35], s[4:5], v[8:9], v[2:3]
	s_mov_b32 s4, 0x3b39803f
	s_mov_b32 s5, 0xbc7abc9e
	v_fmac_f64_e32 v[34:35], s[4:5], v[8:9]
	s_mov_b32 s4, 0x6a5dcb37
	v_mov_b32_e32 v74, 0xfca7ab0c
	v_mov_b32_e32 v75, 0x3e928af3
	s_mov_b32 s5, 0x3e5ade15
	v_fmac_f64_e32 v[74:75], s[4:5], v[34:35]
	v_mov_b32_e32 v82, 0x623fde64
	v_mov_b32_e32 v83, 0x3ec71dee
	v_fmac_f64_e32 v[82:83], v[34:35], v[74:75]
	v_mov_b32_e32 v74, 0x7c89e6b0
	v_mov_b32_e32 v75, 0x3efa0199
	;; [unrolled: 3-line block ×8, first 2 shown]
	s_mov_b32 s4, 0
	v_fmac_f64_e32 v[74:75], v[34:35], v[82:83]
	s_mov_b32 s5, 0x40900000
	v_fma_f64 v[74:75], v[34:35], v[74:75], 1.0
	v_cmp_nlt_f64_e32 vcc, s[4:5], v[2:3]
	s_mov_b32 s4, 0
	v_fma_f64 v[34:35], v[34:35], v[74:75], 1.0
	v_cvt_i32_f64_e32 v8, v[8:9]
	s_mov_b32 s5, 0xc090cc00
	v_ldexp_f64 v[8:9], v[34:35], v8
	v_mov_b32_e32 v34, 0x7ff00000
	v_cmp_ngt_f64_e64 s[4:5], s[4:5], v[2:3]
	v_cndmask_b32_e32 v9, v34, v9, vcc
	s_and_b64 vcc, s[4:5], vcc
	v_cndmask_b32_e64 v117, 0, v9, s[4:5]
	v_cndmask_b32_e32 v116, 0, v8, vcc
	v_add_f64 v[62:63], v[62:63], v[116:117]
.LBB695_491:
	s_or_b64 exec, exec, s[18:19]
.LBB695_492:
	s_or_b64 exec, exec, s[20:21]
	v_pk_mov_b32 v[108:109], 0, 0
	v_pk_mov_b32 v[110:111], v[108:109], v[108:109] op_sel:[0,1]
	s_and_saveexec_b64 s[18:19], s[16:17]
	s_cbranch_execz .LBB695_496
; %bb.493:
	global_load_ubyte v2, v[4:5], off offset:864
	v_pk_mov_b32 v[110:111], 0, 0
	s_waitcnt vmcnt(0)
	v_and_b32_e32 v2, 1, v2
	v_cmp_eq_u32_e32 vcc, 1, v2
	s_xor_b64 s[4:5], vcc, -1
	s_and_saveexec_b64 s[16:17], s[4:5]
	s_cbranch_execz .LBB695_495
; %bb.494:
	s_mov_b32 s4, 0x652b82fe
	v_add_f64 v[2:3], v[102:103], -v[64:65]
	s_mov_b32 s5, 0x3ff71547
	v_mul_f64 v[8:9], v[2:3], s[4:5]
	s_mov_b32 s4, 0xfefa39ef
	v_rndne_f64_e32 v[8:9], v[8:9]
	s_mov_b32 s5, 0xbfe62e42
	v_fma_f64 v[34:35], s[4:5], v[8:9], v[2:3]
	s_mov_b32 s4, 0x3b39803f
	s_mov_b32 s5, 0xbc7abc9e
	v_fmac_f64_e32 v[34:35], s[4:5], v[8:9]
	s_mov_b32 s4, 0x6a5dcb37
	v_mov_b32_e32 v74, 0xfca7ab0c
	v_mov_b32_e32 v75, 0x3e928af3
	s_mov_b32 s5, 0x3e5ade15
	v_fmac_f64_e32 v[74:75], s[4:5], v[34:35]
	v_mov_b32_e32 v82, 0x623fde64
	v_mov_b32_e32 v83, 0x3ec71dee
	v_fmac_f64_e32 v[82:83], v[34:35], v[74:75]
	v_mov_b32_e32 v74, 0x7c89e6b0
	v_mov_b32_e32 v75, 0x3efa0199
	;; [unrolled: 3-line block ×8, first 2 shown]
	s_mov_b32 s4, 0
	v_fmac_f64_e32 v[74:75], v[34:35], v[82:83]
	s_mov_b32 s5, 0x40900000
	v_fma_f64 v[74:75], v[34:35], v[74:75], 1.0
	v_cmp_nlt_f64_e32 vcc, s[4:5], v[2:3]
	s_mov_b32 s4, 0
	v_fma_f64 v[34:35], v[34:35], v[74:75], 1.0
	v_cvt_i32_f64_e32 v8, v[8:9]
	s_mov_b32 s5, 0xc090cc00
	v_ldexp_f64 v[8:9], v[34:35], v8
	v_mov_b32_e32 v34, 0x7ff00000
	v_cmp_ngt_f64_e64 s[4:5], s[4:5], v[2:3]
	v_cndmask_b32_e32 v9, v34, v9, vcc
	s_and_b64 vcc, s[4:5], vcc
	v_cndmask_b32_e64 v111, 0, v9, s[4:5]
	v_cndmask_b32_e32 v110, 0, v8, vcc
	v_add_f64 v[62:63], v[62:63], v[110:111]
.LBB695_495:
	s_or_b64 exec, exec, s[16:17]
.LBB695_496:
	s_or_b64 exec, exec, s[18:19]
	s_and_saveexec_b64 s[16:17], s[14:15]
	s_cbranch_execz .LBB695_500
; %bb.497:
	global_load_ubyte v2, v[4:5], off offset:896
	v_pk_mov_b32 v[108:109], 0, 0
	s_waitcnt vmcnt(0)
	v_and_b32_e32 v2, 1, v2
	v_cmp_eq_u32_e32 vcc, 1, v2
	s_xor_b64 s[4:5], vcc, -1
	s_and_saveexec_b64 s[14:15], s[4:5]
	s_cbranch_execz .LBB695_499
; %bb.498:
	s_mov_b32 s4, 0x652b82fe
	v_add_f64 v[2:3], v[100:101], -v[64:65]
	s_mov_b32 s5, 0x3ff71547
	v_mul_f64 v[8:9], v[2:3], s[4:5]
	s_mov_b32 s4, 0xfefa39ef
	v_rndne_f64_e32 v[8:9], v[8:9]
	s_mov_b32 s5, 0xbfe62e42
	v_fma_f64 v[34:35], s[4:5], v[8:9], v[2:3]
	s_mov_b32 s4, 0x3b39803f
	s_mov_b32 s5, 0xbc7abc9e
	v_fmac_f64_e32 v[34:35], s[4:5], v[8:9]
	s_mov_b32 s4, 0x6a5dcb37
	v_mov_b32_e32 v74, 0xfca7ab0c
	v_mov_b32_e32 v75, 0x3e928af3
	s_mov_b32 s5, 0x3e5ade15
	v_fmac_f64_e32 v[74:75], s[4:5], v[34:35]
	v_mov_b32_e32 v82, 0x623fde64
	v_mov_b32_e32 v83, 0x3ec71dee
	v_fmac_f64_e32 v[82:83], v[34:35], v[74:75]
	v_mov_b32_e32 v74, 0x7c89e6b0
	v_mov_b32_e32 v75, 0x3efa0199
	;; [unrolled: 3-line block ×8, first 2 shown]
	s_mov_b32 s4, 0
	v_fmac_f64_e32 v[74:75], v[34:35], v[82:83]
	s_mov_b32 s5, 0x40900000
	v_fma_f64 v[74:75], v[34:35], v[74:75], 1.0
	v_cmp_nlt_f64_e32 vcc, s[4:5], v[2:3]
	s_mov_b32 s4, 0
	v_fma_f64 v[34:35], v[34:35], v[74:75], 1.0
	v_cvt_i32_f64_e32 v8, v[8:9]
	s_mov_b32 s5, 0xc090cc00
	v_ldexp_f64 v[8:9], v[34:35], v8
	v_mov_b32_e32 v34, 0x7ff00000
	v_cmp_ngt_f64_e64 s[4:5], s[4:5], v[2:3]
	v_cndmask_b32_e32 v9, v34, v9, vcc
	s_and_b64 vcc, s[4:5], vcc
	v_cndmask_b32_e64 v109, 0, v9, s[4:5]
	v_cndmask_b32_e32 v108, 0, v8, vcc
	v_add_f64 v[62:63], v[62:63], v[108:109]
.LBB695_499:
	s_or_b64 exec, exec, s[14:15]
.LBB695_500:
	s_or_b64 exec, exec, s[16:17]
	v_pk_mov_b32 v[100:101], 0, 0
	v_pk_mov_b32 v[102:103], v[100:101], v[100:101] op_sel:[0,1]
	s_and_saveexec_b64 s[14:15], s[12:13]
	s_cbranch_execz .LBB695_504
; %bb.501:
	global_load_ubyte v2, v[4:5], off offset:928
	v_pk_mov_b32 v[102:103], 0, 0
	s_waitcnt vmcnt(0)
	v_and_b32_e32 v2, 1, v2
	v_cmp_eq_u32_e32 vcc, 1, v2
	s_xor_b64 s[4:5], vcc, -1
	s_and_saveexec_b64 s[12:13], s[4:5]
	s_cbranch_execz .LBB695_503
; %bb.502:
	s_mov_b32 s4, 0x652b82fe
	v_add_f64 v[2:3], v[94:95], -v[64:65]
	s_mov_b32 s5, 0x3ff71547
	v_mul_f64 v[8:9], v[2:3], s[4:5]
	s_mov_b32 s4, 0xfefa39ef
	v_rndne_f64_e32 v[8:9], v[8:9]
	s_mov_b32 s5, 0xbfe62e42
	v_fma_f64 v[34:35], s[4:5], v[8:9], v[2:3]
	s_mov_b32 s4, 0x3b39803f
	s_mov_b32 s5, 0xbc7abc9e
	v_fmac_f64_e32 v[34:35], s[4:5], v[8:9]
	s_mov_b32 s4, 0x6a5dcb37
	v_mov_b32_e32 v74, 0xfca7ab0c
	v_mov_b32_e32 v75, 0x3e928af3
	s_mov_b32 s5, 0x3e5ade15
	v_fmac_f64_e32 v[74:75], s[4:5], v[34:35]
	v_mov_b32_e32 v82, 0x623fde64
	v_mov_b32_e32 v83, 0x3ec71dee
	v_fmac_f64_e32 v[82:83], v[34:35], v[74:75]
	v_mov_b32_e32 v74, 0x7c89e6b0
	v_mov_b32_e32 v75, 0x3efa0199
	;; [unrolled: 3-line block ×8, first 2 shown]
	s_mov_b32 s4, 0
	v_fmac_f64_e32 v[74:75], v[34:35], v[82:83]
	s_mov_b32 s5, 0x40900000
	v_fma_f64 v[74:75], v[34:35], v[74:75], 1.0
	v_cmp_nlt_f64_e32 vcc, s[4:5], v[2:3]
	s_mov_b32 s4, 0
	v_fma_f64 v[34:35], v[34:35], v[74:75], 1.0
	v_cvt_i32_f64_e32 v8, v[8:9]
	s_mov_b32 s5, 0xc090cc00
	v_ldexp_f64 v[8:9], v[34:35], v8
	v_mov_b32_e32 v34, 0x7ff00000
	v_cmp_ngt_f64_e64 s[4:5], s[4:5], v[2:3]
	v_cndmask_b32_e32 v9, v34, v9, vcc
	s_and_b64 vcc, s[4:5], vcc
	v_cndmask_b32_e64 v103, 0, v9, s[4:5]
	v_cndmask_b32_e32 v102, 0, v8, vcc
	v_add_f64 v[62:63], v[62:63], v[102:103]
.LBB695_503:
	s_or_b64 exec, exec, s[12:13]
.LBB695_504:
	s_or_b64 exec, exec, s[14:15]
	s_and_saveexec_b64 s[12:13], s[10:11]
	s_cbranch_execz .LBB695_508
; %bb.505:
	global_load_ubyte v2, v[4:5], off offset:960
	v_pk_mov_b32 v[100:101], 0, 0
	s_waitcnt vmcnt(0)
	v_and_b32_e32 v2, 1, v2
	v_cmp_eq_u32_e32 vcc, 1, v2
	s_xor_b64 s[4:5], vcc, -1
	s_and_saveexec_b64 s[10:11], s[4:5]
	s_cbranch_execz .LBB695_507
; %bb.506:
	s_mov_b32 s4, 0x652b82fe
	v_add_f64 v[2:3], v[92:93], -v[64:65]
	s_mov_b32 s5, 0x3ff71547
	v_mul_f64 v[8:9], v[2:3], s[4:5]
	s_mov_b32 s4, 0xfefa39ef
	v_rndne_f64_e32 v[8:9], v[8:9]
	s_mov_b32 s5, 0xbfe62e42
	v_fma_f64 v[34:35], s[4:5], v[8:9], v[2:3]
	s_mov_b32 s4, 0x3b39803f
	s_mov_b32 s5, 0xbc7abc9e
	v_fmac_f64_e32 v[34:35], s[4:5], v[8:9]
	s_mov_b32 s4, 0x6a5dcb37
	v_mov_b32_e32 v74, 0xfca7ab0c
	v_mov_b32_e32 v75, 0x3e928af3
	s_mov_b32 s5, 0x3e5ade15
	v_fmac_f64_e32 v[74:75], s[4:5], v[34:35]
	v_mov_b32_e32 v82, 0x623fde64
	v_mov_b32_e32 v83, 0x3ec71dee
	v_fmac_f64_e32 v[82:83], v[34:35], v[74:75]
	v_mov_b32_e32 v74, 0x7c89e6b0
	v_mov_b32_e32 v75, 0x3efa0199
	v_fmac_f64_e32 v[74:75], v[34:35], v[82:83]
	v_mov_b32_e32 v82, 0x14761f6e
	v_mov_b32_e32 v83, 0x3f2a01a0
	v_fmac_f64_e32 v[82:83], v[34:35], v[74:75]
	v_mov_b32_e32 v74, 0x1852b7b0
	v_mov_b32_e32 v75, 0x3f56c16c
	v_fmac_f64_e32 v[74:75], v[34:35], v[82:83]
	v_mov_b32_e32 v82, 0x11122322
	v_mov_b32_e32 v83, 0x3f811111
	v_fmac_f64_e32 v[82:83], v[34:35], v[74:75]
	v_mov_b32_e32 v74, 0x555502a1
	v_mov_b32_e32 v75, 0x3fa55555
	v_fmac_f64_e32 v[74:75], v[34:35], v[82:83]
	v_mov_b32_e32 v82, 0x55555511
	v_mov_b32_e32 v83, 0x3fc55555
	v_fmac_f64_e32 v[82:83], v[34:35], v[74:75]
	v_mov_b32_e32 v74, 11
	v_mov_b32_e32 v75, 0x3fe00000
	s_mov_b32 s4, 0
	v_fmac_f64_e32 v[74:75], v[34:35], v[82:83]
	s_mov_b32 s5, 0x40900000
	v_fma_f64 v[74:75], v[34:35], v[74:75], 1.0
	v_cmp_nlt_f64_e32 vcc, s[4:5], v[2:3]
	s_mov_b32 s4, 0
	v_fma_f64 v[34:35], v[34:35], v[74:75], 1.0
	v_cvt_i32_f64_e32 v8, v[8:9]
	s_mov_b32 s5, 0xc090cc00
	v_ldexp_f64 v[8:9], v[34:35], v8
	v_mov_b32_e32 v34, 0x7ff00000
	v_cmp_ngt_f64_e64 s[4:5], s[4:5], v[2:3]
	v_cndmask_b32_e32 v9, v34, v9, vcc
	s_and_b64 vcc, s[4:5], vcc
	v_cndmask_b32_e64 v101, 0, v9, s[4:5]
	v_cndmask_b32_e32 v100, 0, v8, vcc
	v_add_f64 v[62:63], v[62:63], v[100:101]
.LBB695_507:
	s_or_b64 exec, exec, s[10:11]
.LBB695_508:
	s_or_b64 exec, exec, s[12:13]
	v_pk_mov_b32 v[92:93], 0, 0
	v_pk_mov_b32 v[94:95], v[92:93], v[92:93] op_sel:[0,1]
	s_and_saveexec_b64 s[10:11], s[8:9]
	s_cbranch_execz .LBB695_512
; %bb.509:
	global_load_ubyte v2, v[4:5], off offset:992
	v_pk_mov_b32 v[94:95], 0, 0
	s_waitcnt vmcnt(0)
	v_and_b32_e32 v2, 1, v2
	v_cmp_eq_u32_e32 vcc, 1, v2
	s_xor_b64 s[4:5], vcc, -1
	s_and_saveexec_b64 s[8:9], s[4:5]
	s_cbranch_execz .LBB695_511
; %bb.510:
	s_mov_b32 s4, 0x652b82fe
	v_add_f64 v[2:3], v[86:87], -v[64:65]
	s_mov_b32 s5, 0x3ff71547
	v_mul_f64 v[8:9], v[2:3], s[4:5]
	s_mov_b32 s4, 0xfefa39ef
	v_rndne_f64_e32 v[8:9], v[8:9]
	s_mov_b32 s5, 0xbfe62e42
	v_fma_f64 v[34:35], s[4:5], v[8:9], v[2:3]
	s_mov_b32 s4, 0x3b39803f
	s_mov_b32 s5, 0xbc7abc9e
	v_fmac_f64_e32 v[34:35], s[4:5], v[8:9]
	s_mov_b32 s4, 0x6a5dcb37
	v_mov_b32_e32 v74, 0xfca7ab0c
	v_mov_b32_e32 v75, 0x3e928af3
	s_mov_b32 s5, 0x3e5ade15
	v_fmac_f64_e32 v[74:75], s[4:5], v[34:35]
	v_mov_b32_e32 v82, 0x623fde64
	v_mov_b32_e32 v83, 0x3ec71dee
	v_fmac_f64_e32 v[82:83], v[34:35], v[74:75]
	v_mov_b32_e32 v74, 0x7c89e6b0
	v_mov_b32_e32 v75, 0x3efa0199
	;; [unrolled: 3-line block ×8, first 2 shown]
	s_mov_b32 s4, 0
	v_fmac_f64_e32 v[74:75], v[34:35], v[82:83]
	s_mov_b32 s5, 0x40900000
	v_fma_f64 v[74:75], v[34:35], v[74:75], 1.0
	v_cmp_nlt_f64_e32 vcc, s[4:5], v[2:3]
	s_mov_b32 s4, 0
	v_fma_f64 v[34:35], v[34:35], v[74:75], 1.0
	v_cvt_i32_f64_e32 v8, v[8:9]
	s_mov_b32 s5, 0xc090cc00
	v_ldexp_f64 v[8:9], v[34:35], v8
	v_mov_b32_e32 v34, 0x7ff00000
	v_cmp_ngt_f64_e64 s[4:5], s[4:5], v[2:3]
	v_cndmask_b32_e32 v9, v34, v9, vcc
	s_and_b64 vcc, s[4:5], vcc
	v_cndmask_b32_e64 v95, 0, v9, s[4:5]
	v_cndmask_b32_e32 v94, 0, v8, vcc
	v_add_f64 v[62:63], v[62:63], v[94:95]
.LBB695_511:
	s_or_b64 exec, exec, s[8:9]
.LBB695_512:
	s_or_b64 exec, exec, s[10:11]
	s_and_saveexec_b64 s[8:9], s[6:7]
	s_cbranch_execz .LBB695_516
; %bb.513:
	global_load_ubyte v2, v[4:5], off offset:1024
	v_pk_mov_b32 v[92:93], 0, 0
	s_waitcnt vmcnt(0)
	v_and_b32_e32 v2, 1, v2
	v_cmp_eq_u32_e32 vcc, 1, v2
	s_xor_b64 s[4:5], vcc, -1
	s_and_saveexec_b64 s[6:7], s[4:5]
	s_cbranch_execz .LBB695_515
; %bb.514:
	s_mov_b32 s4, 0x652b82fe
	v_add_f64 v[2:3], v[84:85], -v[64:65]
	s_mov_b32 s5, 0x3ff71547
	v_mul_f64 v[8:9], v[2:3], s[4:5]
	s_mov_b32 s4, 0xfefa39ef
	v_rndne_f64_e32 v[8:9], v[8:9]
	s_mov_b32 s5, 0xbfe62e42
	v_fma_f64 v[34:35], s[4:5], v[8:9], v[2:3]
	s_mov_b32 s4, 0x3b39803f
	s_mov_b32 s5, 0xbc7abc9e
	v_fmac_f64_e32 v[34:35], s[4:5], v[8:9]
	s_mov_b32 s4, 0x6a5dcb37
	v_mov_b32_e32 v74, 0xfca7ab0c
	v_mov_b32_e32 v75, 0x3e928af3
	s_mov_b32 s5, 0x3e5ade15
	v_fmac_f64_e32 v[74:75], s[4:5], v[34:35]
	v_mov_b32_e32 v82, 0x623fde64
	v_mov_b32_e32 v83, 0x3ec71dee
	v_fmac_f64_e32 v[82:83], v[34:35], v[74:75]
	v_mov_b32_e32 v74, 0x7c89e6b0
	v_mov_b32_e32 v75, 0x3efa0199
	;; [unrolled: 3-line block ×8, first 2 shown]
	s_mov_b32 s4, 0
	v_fmac_f64_e32 v[74:75], v[34:35], v[82:83]
	s_mov_b32 s5, 0x40900000
	v_fma_f64 v[74:75], v[34:35], v[74:75], 1.0
	v_cmp_nlt_f64_e32 vcc, s[4:5], v[2:3]
	s_mov_b32 s4, 0
	v_fma_f64 v[34:35], v[34:35], v[74:75], 1.0
	v_cvt_i32_f64_e32 v8, v[8:9]
	s_mov_b32 s5, 0xc090cc00
	v_ldexp_f64 v[8:9], v[34:35], v8
	v_mov_b32_e32 v34, 0x7ff00000
	v_cmp_ngt_f64_e64 s[4:5], s[4:5], v[2:3]
	v_cndmask_b32_e32 v9, v34, v9, vcc
	s_and_b64 vcc, s[4:5], vcc
	v_cndmask_b32_e64 v93, 0, v9, s[4:5]
	v_cndmask_b32_e32 v92, 0, v8, vcc
	v_add_f64 v[62:63], v[62:63], v[92:93]
.LBB695_515:
	s_or_b64 exec, exec, s[6:7]
.LBB695_516:
	s_or_b64 exec, exec, s[8:9]
	v_pk_mov_b32 v[84:85], 0, 0
	v_pk_mov_b32 v[86:87], v[84:85], v[84:85] op_sel:[0,1]
	s_and_saveexec_b64 s[6:7], s[36:37]
	s_cbranch_execz .LBB695_520
; %bb.517:
	global_load_ubyte v2, v[4:5], off offset:1056
	v_pk_mov_b32 v[86:87], 0, 0
	s_waitcnt vmcnt(0)
	v_and_b32_e32 v2, 1, v2
	v_cmp_eq_u32_e32 vcc, 1, v2
	s_xor_b64 s[4:5], vcc, -1
	s_and_saveexec_b64 s[8:9], s[4:5]
	s_cbranch_execz .LBB695_519
; %bb.518:
	s_mov_b32 s4, 0x652b82fe
	v_add_f64 v[2:3], v[78:79], -v[64:65]
	s_mov_b32 s5, 0x3ff71547
	v_mul_f64 v[8:9], v[2:3], s[4:5]
	s_mov_b32 s4, 0xfefa39ef
	v_rndne_f64_e32 v[8:9], v[8:9]
	s_mov_b32 s5, 0xbfe62e42
	v_fma_f64 v[34:35], s[4:5], v[8:9], v[2:3]
	s_mov_b32 s4, 0x3b39803f
	s_mov_b32 s5, 0xbc7abc9e
	v_fmac_f64_e32 v[34:35], s[4:5], v[8:9]
	s_mov_b32 s4, 0x6a5dcb37
	v_mov_b32_e32 v74, 0xfca7ab0c
	v_mov_b32_e32 v75, 0x3e928af3
	s_mov_b32 s5, 0x3e5ade15
	v_fmac_f64_e32 v[74:75], s[4:5], v[34:35]
	v_mov_b32_e32 v78, 0x623fde64
	v_mov_b32_e32 v79, 0x3ec71dee
	v_fmac_f64_e32 v[78:79], v[34:35], v[74:75]
	v_mov_b32_e32 v74, 0x7c89e6b0
	v_mov_b32_e32 v75, 0x3efa0199
	;; [unrolled: 3-line block ×8, first 2 shown]
	s_mov_b32 s4, 0
	v_fmac_f64_e32 v[74:75], v[34:35], v[78:79]
	s_mov_b32 s5, 0x40900000
	v_fma_f64 v[74:75], v[34:35], v[74:75], 1.0
	v_cmp_nlt_f64_e32 vcc, s[4:5], v[2:3]
	s_mov_b32 s4, 0
	v_fma_f64 v[34:35], v[34:35], v[74:75], 1.0
	v_cvt_i32_f64_e32 v8, v[8:9]
	s_mov_b32 s5, 0xc090cc00
	v_ldexp_f64 v[8:9], v[34:35], v8
	v_mov_b32_e32 v34, 0x7ff00000
	v_cmp_ngt_f64_e64 s[4:5], s[4:5], v[2:3]
	v_cndmask_b32_e32 v9, v34, v9, vcc
	s_and_b64 vcc, s[4:5], vcc
	v_cndmask_b32_e64 v87, 0, v9, s[4:5]
	v_cndmask_b32_e32 v86, 0, v8, vcc
	v_add_f64 v[62:63], v[62:63], v[86:87]
.LBB695_519:
	s_or_b64 exec, exec, s[8:9]
.LBB695_520:
	s_or_b64 exec, exec, s[6:7]
	s_and_saveexec_b64 s[6:7], s[2:3]
	s_cbranch_execz .LBB695_524
; %bb.521:
	global_load_ubyte v2, v[4:5], off offset:1088
	v_pk_mov_b32 v[84:85], 0, 0
	s_waitcnt vmcnt(0)
	v_and_b32_e32 v2, 1, v2
	v_cmp_eq_u32_e32 vcc, 1, v2
	s_xor_b64 s[4:5], vcc, -1
	s_and_saveexec_b64 s[2:3], s[4:5]
	s_cbranch_execz .LBB695_523
; %bb.522:
	s_mov_b32 s4, 0x652b82fe
	v_add_f64 v[2:3], v[76:77], -v[64:65]
	s_mov_b32 s5, 0x3ff71547
	v_mul_f64 v[8:9], v[2:3], s[4:5]
	s_mov_b32 s4, 0xfefa39ef
	v_rndne_f64_e32 v[8:9], v[8:9]
	s_mov_b32 s5, 0xbfe62e42
	v_fma_f64 v[34:35], s[4:5], v[8:9], v[2:3]
	s_mov_b32 s4, 0x3b39803f
	s_mov_b32 s5, 0xbc7abc9e
	v_fmac_f64_e32 v[34:35], s[4:5], v[8:9]
	s_mov_b32 s4, 0x6a5dcb37
	v_mov_b32_e32 v74, 0xfca7ab0c
	v_mov_b32_e32 v75, 0x3e928af3
	s_mov_b32 s5, 0x3e5ade15
	v_fmac_f64_e32 v[74:75], s[4:5], v[34:35]
	v_mov_b32_e32 v76, 0x623fde64
	v_mov_b32_e32 v77, 0x3ec71dee
	v_fmac_f64_e32 v[76:77], v[34:35], v[74:75]
	v_mov_b32_e32 v74, 0x7c89e6b0
	v_mov_b32_e32 v75, 0x3efa0199
	v_fmac_f64_e32 v[74:75], v[34:35], v[76:77]
	v_mov_b32_e32 v76, 0x14761f6e
	v_mov_b32_e32 v77, 0x3f2a01a0
	v_fmac_f64_e32 v[76:77], v[34:35], v[74:75]
	v_mov_b32_e32 v74, 0x1852b7b0
	v_mov_b32_e32 v75, 0x3f56c16c
	v_fmac_f64_e32 v[74:75], v[34:35], v[76:77]
	v_mov_b32_e32 v76, 0x11122322
	v_mov_b32_e32 v77, 0x3f811111
	v_fmac_f64_e32 v[76:77], v[34:35], v[74:75]
	v_mov_b32_e32 v74, 0x555502a1
	v_mov_b32_e32 v75, 0x3fa55555
	v_fmac_f64_e32 v[74:75], v[34:35], v[76:77]
	v_mov_b32_e32 v76, 0x55555511
	v_mov_b32_e32 v77, 0x3fc55555
	v_fmac_f64_e32 v[76:77], v[34:35], v[74:75]
	v_mov_b32_e32 v74, 11
	v_mov_b32_e32 v75, 0x3fe00000
	s_mov_b32 s4, 0
	v_fmac_f64_e32 v[74:75], v[34:35], v[76:77]
	s_mov_b32 s5, 0x40900000
	v_fma_f64 v[74:75], v[34:35], v[74:75], 1.0
	v_cmp_nlt_f64_e32 vcc, s[4:5], v[2:3]
	s_mov_b32 s4, 0
	v_fma_f64 v[34:35], v[34:35], v[74:75], 1.0
	v_cvt_i32_f64_e32 v8, v[8:9]
	s_mov_b32 s5, 0xc090cc00
	v_ldexp_f64 v[8:9], v[34:35], v8
	v_mov_b32_e32 v34, 0x7ff00000
	v_cmp_ngt_f64_e64 s[4:5], s[4:5], v[2:3]
	v_cndmask_b32_e32 v9, v34, v9, vcc
	s_and_b64 vcc, s[4:5], vcc
	v_cndmask_b32_e64 v85, 0, v9, s[4:5]
	v_cndmask_b32_e32 v84, 0, v8, vcc
	v_add_f64 v[62:63], v[62:63], v[84:85]
.LBB695_523:
	s_or_b64 exec, exec, s[2:3]
.LBB695_524:
	s_or_b64 exec, exec, s[6:7]
	v_pk_mov_b32 v[76:77], 0, 0
	v_pk_mov_b32 v[78:79], v[76:77], v[76:77] op_sel:[0,1]
	s_and_saveexec_b64 s[2:3], s[0:1]
	s_cbranch_execz .LBB695_528
; %bb.525:
	global_load_ubyte v2, v[4:5], off offset:1120
	v_pk_mov_b32 v[78:79], 0, 0
	s_waitcnt vmcnt(0)
	v_and_b32_e32 v2, 1, v2
	v_cmp_eq_u32_e32 vcc, 1, v2
	s_xor_b64 s[4:5], vcc, -1
	s_and_saveexec_b64 s[0:1], s[4:5]
	s_cbranch_execz .LBB695_527
; %bb.526:
	s_mov_b32 s4, 0x652b82fe
	v_add_f64 v[2:3], v[70:71], -v[64:65]
	s_mov_b32 s5, 0x3ff71547
	v_mul_f64 v[8:9], v[2:3], s[4:5]
	s_mov_b32 s4, 0xfefa39ef
	v_rndne_f64_e32 v[8:9], v[8:9]
	s_mov_b32 s5, 0xbfe62e42
	v_fma_f64 v[34:35], s[4:5], v[8:9], v[2:3]
	s_mov_b32 s4, 0x3b39803f
	s_mov_b32 s5, 0xbc7abc9e
	v_fmac_f64_e32 v[34:35], s[4:5], v[8:9]
	s_mov_b32 s4, 0x6a5dcb37
	v_mov_b32_e32 v70, 0xfca7ab0c
	v_mov_b32_e32 v71, 0x3e928af3
	s_mov_b32 s5, 0x3e5ade15
	v_fmac_f64_e32 v[70:71], s[4:5], v[34:35]
	v_mov_b32_e32 v74, 0x623fde64
	v_mov_b32_e32 v75, 0x3ec71dee
	v_fmac_f64_e32 v[74:75], v[34:35], v[70:71]
	v_mov_b32_e32 v70, 0x7c89e6b0
	v_mov_b32_e32 v71, 0x3efa0199
	;; [unrolled: 3-line block ×8, first 2 shown]
	s_mov_b32 s4, 0
	v_fmac_f64_e32 v[70:71], v[34:35], v[74:75]
	s_mov_b32 s5, 0x40900000
	v_fma_f64 v[70:71], v[34:35], v[70:71], 1.0
	v_cmp_nlt_f64_e32 vcc, s[4:5], v[2:3]
	s_mov_b32 s4, 0
	v_fma_f64 v[34:35], v[34:35], v[70:71], 1.0
	v_cvt_i32_f64_e32 v8, v[8:9]
	s_mov_b32 s5, 0xc090cc00
	v_ldexp_f64 v[8:9], v[34:35], v8
	v_mov_b32_e32 v34, 0x7ff00000
	v_cmp_ngt_f64_e64 s[4:5], s[4:5], v[2:3]
	v_cndmask_b32_e32 v9, v34, v9, vcc
	s_and_b64 vcc, s[4:5], vcc
	v_cndmask_b32_e64 v79, 0, v9, s[4:5]
	v_cndmask_b32_e32 v78, 0, v8, vcc
	v_add_f64 v[62:63], v[62:63], v[78:79]
.LBB695_527:
	s_or_b64 exec, exec, s[0:1]
.LBB695_528:
	s_or_b64 exec, exec, s[2:3]
	s_and_saveexec_b64 s[0:1], s[94:95]
	s_cbranch_execz .LBB695_532
; %bb.529:
	global_load_ubyte v2, v[4:5], off offset:1152
	v_pk_mov_b32 v[76:77], 0, 0
	s_waitcnt vmcnt(0)
	v_and_b32_e32 v2, 1, v2
	v_cmp_eq_u32_e32 vcc, 1, v2
	s_xor_b64 s[4:5], vcc, -1
	s_and_saveexec_b64 s[2:3], s[4:5]
	s_cbranch_execz .LBB695_531
; %bb.530:
	s_mov_b32 s4, 0x652b82fe
	v_add_f64 v[2:3], v[68:69], -v[64:65]
	s_mov_b32 s5, 0x3ff71547
	v_mul_f64 v[8:9], v[2:3], s[4:5]
	s_mov_b32 s4, 0xfefa39ef
	v_rndne_f64_e32 v[8:9], v[8:9]
	s_mov_b32 s5, 0xbfe62e42
	v_fma_f64 v[34:35], s[4:5], v[8:9], v[2:3]
	s_mov_b32 s4, 0x3b39803f
	s_mov_b32 s5, 0xbc7abc9e
	v_fmac_f64_e32 v[34:35], s[4:5], v[8:9]
	s_mov_b32 s4, 0x6a5dcb37
	v_mov_b32_e32 v68, 0xfca7ab0c
	v_mov_b32_e32 v69, 0x3e928af3
	s_mov_b32 s5, 0x3e5ade15
	v_fmac_f64_e32 v[68:69], s[4:5], v[34:35]
	v_mov_b32_e32 v70, 0x623fde64
	v_mov_b32_e32 v71, 0x3ec71dee
	v_fmac_f64_e32 v[70:71], v[34:35], v[68:69]
	v_mov_b32_e32 v68, 0x7c89e6b0
	v_mov_b32_e32 v69, 0x3efa0199
	;; [unrolled: 3-line block ×8, first 2 shown]
	s_mov_b32 s4, 0
	v_fmac_f64_e32 v[68:69], v[34:35], v[70:71]
	s_mov_b32 s5, 0x40900000
	v_fma_f64 v[68:69], v[34:35], v[68:69], 1.0
	v_cmp_nlt_f64_e32 vcc, s[4:5], v[2:3]
	s_mov_b32 s4, 0
	v_fma_f64 v[34:35], v[34:35], v[68:69], 1.0
	v_cvt_i32_f64_e32 v8, v[8:9]
	s_mov_b32 s5, 0xc090cc00
	v_ldexp_f64 v[8:9], v[34:35], v8
	v_mov_b32_e32 v34, 0x7ff00000
	v_cmp_ngt_f64_e64 s[4:5], s[4:5], v[2:3]
	v_cndmask_b32_e32 v9, v34, v9, vcc
	s_and_b64 vcc, s[4:5], vcc
	v_cndmask_b32_e64 v77, 0, v9, s[4:5]
	v_cndmask_b32_e32 v76, 0, v8, vcc
	v_add_f64 v[62:63], v[62:63], v[76:77]
.LBB695_531:
	s_or_b64 exec, exec, s[2:3]
.LBB695_532:
	s_or_b64 exec, exec, s[0:1]
	v_pk_mov_b32 v[68:69], 0, 0
	v_pk_mov_b32 v[70:71], v[68:69], v[68:69] op_sel:[0,1]
	s_and_saveexec_b64 s[0:1], s[92:93]
	s_cbranch_execz .LBB695_536
; %bb.533:
	global_load_ubyte v2, v[4:5], off offset:1184
	v_pk_mov_b32 v[70:71], 0, 0
	s_waitcnt vmcnt(0)
	v_and_b32_e32 v2, 1, v2
	v_cmp_eq_u32_e32 vcc, 1, v2
	s_xor_b64 s[4:5], vcc, -1
	s_and_saveexec_b64 s[2:3], s[4:5]
	s_cbranch_execz .LBB695_535
; %bb.534:
	s_mov_b32 s4, 0x652b82fe
	v_add_f64 v[2:3], v[58:59], -v[64:65]
	s_mov_b32 s5, 0x3ff71547
	v_mul_f64 v[8:9], v[2:3], s[4:5]
	s_mov_b32 s4, 0xfefa39ef
	v_rndne_f64_e32 v[8:9], v[8:9]
	s_mov_b32 s5, 0xbfe62e42
	v_fma_f64 v[34:35], s[4:5], v[8:9], v[2:3]
	s_mov_b32 s4, 0x3b39803f
	s_mov_b32 s5, 0xbc7abc9e
	v_fmac_f64_e32 v[34:35], s[4:5], v[8:9]
	s_mov_b32 s4, 0x6a5dcb37
	v_mov_b32_e32 v58, 0xfca7ab0c
	v_mov_b32_e32 v59, 0x3e928af3
	s_mov_b32 s5, 0x3e5ade15
	v_fmac_f64_e32 v[58:59], s[4:5], v[34:35]
	v_mov_b32_e32 v70, 0x623fde64
	v_mov_b32_e32 v71, 0x3ec71dee
	v_fmac_f64_e32 v[70:71], v[34:35], v[58:59]
	v_mov_b32_e32 v58, 0x7c89e6b0
	v_mov_b32_e32 v59, 0x3efa0199
	;; [unrolled: 3-line block ×8, first 2 shown]
	s_mov_b32 s4, 0
	v_fmac_f64_e32 v[58:59], v[34:35], v[70:71]
	s_mov_b32 s5, 0x40900000
	v_fma_f64 v[58:59], v[34:35], v[58:59], 1.0
	v_cmp_nlt_f64_e32 vcc, s[4:5], v[2:3]
	s_mov_b32 s4, 0
	v_fma_f64 v[34:35], v[34:35], v[58:59], 1.0
	v_cvt_i32_f64_e32 v8, v[8:9]
	s_mov_b32 s5, 0xc090cc00
	v_ldexp_f64 v[8:9], v[34:35], v8
	v_mov_b32_e32 v34, 0x7ff00000
	v_cmp_ngt_f64_e64 s[4:5], s[4:5], v[2:3]
	v_cndmask_b32_e32 v9, v34, v9, vcc
	s_and_b64 vcc, s[4:5], vcc
	v_cndmask_b32_e64 v71, 0, v9, s[4:5]
	v_cndmask_b32_e32 v70, 0, v8, vcc
	v_add_f64 v[62:63], v[62:63], v[70:71]
.LBB695_535:
	s_or_b64 exec, exec, s[2:3]
.LBB695_536:
	s_or_b64 exec, exec, s[0:1]
	s_and_saveexec_b64 s[0:1], s[90:91]
	s_cbranch_execz .LBB695_540
; %bb.537:
	global_load_ubyte v2, v[4:5], off offset:1216
	v_pk_mov_b32 v[68:69], 0, 0
	s_waitcnt vmcnt(0)
	v_and_b32_e32 v2, 1, v2
	v_cmp_eq_u32_e32 vcc, 1, v2
	s_xor_b64 s[4:5], vcc, -1
	s_and_saveexec_b64 s[2:3], s[4:5]
	s_cbranch_execz .LBB695_539
; %bb.538:
	s_mov_b32 s4, 0x652b82fe
	v_add_f64 v[2:3], v[54:55], -v[64:65]
	s_mov_b32 s5, 0x3ff71547
	v_mul_f64 v[8:9], v[2:3], s[4:5]
	s_mov_b32 s4, 0xfefa39ef
	v_rndne_f64_e32 v[8:9], v[8:9]
	s_mov_b32 s5, 0xbfe62e42
	v_fma_f64 v[34:35], s[4:5], v[8:9], v[2:3]
	s_mov_b32 s4, 0x3b39803f
	s_mov_b32 s5, 0xbc7abc9e
	v_fmac_f64_e32 v[34:35], s[4:5], v[8:9]
	s_mov_b32 s4, 0x6a5dcb37
	v_mov_b32_e32 v54, 0xfca7ab0c
	v_mov_b32_e32 v55, 0x3e928af3
	s_mov_b32 s5, 0x3e5ade15
	v_fmac_f64_e32 v[54:55], s[4:5], v[34:35]
	v_mov_b32_e32 v58, 0x623fde64
	v_mov_b32_e32 v59, 0x3ec71dee
	v_fmac_f64_e32 v[58:59], v[34:35], v[54:55]
	v_mov_b32_e32 v54, 0x7c89e6b0
	v_mov_b32_e32 v55, 0x3efa0199
	;; [unrolled: 3-line block ×8, first 2 shown]
	s_mov_b32 s4, 0
	v_fmac_f64_e32 v[54:55], v[34:35], v[58:59]
	s_mov_b32 s5, 0x40900000
	v_fma_f64 v[54:55], v[34:35], v[54:55], 1.0
	v_cmp_nlt_f64_e32 vcc, s[4:5], v[2:3]
	s_mov_b32 s4, 0
	v_fma_f64 v[34:35], v[34:35], v[54:55], 1.0
	v_cvt_i32_f64_e32 v8, v[8:9]
	s_mov_b32 s5, 0xc090cc00
	v_ldexp_f64 v[8:9], v[34:35], v8
	v_mov_b32_e32 v34, 0x7ff00000
	v_cmp_ngt_f64_e64 s[4:5], s[4:5], v[2:3]
	v_cndmask_b32_e32 v9, v34, v9, vcc
	s_and_b64 vcc, s[4:5], vcc
	v_cndmask_b32_e64 v69, 0, v9, s[4:5]
	v_cndmask_b32_e32 v68, 0, v8, vcc
	v_add_f64 v[62:63], v[62:63], v[68:69]
.LBB695_539:
	s_or_b64 exec, exec, s[2:3]
.LBB695_540:
	s_or_b64 exec, exec, s[0:1]
	v_pk_mov_b32 v[54:55], 0, 0
	v_pk_mov_b32 v[58:59], v[54:55], v[54:55] op_sel:[0,1]
	s_and_saveexec_b64 s[0:1], s[88:89]
	s_cbranch_execz .LBB695_544
; %bb.541:
	global_load_ubyte v2, v[4:5], off offset:1248
	v_pk_mov_b32 v[58:59], 0, 0
	s_waitcnt vmcnt(0)
	v_and_b32_e32 v2, 1, v2
	v_cmp_eq_u32_e32 vcc, 1, v2
	s_xor_b64 s[4:5], vcc, -1
	s_and_saveexec_b64 s[2:3], s[4:5]
	s_cbranch_execz .LBB695_543
; %bb.542:
	s_mov_b32 s4, 0x652b82fe
	v_add_f64 v[2:3], v[52:53], -v[64:65]
	s_mov_b32 s5, 0x3ff71547
	v_mul_f64 v[8:9], v[2:3], s[4:5]
	s_mov_b32 s4, 0xfefa39ef
	v_rndne_f64_e32 v[8:9], v[8:9]
	s_mov_b32 s5, 0xbfe62e42
	v_fma_f64 v[34:35], s[4:5], v[8:9], v[2:3]
	s_mov_b32 s4, 0x3b39803f
	s_mov_b32 s5, 0xbc7abc9e
	v_fmac_f64_e32 v[34:35], s[4:5], v[8:9]
	s_mov_b32 s4, 0x6a5dcb37
	v_mov_b32_e32 v52, 0xfca7ab0c
	v_mov_b32_e32 v53, 0x3e928af3
	s_mov_b32 s5, 0x3e5ade15
	v_fmac_f64_e32 v[52:53], s[4:5], v[34:35]
	v_mov_b32_e32 v58, 0x623fde64
	v_mov_b32_e32 v59, 0x3ec71dee
	v_fmac_f64_e32 v[58:59], v[34:35], v[52:53]
	v_mov_b32_e32 v52, 0x7c89e6b0
	v_mov_b32_e32 v53, 0x3efa0199
	;; [unrolled: 3-line block ×8, first 2 shown]
	s_mov_b32 s4, 0
	v_fmac_f64_e32 v[52:53], v[34:35], v[58:59]
	s_mov_b32 s5, 0x40900000
	v_fma_f64 v[52:53], v[34:35], v[52:53], 1.0
	v_cmp_nlt_f64_e32 vcc, s[4:5], v[2:3]
	s_mov_b32 s4, 0
	v_fma_f64 v[34:35], v[34:35], v[52:53], 1.0
	v_cvt_i32_f64_e32 v8, v[8:9]
	s_mov_b32 s5, 0xc090cc00
	v_ldexp_f64 v[8:9], v[34:35], v8
	v_mov_b32_e32 v34, 0x7ff00000
	v_cmp_ngt_f64_e64 s[4:5], s[4:5], v[2:3]
	v_cndmask_b32_e32 v9, v34, v9, vcc
	s_and_b64 vcc, s[4:5], vcc
	v_cndmask_b32_e64 v59, 0, v9, s[4:5]
	v_cndmask_b32_e32 v58, 0, v8, vcc
	v_add_f64 v[62:63], v[62:63], v[58:59]
.LBB695_543:
	s_or_b64 exec, exec, s[2:3]
.LBB695_544:
	s_or_b64 exec, exec, s[0:1]
	s_and_saveexec_b64 s[0:1], s[86:87]
	s_cbranch_execz .LBB695_548
; %bb.545:
	global_load_ubyte v2, v[4:5], off offset:1280
	v_pk_mov_b32 v[54:55], 0, 0
	s_waitcnt vmcnt(0)
	v_and_b32_e32 v2, 1, v2
	v_cmp_eq_u32_e32 vcc, 1, v2
	s_xor_b64 s[4:5], vcc, -1
	s_and_saveexec_b64 s[2:3], s[4:5]
	s_cbranch_execz .LBB695_547
; %bb.546:
	s_mov_b32 s4, 0x652b82fe
	v_add_f64 v[2:3], v[50:51], -v[64:65]
	s_mov_b32 s5, 0x3ff71547
	v_mul_f64 v[8:9], v[2:3], s[4:5]
	s_mov_b32 s4, 0xfefa39ef
	v_rndne_f64_e32 v[8:9], v[8:9]
	s_mov_b32 s5, 0xbfe62e42
	v_fma_f64 v[34:35], s[4:5], v[8:9], v[2:3]
	s_mov_b32 s4, 0x3b39803f
	s_mov_b32 s5, 0xbc7abc9e
	v_fmac_f64_e32 v[34:35], s[4:5], v[8:9]
	s_mov_b32 s4, 0x6a5dcb37
	v_mov_b32_e32 v50, 0xfca7ab0c
	v_mov_b32_e32 v51, 0x3e928af3
	s_mov_b32 s5, 0x3e5ade15
	v_fmac_f64_e32 v[50:51], s[4:5], v[34:35]
	v_mov_b32_e32 v52, 0x623fde64
	v_mov_b32_e32 v53, 0x3ec71dee
	v_fmac_f64_e32 v[52:53], v[34:35], v[50:51]
	v_mov_b32_e32 v50, 0x7c89e6b0
	v_mov_b32_e32 v51, 0x3efa0199
	v_fmac_f64_e32 v[50:51], v[34:35], v[52:53]
	v_mov_b32_e32 v52, 0x14761f6e
	v_mov_b32_e32 v53, 0x3f2a01a0
	v_fmac_f64_e32 v[52:53], v[34:35], v[50:51]
	v_mov_b32_e32 v50, 0x1852b7b0
	v_mov_b32_e32 v51, 0x3f56c16c
	v_fmac_f64_e32 v[50:51], v[34:35], v[52:53]
	v_mov_b32_e32 v52, 0x11122322
	v_mov_b32_e32 v53, 0x3f811111
	v_fmac_f64_e32 v[52:53], v[34:35], v[50:51]
	v_mov_b32_e32 v50, 0x555502a1
	v_mov_b32_e32 v51, 0x3fa55555
	v_fmac_f64_e32 v[50:51], v[34:35], v[52:53]
	v_mov_b32_e32 v52, 0x55555511
	v_mov_b32_e32 v53, 0x3fc55555
	v_fmac_f64_e32 v[52:53], v[34:35], v[50:51]
	v_mov_b32_e32 v50, 11
	v_mov_b32_e32 v51, 0x3fe00000
	s_mov_b32 s4, 0
	v_fmac_f64_e32 v[50:51], v[34:35], v[52:53]
	s_mov_b32 s5, 0x40900000
	v_fma_f64 v[50:51], v[34:35], v[50:51], 1.0
	v_cmp_nlt_f64_e32 vcc, s[4:5], v[2:3]
	s_mov_b32 s4, 0
	v_fma_f64 v[34:35], v[34:35], v[50:51], 1.0
	v_cvt_i32_f64_e32 v8, v[8:9]
	s_mov_b32 s5, 0xc090cc00
	v_ldexp_f64 v[8:9], v[34:35], v8
	v_mov_b32_e32 v34, 0x7ff00000
	v_cmp_ngt_f64_e64 s[4:5], s[4:5], v[2:3]
	v_cndmask_b32_e32 v9, v34, v9, vcc
	s_and_b64 vcc, s[4:5], vcc
	v_cndmask_b32_e64 v55, 0, v9, s[4:5]
	v_cndmask_b32_e32 v54, 0, v8, vcc
	v_add_f64 v[62:63], v[62:63], v[54:55]
.LBB695_547:
	s_or_b64 exec, exec, s[2:3]
.LBB695_548:
	s_or_b64 exec, exec, s[0:1]
	v_pk_mov_b32 v[50:51], 0, 0
	v_pk_mov_b32 v[52:53], v[50:51], v[50:51] op_sel:[0,1]
	s_and_saveexec_b64 s[0:1], s[84:85]
	s_cbranch_execz .LBB695_552
; %bb.549:
	global_load_ubyte v2, v[4:5], off offset:1312
	v_pk_mov_b32 v[52:53], 0, 0
	s_waitcnt vmcnt(0)
	v_and_b32_e32 v2, 1, v2
	v_cmp_eq_u32_e32 vcc, 1, v2
	s_xor_b64 s[4:5], vcc, -1
	s_and_saveexec_b64 s[2:3], s[4:5]
	s_cbranch_execz .LBB695_551
; %bb.550:
	s_mov_b32 s4, 0x652b82fe
	v_add_f64 v[2:3], v[48:49], -v[64:65]
	s_mov_b32 s5, 0x3ff71547
	v_mul_f64 v[8:9], v[2:3], s[4:5]
	s_mov_b32 s4, 0xfefa39ef
	v_rndne_f64_e32 v[8:9], v[8:9]
	s_mov_b32 s5, 0xbfe62e42
	v_fma_f64 v[34:35], s[4:5], v[8:9], v[2:3]
	s_mov_b32 s4, 0x3b39803f
	s_mov_b32 s5, 0xbc7abc9e
	v_fmac_f64_e32 v[34:35], s[4:5], v[8:9]
	s_mov_b32 s4, 0x6a5dcb37
	v_mov_b32_e32 v48, 0xfca7ab0c
	v_mov_b32_e32 v49, 0x3e928af3
	s_mov_b32 s5, 0x3e5ade15
	v_fmac_f64_e32 v[48:49], s[4:5], v[34:35]
	v_mov_b32_e32 v52, 0x623fde64
	v_mov_b32_e32 v53, 0x3ec71dee
	v_fmac_f64_e32 v[52:53], v[34:35], v[48:49]
	v_mov_b32_e32 v48, 0x7c89e6b0
	v_mov_b32_e32 v49, 0x3efa0199
	;; [unrolled: 3-line block ×8, first 2 shown]
	s_mov_b32 s4, 0
	v_fmac_f64_e32 v[48:49], v[34:35], v[52:53]
	s_mov_b32 s5, 0x40900000
	v_fma_f64 v[48:49], v[34:35], v[48:49], 1.0
	v_cmp_nlt_f64_e32 vcc, s[4:5], v[2:3]
	s_mov_b32 s4, 0
	v_fma_f64 v[34:35], v[34:35], v[48:49], 1.0
	v_cvt_i32_f64_e32 v8, v[8:9]
	s_mov_b32 s5, 0xc090cc00
	v_ldexp_f64 v[8:9], v[34:35], v8
	v_mov_b32_e32 v34, 0x7ff00000
	v_cmp_ngt_f64_e64 s[4:5], s[4:5], v[2:3]
	v_cndmask_b32_e32 v9, v34, v9, vcc
	s_and_b64 vcc, s[4:5], vcc
	v_cndmask_b32_e64 v53, 0, v9, s[4:5]
	v_cndmask_b32_e32 v52, 0, v8, vcc
	v_add_f64 v[62:63], v[62:63], v[52:53]
.LBB695_551:
	s_or_b64 exec, exec, s[2:3]
.LBB695_552:
	s_or_b64 exec, exec, s[0:1]
	s_and_saveexec_b64 s[0:1], s[82:83]
	s_cbranch_execz .LBB695_556
; %bb.553:
	global_load_ubyte v2, v[4:5], off offset:1344
	v_pk_mov_b32 v[50:51], 0, 0
	s_waitcnt vmcnt(0)
	v_and_b32_e32 v2, 1, v2
	v_cmp_eq_u32_e32 vcc, 1, v2
	s_xor_b64 s[4:5], vcc, -1
	s_and_saveexec_b64 s[2:3], s[4:5]
	s_cbranch_execz .LBB695_555
; %bb.554:
	s_mov_b32 s4, 0x652b82fe
	v_add_f64 v[2:3], v[46:47], -v[64:65]
	s_mov_b32 s5, 0x3ff71547
	v_mul_f64 v[8:9], v[2:3], s[4:5]
	s_mov_b32 s4, 0xfefa39ef
	v_rndne_f64_e32 v[8:9], v[8:9]
	s_mov_b32 s5, 0xbfe62e42
	v_fma_f64 v[34:35], s[4:5], v[8:9], v[2:3]
	s_mov_b32 s4, 0x3b39803f
	s_mov_b32 s5, 0xbc7abc9e
	v_fmac_f64_e32 v[34:35], s[4:5], v[8:9]
	s_mov_b32 s4, 0x6a5dcb37
	v_mov_b32_e32 v46, 0xfca7ab0c
	v_mov_b32_e32 v47, 0x3e928af3
	s_mov_b32 s5, 0x3e5ade15
	v_fmac_f64_e32 v[46:47], s[4:5], v[34:35]
	v_mov_b32_e32 v48, 0x623fde64
	v_mov_b32_e32 v49, 0x3ec71dee
	v_fmac_f64_e32 v[48:49], v[34:35], v[46:47]
	v_mov_b32_e32 v46, 0x7c89e6b0
	v_mov_b32_e32 v47, 0x3efa0199
	;; [unrolled: 3-line block ×8, first 2 shown]
	s_mov_b32 s4, 0
	v_fmac_f64_e32 v[46:47], v[34:35], v[48:49]
	s_mov_b32 s5, 0x40900000
	v_fma_f64 v[46:47], v[34:35], v[46:47], 1.0
	v_cmp_nlt_f64_e32 vcc, s[4:5], v[2:3]
	s_mov_b32 s4, 0
	v_fma_f64 v[34:35], v[34:35], v[46:47], 1.0
	v_cvt_i32_f64_e32 v8, v[8:9]
	s_mov_b32 s5, 0xc090cc00
	v_ldexp_f64 v[8:9], v[34:35], v8
	v_mov_b32_e32 v34, 0x7ff00000
	v_cmp_ngt_f64_e64 s[4:5], s[4:5], v[2:3]
	v_cndmask_b32_e32 v9, v34, v9, vcc
	s_and_b64 vcc, s[4:5], vcc
	v_cndmask_b32_e64 v51, 0, v9, s[4:5]
	v_cndmask_b32_e32 v50, 0, v8, vcc
	v_add_f64 v[62:63], v[62:63], v[50:51]
.LBB695_555:
	s_or_b64 exec, exec, s[2:3]
.LBB695_556:
	s_or_b64 exec, exec, s[0:1]
	v_pk_mov_b32 v[46:47], 0, 0
	v_pk_mov_b32 v[48:49], v[46:47], v[46:47] op_sel:[0,1]
	s_mov_b64 s[0:1], exec
	v_readlane_b32 s2, v125, 28
	v_readlane_b32 s3, v125, 29
	s_and_b64 s[2:3], s[0:1], s[2:3]
	s_mov_b64 exec, s[2:3]
	s_cbranch_execz .LBB695_560
; %bb.557:
	global_load_ubyte v2, v[4:5], off offset:1376
	v_pk_mov_b32 v[48:49], 0, 0
	s_waitcnt vmcnt(0)
	v_and_b32_e32 v2, 1, v2
	v_cmp_eq_u32_e32 vcc, 1, v2
	s_xor_b64 s[4:5], vcc, -1
	s_and_saveexec_b64 s[2:3], s[4:5]
	s_cbranch_execz .LBB695_559
; %bb.558:
	s_mov_b32 s4, 0x652b82fe
	v_add_f64 v[2:3], v[44:45], -v[64:65]
	s_mov_b32 s5, 0x3ff71547
	v_mul_f64 v[8:9], v[2:3], s[4:5]
	s_mov_b32 s4, 0xfefa39ef
	v_rndne_f64_e32 v[8:9], v[8:9]
	s_mov_b32 s5, 0xbfe62e42
	v_fma_f64 v[34:35], s[4:5], v[8:9], v[2:3]
	s_mov_b32 s4, 0x3b39803f
	s_mov_b32 s5, 0xbc7abc9e
	v_fmac_f64_e32 v[34:35], s[4:5], v[8:9]
	s_mov_b32 s4, 0x6a5dcb37
	v_mov_b32_e32 v44, 0xfca7ab0c
	v_mov_b32_e32 v45, 0x3e928af3
	s_mov_b32 s5, 0x3e5ade15
	v_fmac_f64_e32 v[44:45], s[4:5], v[34:35]
	v_mov_b32_e32 v48, 0x623fde64
	v_mov_b32_e32 v49, 0x3ec71dee
	v_fmac_f64_e32 v[48:49], v[34:35], v[44:45]
	v_mov_b32_e32 v44, 0x7c89e6b0
	v_mov_b32_e32 v45, 0x3efa0199
	;; [unrolled: 3-line block ×8, first 2 shown]
	s_mov_b32 s4, 0
	v_fmac_f64_e32 v[44:45], v[34:35], v[48:49]
	s_mov_b32 s5, 0x40900000
	v_fma_f64 v[44:45], v[34:35], v[44:45], 1.0
	v_cmp_nlt_f64_e32 vcc, s[4:5], v[2:3]
	s_mov_b32 s4, 0
	v_fma_f64 v[34:35], v[34:35], v[44:45], 1.0
	v_cvt_i32_f64_e32 v8, v[8:9]
	s_mov_b32 s5, 0xc090cc00
	v_ldexp_f64 v[8:9], v[34:35], v8
	v_mov_b32_e32 v34, 0x7ff00000
	v_cmp_ngt_f64_e64 s[4:5], s[4:5], v[2:3]
	v_cndmask_b32_e32 v9, v34, v9, vcc
	s_and_b64 vcc, s[4:5], vcc
	v_cndmask_b32_e64 v49, 0, v9, s[4:5]
	v_cndmask_b32_e32 v48, 0, v8, vcc
	v_add_f64 v[62:63], v[62:63], v[48:49]
.LBB695_559:
	s_or_b64 exec, exec, s[2:3]
.LBB695_560:
	s_or_b64 exec, exec, s[0:1]
	s_mov_b64 s[0:1], exec
	v_readlane_b32 s2, v125, 32
	v_readlane_b32 s3, v125, 33
	s_and_b64 s[2:3], s[0:1], s[2:3]
	s_mov_b64 exec, s[2:3]
	s_cbranch_execz .LBB695_564
; %bb.561:
	global_load_ubyte v2, v[4:5], off offset:1408
	v_pk_mov_b32 v[46:47], 0, 0
	s_waitcnt vmcnt(0)
	v_and_b32_e32 v2, 1, v2
	v_cmp_eq_u32_e32 vcc, 1, v2
	s_xor_b64 s[4:5], vcc, -1
	s_and_saveexec_b64 s[2:3], s[4:5]
	s_cbranch_execz .LBB695_563
; %bb.562:
	s_mov_b32 s4, 0x652b82fe
	v_add_f64 v[2:3], v[42:43], -v[64:65]
	s_mov_b32 s5, 0x3ff71547
	v_mul_f64 v[8:9], v[2:3], s[4:5]
	s_mov_b32 s4, 0xfefa39ef
	v_rndne_f64_e32 v[8:9], v[8:9]
	s_mov_b32 s5, 0xbfe62e42
	v_fma_f64 v[34:35], s[4:5], v[8:9], v[2:3]
	s_mov_b32 s4, 0x3b39803f
	s_mov_b32 s5, 0xbc7abc9e
	v_fmac_f64_e32 v[34:35], s[4:5], v[8:9]
	s_mov_b32 s4, 0x6a5dcb37
	v_mov_b32_e32 v42, 0xfca7ab0c
	v_mov_b32_e32 v43, 0x3e928af3
	s_mov_b32 s5, 0x3e5ade15
	v_fmac_f64_e32 v[42:43], s[4:5], v[34:35]
	v_mov_b32_e32 v44, 0x623fde64
	v_mov_b32_e32 v45, 0x3ec71dee
	v_fmac_f64_e32 v[44:45], v[34:35], v[42:43]
	v_mov_b32_e32 v42, 0x7c89e6b0
	v_mov_b32_e32 v43, 0x3efa0199
	v_fmac_f64_e32 v[42:43], v[34:35], v[44:45]
	v_mov_b32_e32 v44, 0x14761f6e
	v_mov_b32_e32 v45, 0x3f2a01a0
	v_fmac_f64_e32 v[44:45], v[34:35], v[42:43]
	v_mov_b32_e32 v42, 0x1852b7b0
	v_mov_b32_e32 v43, 0x3f56c16c
	v_fmac_f64_e32 v[42:43], v[34:35], v[44:45]
	v_mov_b32_e32 v44, 0x11122322
	v_mov_b32_e32 v45, 0x3f811111
	v_fmac_f64_e32 v[44:45], v[34:35], v[42:43]
	v_mov_b32_e32 v42, 0x555502a1
	v_mov_b32_e32 v43, 0x3fa55555
	v_fmac_f64_e32 v[42:43], v[34:35], v[44:45]
	v_mov_b32_e32 v44, 0x55555511
	v_mov_b32_e32 v45, 0x3fc55555
	v_fmac_f64_e32 v[44:45], v[34:35], v[42:43]
	v_mov_b32_e32 v42, 11
	v_mov_b32_e32 v43, 0x3fe00000
	s_mov_b32 s4, 0
	v_fmac_f64_e32 v[42:43], v[34:35], v[44:45]
	s_mov_b32 s5, 0x40900000
	v_fma_f64 v[42:43], v[34:35], v[42:43], 1.0
	v_cmp_nlt_f64_e32 vcc, s[4:5], v[2:3]
	s_mov_b32 s4, 0
	v_fma_f64 v[34:35], v[34:35], v[42:43], 1.0
	v_cvt_i32_f64_e32 v8, v[8:9]
	s_mov_b32 s5, 0xc090cc00
	v_ldexp_f64 v[8:9], v[34:35], v8
	v_mov_b32_e32 v34, 0x7ff00000
	v_cmp_ngt_f64_e64 s[4:5], s[4:5], v[2:3]
	v_cndmask_b32_e32 v9, v34, v9, vcc
	s_and_b64 vcc, s[4:5], vcc
	v_cndmask_b32_e64 v47, 0, v9, s[4:5]
	v_cndmask_b32_e32 v46, 0, v8, vcc
	v_add_f64 v[62:63], v[62:63], v[46:47]
.LBB695_563:
	s_or_b64 exec, exec, s[2:3]
.LBB695_564:
	s_or_b64 exec, exec, s[0:1]
	v_pk_mov_b32 v[42:43], 0, 0
	v_pk_mov_b32 v[44:45], v[42:43], v[42:43] op_sel:[0,1]
	s_mov_b64 s[0:1], exec
	v_readlane_b32 s2, v125, 36
	v_readlane_b32 s3, v125, 37
	s_and_b64 s[2:3], s[0:1], s[2:3]
	s_mov_b64 exec, s[2:3]
	s_cbranch_execz .LBB695_568
; %bb.565:
	global_load_ubyte v2, v[4:5], off offset:1440
	v_pk_mov_b32 v[44:45], 0, 0
	s_waitcnt vmcnt(0)
	v_and_b32_e32 v2, 1, v2
	v_cmp_eq_u32_e32 vcc, 1, v2
	s_xor_b64 s[4:5], vcc, -1
	s_and_saveexec_b64 s[2:3], s[4:5]
	s_cbranch_execz .LBB695_567
; %bb.566:
	s_mov_b32 s4, 0x652b82fe
	v_add_f64 v[2:3], v[40:41], -v[64:65]
	s_mov_b32 s5, 0x3ff71547
	v_mul_f64 v[8:9], v[2:3], s[4:5]
	s_mov_b32 s4, 0xfefa39ef
	v_rndne_f64_e32 v[8:9], v[8:9]
	s_mov_b32 s5, 0xbfe62e42
	v_fma_f64 v[34:35], s[4:5], v[8:9], v[2:3]
	s_mov_b32 s4, 0x3b39803f
	s_mov_b32 s5, 0xbc7abc9e
	v_fmac_f64_e32 v[34:35], s[4:5], v[8:9]
	s_mov_b32 s4, 0x6a5dcb37
	v_mov_b32_e32 v40, 0xfca7ab0c
	v_mov_b32_e32 v41, 0x3e928af3
	s_mov_b32 s5, 0x3e5ade15
	v_fmac_f64_e32 v[40:41], s[4:5], v[34:35]
	v_mov_b32_e32 v44, 0x623fde64
	v_mov_b32_e32 v45, 0x3ec71dee
	v_fmac_f64_e32 v[44:45], v[34:35], v[40:41]
	v_mov_b32_e32 v40, 0x7c89e6b0
	v_mov_b32_e32 v41, 0x3efa0199
	;; [unrolled: 3-line block ×8, first 2 shown]
	s_mov_b32 s4, 0
	v_fmac_f64_e32 v[40:41], v[34:35], v[44:45]
	s_mov_b32 s5, 0x40900000
	v_fma_f64 v[40:41], v[34:35], v[40:41], 1.0
	v_cmp_nlt_f64_e32 vcc, s[4:5], v[2:3]
	s_mov_b32 s4, 0
	v_fma_f64 v[34:35], v[34:35], v[40:41], 1.0
	v_cvt_i32_f64_e32 v8, v[8:9]
	s_mov_b32 s5, 0xc090cc00
	v_ldexp_f64 v[8:9], v[34:35], v8
	v_mov_b32_e32 v34, 0x7ff00000
	v_cmp_ngt_f64_e64 s[4:5], s[4:5], v[2:3]
	v_cndmask_b32_e32 v9, v34, v9, vcc
	s_and_b64 vcc, s[4:5], vcc
	v_cndmask_b32_e64 v45, 0, v9, s[4:5]
	v_cndmask_b32_e32 v44, 0, v8, vcc
	v_add_f64 v[62:63], v[62:63], v[44:45]
.LBB695_567:
	s_or_b64 exec, exec, s[2:3]
.LBB695_568:
	s_or_b64 exec, exec, s[0:1]
	s_mov_b64 s[0:1], exec
	v_readlane_b32 s2, v125, 40
	v_readlane_b32 s3, v125, 41
	s_and_b64 s[2:3], s[0:1], s[2:3]
	s_mov_b64 exec, s[2:3]
	s_cbranch_execz .LBB695_572
; %bb.569:
	global_load_ubyte v2, v[4:5], off offset:1472
	v_pk_mov_b32 v[42:43], 0, 0
	s_waitcnt vmcnt(0)
	v_and_b32_e32 v2, 1, v2
	v_cmp_eq_u32_e32 vcc, 1, v2
	s_xor_b64 s[4:5], vcc, -1
	s_and_saveexec_b64 s[2:3], s[4:5]
	s_cbranch_execz .LBB695_571
; %bb.570:
	s_mov_b32 s4, 0x652b82fe
	v_add_f64 v[2:3], v[38:39], -v[64:65]
	s_mov_b32 s5, 0x3ff71547
	v_mul_f64 v[8:9], v[2:3], s[4:5]
	s_mov_b32 s4, 0xfefa39ef
	v_rndne_f64_e32 v[8:9], v[8:9]
	s_mov_b32 s5, 0xbfe62e42
	v_fma_f64 v[34:35], s[4:5], v[8:9], v[2:3]
	s_mov_b32 s4, 0x3b39803f
	s_mov_b32 s5, 0xbc7abc9e
	v_fmac_f64_e32 v[34:35], s[4:5], v[8:9]
	s_mov_b32 s4, 0x6a5dcb37
	v_mov_b32_e32 v38, 0xfca7ab0c
	v_mov_b32_e32 v39, 0x3e928af3
	s_mov_b32 s5, 0x3e5ade15
	v_fmac_f64_e32 v[38:39], s[4:5], v[34:35]
	v_mov_b32_e32 v40, 0x623fde64
	v_mov_b32_e32 v41, 0x3ec71dee
	v_fmac_f64_e32 v[40:41], v[34:35], v[38:39]
	v_mov_b32_e32 v38, 0x7c89e6b0
	v_mov_b32_e32 v39, 0x3efa0199
	;; [unrolled: 3-line block ×8, first 2 shown]
	s_mov_b32 s4, 0
	v_fmac_f64_e32 v[38:39], v[34:35], v[40:41]
	s_mov_b32 s5, 0x40900000
	v_fma_f64 v[38:39], v[34:35], v[38:39], 1.0
	v_cmp_nlt_f64_e32 vcc, s[4:5], v[2:3]
	s_mov_b32 s4, 0
	v_fma_f64 v[34:35], v[34:35], v[38:39], 1.0
	v_cvt_i32_f64_e32 v8, v[8:9]
	s_mov_b32 s5, 0xc090cc00
	v_ldexp_f64 v[8:9], v[34:35], v8
	v_mov_b32_e32 v34, 0x7ff00000
	v_cmp_ngt_f64_e64 s[4:5], s[4:5], v[2:3]
	v_cndmask_b32_e32 v9, v34, v9, vcc
	s_and_b64 vcc, s[4:5], vcc
	v_cndmask_b32_e64 v43, 0, v9, s[4:5]
	v_cndmask_b32_e32 v42, 0, v8, vcc
	v_add_f64 v[62:63], v[62:63], v[42:43]
.LBB695_571:
	s_or_b64 exec, exec, s[2:3]
.LBB695_572:
	s_or_b64 exec, exec, s[0:1]
	v_pk_mov_b32 v[38:39], 0, 0
	v_pk_mov_b32 v[40:41], v[38:39], v[38:39] op_sel:[0,1]
	s_mov_b64 s[0:1], exec
	v_readlane_b32 s2, v125, 44
	v_readlane_b32 s3, v125, 45
	s_and_b64 s[2:3], s[0:1], s[2:3]
	s_mov_b64 exec, s[2:3]
	s_cbranch_execz .LBB695_576
; %bb.573:
	global_load_ubyte v2, v[4:5], off offset:1504
	v_pk_mov_b32 v[40:41], 0, 0
	s_waitcnt vmcnt(0)
	v_and_b32_e32 v2, 1, v2
	v_cmp_eq_u32_e32 vcc, 1, v2
	s_xor_b64 s[4:5], vcc, -1
	s_and_saveexec_b64 s[2:3], s[4:5]
	s_cbranch_execz .LBB695_575
; %bb.574:
	s_mov_b32 s4, 0x652b82fe
	v_add_f64 v[2:3], v[36:37], -v[64:65]
	s_mov_b32 s5, 0x3ff71547
	v_mul_f64 v[8:9], v[2:3], s[4:5]
	s_mov_b32 s4, 0xfefa39ef
	v_rndne_f64_e32 v[8:9], v[8:9]
	s_mov_b32 s5, 0xbfe62e42
	v_fma_f64 v[34:35], s[4:5], v[8:9], v[2:3]
	s_mov_b32 s4, 0x3b39803f
	s_mov_b32 s5, 0xbc7abc9e
	v_fmac_f64_e32 v[34:35], s[4:5], v[8:9]
	s_mov_b32 s4, 0x6a5dcb37
	v_mov_b32_e32 v36, 0xfca7ab0c
	v_mov_b32_e32 v37, 0x3e928af3
	s_mov_b32 s5, 0x3e5ade15
	v_fmac_f64_e32 v[36:37], s[4:5], v[34:35]
	v_mov_b32_e32 v40, 0x623fde64
	v_mov_b32_e32 v41, 0x3ec71dee
	v_fmac_f64_e32 v[40:41], v[34:35], v[36:37]
	v_mov_b32_e32 v36, 0x7c89e6b0
	v_mov_b32_e32 v37, 0x3efa0199
	;; [unrolled: 3-line block ×8, first 2 shown]
	s_mov_b32 s4, 0
	v_fmac_f64_e32 v[36:37], v[34:35], v[40:41]
	s_mov_b32 s5, 0x40900000
	v_fma_f64 v[36:37], v[34:35], v[36:37], 1.0
	v_cmp_nlt_f64_e32 vcc, s[4:5], v[2:3]
	s_mov_b32 s4, 0
	v_fma_f64 v[34:35], v[34:35], v[36:37], 1.0
	v_cvt_i32_f64_e32 v8, v[8:9]
	s_mov_b32 s5, 0xc090cc00
	v_ldexp_f64 v[8:9], v[34:35], v8
	v_mov_b32_e32 v34, 0x7ff00000
	v_cmp_ngt_f64_e64 s[4:5], s[4:5], v[2:3]
	v_cndmask_b32_e32 v9, v34, v9, vcc
	s_and_b64 vcc, s[4:5], vcc
	v_cndmask_b32_e64 v41, 0, v9, s[4:5]
	v_cndmask_b32_e32 v40, 0, v8, vcc
	v_add_f64 v[62:63], v[62:63], v[40:41]
.LBB695_575:
	s_or_b64 exec, exec, s[2:3]
.LBB695_576:
	s_or_b64 exec, exec, s[0:1]
	s_mov_b64 s[0:1], exec
	v_readlane_b32 s2, v125, 48
	v_readlane_b32 s3, v125, 49
	s_and_b64 s[2:3], s[0:1], s[2:3]
	s_mov_b64 exec, s[2:3]
	s_cbranch_execz .LBB695_580
; %bb.577:
	global_load_ubyte v2, v[4:5], off offset:1536
	v_pk_mov_b32 v[38:39], 0, 0
	s_waitcnt vmcnt(0)
	v_and_b32_e32 v2, 1, v2
	v_cmp_eq_u32_e32 vcc, 1, v2
	s_xor_b64 s[4:5], vcc, -1
	s_and_saveexec_b64 s[2:3], s[4:5]
	s_cbranch_execz .LBB695_579
; %bb.578:
	buffer_load_dword v2, off, s[96:99], 0 offset:80 ; 4-byte Folded Reload
	buffer_load_dword v3, off, s[96:99], 0 offset:84 ; 4-byte Folded Reload
	s_mov_b32 s4, 0x652b82fe
	s_mov_b32 s5, 0x3ff71547
	v_mov_b32_e32 v36, 0xfca7ab0c
	v_mov_b32_e32 v37, 0x3e928af3
	;; [unrolled: 1-line block ×4, first 2 shown]
	s_waitcnt vmcnt(0)
	v_add_f64 v[2:3], v[2:3], -v[64:65]
	v_mul_f64 v[8:9], v[2:3], s[4:5]
	s_mov_b32 s4, 0xfefa39ef
	v_rndne_f64_e32 v[8:9], v[8:9]
	s_mov_b32 s5, 0xbfe62e42
	v_fma_f64 v[34:35], s[4:5], v[8:9], v[2:3]
	s_mov_b32 s4, 0x3b39803f
	s_mov_b32 s5, 0xbc7abc9e
	v_fmac_f64_e32 v[34:35], s[4:5], v[8:9]
	s_mov_b32 s4, 0x6a5dcb37
	s_mov_b32 s5, 0x3e5ade15
	v_fmac_f64_e32 v[36:37], s[4:5], v[34:35]
	v_fmac_f64_e32 v[38:39], v[34:35], v[36:37]
	v_mov_b32_e32 v36, 0x7c89e6b0
	v_mov_b32_e32 v37, 0x3efa0199
	v_fmac_f64_e32 v[36:37], v[34:35], v[38:39]
	v_mov_b32_e32 v38, 0x14761f6e
	v_mov_b32_e32 v39, 0x3f2a01a0
	;; [unrolled: 3-line block ×7, first 2 shown]
	s_mov_b32 s4, 0
	v_fmac_f64_e32 v[36:37], v[34:35], v[38:39]
	s_mov_b32 s5, 0x40900000
	v_fma_f64 v[36:37], v[34:35], v[36:37], 1.0
	v_cmp_nlt_f64_e32 vcc, s[4:5], v[2:3]
	s_mov_b32 s4, 0
	v_fma_f64 v[34:35], v[34:35], v[36:37], 1.0
	v_cvt_i32_f64_e32 v8, v[8:9]
	s_mov_b32 s5, 0xc090cc00
	v_ldexp_f64 v[8:9], v[34:35], v8
	v_mov_b32_e32 v34, 0x7ff00000
	v_cmp_ngt_f64_e64 s[4:5], s[4:5], v[2:3]
	v_cndmask_b32_e32 v9, v34, v9, vcc
	s_and_b64 vcc, s[4:5], vcc
	v_cndmask_b32_e64 v39, 0, v9, s[4:5]
	v_cndmask_b32_e32 v38, 0, v8, vcc
	v_add_f64 v[62:63], v[62:63], v[38:39]
.LBB695_579:
	s_or_b64 exec, exec, s[2:3]
.LBB695_580:
	s_or_b64 exec, exec, s[0:1]
	v_pk_mov_b32 v[34:35], 0, 0
	v_pk_mov_b32 v[36:37], v[34:35], v[34:35] op_sel:[0,1]
	s_mov_b64 s[0:1], exec
	v_readlane_b32 s2, v125, 52
	v_readlane_b32 s3, v125, 53
	s_and_b64 s[2:3], s[0:1], s[2:3]
	s_mov_b64 exec, s[2:3]
	s_cbranch_execz .LBB695_584
; %bb.581:
	global_load_ubyte v2, v[4:5], off offset:1568
	v_pk_mov_b32 v[36:37], 0, 0
	s_waitcnt vmcnt(0)
	v_and_b32_e32 v2, 1, v2
	v_cmp_eq_u32_e32 vcc, 1, v2
	s_xor_b64 s[4:5], vcc, -1
	s_and_saveexec_b64 s[2:3], s[4:5]
	s_cbranch_execz .LBB695_583
; %bb.582:
	s_mov_b32 s4, 0x652b82fe
	v_add_f64 v[2:3], v[32:33], -v[64:65]
	s_mov_b32 s5, 0x3ff71547
	v_mul_f64 v[8:9], v[2:3], s[4:5]
	s_mov_b32 s4, 0xfefa39ef
	v_rndne_f64_e32 v[8:9], v[8:9]
	s_mov_b32 s5, 0xbfe62e42
	v_fma_f64 v[32:33], s[4:5], v[8:9], v[2:3]
	s_mov_b32 s4, 0x3b39803f
	s_mov_b32 s5, 0xbc7abc9e
	v_fmac_f64_e32 v[32:33], s[4:5], v[8:9]
	s_mov_b32 s4, 0x6a5dcb37
	v_mov_b32_e32 v36, 0xfca7ab0c
	v_mov_b32_e32 v37, 0x3e928af3
	s_mov_b32 s5, 0x3e5ade15
	v_fmac_f64_e32 v[36:37], s[4:5], v[32:33]
	v_mov_b32_e32 v74, 0x623fde64
	v_mov_b32_e32 v75, 0x3ec71dee
	v_fmac_f64_e32 v[74:75], v[32:33], v[36:37]
	v_mov_b32_e32 v36, 0x7c89e6b0
	v_mov_b32_e32 v37, 0x3efa0199
	v_fmac_f64_e32 v[36:37], v[32:33], v[74:75]
	v_mov_b32_e32 v74, 0x14761f6e
	v_mov_b32_e32 v75, 0x3f2a01a0
	v_fmac_f64_e32 v[74:75], v[32:33], v[36:37]
	v_mov_b32_e32 v36, 0x1852b7b0
	v_mov_b32_e32 v37, 0x3f56c16c
	v_fmac_f64_e32 v[36:37], v[32:33], v[74:75]
	v_mov_b32_e32 v74, 0x11122322
	v_mov_b32_e32 v75, 0x3f811111
	v_fmac_f64_e32 v[74:75], v[32:33], v[36:37]
	v_mov_b32_e32 v36, 0x555502a1
	v_mov_b32_e32 v37, 0x3fa55555
	v_fmac_f64_e32 v[36:37], v[32:33], v[74:75]
	v_mov_b32_e32 v74, 0x55555511
	v_mov_b32_e32 v75, 0x3fc55555
	v_fmac_f64_e32 v[74:75], v[32:33], v[36:37]
	v_mov_b32_e32 v36, 11
	v_mov_b32_e32 v37, 0x3fe00000
	s_mov_b32 s4, 0
	v_fmac_f64_e32 v[36:37], v[32:33], v[74:75]
	s_mov_b32 s5, 0x40900000
	v_fma_f64 v[36:37], v[32:33], v[36:37], 1.0
	v_cmp_nlt_f64_e32 vcc, s[4:5], v[2:3]
	s_mov_b32 s4, 0
	v_fma_f64 v[32:33], v[32:33], v[36:37], 1.0
	v_cvt_i32_f64_e32 v8, v[8:9]
	s_mov_b32 s5, 0xc090cc00
	v_ldexp_f64 v[8:9], v[32:33], v8
	v_mov_b32_e32 v32, 0x7ff00000
	v_cmp_ngt_f64_e64 s[4:5], s[4:5], v[2:3]
	v_cndmask_b32_e32 v9, v32, v9, vcc
	s_and_b64 vcc, s[4:5], vcc
	v_cndmask_b32_e64 v37, 0, v9, s[4:5]
	v_cndmask_b32_e32 v36, 0, v8, vcc
	v_add_f64 v[62:63], v[62:63], v[36:37]
.LBB695_583:
	s_or_b64 exec, exec, s[2:3]
.LBB695_584:
	s_or_b64 exec, exec, s[0:1]
	s_mov_b64 s[0:1], exec
	v_readlane_b32 s2, v125, 56
	v_readlane_b32 s3, v125, 57
	s_and_b64 s[2:3], s[0:1], s[2:3]
	s_mov_b64 exec, s[2:3]
	s_cbranch_execz .LBB695_588
; %bb.585:
	global_load_ubyte v2, v[4:5], off offset:1600
	v_pk_mov_b32 v[34:35], 0, 0
	s_waitcnt vmcnt(0)
	v_and_b32_e32 v2, 1, v2
	v_cmp_eq_u32_e32 vcc, 1, v2
	s_xor_b64 s[4:5], vcc, -1
	s_and_saveexec_b64 s[2:3], s[4:5]
	s_cbranch_execz .LBB695_587
; %bb.586:
	buffer_load_dword v2, off, s[96:99], 0 offset:72 ; 4-byte Folded Reload
	buffer_load_dword v3, off, s[96:99], 0 offset:76 ; 4-byte Folded Reload
	s_mov_b32 s4, 0x652b82fe
	s_mov_b32 s5, 0x3ff71547
	v_mov_b32_e32 v34, 0xfca7ab0c
	v_mov_b32_e32 v35, 0x3e928af3
	;; [unrolled: 1-line block ×4, first 2 shown]
	s_waitcnt vmcnt(0)
	v_add_f64 v[2:3], v[2:3], -v[64:65]
	v_mul_f64 v[8:9], v[2:3], s[4:5]
	s_mov_b32 s4, 0xfefa39ef
	v_rndne_f64_e32 v[8:9], v[8:9]
	s_mov_b32 s5, 0xbfe62e42
	v_fma_f64 v[32:33], s[4:5], v[8:9], v[2:3]
	s_mov_b32 s4, 0x3b39803f
	s_mov_b32 s5, 0xbc7abc9e
	v_fmac_f64_e32 v[32:33], s[4:5], v[8:9]
	s_mov_b32 s4, 0x6a5dcb37
	s_mov_b32 s5, 0x3e5ade15
	v_fmac_f64_e32 v[34:35], s[4:5], v[32:33]
	v_fmac_f64_e32 v[74:75], v[32:33], v[34:35]
	v_mov_b32_e32 v34, 0x7c89e6b0
	v_mov_b32_e32 v35, 0x3efa0199
	v_fmac_f64_e32 v[34:35], v[32:33], v[74:75]
	v_mov_b32_e32 v74, 0x14761f6e
	v_mov_b32_e32 v75, 0x3f2a01a0
	;; [unrolled: 3-line block ×7, first 2 shown]
	s_mov_b32 s4, 0
	v_fmac_f64_e32 v[34:35], v[32:33], v[74:75]
	s_mov_b32 s5, 0x40900000
	v_fma_f64 v[34:35], v[32:33], v[34:35], 1.0
	v_cmp_nlt_f64_e32 vcc, s[4:5], v[2:3]
	s_mov_b32 s4, 0
	v_fma_f64 v[32:33], v[32:33], v[34:35], 1.0
	v_cvt_i32_f64_e32 v8, v[8:9]
	s_mov_b32 s5, 0xc090cc00
	v_ldexp_f64 v[8:9], v[32:33], v8
	v_mov_b32_e32 v32, 0x7ff00000
	v_cmp_ngt_f64_e64 s[4:5], s[4:5], v[2:3]
	v_cndmask_b32_e32 v9, v32, v9, vcc
	s_and_b64 vcc, s[4:5], vcc
	v_cndmask_b32_e64 v35, 0, v9, s[4:5]
	v_cndmask_b32_e32 v34, 0, v8, vcc
	v_add_f64 v[62:63], v[62:63], v[34:35]
.LBB695_587:
	s_or_b64 exec, exec, s[2:3]
.LBB695_588:
	s_or_b64 exec, exec, s[0:1]
	s_waitcnt vmcnt(38)
	v_pk_mov_b32 v[32:33], 0, 0
	v_pk_mov_b32 v[2:3], v[32:33], v[32:33] op_sel:[0,1]
	s_mov_b64 s[0:1], exec
	v_readlane_b32 s2, v125, 60
	v_readlane_b32 s3, v125, 61
	s_and_b64 s[2:3], s[0:1], s[2:3]
	s_mov_b64 exec, s[2:3]
	s_cbranch_execz .LBB695_592
; %bb.589:
	global_load_ubyte v2, v[4:5], off offset:1632
	s_waitcnt vmcnt(0)
	v_and_b32_e32 v2, 1, v2
	v_cmp_eq_u32_e32 vcc, 1, v2
	s_xor_b64 s[4:5], vcc, -1
	v_pk_mov_b32 v[2:3], 0, 0
	s_and_saveexec_b64 s[2:3], s[4:5]
	s_cbranch_execz .LBB695_591
; %bb.590:
	s_mov_b32 s4, 0x652b82fe
	v_add_f64 v[2:3], v[28:29], -v[64:65]
	s_mov_b32 s5, 0x3ff71547
	v_mul_f64 v[8:9], v[2:3], s[4:5]
	s_mov_b32 s4, 0xfefa39ef
	v_rndne_f64_e32 v[8:9], v[8:9]
	s_mov_b32 s5, 0xbfe62e42
	v_fma_f64 v[28:29], s[4:5], v[8:9], v[2:3]
	s_mov_b32 s4, 0x3b39803f
	s_mov_b32 s5, 0xbc7abc9e
	v_fmac_f64_e32 v[28:29], s[4:5], v[8:9]
	s_mov_b32 s4, 0x6a5dcb37
	v_mov_b32_e32 v74, 0xfca7ab0c
	v_mov_b32_e32 v75, 0x3e928af3
	s_mov_b32 s5, 0x3e5ade15
	v_fmac_f64_e32 v[74:75], s[4:5], v[28:29]
	v_mov_b32_e32 v82, 0x623fde64
	v_mov_b32_e32 v83, 0x3ec71dee
	v_fmac_f64_e32 v[82:83], v[28:29], v[74:75]
	v_mov_b32_e32 v74, 0x7c89e6b0
	v_mov_b32_e32 v75, 0x3efa0199
	v_fmac_f64_e32 v[74:75], v[28:29], v[82:83]
	v_mov_b32_e32 v82, 0x14761f6e
	v_mov_b32_e32 v83, 0x3f2a01a0
	v_fmac_f64_e32 v[82:83], v[28:29], v[74:75]
	v_mov_b32_e32 v74, 0x1852b7b0
	v_mov_b32_e32 v75, 0x3f56c16c
	v_fmac_f64_e32 v[74:75], v[28:29], v[82:83]
	v_mov_b32_e32 v82, 0x11122322
	v_mov_b32_e32 v83, 0x3f811111
	v_fmac_f64_e32 v[82:83], v[28:29], v[74:75]
	v_mov_b32_e32 v74, 0x555502a1
	v_mov_b32_e32 v75, 0x3fa55555
	v_fmac_f64_e32 v[74:75], v[28:29], v[82:83]
	v_mov_b32_e32 v82, 0x55555511
	v_mov_b32_e32 v83, 0x3fc55555
	v_fmac_f64_e32 v[82:83], v[28:29], v[74:75]
	v_mov_b32_e32 v74, 11
	v_mov_b32_e32 v75, 0x3fe00000
	s_mov_b32 s4, 0
	v_fmac_f64_e32 v[74:75], v[28:29], v[82:83]
	s_mov_b32 s5, 0x40900000
	v_fma_f64 v[74:75], v[28:29], v[74:75], 1.0
	v_cmp_nlt_f64_e32 vcc, s[4:5], v[2:3]
	s_mov_b32 s4, 0
	v_fma_f64 v[28:29], v[28:29], v[74:75], 1.0
	v_cvt_i32_f64_e32 v8, v[8:9]
	s_mov_b32 s5, 0xc090cc00
	v_ldexp_f64 v[8:9], v[28:29], v8
	v_mov_b32_e32 v28, 0x7ff00000
	v_cmp_ngt_f64_e64 s[4:5], s[4:5], v[2:3]
	v_cndmask_b32_e32 v9, v28, v9, vcc
	s_and_b64 vcc, s[4:5], vcc
	v_cndmask_b32_e64 v3, 0, v9, s[4:5]
	v_cndmask_b32_e32 v2, 0, v8, vcc
	v_add_f64 v[62:63], v[62:63], v[2:3]
.LBB695_591:
	s_or_b64 exec, exec, s[2:3]
.LBB695_592:
	s_or_b64 exec, exec, s[0:1]
	s_mov_b64 s[0:1], exec
	v_readlane_b32 s2, v126, 0
	v_readlane_b32 s3, v126, 1
	s_and_b64 s[2:3], s[0:1], s[2:3]
	s_mov_b64 exec, s[2:3]
	s_cbranch_execz .LBB695_596
; %bb.593:
	global_load_ubyte v8, v[4:5], off offset:1664
	v_pk_mov_b32 v[32:33], 0, 0
	s_waitcnt vmcnt(0)
	v_and_b32_e32 v8, 1, v8
	v_cmp_eq_u32_e32 vcc, 1, v8
	s_xor_b64 s[4:5], vcc, -1
	s_and_saveexec_b64 s[2:3], s[4:5]
	s_cbranch_execz .LBB695_595
; %bb.594:
	buffer_load_dword v8, off, s[96:99], 0 offset:64 ; 4-byte Folded Reload
	buffer_load_dword v9, off, s[96:99], 0 offset:68 ; 4-byte Folded Reload
	s_mov_b32 s4, 0x652b82fe
	s_mov_b32 s5, 0x3ff71547
	v_mov_b32_e32 v74, 0xfca7ab0c
	v_mov_b32_e32 v75, 0x3e928af3
	;; [unrolled: 1-line block ×4, first 2 shown]
	s_waitcnt vmcnt(0)
	v_add_f64 v[8:9], v[8:9], -v[64:65]
	v_mul_f64 v[28:29], v[8:9], s[4:5]
	s_mov_b32 s4, 0xfefa39ef
	v_rndne_f64_e32 v[28:29], v[28:29]
	s_mov_b32 s5, 0xbfe62e42
	v_fma_f64 v[32:33], s[4:5], v[28:29], v[8:9]
	s_mov_b32 s4, 0x3b39803f
	s_mov_b32 s5, 0xbc7abc9e
	v_fmac_f64_e32 v[32:33], s[4:5], v[28:29]
	s_mov_b32 s4, 0x6a5dcb37
	s_mov_b32 s5, 0x3e5ade15
	v_fmac_f64_e32 v[74:75], s[4:5], v[32:33]
	v_fmac_f64_e32 v[82:83], v[32:33], v[74:75]
	v_mov_b32_e32 v74, 0x7c89e6b0
	v_mov_b32_e32 v75, 0x3efa0199
	v_fmac_f64_e32 v[74:75], v[32:33], v[82:83]
	v_mov_b32_e32 v82, 0x14761f6e
	v_mov_b32_e32 v83, 0x3f2a01a0
	v_fmac_f64_e32 v[82:83], v[32:33], v[74:75]
	v_mov_b32_e32 v74, 0x1852b7b0
	v_mov_b32_e32 v75, 0x3f56c16c
	v_fmac_f64_e32 v[74:75], v[32:33], v[82:83]
	v_mov_b32_e32 v82, 0x11122322
	v_mov_b32_e32 v83, 0x3f811111
	v_fmac_f64_e32 v[82:83], v[32:33], v[74:75]
	v_mov_b32_e32 v74, 0x555502a1
	v_mov_b32_e32 v75, 0x3fa55555
	v_fmac_f64_e32 v[74:75], v[32:33], v[82:83]
	v_mov_b32_e32 v82, 0x55555511
	v_mov_b32_e32 v83, 0x3fc55555
	v_fmac_f64_e32 v[82:83], v[32:33], v[74:75]
	v_mov_b32_e32 v74, 11
	v_mov_b32_e32 v75, 0x3fe00000
	s_mov_b32 s4, 0
	v_fmac_f64_e32 v[74:75], v[32:33], v[82:83]
	s_mov_b32 s5, 0x40900000
	v_fma_f64 v[74:75], v[32:33], v[74:75], 1.0
	v_cmp_nlt_f64_e32 vcc, s[4:5], v[8:9]
	s_mov_b32 s4, 0
	v_fma_f64 v[32:33], v[32:33], v[74:75], 1.0
	v_cvt_i32_f64_e32 v28, v[28:29]
	s_mov_b32 s5, 0xc090cc00
	v_ldexp_f64 v[28:29], v[32:33], v28
	v_mov_b32_e32 v32, 0x7ff00000
	v_cmp_ngt_f64_e64 s[4:5], s[4:5], v[8:9]
	v_cndmask_b32_e32 v29, v32, v29, vcc
	s_and_b64 vcc, s[4:5], vcc
	v_cndmask_b32_e64 v33, 0, v29, s[4:5]
	v_cndmask_b32_e32 v32, 0, v28, vcc
	v_add_f64 v[62:63], v[62:63], v[32:33]
.LBB695_595:
	s_or_b64 exec, exec, s[2:3]
.LBB695_596:
	s_or_b64 exec, exec, s[0:1]
	s_waitcnt vmcnt(36)
	v_pk_mov_b32 v[28:29], 0, 0
	v_pk_mov_b32 v[8:9], v[28:29], v[28:29] op_sel:[0,1]
	s_mov_b64 s[0:1], exec
	v_readlane_b32 s2, v126, 4
	v_readlane_b32 s3, v126, 5
	s_and_b64 s[2:3], s[0:1], s[2:3]
	s_mov_b64 exec, s[2:3]
	s_cbranch_execz .LBB695_600
; %bb.597:
	global_load_ubyte v8, v[4:5], off offset:1696
	s_waitcnt vmcnt(0)
	v_and_b32_e32 v8, 1, v8
	v_cmp_eq_u32_e32 vcc, 1, v8
	s_xor_b64 s[4:5], vcc, -1
	v_pk_mov_b32 v[8:9], 0, 0
	s_and_saveexec_b64 s[2:3], s[4:5]
	s_cbranch_execz .LBB695_599
; %bb.598:
	s_mov_b32 s4, 0x652b82fe
	v_add_f64 v[8:9], v[24:25], -v[64:65]
	s_mov_b32 s5, 0x3ff71547
	v_mul_f64 v[24:25], v[8:9], s[4:5]
	s_mov_b32 s4, 0xfefa39ef
	v_rndne_f64_e32 v[24:25], v[24:25]
	s_mov_b32 s5, 0xbfe62e42
	v_fma_f64 v[74:75], s[4:5], v[24:25], v[8:9]
	s_mov_b32 s4, 0x3b39803f
	s_mov_b32 s5, 0xbc7abc9e
	v_fmac_f64_e32 v[74:75], s[4:5], v[24:25]
	s_mov_b32 s4, 0x6a5dcb37
	v_mov_b32_e32 v82, 0xfca7ab0c
	v_mov_b32_e32 v83, 0x3e928af3
	s_mov_b32 s5, 0x3e5ade15
	v_fmac_f64_e32 v[82:83], s[4:5], v[74:75]
	v_mov_b32_e32 v90, 0x623fde64
	v_mov_b32_e32 v91, 0x3ec71dee
	v_fmac_f64_e32 v[90:91], v[74:75], v[82:83]
	v_mov_b32_e32 v82, 0x7c89e6b0
	v_mov_b32_e32 v83, 0x3efa0199
	v_fmac_f64_e32 v[82:83], v[74:75], v[90:91]
	v_mov_b32_e32 v90, 0x14761f6e
	v_mov_b32_e32 v91, 0x3f2a01a0
	v_fmac_f64_e32 v[90:91], v[74:75], v[82:83]
	v_mov_b32_e32 v82, 0x1852b7b0
	v_mov_b32_e32 v83, 0x3f56c16c
	v_fmac_f64_e32 v[82:83], v[74:75], v[90:91]
	v_mov_b32_e32 v90, 0x11122322
	v_mov_b32_e32 v91, 0x3f811111
	v_fmac_f64_e32 v[90:91], v[74:75], v[82:83]
	v_mov_b32_e32 v82, 0x555502a1
	v_mov_b32_e32 v83, 0x3fa55555
	v_fmac_f64_e32 v[82:83], v[74:75], v[90:91]
	v_mov_b32_e32 v90, 0x55555511
	v_mov_b32_e32 v91, 0x3fc55555
	v_fmac_f64_e32 v[90:91], v[74:75], v[82:83]
	v_mov_b32_e32 v82, 11
	v_mov_b32_e32 v83, 0x3fe00000
	s_mov_b32 s4, 0
	v_fmac_f64_e32 v[82:83], v[74:75], v[90:91]
	s_mov_b32 s5, 0x40900000
	v_fma_f64 v[82:83], v[74:75], v[82:83], 1.0
	v_cmp_nlt_f64_e32 vcc, s[4:5], v[8:9]
	s_mov_b32 s4, 0
	v_fma_f64 v[74:75], v[74:75], v[82:83], 1.0
	v_cvt_i32_f64_e32 v24, v[24:25]
	s_mov_b32 s5, 0xc090cc00
	v_ldexp_f64 v[24:25], v[74:75], v24
	v_mov_b32_e32 v66, 0x7ff00000
	v_cmp_ngt_f64_e64 s[4:5], s[4:5], v[8:9]
	v_cndmask_b32_e32 v25, v66, v25, vcc
	s_and_b64 vcc, s[4:5], vcc
	v_cndmask_b32_e64 v9, 0, v25, s[4:5]
	v_cndmask_b32_e32 v8, 0, v24, vcc
	v_add_f64 v[62:63], v[62:63], v[8:9]
.LBB695_599:
	s_or_b64 exec, exec, s[2:3]
.LBB695_600:
	s_or_b64 exec, exec, s[0:1]
	s_mov_b64 s[0:1], exec
	v_readlane_b32 s2, v126, 8
	v_readlane_b32 s3, v126, 9
	s_and_b64 s[2:3], s[0:1], s[2:3]
	s_mov_b64 exec, s[2:3]
	s_cbranch_execz .LBB695_604
; %bb.601:
	global_load_ubyte v24, v[4:5], off offset:1728
	v_pk_mov_b32 v[28:29], 0, 0
	s_waitcnt vmcnt(0)
	v_and_b32_e32 v24, 1, v24
	v_cmp_eq_u32_e32 vcc, 1, v24
	s_xor_b64 s[4:5], vcc, -1
	s_and_saveexec_b64 s[2:3], s[4:5]
	s_cbranch_execz .LBB695_603
; %bb.602:
	buffer_load_dword v24, off, s[96:99], 0 offset:56 ; 4-byte Folded Reload
	buffer_load_dword v25, off, s[96:99], 0 offset:60 ; 4-byte Folded Reload
	s_mov_b32 s4, 0x652b82fe
	s_mov_b32 s5, 0x3ff71547
	v_mov_b32_e32 v82, 0xfca7ab0c
	v_mov_b32_e32 v83, 0x3e928af3
	;; [unrolled: 1-line block ×5, first 2 shown]
	s_waitcnt vmcnt(0)
	v_add_f64 v[24:25], v[24:25], -v[64:65]
	v_mul_f64 v[28:29], v[24:25], s[4:5]
	s_mov_b32 s4, 0xfefa39ef
	v_rndne_f64_e32 v[28:29], v[28:29]
	s_mov_b32 s5, 0xbfe62e42
	v_fma_f64 v[74:75], s[4:5], v[28:29], v[24:25]
	s_mov_b32 s4, 0x3b39803f
	s_mov_b32 s5, 0xbc7abc9e
	v_fmac_f64_e32 v[74:75], s[4:5], v[28:29]
	s_mov_b32 s4, 0x6a5dcb37
	s_mov_b32 s5, 0x3e5ade15
	v_fmac_f64_e32 v[82:83], s[4:5], v[74:75]
	v_fmac_f64_e32 v[90:91], v[74:75], v[82:83]
	v_mov_b32_e32 v82, 0x7c89e6b0
	v_mov_b32_e32 v83, 0x3efa0199
	v_fmac_f64_e32 v[82:83], v[74:75], v[90:91]
	v_mov_b32_e32 v90, 0x14761f6e
	v_mov_b32_e32 v91, 0x3f2a01a0
	;; [unrolled: 3-line block ×7, first 2 shown]
	s_mov_b32 s4, 0
	v_fmac_f64_e32 v[82:83], v[74:75], v[90:91]
	s_mov_b32 s5, 0x40900000
	v_fma_f64 v[82:83], v[74:75], v[82:83], 1.0
	v_cmp_nlt_f64_e32 vcc, s[4:5], v[24:25]
	s_mov_b32 s4, 0
	v_fma_f64 v[74:75], v[74:75], v[82:83], 1.0
	v_cvt_i32_f64_e32 v28, v[28:29]
	s_mov_b32 s5, 0xc090cc00
	v_ldexp_f64 v[28:29], v[74:75], v28
	v_cmp_ngt_f64_e64 s[4:5], s[4:5], v[24:25]
	v_cndmask_b32_e32 v29, v66, v29, vcc
	s_and_b64 vcc, s[4:5], vcc
	v_cndmask_b32_e64 v29, 0, v29, s[4:5]
	v_cndmask_b32_e32 v28, 0, v28, vcc
	v_add_f64 v[62:63], v[62:63], v[28:29]
.LBB695_603:
	s_or_b64 exec, exec, s[2:3]
.LBB695_604:
	s_or_b64 exec, exec, s[0:1]
	s_waitcnt vmcnt(34)
	v_pk_mov_b32 v[24:25], 0, 0
	v_pk_mov_b32 v[82:83], v[24:25], v[24:25] op_sel:[0,1]
	s_mov_b64 s[0:1], exec
	v_readlane_b32 s2, v126, 12
	v_readlane_b32 s3, v126, 13
	s_and_b64 s[2:3], s[0:1], s[2:3]
	s_mov_b64 exec, s[2:3]
	s_cbranch_execz .LBB695_608
; %bb.605:
	global_load_ubyte v66, v[4:5], off offset:1760
	v_pk_mov_b32 v[82:83], 0, 0
	s_waitcnt vmcnt(0)
	v_and_b32_e32 v66, 1, v66
	v_cmp_eq_u32_e32 vcc, 1, v66
	s_xor_b64 s[4:5], vcc, -1
	s_and_saveexec_b64 s[2:3], s[4:5]
	s_cbranch_execz .LBB695_607
; %bb.606:
	s_mov_b32 s4, 0x652b82fe
	v_add_f64 v[20:21], v[20:21], -v[64:65]
	s_mov_b32 s5, 0x3ff71547
	v_mul_f64 v[74:75], v[20:21], s[4:5]
	s_mov_b32 s4, 0xfefa39ef
	v_rndne_f64_e32 v[74:75], v[74:75]
	s_mov_b32 s5, 0xbfe62e42
	v_fma_f64 v[82:83], s[4:5], v[74:75], v[20:21]
	s_mov_b32 s4, 0x3b39803f
	s_mov_b32 s5, 0xbc7abc9e
	v_fmac_f64_e32 v[82:83], s[4:5], v[74:75]
	s_mov_b32 s4, 0x6a5dcb37
	v_mov_b32_e32 v90, 0xfca7ab0c
	v_mov_b32_e32 v91, 0x3e928af3
	s_mov_b32 s5, 0x3e5ade15
	v_fmac_f64_e32 v[90:91], s[4:5], v[82:83]
	v_mov_b32_e32 v98, 0x623fde64
	v_mov_b32_e32 v99, 0x3ec71dee
	v_fmac_f64_e32 v[98:99], v[82:83], v[90:91]
	v_mov_b32_e32 v90, 0x7c89e6b0
	v_mov_b32_e32 v91, 0x3efa0199
	;; [unrolled: 3-line block ×8, first 2 shown]
	s_mov_b32 s4, 0
	v_fmac_f64_e32 v[90:91], v[82:83], v[98:99]
	s_mov_b32 s5, 0x40900000
	v_fma_f64 v[90:91], v[82:83], v[90:91], 1.0
	v_cmp_nlt_f64_e32 vcc, s[4:5], v[20:21]
	s_mov_b32 s4, 0
	v_fma_f64 v[82:83], v[82:83], v[90:91], 1.0
	v_cvt_i32_f64_e32 v66, v[74:75]
	s_mov_b32 s5, 0xc090cc00
	v_ldexp_f64 v[74:75], v[82:83], v66
	v_mov_b32_e32 v66, 0x7ff00000
	v_cmp_ngt_f64_e64 s[4:5], s[4:5], v[20:21]
	v_cndmask_b32_e32 v66, v66, v75, vcc
	s_and_b64 vcc, s[4:5], vcc
	v_cndmask_b32_e64 v83, 0, v66, s[4:5]
	v_cndmask_b32_e32 v82, 0, v74, vcc
	v_add_f64 v[62:63], v[62:63], v[82:83]
.LBB695_607:
	s_or_b64 exec, exec, s[2:3]
.LBB695_608:
	s_or_b64 exec, exec, s[0:1]
	s_mov_b64 s[0:1], exec
	v_readlane_b32 s2, v126, 16
	v_readlane_b32 s3, v126, 17
	s_and_b64 s[2:3], s[0:1], s[2:3]
	s_mov_b64 exec, s[2:3]
	s_cbranch_execz .LBB695_612
; %bb.609:
	global_load_ubyte v20, v[4:5], off offset:1792
	v_pk_mov_b32 v[24:25], 0, 0
	s_waitcnt vmcnt(0)
	v_and_b32_e32 v20, 1, v20
	v_cmp_eq_u32_e32 vcc, 1, v20
	s_xor_b64 s[4:5], vcc, -1
	s_and_saveexec_b64 s[2:3], s[4:5]
	s_cbranch_execz .LBB695_611
; %bb.610:
	buffer_load_dword v20, off, s[96:99], 0 offset:48 ; 4-byte Folded Reload
	buffer_load_dword v21, off, s[96:99], 0 offset:52 ; 4-byte Folded Reload
	s_mov_b32 s4, 0x652b82fe
	s_mov_b32 s5, 0x3ff71547
	v_mov_b32_e32 v90, 0xfca7ab0c
	v_mov_b32_e32 v91, 0x3e928af3
	v_mov_b32_e32 v98, 0x623fde64
	v_mov_b32_e32 v99, 0x3ec71dee
	v_mov_b32_e32 v66, 0x7ff00000
	s_waitcnt vmcnt(0)
	v_add_f64 v[20:21], v[20:21], -v[64:65]
	v_mul_f64 v[24:25], v[20:21], s[4:5]
	s_mov_b32 s4, 0xfefa39ef
	v_rndne_f64_e32 v[24:25], v[24:25]
	s_mov_b32 s5, 0xbfe62e42
	v_fma_f64 v[74:75], s[4:5], v[24:25], v[20:21]
	s_mov_b32 s4, 0x3b39803f
	s_mov_b32 s5, 0xbc7abc9e
	v_fmac_f64_e32 v[74:75], s[4:5], v[24:25]
	s_mov_b32 s4, 0x6a5dcb37
	s_mov_b32 s5, 0x3e5ade15
	v_fmac_f64_e32 v[90:91], s[4:5], v[74:75]
	v_fmac_f64_e32 v[98:99], v[74:75], v[90:91]
	v_mov_b32_e32 v90, 0x7c89e6b0
	v_mov_b32_e32 v91, 0x3efa0199
	v_fmac_f64_e32 v[90:91], v[74:75], v[98:99]
	v_mov_b32_e32 v98, 0x14761f6e
	v_mov_b32_e32 v99, 0x3f2a01a0
	;; [unrolled: 3-line block ×7, first 2 shown]
	s_mov_b32 s4, 0
	v_fmac_f64_e32 v[90:91], v[74:75], v[98:99]
	s_mov_b32 s5, 0x40900000
	v_fma_f64 v[90:91], v[74:75], v[90:91], 1.0
	v_cmp_nlt_f64_e32 vcc, s[4:5], v[20:21]
	s_mov_b32 s4, 0
	v_fma_f64 v[74:75], v[74:75], v[90:91], 1.0
	v_cvt_i32_f64_e32 v24, v[24:25]
	s_mov_b32 s5, 0xc090cc00
	v_ldexp_f64 v[24:25], v[74:75], v24
	v_cmp_ngt_f64_e64 s[4:5], s[4:5], v[20:21]
	v_cndmask_b32_e32 v25, v66, v25, vcc
	s_and_b64 vcc, s[4:5], vcc
	v_cndmask_b32_e64 v25, 0, v25, s[4:5]
	v_cndmask_b32_e32 v24, 0, v24, vcc
	v_add_f64 v[62:63], v[62:63], v[24:25]
.LBB695_611:
	s_or_b64 exec, exec, s[2:3]
.LBB695_612:
	s_or_b64 exec, exec, s[0:1]
	s_waitcnt vmcnt(32)
	v_pk_mov_b32 v[20:21], 0, 0
	v_pk_mov_b32 v[74:75], v[20:21], v[20:21] op_sel:[0,1]
	s_mov_b64 s[0:1], exec
	v_readlane_b32 s2, v126, 20
	v_readlane_b32 s3, v126, 21
	s_and_b64 s[2:3], s[0:1], s[2:3]
	s_mov_b64 exec, s[2:3]
	s_cbranch_execz .LBB695_616
; %bb.613:
	global_load_ubyte v66, v[4:5], off offset:1824
	v_pk_mov_b32 v[74:75], 0, 0
	s_waitcnt vmcnt(0)
	v_and_b32_e32 v66, 1, v66
	v_cmp_eq_u32_e32 vcc, 1, v66
	s_xor_b64 s[4:5], vcc, -1
	s_and_saveexec_b64 s[2:3], s[4:5]
	s_cbranch_execz .LBB695_615
; %bb.614:
	s_mov_b32 s4, 0x652b82fe
	v_add_f64 v[16:17], v[16:17], -v[64:65]
	s_mov_b32 s5, 0x3ff71547
	v_mul_f64 v[74:75], v[16:17], s[4:5]
	s_mov_b32 s4, 0xfefa39ef
	v_rndne_f64_e32 v[74:75], v[74:75]
	s_mov_b32 s5, 0xbfe62e42
	v_fma_f64 v[90:91], s[4:5], v[74:75], v[16:17]
	s_mov_b32 s4, 0x3b39803f
	s_mov_b32 s5, 0xbc7abc9e
	v_fmac_f64_e32 v[90:91], s[4:5], v[74:75]
	s_mov_b32 s4, 0x6a5dcb37
	v_mov_b32_e32 v98, 0xfca7ab0c
	v_mov_b32_e32 v99, 0x3e928af3
	s_mov_b32 s5, 0x3e5ade15
	v_fmac_f64_e32 v[98:99], s[4:5], v[90:91]
	v_mov_b32_e32 v106, 0x623fde64
	v_mov_b32_e32 v107, 0x3ec71dee
	v_fmac_f64_e32 v[106:107], v[90:91], v[98:99]
	v_mov_b32_e32 v98, 0x7c89e6b0
	v_mov_b32_e32 v99, 0x3efa0199
	;; [unrolled: 3-line block ×8, first 2 shown]
	s_mov_b32 s4, 0
	v_fmac_f64_e32 v[98:99], v[90:91], v[106:107]
	s_mov_b32 s5, 0x40900000
	v_fma_f64 v[98:99], v[90:91], v[98:99], 1.0
	v_cmp_nlt_f64_e32 vcc, s[4:5], v[16:17]
	s_mov_b32 s4, 0
	v_fma_f64 v[90:91], v[90:91], v[98:99], 1.0
	v_cvt_i32_f64_e32 v66, v[74:75]
	s_mov_b32 s5, 0xc090cc00
	v_ldexp_f64 v[74:75], v[90:91], v66
	v_mov_b32_e32 v66, 0x7ff00000
	v_cmp_ngt_f64_e64 s[4:5], s[4:5], v[16:17]
	v_cndmask_b32_e32 v66, v66, v75, vcc
	s_and_b64 vcc, s[4:5], vcc
	v_cndmask_b32_e64 v75, 0, v66, s[4:5]
	v_cndmask_b32_e32 v74, 0, v74, vcc
	v_add_f64 v[62:63], v[62:63], v[74:75]
.LBB695_615:
	s_or_b64 exec, exec, s[2:3]
.LBB695_616:
	s_or_b64 exec, exec, s[0:1]
	s_mov_b64 s[0:1], exec
	v_readlane_b32 s2, v126, 24
	v_readlane_b32 s3, v126, 25
	s_and_b64 s[2:3], s[0:1], s[2:3]
	s_mov_b64 exec, s[2:3]
	s_cbranch_execz .LBB695_620
; %bb.617:
	global_load_ubyte v16, v[4:5], off offset:1856
	v_pk_mov_b32 v[20:21], 0, 0
	s_waitcnt vmcnt(0)
	v_and_b32_e32 v16, 1, v16
	v_cmp_eq_u32_e32 vcc, 1, v16
	s_xor_b64 s[4:5], vcc, -1
	s_and_saveexec_b64 s[2:3], s[4:5]
	s_cbranch_execz .LBB695_619
; %bb.618:
	buffer_load_dword v16, off, s[96:99], 0 offset:40 ; 4-byte Folded Reload
	buffer_load_dword v17, off, s[96:99], 0 offset:44 ; 4-byte Folded Reload
	s_mov_b32 s4, 0x652b82fe
	s_mov_b32 s5, 0x3ff71547
	v_mov_b32_e32 v98, 0xfca7ab0c
	v_mov_b32_e32 v99, 0x3e928af3
	;; [unrolled: 1-line block ×5, first 2 shown]
	s_waitcnt vmcnt(0)
	v_add_f64 v[16:17], v[16:17], -v[64:65]
	v_mul_f64 v[20:21], v[16:17], s[4:5]
	s_mov_b32 s4, 0xfefa39ef
	v_rndne_f64_e32 v[20:21], v[20:21]
	s_mov_b32 s5, 0xbfe62e42
	v_fma_f64 v[90:91], s[4:5], v[20:21], v[16:17]
	s_mov_b32 s4, 0x3b39803f
	s_mov_b32 s5, 0xbc7abc9e
	v_fmac_f64_e32 v[90:91], s[4:5], v[20:21]
	s_mov_b32 s4, 0x6a5dcb37
	s_mov_b32 s5, 0x3e5ade15
	v_fmac_f64_e32 v[98:99], s[4:5], v[90:91]
	v_fmac_f64_e32 v[106:107], v[90:91], v[98:99]
	v_mov_b32_e32 v98, 0x7c89e6b0
	v_mov_b32_e32 v99, 0x3efa0199
	v_fmac_f64_e32 v[98:99], v[90:91], v[106:107]
	v_mov_b32_e32 v106, 0x14761f6e
	v_mov_b32_e32 v107, 0x3f2a01a0
	;; [unrolled: 3-line block ×7, first 2 shown]
	s_mov_b32 s4, 0
	v_fmac_f64_e32 v[98:99], v[90:91], v[106:107]
	s_mov_b32 s5, 0x40900000
	v_fma_f64 v[98:99], v[90:91], v[98:99], 1.0
	v_cmp_nlt_f64_e32 vcc, s[4:5], v[16:17]
	s_mov_b32 s4, 0
	v_fma_f64 v[90:91], v[90:91], v[98:99], 1.0
	v_cvt_i32_f64_e32 v20, v[20:21]
	s_mov_b32 s5, 0xc090cc00
	v_ldexp_f64 v[20:21], v[90:91], v20
	v_cmp_ngt_f64_e64 s[4:5], s[4:5], v[16:17]
	v_cndmask_b32_e32 v21, v66, v21, vcc
	s_and_b64 vcc, s[4:5], vcc
	v_cndmask_b32_e64 v21, 0, v21, s[4:5]
	v_cndmask_b32_e32 v20, 0, v20, vcc
	v_add_f64 v[62:63], v[62:63], v[20:21]
.LBB695_619:
	s_or_b64 exec, exec, s[2:3]
.LBB695_620:
	s_or_b64 exec, exec, s[0:1]
	s_waitcnt vmcnt(30)
	v_pk_mov_b32 v[16:17], 0, 0
	v_pk_mov_b32 v[90:91], v[16:17], v[16:17] op_sel:[0,1]
	s_mov_b64 s[0:1], exec
	v_readlane_b32 s2, v126, 28
	v_readlane_b32 s3, v126, 29
	s_and_b64 s[2:3], s[0:1], s[2:3]
	s_mov_b64 exec, s[2:3]
	s_cbranch_execz .LBB695_624
; %bb.621:
	global_load_ubyte v66, v[4:5], off offset:1888
	v_pk_mov_b32 v[90:91], 0, 0
	s_waitcnt vmcnt(0)
	v_and_b32_e32 v66, 1, v66
	v_cmp_eq_u32_e32 vcc, 1, v66
	s_xor_b64 s[4:5], vcc, -1
	s_and_saveexec_b64 s[2:3], s[4:5]
	s_cbranch_execz .LBB695_623
; %bb.622:
	s_mov_b32 s4, 0x652b82fe
	v_add_f64 v[12:13], v[12:13], -v[64:65]
	s_mov_b32 s5, 0x3ff71547
	v_mul_f64 v[90:91], v[12:13], s[4:5]
	s_mov_b32 s4, 0xfefa39ef
	v_rndne_f64_e32 v[90:91], v[90:91]
	s_mov_b32 s5, 0xbfe62e42
	v_fma_f64 v[98:99], s[4:5], v[90:91], v[12:13]
	s_mov_b32 s4, 0x3b39803f
	s_mov_b32 s5, 0xbc7abc9e
	v_fmac_f64_e32 v[98:99], s[4:5], v[90:91]
	s_mov_b32 s4, 0x6a5dcb37
	v_mov_b32_e32 v106, 0xfca7ab0c
	v_mov_b32_e32 v107, 0x3e928af3
	s_mov_b32 s5, 0x3e5ade15
	v_fmac_f64_e32 v[106:107], s[4:5], v[98:99]
	v_mov_b32_e32 v66, 0x623fde64
	v_mov_b32_e32 v67, 0x3ec71dee
	v_fmac_f64_e32 v[66:67], v[98:99], v[106:107]
	v_mov_b32_e32 v106, 0x7c89e6b0
	v_mov_b32_e32 v107, 0x3efa0199
	;; [unrolled: 3-line block ×8, first 2 shown]
	s_mov_b32 s4, 0
	v_fmac_f64_e32 v[106:107], v[98:99], v[66:67]
	s_mov_b32 s5, 0x40900000
	v_fma_f64 v[66:67], v[98:99], v[106:107], 1.0
	v_cmp_nlt_f64_e32 vcc, s[4:5], v[12:13]
	s_mov_b32 s4, 0
	v_fma_f64 v[66:67], v[98:99], v[66:67], 1.0
	v_cvt_i32_f64_e32 v90, v[90:91]
	s_mov_b32 s5, 0xc090cc00
	v_ldexp_f64 v[66:67], v[66:67], v90
	v_mov_b32_e32 v90, 0x7ff00000
	v_cmp_ngt_f64_e64 s[4:5], s[4:5], v[12:13]
	v_cndmask_b32_e32 v67, v90, v67, vcc
	s_and_b64 vcc, s[4:5], vcc
	v_cndmask_b32_e64 v91, 0, v67, s[4:5]
	v_cndmask_b32_e32 v90, 0, v66, vcc
	v_add_f64 v[62:63], v[62:63], v[90:91]
.LBB695_623:
	s_or_b64 exec, exec, s[2:3]
.LBB695_624:
	s_or_b64 exec, exec, s[0:1]
	s_mov_b64 s[0:1], exec
	v_readlane_b32 s2, v126, 32
	v_readlane_b32 s3, v126, 33
	s_and_b64 s[2:3], s[0:1], s[2:3]
	s_mov_b64 exec, s[2:3]
	s_cbranch_execz .LBB695_628
; %bb.625:
	global_load_ubyte v12, v[4:5], off offset:1920
	v_pk_mov_b32 v[16:17], 0, 0
	s_waitcnt vmcnt(0)
	v_and_b32_e32 v12, 1, v12
	v_cmp_eq_u32_e32 vcc, 1, v12
	s_xor_b64 s[4:5], vcc, -1
	s_and_saveexec_b64 s[2:3], s[4:5]
	s_cbranch_execz .LBB695_627
; %bb.626:
	buffer_load_dword v12, off, s[96:99], 0 offset:32 ; 4-byte Folded Reload
	buffer_load_dword v13, off, s[96:99], 0 offset:36 ; 4-byte Folded Reload
	s_mov_b32 s4, 0x652b82fe
	s_mov_b32 s5, 0x3ff71547
	v_mov_b32_e32 v98, 0xfca7ab0c
	v_mov_b32_e32 v99, 0x3e928af3
	;; [unrolled: 1-line block ×4, first 2 shown]
	s_waitcnt vmcnt(0)
	v_add_f64 v[12:13], v[12:13], -v[64:65]
	v_mul_f64 v[16:17], v[12:13], s[4:5]
	s_mov_b32 s4, 0xfefa39ef
	v_rndne_f64_e32 v[16:17], v[16:17]
	s_mov_b32 s5, 0xbfe62e42
	v_fma_f64 v[66:67], s[4:5], v[16:17], v[12:13]
	s_mov_b32 s4, 0x3b39803f
	s_mov_b32 s5, 0xbc7abc9e
	v_fmac_f64_e32 v[66:67], s[4:5], v[16:17]
	s_mov_b32 s4, 0x6a5dcb37
	s_mov_b32 s5, 0x3e5ade15
	v_fmac_f64_e32 v[98:99], s[4:5], v[66:67]
	v_fmac_f64_e32 v[106:107], v[66:67], v[98:99]
	v_mov_b32_e32 v98, 0x7c89e6b0
	v_mov_b32_e32 v99, 0x3efa0199
	v_fmac_f64_e32 v[98:99], v[66:67], v[106:107]
	v_mov_b32_e32 v106, 0x14761f6e
	v_mov_b32_e32 v107, 0x3f2a01a0
	;; [unrolled: 3-line block ×7, first 2 shown]
	s_mov_b32 s4, 0
	v_fmac_f64_e32 v[98:99], v[66:67], v[106:107]
	s_mov_b32 s5, 0x40900000
	v_fma_f64 v[98:99], v[66:67], v[98:99], 1.0
	v_cmp_nlt_f64_e32 vcc, s[4:5], v[12:13]
	s_mov_b32 s4, 0
	v_fma_f64 v[66:67], v[66:67], v[98:99], 1.0
	v_cvt_i32_f64_e32 v16, v[16:17]
	s_mov_b32 s5, 0xc090cc00
	v_ldexp_f64 v[16:17], v[66:67], v16
	v_mov_b32_e32 v66, 0x7ff00000
	v_cmp_ngt_f64_e64 s[4:5], s[4:5], v[12:13]
	v_cndmask_b32_e32 v17, v66, v17, vcc
	s_and_b64 vcc, s[4:5], vcc
	v_cndmask_b32_e64 v17, 0, v17, s[4:5]
	v_cndmask_b32_e32 v16, 0, v16, vcc
	v_add_f64 v[62:63], v[62:63], v[16:17]
.LBB695_627:
	s_or_b64 exec, exec, s[2:3]
.LBB695_628:
	s_or_b64 exec, exec, s[0:1]
	s_waitcnt vmcnt(28)
	v_pk_mov_b32 v[12:13], 0, 0
	v_pk_mov_b32 v[98:99], v[12:13], v[12:13] op_sel:[0,1]
	s_mov_b64 s[0:1], exec
	v_readlane_b32 s2, v126, 36
	v_readlane_b32 s3, v126, 37
	s_and_b64 s[2:3], s[0:1], s[2:3]
	s_mov_b64 exec, s[2:3]
	s_cbranch_execz .LBB695_632
; %bb.629:
	global_load_ubyte v66, v[4:5], off offset:1952
	v_pk_mov_b32 v[98:99], 0, 0
	s_waitcnt vmcnt(0)
	v_and_b32_e32 v66, 1, v66
	v_cmp_eq_u32_e32 vcc, 1, v66
	s_xor_b64 s[4:5], vcc, -1
	s_and_saveexec_b64 s[2:3], s[4:5]
	s_cbranch_execz .LBB695_631
; %bb.630:
	buffer_load_dword v66, off, s[96:99], 0 offset:24 ; 4-byte Folded Reload
	buffer_load_dword v67, off, s[96:99], 0 offset:28 ; 4-byte Folded Reload
	s_mov_b32 s4, 0x652b82fe
	s_mov_b32 s5, 0x3ff71547
	v_mov_b32_e32 v114, 0xfca7ab0c
	v_mov_b32_e32 v115, 0x3e928af3
	v_pk_mov_b32 v[26:27], v[14:15], v[14:15] op_sel:[0,1]
	v_pk_mov_b32 v[14:15], v[122:123], v[122:123] op_sel:[0,1]
	v_mov_b32_e32 v122, 0x623fde64
	v_mov_b32_e32 v123, 0x3ec71dee
	s_waitcnt vmcnt(0)
	v_add_f64 v[66:67], v[66:67], -v[64:65]
	v_mul_f64 v[98:99], v[66:67], s[4:5]
	s_mov_b32 s4, 0xfefa39ef
	v_rndne_f64_e32 v[98:99], v[98:99]
	s_mov_b32 s5, 0xbfe62e42
	v_fma_f64 v[106:107], s[4:5], v[98:99], v[66:67]
	s_mov_b32 s4, 0x3b39803f
	s_mov_b32 s5, 0xbc7abc9e
	v_fmac_f64_e32 v[106:107], s[4:5], v[98:99]
	s_mov_b32 s4, 0x6a5dcb37
	s_mov_b32 s5, 0x3e5ade15
	v_fmac_f64_e32 v[114:115], s[4:5], v[106:107]
	v_fmac_f64_e32 v[122:123], v[106:107], v[114:115]
	v_mov_b32_e32 v114, 0x7c89e6b0
	v_mov_b32_e32 v115, 0x3efa0199
	v_fmac_f64_e32 v[114:115], v[106:107], v[122:123]
	v_mov_b32_e32 v122, 0x14761f6e
	v_mov_b32_e32 v123, 0x3f2a01a0
	;; [unrolled: 3-line block ×7, first 2 shown]
	s_mov_b32 s4, 0
	v_fmac_f64_e32 v[114:115], v[106:107], v[122:123]
	s_mov_b32 s5, 0x40900000
	v_fma_f64 v[114:115], v[106:107], v[114:115], 1.0
	v_cmp_nlt_f64_e32 vcc, s[4:5], v[66:67]
	s_mov_b32 s4, 0
	v_fma_f64 v[106:107], v[106:107], v[114:115], 1.0
	v_cvt_i32_f64_e32 v98, v[98:99]
	s_mov_b32 s5, 0xc090cc00
	v_ldexp_f64 v[98:99], v[106:107], v98
	v_mov_b32_e32 v106, 0x7ff00000
	v_cmp_ngt_f64_e64 s[4:5], s[4:5], v[66:67]
	v_cndmask_b32_e32 v99, v106, v99, vcc
	s_and_b64 vcc, s[4:5], vcc
	v_cndmask_b32_e64 v99, 0, v99, s[4:5]
	v_cndmask_b32_e32 v98, 0, v98, vcc
	v_pk_mov_b32 v[122:123], v[14:15], v[14:15] op_sel:[0,1]
	v_pk_mov_b32 v[14:15], v[26:27], v[26:27] op_sel:[0,1]
	v_add_f64 v[62:63], v[62:63], v[98:99]
.LBB695_631:
	s_or_b64 exec, exec, s[2:3]
.LBB695_632:
	s_or_b64 exec, exec, s[0:1]
	s_mov_b64 s[0:1], exec
	v_readlane_b32 s2, v126, 40
	v_readlane_b32 s3, v126, 41
	s_and_b64 s[2:3], s[0:1], s[2:3]
	s_mov_b64 exec, s[2:3]
	s_cbranch_execz .LBB695_636
; %bb.633:
	global_load_ubyte v12, v[4:5], off offset:1984
	s_waitcnt vmcnt(0)
	v_and_b32_e32 v12, 1, v12
	v_cmp_eq_u32_e32 vcc, 1, v12
	s_xor_b64 s[4:5], vcc, -1
	v_pk_mov_b32 v[12:13], 0, 0
	s_and_saveexec_b64 s[2:3], s[4:5]
	s_cbranch_execz .LBB695_635
; %bb.634:
	buffer_load_dword v12, off, s[96:99], 0 offset:16 ; 4-byte Folded Reload
	buffer_load_dword v13, off, s[96:99], 0 offset:20 ; 4-byte Folded Reload
	s_mov_b32 s4, 0x652b82fe
	s_mov_b32 s5, 0x3ff71547
	v_mov_b32_e32 v114, 0xfca7ab0c
	v_mov_b32_e32 v115, 0x3e928af3
	v_pk_mov_b32 v[26:27], v[14:15], v[14:15] op_sel:[0,1]
	v_pk_mov_b32 v[14:15], v[122:123], v[122:123] op_sel:[0,1]
	v_mov_b32_e32 v122, 0x623fde64
	v_mov_b32_e32 v123, 0x3ec71dee
	s_waitcnt vmcnt(0)
	v_add_f64 v[12:13], v[12:13], -v[64:65]
	v_mul_f64 v[66:67], v[12:13], s[4:5]
	s_mov_b32 s4, 0xfefa39ef
	v_rndne_f64_e32 v[66:67], v[66:67]
	s_mov_b32 s5, 0xbfe62e42
	v_fma_f64 v[106:107], s[4:5], v[66:67], v[12:13]
	s_mov_b32 s4, 0x3b39803f
	s_mov_b32 s5, 0xbc7abc9e
	v_fmac_f64_e32 v[106:107], s[4:5], v[66:67]
	s_mov_b32 s4, 0x6a5dcb37
	s_mov_b32 s5, 0x3e5ade15
	v_fmac_f64_e32 v[114:115], s[4:5], v[106:107]
	v_fmac_f64_e32 v[122:123], v[106:107], v[114:115]
	v_mov_b32_e32 v114, 0x7c89e6b0
	v_mov_b32_e32 v115, 0x3efa0199
	v_fmac_f64_e32 v[114:115], v[106:107], v[122:123]
	v_mov_b32_e32 v122, 0x14761f6e
	v_mov_b32_e32 v123, 0x3f2a01a0
	;; [unrolled: 3-line block ×7, first 2 shown]
	s_mov_b32 s4, 0
	v_fmac_f64_e32 v[114:115], v[106:107], v[122:123]
	s_mov_b32 s5, 0x40900000
	v_fma_f64 v[114:115], v[106:107], v[114:115], 1.0
	v_cmp_nlt_f64_e32 vcc, s[4:5], v[12:13]
	s_mov_b32 s4, 0
	v_fma_f64 v[106:107], v[106:107], v[114:115], 1.0
	v_cvt_i32_f64_e32 v66, v[66:67]
	s_mov_b32 s5, 0xc090cc00
	v_ldexp_f64 v[66:67], v[106:107], v66
	v_mov_b32_e32 v106, 0x7ff00000
	v_cmp_ngt_f64_e64 s[4:5], s[4:5], v[12:13]
	v_cndmask_b32_e32 v67, v106, v67, vcc
	s_and_b64 vcc, s[4:5], vcc
	v_cndmask_b32_e64 v13, 0, v67, s[4:5]
	v_cndmask_b32_e32 v12, 0, v66, vcc
	v_pk_mov_b32 v[122:123], v[14:15], v[14:15] op_sel:[0,1]
	v_pk_mov_b32 v[14:15], v[26:27], v[26:27] op_sel:[0,1]
	v_add_f64 v[62:63], v[62:63], v[12:13]
.LBB695_635:
	s_or_b64 exec, exec, s[2:3]
.LBB695_636:
	s_or_b64 exec, exec, s[0:1]
	v_pk_mov_b32 v[106:107], 0, 0
	s_mov_b64 s[0:1], exec
	v_readlane_b32 s2, v126, 44
	v_readlane_b32 s3, v126, 45
	s_and_b64 s[2:3], s[0:1], s[2:3]
	s_mov_b64 exec, s[2:3]
	s_cbranch_execz .LBB695_640
; %bb.637:
	global_load_ubyte v4, v[4:5], off offset:2016
	v_pk_mov_b32 v[106:107], 0, 0
	s_waitcnt vmcnt(0)
	v_and_b32_e32 v4, 1, v4
	v_cmp_eq_u32_e32 vcc, 1, v4
	s_xor_b64 s[4:5], vcc, -1
	s_and_saveexec_b64 s[2:3], s[4:5]
	s_cbranch_execz .LBB695_639
; %bb.638:
	buffer_load_dword v4, off, s[96:99], 0 offset:8 ; 4-byte Folded Reload
	buffer_load_dword v5, off, s[96:99], 0 offset:12 ; 4-byte Folded Reload
	s_mov_b32 s4, 0x652b82fe
	s_mov_b32 s5, 0x3ff71547
	v_mov_b32_e32 v106, 0xfca7ab0c
	v_mov_b32_e32 v107, 0x3e928af3
	;; [unrolled: 1-line block ×4, first 2 shown]
	s_waitcnt vmcnt(0)
	v_add_f64 v[4:5], v[4:5], -v[64:65]
	v_mul_f64 v[64:65], v[4:5], s[4:5]
	s_mov_b32 s4, 0xfefa39ef
	v_rndne_f64_e32 v[64:65], v[64:65]
	s_mov_b32 s5, 0xbfe62e42
	v_fma_f64 v[66:67], s[4:5], v[64:65], v[4:5]
	s_mov_b32 s4, 0x3b39803f
	s_mov_b32 s5, 0xbc7abc9e
	v_fmac_f64_e32 v[66:67], s[4:5], v[64:65]
	s_mov_b32 s4, 0x6a5dcb37
	s_mov_b32 s5, 0x3e5ade15
	v_fmac_f64_e32 v[106:107], s[4:5], v[66:67]
	v_fmac_f64_e32 v[114:115], v[66:67], v[106:107]
	v_mov_b32_e32 v106, 0x7c89e6b0
	v_mov_b32_e32 v107, 0x3efa0199
	v_fmac_f64_e32 v[106:107], v[66:67], v[114:115]
	v_mov_b32_e32 v114, 0x14761f6e
	v_mov_b32_e32 v115, 0x3f2a01a0
	;; [unrolled: 3-line block ×7, first 2 shown]
	s_mov_b32 s4, 0
	v_fmac_f64_e32 v[106:107], v[66:67], v[114:115]
	s_mov_b32 s5, 0x40900000
	v_fma_f64 v[106:107], v[66:67], v[106:107], 1.0
	v_cmp_nlt_f64_e32 vcc, s[4:5], v[4:5]
	s_mov_b32 s4, 0
	v_fma_f64 v[66:67], v[66:67], v[106:107], 1.0
	v_cvt_i32_f64_e32 v64, v[64:65]
	s_mov_b32 s5, 0xc090cc00
	v_ldexp_f64 v[64:65], v[66:67], v64
	v_mov_b32_e32 v66, 0x7ff00000
	v_cmp_ngt_f64_e64 s[4:5], s[4:5], v[4:5]
	v_cndmask_b32_e32 v65, v66, v65, vcc
	s_and_b64 vcc, s[4:5], vcc
	v_cndmask_b32_e64 v107, 0, v65, s[4:5]
	v_cndmask_b32_e32 v106, 0, v64, vcc
	v_add_f64 v[62:63], v[62:63], v[106:107]
.LBB695_639:
	s_or_b64 exec, exec, s[2:3]
.LBB695_640:
	s_or_b64 exec, exec, s[0:1]
	buffer_load_dword v5, off, s[96:99], 0 offset:88 ; 4-byte Folded Reload
	buffer_load_dword v64, off, s[96:99], 0 ; 4-byte Folded Reload
	s_waitcnt vmcnt(1)
	ds_bpermute_b32 v4, v5, v62
	ds_bpermute_b32 v5, v5, v63
	s_waitcnt vmcnt(0)
	v_cmp_lt_i32_e32 vcc, 0, v64
	s_waitcnt lgkmcnt(0)
	v_add_f64 v[4:5], v[62:63], v[4:5]
	buffer_load_dword v63, off, s[96:99], 0 offset:92 ; 4-byte Folded Reload
	s_waitcnt vmcnt(0)
	ds_bpermute_b32 v62, v63, v4
	ds_bpermute_b32 v63, v63, v5
	s_waitcnt lgkmcnt(0)
	v_add_f64 v[4:5], v[4:5], v[62:63]
	buffer_load_dword v63, off, s[96:99], 0 offset:96 ; 4-byte Folded Reload
	s_waitcnt vmcnt(0)
	ds_bpermute_b32 v62, v63, v4
	ds_bpermute_b32 v63, v63, v5
	;; [unrolled: 6-line block ×3, first 2 shown]
	s_waitcnt lgkmcnt(0)
	v_add_f64 v[4:5], v[4:5], v[62:63]
	ds_bpermute_b32 v62, v124, v4
	ds_bpermute_b32 v63, v124, v5
	s_and_saveexec_b64 s[0:1], vcc
	s_cbranch_execz .LBB695_706
; %bb.641:
	v_readlane_b32 s0, v127, 4
	v_readlane_b32 s1, v127, 5
	s_and_b64 exec, exec, s[0:1]
	s_cbranch_execz .LBB695_706
; %bb.642:
	buffer_load_dword v114, off, s[96:99], 0 offset:168 ; 4-byte Folded Reload
	buffer_load_dword v115, off, s[96:99], 0 offset:172 ; 4-byte Folded Reload
	v_readlane_b32 s0, v127, 0
	s_waitcnt lgkmcnt(0)
	v_add_f64 v[4:5], v[4:5], v[62:63]
	v_readlane_b32 s1, v127, 1
	s_mov_b64 s[4:5], s[0:1]
	v_div_scale_f64 v[64:65], s[0:1], v[4:5], v[4:5], v[60:61]
	v_rcp_f64_e32 v[66:67], v[64:65]
	v_mov_b32_e32 v63, s5
	v_pk_mov_b32 v[26:27], v[122:123], v[122:123] op_sel:[0,1]
	v_cmp_eq_f64_e64 s[34:35], 0, v[4:5]
	v_readlane_b32 s0, v127, 6
	v_readlane_b32 s1, v127, 7
	v_readlane_b32 s2, v127, 2
	v_readlane_b32 s3, v127, 3
	s_waitcnt vmcnt(1)
	v_add_co_u32_e32 v62, vcc, s4, v114
	s_waitcnt vmcnt(0)
	v_addc_co_u32_e32 v63, vcc, v63, v115, vcc
	v_fma_f64 v[114:115], -v[64:65], v[66:67], 1.0
	v_fmac_f64_e32 v[66:67], v[66:67], v[114:115]
	v_fma_f64 v[114:115], -v[64:65], v[66:67], 1.0
	v_fmac_f64_e32 v[66:67], v[66:67], v[114:115]
	v_div_scale_f64 v[114:115], vcc, v[60:61], v[4:5], v[60:61]
	v_mul_f64 v[122:123], v[114:115], v[66:67]
	v_fma_f64 v[64:65], -v[64:65], v[122:123], v[114:115]
	s_nop 1
	v_div_fmas_f64 v[64:65], v[64:65], v[66:67], v[122:123]
	v_div_fixup_f64 v[64:65], v[64:65], v[4:5], v[60:61]
	v_mov_b32_e32 v60, 0x7ff80000
	v_cndmask_b32_e64 v65, v65, v60, s[34:35]
	v_cndmask_b32_e64 v64, v64, 0, s[34:35]
	global_store_dwordx2 v[62:63], v[64:65], off
	s_and_b64 exec, exec, s[0:1]
	s_cbranch_execz .LBB695_706
; %bb.643:
	buffer_store_dword v14, off, s[96:99], 0 ; 4-byte Folded Spill
	s_nop 0
	buffer_store_dword v15, off, s[96:99], 0 offset:4 ; 4-byte Folded Spill
	buffer_load_dword v14, off, s[96:99], 0 offset:104 ; 4-byte Folded Reload
	s_nop 0
	buffer_load_dword v15, off, s[96:99], 0 offset:108 ; 4-byte Folded Reload
	s_waitcnt vmcnt(0)
	v_div_scale_f64 v[64:65], s[0:1], v[4:5], v[4:5], v[14:15]
	v_rcp_f64_e32 v[66:67], v[64:65]
	v_div_scale_f64 v[114:115], vcc, v[14:15], v[4:5], v[14:15]
	v_readlane_b32 s0, v127, 8
	v_fma_f64 v[122:123], -v[64:65], v[66:67], 1.0
	v_fmac_f64_e32 v[66:67], v[66:67], v[122:123]
	v_fma_f64 v[122:123], -v[64:65], v[66:67], 1.0
	v_fmac_f64_e32 v[66:67], v[66:67], v[122:123]
	v_mul_f64 v[122:123], v[114:115], v[66:67]
	v_fma_f64 v[64:65], -v[64:65], v[122:123], v[114:115]
	v_div_fmas_f64 v[64:65], v[64:65], v[66:67], v[122:123]
	v_div_fixup_f64 v[64:65], v[64:65], v[4:5], v[14:15]
	v_cndmask_b32_e64 v61, v65, v60, s[34:35]
	v_cndmask_b32_e64 v60, v64, 0, s[34:35]
	v_readlane_b32 s1, v127, 9
	global_store_dwordx2 v[62:63], v[60:61], off offset:256
	s_and_b64 exec, exec, s[0:1]
	s_cbranch_execz .LBB695_706
; %bb.644:
	v_div_scale_f64 v[60:61], s[0:1], v[4:5], v[4:5], v[56:57]
	v_rcp_f64_e32 v[64:65], v[60:61]
	v_div_scale_f64 v[66:67], vcc, v[56:57], v[4:5], v[56:57]
	v_readlane_b32 s0, v127, 10
	v_fma_f64 v[114:115], -v[60:61], v[64:65], 1.0
	v_fmac_f64_e32 v[64:65], v[64:65], v[114:115]
	v_fma_f64 v[114:115], -v[60:61], v[64:65], 1.0
	v_fmac_f64_e32 v[64:65], v[64:65], v[114:115]
	v_mul_f64 v[114:115], v[66:67], v[64:65]
	v_fma_f64 v[60:61], -v[60:61], v[114:115], v[66:67]
	v_div_fmas_f64 v[60:61], v[60:61], v[64:65], v[114:115]
	v_div_fixup_f64 v[60:61], v[60:61], v[4:5], v[56:57]
	v_mov_b32_e32 v56, 0x7ff80000
	v_cndmask_b32_e64 v61, v61, v56, s[34:35]
	v_cndmask_b32_e64 v60, v60, 0, s[34:35]
	v_readlane_b32 s1, v127, 11
	global_store_dwordx2 v[62:63], v[60:61], off offset:512
	s_and_b64 exec, exec, s[0:1]
	s_cbranch_execz .LBB695_706
; %bb.645:
	buffer_load_dword v14, off, s[96:99], 0 offset:112 ; 4-byte Folded Reload
	buffer_load_dword v15, off, s[96:99], 0 offset:116 ; 4-byte Folded Reload
	s_waitcnt vmcnt(0)
	v_div_scale_f64 v[60:61], s[0:1], v[4:5], v[4:5], v[14:15]
	v_rcp_f64_e32 v[64:65], v[60:61]
	v_div_scale_f64 v[66:67], vcc, v[14:15], v[4:5], v[14:15]
	v_readlane_b32 s0, v127, 12
	v_fma_f64 v[114:115], -v[60:61], v[64:65], 1.0
	v_fmac_f64_e32 v[64:65], v[64:65], v[114:115]
	v_fma_f64 v[114:115], -v[60:61], v[64:65], 1.0
	v_fmac_f64_e32 v[64:65], v[64:65], v[114:115]
	v_mul_f64 v[114:115], v[66:67], v[64:65]
	v_fma_f64 v[60:61], -v[60:61], v[114:115], v[66:67]
	v_div_fmas_f64 v[60:61], v[60:61], v[64:65], v[114:115]
	v_div_fixup_f64 v[60:61], v[60:61], v[4:5], v[14:15]
	v_cndmask_b32_e64 v57, v61, v56, s[34:35]
	v_cndmask_b32_e64 v56, v60, 0, s[34:35]
	v_readlane_b32 s1, v127, 13
	global_store_dwordx2 v[62:63], v[56:57], off offset:768
	s_and_b64 exec, exec, s[0:1]
	s_cbranch_execz .LBB695_706
; %bb.646:
	v_div_scale_f64 v[56:57], s[0:1], v[4:5], v[4:5], v[72:73]
	v_rcp_f64_e32 v[60:61], v[56:57]
	v_div_scale_f64 v[64:65], vcc, v[72:73], v[4:5], v[72:73]
	v_readlane_b32 s0, v127, 14
	v_fma_f64 v[66:67], -v[56:57], v[60:61], 1.0
	v_fmac_f64_e32 v[60:61], v[60:61], v[66:67]
	v_fma_f64 v[66:67], -v[56:57], v[60:61], 1.0
	v_fmac_f64_e32 v[60:61], v[60:61], v[66:67]
	v_mul_f64 v[66:67], v[64:65], v[60:61]
	v_fma_f64 v[56:57], -v[56:57], v[66:67], v[64:65]
	v_div_fmas_f64 v[56:57], v[56:57], v[60:61], v[66:67]
	v_div_fixup_f64 v[60:61], v[56:57], v[4:5], v[72:73]
	v_mov_b32_e32 v56, 0x7ff80000
	v_cndmask_b32_e64 v61, v61, v56, s[34:35]
	v_cndmask_b32_e64 v60, v60, 0, s[34:35]
	v_readlane_b32 s1, v127, 15
	global_store_dwordx2 v[62:63], v[60:61], off offset:1024
	s_and_b64 exec, exec, s[0:1]
	s_cbranch_execz .LBB695_706
; %bb.647:
	buffer_load_dword v14, off, s[96:99], 0 offset:120 ; 4-byte Folded Reload
	;; [unrolled: 42-line block ×6, first 2 shown]
	buffer_load_dword v15, off, s[96:99], 0 offset:156 ; 4-byte Folded Reload
	s_waitcnt vmcnt(0)
	v_div_scale_f64 v[60:61], s[0:1], v[4:5], v[4:5], v[14:15]
	v_rcp_f64_e32 v[64:65], v[60:61]
	v_div_scale_f64 v[66:67], vcc, v[14:15], v[4:5], v[14:15]
	v_readlane_b32 s0, v127, 32
	v_fma_f64 v[72:73], -v[60:61], v[64:65], 1.0
	v_fmac_f64_e32 v[64:65], v[64:65], v[72:73]
	v_fma_f64 v[72:73], -v[60:61], v[64:65], 1.0
	v_fmac_f64_e32 v[64:65], v[64:65], v[72:73]
	v_mul_f64 v[72:73], v[66:67], v[64:65]
	v_fma_f64 v[60:61], -v[60:61], v[72:73], v[66:67]
	v_div_fmas_f64 v[60:61], v[60:61], v[64:65], v[72:73]
	v_div_fixup_f64 v[60:61], v[60:61], v[4:5], v[14:15]
	buffer_load_dword v14, off, s[96:99], 0 ; 4-byte Folded Reload
	buffer_load_dword v15, off, s[96:99], 0 offset:4 ; 4-byte Folded Reload
	v_cndmask_b32_e64 v57, v61, v56, s[34:35]
	v_cndmask_b32_e64 v56, v60, 0, s[34:35]
	v_readlane_b32 s1, v127, 33
	global_store_dwordx2 v[62:63], v[56:57], off offset:3328
	s_and_b64 exec, exec, s[0:1]
	s_cbranch_execz .LBB695_706
; %bb.656:
	v_div_scale_f64 v[56:57], s[0:1], v[4:5], v[4:5], v[112:113]
	v_rcp_f64_e32 v[60:61], v[56:57]
	v_div_scale_f64 v[64:65], vcc, v[112:113], v[4:5], v[112:113]
	v_readlane_b32 s0, v127, 34
	v_fma_f64 v[66:67], -v[56:57], v[60:61], 1.0
	v_fmac_f64_e32 v[60:61], v[60:61], v[66:67]
	v_fma_f64 v[66:67], -v[56:57], v[60:61], 1.0
	v_fmac_f64_e32 v[60:61], v[60:61], v[66:67]
	v_mul_f64 v[66:67], v[64:65], v[60:61]
	v_fma_f64 v[56:57], -v[56:57], v[66:67], v[64:65]
	v_div_fmas_f64 v[56:57], v[56:57], v[60:61], v[66:67]
	v_div_fixup_f64 v[60:61], v[56:57], v[4:5], v[112:113]
	v_mov_b32_e32 v56, 0x7ff80000
	v_cndmask_b32_e64 v61, v61, v56, s[34:35]
	v_cndmask_b32_e64 v60, v60, 0, s[34:35]
	v_readlane_b32 s1, v127, 35
	global_store_dwordx2 v[62:63], v[60:61], off offset:3584
	s_and_b64 exec, exec, s[0:1]
	s_cbranch_execz .LBB695_706
; %bb.657:
	v_div_scale_f64 v[60:61], s[0:1], v[4:5], v[4:5], v[26:27]
	v_rcp_f64_e32 v[64:65], v[60:61]
	v_div_scale_f64 v[66:67], vcc, v[26:27], v[4:5], v[26:27]
	v_readlane_b32 s0, v127, 36
	v_fma_f64 v[72:73], -v[60:61], v[64:65], 1.0
	v_fmac_f64_e32 v[64:65], v[64:65], v[72:73]
	v_fma_f64 v[72:73], -v[60:61], v[64:65], 1.0
	v_fmac_f64_e32 v[64:65], v[64:65], v[72:73]
	v_mul_f64 v[72:73], v[66:67], v[64:65]
	v_fma_f64 v[60:61], -v[60:61], v[72:73], v[66:67]
	v_div_fmas_f64 v[60:61], v[60:61], v[64:65], v[72:73]
	v_div_fixup_f64 v[60:61], v[60:61], v[4:5], v[26:27]
	v_cndmask_b32_e64 v57, v61, v56, s[34:35]
	v_cndmask_b32_e64 v56, v60, 0, s[34:35]
	v_readlane_b32 s1, v127, 37
	global_store_dwordx2 v[62:63], v[56:57], off offset:3840
	s_and_b64 exec, exec, s[0:1]
	s_cbranch_execz .LBB695_706
; %bb.658:
	v_div_scale_f64 v[56:57], s[0:1], v[4:5], v[4:5], v[120:121]
	v_rcp_f64_e32 v[60:61], v[56:57]
	v_div_scale_f64 v[64:65], vcc, v[120:121], v[4:5], v[120:121]
	v_readlane_b32 s0, v127, 38
	v_fma_f64 v[66:67], -v[56:57], v[60:61], 1.0
	v_fmac_f64_e32 v[60:61], v[60:61], v[66:67]
	v_fma_f64 v[66:67], -v[56:57], v[60:61], 1.0
	v_fmac_f64_e32 v[60:61], v[60:61], v[66:67]
	v_mul_f64 v[66:67], v[64:65], v[60:61]
	v_fma_f64 v[56:57], -v[56:57], v[66:67], v[64:65]
	v_div_fmas_f64 v[56:57], v[56:57], v[60:61], v[66:67]
	v_div_fixup_f64 v[60:61], v[56:57], v[4:5], v[120:121]
	v_mov_b32_e32 v56, 0x7ff80000
	v_add_co_u32_e32 v64, vcc, 0x1000, v62
	v_cndmask_b32_e64 v61, v61, v56, s[34:35]
	v_cndmask_b32_e64 v60, v60, 0, s[34:35]
	v_addc_co_u32_e32 v65, vcc, 0, v63, vcc
	v_readlane_b32 s1, v127, 39
	global_store_dwordx2 v[64:65], v[60:61], off
	s_and_b64 exec, exec, s[0:1]
	s_cbranch_execz .LBB695_706
; %bb.659:
	s_waitcnt vmcnt(4)
	v_div_scale_f64 v[60:61], s[0:1], v[4:5], v[4:5], v[14:15]
	v_rcp_f64_e32 v[64:65], v[60:61]
	v_div_scale_f64 v[66:67], vcc, v[14:15], v[4:5], v[14:15]
	v_readlane_b32 s0, v127, 40
	v_fma_f64 v[72:73], -v[60:61], v[64:65], 1.0
	v_fmac_f64_e32 v[64:65], v[64:65], v[72:73]
	v_fma_f64 v[72:73], -v[60:61], v[64:65], 1.0
	v_fmac_f64_e32 v[64:65], v[64:65], v[72:73]
	v_mul_f64 v[72:73], v[66:67], v[64:65]
	v_fma_f64 v[60:61], -v[60:61], v[72:73], v[66:67]
	v_div_fmas_f64 v[60:61], v[60:61], v[64:65], v[72:73]
	v_div_fixup_f64 v[14:15], v[60:61], v[4:5], v[14:15]
	v_cndmask_b32_e64 v15, v15, v56, s[34:35]
	v_add_co_u32_e32 v56, vcc, 0x1000, v62
	v_cndmask_b32_e64 v14, v14, 0, s[34:35]
	v_addc_co_u32_e32 v57, vcc, 0, v63, vcc
	v_readlane_b32 s1, v127, 41
	global_store_dwordx2 v[56:57], v[14:15], off offset:256
	s_and_b64 exec, exec, s[0:1]
	s_cbranch_execz .LBB695_706
; %bb.660:
	v_div_scale_f64 v[14:15], s[0:1], v[4:5], v[4:5], v[6:7]
	v_rcp_f64_e32 v[56:57], v[14:15]
	v_div_scale_f64 v[60:61], vcc, v[6:7], v[4:5], v[6:7]
	v_readlane_b32 s0, v127, 42
	v_fma_f64 v[64:65], -v[14:15], v[56:57], 1.0
	v_fmac_f64_e32 v[56:57], v[56:57], v[64:65]
	v_fma_f64 v[64:65], -v[14:15], v[56:57], 1.0
	v_fmac_f64_e32 v[56:57], v[56:57], v[64:65]
	v_mul_f64 v[64:65], v[60:61], v[56:57]
	v_fma_f64 v[14:15], -v[14:15], v[64:65], v[60:61]
	v_div_fmas_f64 v[14:15], v[14:15], v[56:57], v[64:65]
	v_div_fixup_f64 v[14:15], v[14:15], v[4:5], v[6:7]
	v_mov_b32_e32 v6, 0x7ff80000
	v_add_co_u32_e32 v56, vcc, 0x1000, v62
	v_cndmask_b32_e64 v15, v15, v6, s[34:35]
	v_cndmask_b32_e64 v14, v14, 0, s[34:35]
	v_addc_co_u32_e32 v57, vcc, 0, v63, vcc
	v_readlane_b32 s1, v127, 43
	global_store_dwordx2 v[56:57], v[14:15], off offset:512
	s_and_b64 exec, exec, s[0:1]
	s_cbranch_execz .LBB695_706
; %bb.661:
	buffer_load_dword v26, off, s[96:99], 0 offset:160 ; 4-byte Folded Reload
	buffer_load_dword v27, off, s[96:99], 0 offset:164 ; 4-byte Folded Reload
	s_waitcnt vmcnt(0)
	v_div_scale_f64 v[14:15], s[0:1], v[4:5], v[4:5], v[26:27]
	v_rcp_f64_e32 v[56:57], v[14:15]
	v_div_scale_f64 v[60:61], vcc, v[26:27], v[4:5], v[26:27]
	v_readlane_b32 s0, v127, 44
	v_fma_f64 v[64:65], -v[14:15], v[56:57], 1.0
	v_fmac_f64_e32 v[56:57], v[56:57], v[64:65]
	v_fma_f64 v[64:65], -v[14:15], v[56:57], 1.0
	v_fmac_f64_e32 v[56:57], v[56:57], v[64:65]
	v_mul_f64 v[64:65], v[60:61], v[56:57]
	v_fma_f64 v[14:15], -v[14:15], v[64:65], v[60:61]
	v_div_fmas_f64 v[14:15], v[14:15], v[56:57], v[64:65]
	v_div_fixup_f64 v[14:15], v[14:15], v[4:5], v[26:27]
	v_cndmask_b32_e64 v7, v15, v6, s[34:35]
	v_cndmask_b32_e64 v6, v14, 0, s[34:35]
	v_add_co_u32_e32 v14, vcc, 0x1000, v62
	v_addc_co_u32_e32 v15, vcc, 0, v63, vcc
	v_readlane_b32 s1, v127, 45
	global_store_dwordx2 v[14:15], v[6:7], off offset:768
	s_and_b64 exec, exec, s[0:1]
	s_cbranch_execz .LBB695_706
; %bb.662:
	v_div_scale_f64 v[6:7], s[0:1], v[4:5], v[4:5], v[22:23]
	v_rcp_f64_e32 v[14:15], v[6:7]
	v_div_scale_f64 v[26:27], vcc, v[22:23], v[4:5], v[22:23]
	v_readlane_b32 s0, v127, 46
	v_fma_f64 v[56:57], -v[6:7], v[14:15], 1.0
	v_fmac_f64_e32 v[14:15], v[14:15], v[56:57]
	v_fma_f64 v[56:57], -v[6:7], v[14:15], 1.0
	v_fmac_f64_e32 v[14:15], v[14:15], v[56:57]
	v_mul_f64 v[56:57], v[26:27], v[14:15]
	v_fma_f64 v[6:7], -v[6:7], v[56:57], v[26:27]
	v_div_fmas_f64 v[6:7], v[6:7], v[14:15], v[56:57]
	v_div_fixup_f64 v[14:15], v[6:7], v[4:5], v[22:23]
	v_mov_b32_e32 v6, 0x7ff80000
	v_add_co_u32_e32 v22, vcc, 0x1000, v62
	v_cndmask_b32_e64 v15, v15, v6, s[34:35]
	v_cndmask_b32_e64 v14, v14, 0, s[34:35]
	v_addc_co_u32_e32 v23, vcc, 0, v63, vcc
	v_readlane_b32 s1, v127, 47
	global_store_dwordx2 v[22:23], v[14:15], off offset:1024
	s_and_b64 exec, exec, s[0:1]
	s_cbranch_execz .LBB695_706
; %bb.663:
	v_div_scale_f64 v[14:15], s[0:1], v[4:5], v[4:5], v[30:31]
	v_rcp_f64_e32 v[22:23], v[14:15]
	v_div_scale_f64 v[26:27], vcc, v[30:31], v[4:5], v[30:31]
	v_readlane_b32 s0, v127, 48
	v_fma_f64 v[56:57], -v[14:15], v[22:23], 1.0
	v_fmac_f64_e32 v[22:23], v[22:23], v[56:57]
	v_fma_f64 v[56:57], -v[14:15], v[22:23], 1.0
	v_fmac_f64_e32 v[22:23], v[22:23], v[56:57]
	v_mul_f64 v[56:57], v[26:27], v[22:23]
	v_fma_f64 v[14:15], -v[14:15], v[56:57], v[26:27]
	v_div_fmas_f64 v[14:15], v[14:15], v[22:23], v[56:57]
	v_div_fixup_f64 v[14:15], v[14:15], v[4:5], v[30:31]
	v_cndmask_b32_e64 v7, v15, v6, s[34:35]
	v_cndmask_b32_e64 v6, v14, 0, s[34:35]
	v_add_co_u32_e32 v14, vcc, 0x1000, v62
	v_addc_co_u32_e32 v15, vcc, 0, v63, vcc
	v_readlane_b32 s1, v127, 49
	global_store_dwordx2 v[14:15], v[6:7], off offset:1280
	s_and_b64 exec, exec, s[0:1]
	s_cbranch_execz .LBB695_706
; %bb.664:
	v_div_scale_f64 v[6:7], s[0:1], v[4:5], v[4:5], v[18:19]
	v_rcp_f64_e32 v[14:15], v[6:7]
	v_div_scale_f64 v[22:23], vcc, v[18:19], v[4:5], v[18:19]
	v_readlane_b32 s0, v127, 50
	v_fma_f64 v[26:27], -v[6:7], v[14:15], 1.0
	v_fmac_f64_e32 v[14:15], v[14:15], v[26:27]
	v_fma_f64 v[26:27], -v[6:7], v[14:15], 1.0
	v_fmac_f64_e32 v[14:15], v[14:15], v[26:27]
	v_mul_f64 v[26:27], v[22:23], v[14:15]
	v_fma_f64 v[6:7], -v[6:7], v[26:27], v[22:23]
	v_div_fmas_f64 v[6:7], v[6:7], v[14:15], v[26:27]
	v_div_fixup_f64 v[14:15], v[6:7], v[4:5], v[18:19]
	v_mov_b32_e32 v6, 0x7ff80000
	v_add_co_u32_e32 v18, vcc, 0x1000, v62
	v_cndmask_b32_e64 v15, v15, v6, s[34:35]
	v_cndmask_b32_e64 v14, v14, 0, s[34:35]
	v_addc_co_u32_e32 v19, vcc, 0, v63, vcc
	v_readlane_b32 s1, v127, 51
	global_store_dwordx2 v[18:19], v[14:15], off offset:1536
	s_and_b64 exec, exec, s[0:1]
	s_cbranch_execz .LBB695_706
; %bb.665:
	;; [unrolled: 43-line block ×6, first 2 shown]
	v_div_scale_f64 v[6:7], s[0:1], v[4:5], v[4:5], v[94:95]
	v_rcp_f64_e32 v[10:11], v[6:7]
	v_div_scale_f64 v[14:15], vcc, v[94:95], v[4:5], v[94:95]
	v_readlane_b32 s0, v125, 4
	v_fma_f64 v[18:19], -v[6:7], v[10:11], 1.0
	v_fmac_f64_e32 v[10:11], v[10:11], v[18:19]
	v_fma_f64 v[18:19], -v[6:7], v[10:11], 1.0
	v_fmac_f64_e32 v[10:11], v[10:11], v[18:19]
	v_mul_f64 v[18:19], v[14:15], v[10:11]
	v_fma_f64 v[6:7], -v[6:7], v[18:19], v[14:15]
	v_div_fmas_f64 v[6:7], v[6:7], v[10:11], v[18:19]
	v_div_fixup_f64 v[6:7], v[6:7], v[4:5], v[94:95]
	v_cndmask_b32_e64 v1, v7, v0, s[34:35]
	v_cndmask_b32_e64 v0, v6, 0, s[34:35]
	v_add_co_u32_e32 v6, vcc, 0x1000, v62
	v_addc_co_u32_e32 v7, vcc, 0, v63, vcc
	v_readlane_b32 s1, v125, 5
	global_store_dwordx2 v[6:7], v[0:1], off offset:3840
	s_and_b64 exec, exec, s[0:1]
	s_cbranch_execz .LBB695_706
; %bb.674:
	v_div_scale_f64 v[0:1], s[0:1], v[4:5], v[4:5], v[92:93]
	v_rcp_f64_e32 v[6:7], v[0:1]
	v_div_scale_f64 v[10:11], vcc, v[92:93], v[4:5], v[92:93]
	v_readlane_b32 s0, v125, 6
	v_fma_f64 v[14:15], -v[0:1], v[6:7], 1.0
	v_fmac_f64_e32 v[6:7], v[6:7], v[14:15]
	v_fma_f64 v[14:15], -v[0:1], v[6:7], 1.0
	v_fmac_f64_e32 v[6:7], v[6:7], v[14:15]
	v_mul_f64 v[14:15], v[10:11], v[6:7]
	v_fma_f64 v[0:1], -v[0:1], v[14:15], v[10:11]
	v_div_fmas_f64 v[0:1], v[0:1], v[6:7], v[14:15]
	v_div_fixup_f64 v[6:7], v[0:1], v[4:5], v[92:93]
	v_mov_b32_e32 v0, 0x7ff80000
	v_add_co_u32_e32 v10, vcc, 0x2000, v62
	v_cndmask_b32_e64 v7, v7, v0, s[34:35]
	v_cndmask_b32_e64 v6, v6, 0, s[34:35]
	v_addc_co_u32_e32 v11, vcc, 0, v63, vcc
	v_readlane_b32 s1, v125, 7
	global_store_dwordx2 v[10:11], v[6:7], off
	s_and_b64 exec, exec, s[0:1]
	s_cbranch_execz .LBB695_706
; %bb.675:
	v_div_scale_f64 v[6:7], s[0:1], v[4:5], v[4:5], v[86:87]
	v_rcp_f64_e32 v[10:11], v[6:7]
	v_div_scale_f64 v[14:15], vcc, v[86:87], v[4:5], v[86:87]
	v_readlane_b32 s0, v125, 8
	v_fma_f64 v[18:19], -v[6:7], v[10:11], 1.0
	v_fmac_f64_e32 v[10:11], v[10:11], v[18:19]
	v_fma_f64 v[18:19], -v[6:7], v[10:11], 1.0
	v_fmac_f64_e32 v[10:11], v[10:11], v[18:19]
	v_mul_f64 v[18:19], v[14:15], v[10:11]
	v_fma_f64 v[6:7], -v[6:7], v[18:19], v[14:15]
	v_div_fmas_f64 v[6:7], v[6:7], v[10:11], v[18:19]
	v_div_fixup_f64 v[6:7], v[6:7], v[4:5], v[86:87]
	v_cndmask_b32_e64 v1, v7, v0, s[34:35]
	v_cndmask_b32_e64 v0, v6, 0, s[34:35]
	v_add_co_u32_e32 v6, vcc, 0x2000, v62
	v_addc_co_u32_e32 v7, vcc, 0, v63, vcc
	v_readlane_b32 s1, v125, 9
	global_store_dwordx2 v[6:7], v[0:1], off offset:256
	s_and_b64 exec, exec, s[0:1]
	s_cbranch_execz .LBB695_706
; %bb.676:
	v_div_scale_f64 v[0:1], s[0:1], v[4:5], v[4:5], v[84:85]
	v_rcp_f64_e32 v[6:7], v[0:1]
	v_div_scale_f64 v[10:11], vcc, v[84:85], v[4:5], v[84:85]
	v_readlane_b32 s0, v125, 10
	v_fma_f64 v[14:15], -v[0:1], v[6:7], 1.0
	v_fmac_f64_e32 v[6:7], v[6:7], v[14:15]
	v_fma_f64 v[14:15], -v[0:1], v[6:7], 1.0
	v_fmac_f64_e32 v[6:7], v[6:7], v[14:15]
	v_mul_f64 v[14:15], v[10:11], v[6:7]
	v_fma_f64 v[0:1], -v[0:1], v[14:15], v[10:11]
	v_div_fmas_f64 v[0:1], v[0:1], v[6:7], v[14:15]
	v_div_fixup_f64 v[6:7], v[0:1], v[4:5], v[84:85]
	v_mov_b32_e32 v0, 0x7ff80000
	v_add_co_u32_e32 v10, vcc, 0x2000, v62
	v_cndmask_b32_e64 v7, v7, v0, s[34:35]
	v_cndmask_b32_e64 v6, v6, 0, s[34:35]
	v_addc_co_u32_e32 v11, vcc, 0, v63, vcc
	v_readlane_b32 s1, v125, 11
	global_store_dwordx2 v[10:11], v[6:7], off offset:512
	s_and_b64 exec, exec, s[0:1]
	s_cbranch_execz .LBB695_706
; %bb.677:
	v_div_scale_f64 v[6:7], s[0:1], v[4:5], v[4:5], v[78:79]
	v_rcp_f64_e32 v[10:11], v[6:7]
	v_div_scale_f64 v[14:15], vcc, v[78:79], v[4:5], v[78:79]
	v_readlane_b32 s0, v125, 12
	v_fma_f64 v[18:19], -v[6:7], v[10:11], 1.0
	v_fmac_f64_e32 v[10:11], v[10:11], v[18:19]
	v_fma_f64 v[18:19], -v[6:7], v[10:11], 1.0
	v_fmac_f64_e32 v[10:11], v[10:11], v[18:19]
	v_mul_f64 v[18:19], v[14:15], v[10:11]
	v_fma_f64 v[6:7], -v[6:7], v[18:19], v[14:15]
	v_div_fmas_f64 v[6:7], v[6:7], v[10:11], v[18:19]
	v_div_fixup_f64 v[6:7], v[6:7], v[4:5], v[78:79]
	v_cndmask_b32_e64 v1, v7, v0, s[34:35]
	v_cndmask_b32_e64 v0, v6, 0, s[34:35]
	v_add_co_u32_e32 v6, vcc, 0x2000, v62
	v_addc_co_u32_e32 v7, vcc, 0, v63, vcc
	v_readlane_b32 s1, v125, 13
	global_store_dwordx2 v[6:7], v[0:1], off offset:768
	s_and_b64 exec, exec, s[0:1]
	s_cbranch_execz .LBB695_706
; %bb.678:
	v_div_scale_f64 v[0:1], s[0:1], v[4:5], v[4:5], v[76:77]
	v_rcp_f64_e32 v[6:7], v[0:1]
	v_div_scale_f64 v[10:11], vcc, v[76:77], v[4:5], v[76:77]
	v_readlane_b32 s0, v125, 14
	v_fma_f64 v[14:15], -v[0:1], v[6:7], 1.0
	v_fmac_f64_e32 v[6:7], v[6:7], v[14:15]
	v_fma_f64 v[14:15], -v[0:1], v[6:7], 1.0
	v_fmac_f64_e32 v[6:7], v[6:7], v[14:15]
	v_mul_f64 v[14:15], v[10:11], v[6:7]
	v_fma_f64 v[0:1], -v[0:1], v[14:15], v[10:11]
	v_div_fmas_f64 v[0:1], v[0:1], v[6:7], v[14:15]
	v_div_fixup_f64 v[6:7], v[0:1], v[4:5], v[76:77]
	v_mov_b32_e32 v0, 0x7ff80000
	v_add_co_u32_e32 v10, vcc, 0x2000, v62
	v_cndmask_b32_e64 v7, v7, v0, s[34:35]
	v_cndmask_b32_e64 v6, v6, 0, s[34:35]
	v_addc_co_u32_e32 v11, vcc, 0, v63, vcc
	v_readlane_b32 s1, v125, 15
	global_store_dwordx2 v[10:11], v[6:7], off offset:1024
	;; [unrolled: 43-line block ×7, first 2 shown]
	s_and_b64 exec, exec, s[0:1]
	s_cbranch_execz .LBB695_706
; %bb.689:
	v_div_scale_f64 v[6:7], s[0:1], v[4:5], v[4:5], v[40:41]
	v_rcp_f64_e32 v[10:11], v[6:7]
	v_div_scale_f64 v[14:15], vcc, v[40:41], v[4:5], v[40:41]
	v_readlane_b32 s0, v125, 46
	v_fma_f64 v[18:19], -v[6:7], v[10:11], 1.0
	v_fmac_f64_e32 v[10:11], v[10:11], v[18:19]
	v_fma_f64 v[18:19], -v[6:7], v[10:11], 1.0
	v_fmac_f64_e32 v[10:11], v[10:11], v[18:19]
	v_mul_f64 v[18:19], v[14:15], v[10:11]
	v_fma_f64 v[6:7], -v[6:7], v[18:19], v[14:15]
	v_div_fmas_f64 v[6:7], v[6:7], v[10:11], v[18:19]
	v_div_fixup_f64 v[6:7], v[6:7], v[4:5], v[40:41]
	v_cndmask_b32_e64 v1, v7, v0, s[34:35]
	v_cndmask_b32_e64 v0, v6, 0, s[34:35]
	v_add_co_u32_e32 v6, vcc, 0x2000, v62
	v_addc_co_u32_e32 v7, vcc, 0, v63, vcc
	v_readlane_b32 s1, v125, 47
	global_store_dwordx2 v[6:7], v[0:1], off offset:3840
	s_and_b64 exec, exec, s[0:1]
	s_cbranch_execz .LBB695_706
; %bb.690:
	v_div_scale_f64 v[0:1], s[0:1], v[4:5], v[4:5], v[38:39]
	v_rcp_f64_e32 v[6:7], v[0:1]
	v_div_scale_f64 v[10:11], vcc, v[38:39], v[4:5], v[38:39]
	v_readlane_b32 s0, v125, 50
	v_fma_f64 v[14:15], -v[0:1], v[6:7], 1.0
	v_fmac_f64_e32 v[6:7], v[6:7], v[14:15]
	v_fma_f64 v[14:15], -v[0:1], v[6:7], 1.0
	v_fmac_f64_e32 v[6:7], v[6:7], v[14:15]
	v_mul_f64 v[14:15], v[10:11], v[6:7]
	v_fma_f64 v[0:1], -v[0:1], v[14:15], v[10:11]
	v_div_fmas_f64 v[0:1], v[0:1], v[6:7], v[14:15]
	v_div_fixup_f64 v[6:7], v[0:1], v[4:5], v[38:39]
	v_mov_b32_e32 v0, 0x7ff80000
	v_add_co_u32_e32 v10, vcc, 0x3000, v62
	v_cndmask_b32_e64 v7, v7, v0, s[34:35]
	v_cndmask_b32_e64 v6, v6, 0, s[34:35]
	v_addc_co_u32_e32 v11, vcc, 0, v63, vcc
	v_readlane_b32 s1, v125, 51
	global_store_dwordx2 v[10:11], v[6:7], off
	s_and_b64 exec, exec, s[0:1]
	s_cbranch_execz .LBB695_706
; %bb.691:
	v_div_scale_f64 v[6:7], s[0:1], v[4:5], v[4:5], v[36:37]
	v_rcp_f64_e32 v[10:11], v[6:7]
	v_div_scale_f64 v[14:15], vcc, v[36:37], v[4:5], v[36:37]
	v_readlane_b32 s0, v125, 54
	v_fma_f64 v[18:19], -v[6:7], v[10:11], 1.0
	v_fmac_f64_e32 v[10:11], v[10:11], v[18:19]
	v_fma_f64 v[18:19], -v[6:7], v[10:11], 1.0
	v_fmac_f64_e32 v[10:11], v[10:11], v[18:19]
	v_mul_f64 v[18:19], v[14:15], v[10:11]
	v_fma_f64 v[6:7], -v[6:7], v[18:19], v[14:15]
	v_div_fmas_f64 v[6:7], v[6:7], v[10:11], v[18:19]
	v_div_fixup_f64 v[6:7], v[6:7], v[4:5], v[36:37]
	v_cndmask_b32_e64 v1, v7, v0, s[34:35]
	v_cndmask_b32_e64 v0, v6, 0, s[34:35]
	v_add_co_u32_e32 v6, vcc, 0x3000, v62
	v_addc_co_u32_e32 v7, vcc, 0, v63, vcc
	v_readlane_b32 s1, v125, 55
	global_store_dwordx2 v[6:7], v[0:1], off offset:256
	s_and_b64 exec, exec, s[0:1]
	s_cbranch_execz .LBB695_706
; %bb.692:
	v_div_scale_f64 v[0:1], s[0:1], v[4:5], v[4:5], v[34:35]
	v_rcp_f64_e32 v[6:7], v[0:1]
	v_div_scale_f64 v[10:11], vcc, v[34:35], v[4:5], v[34:35]
	v_readlane_b32 s0, v125, 58
	v_fma_f64 v[14:15], -v[0:1], v[6:7], 1.0
	v_fmac_f64_e32 v[6:7], v[6:7], v[14:15]
	v_fma_f64 v[14:15], -v[0:1], v[6:7], 1.0
	v_fmac_f64_e32 v[6:7], v[6:7], v[14:15]
	v_mul_f64 v[14:15], v[10:11], v[6:7]
	v_fma_f64 v[0:1], -v[0:1], v[14:15], v[10:11]
	v_div_fmas_f64 v[0:1], v[0:1], v[6:7], v[14:15]
	v_div_fixup_f64 v[6:7], v[0:1], v[4:5], v[34:35]
	v_mov_b32_e32 v0, 0x7ff80000
	v_add_co_u32_e32 v10, vcc, 0x3000, v62
	v_cndmask_b32_e64 v7, v7, v0, s[34:35]
	v_cndmask_b32_e64 v6, v6, 0, s[34:35]
	v_addc_co_u32_e32 v11, vcc, 0, v63, vcc
	v_readlane_b32 s1, v125, 59
	global_store_dwordx2 v[10:11], v[6:7], off offset:512
	s_and_b64 exec, exec, s[0:1]
	s_cbranch_execz .LBB695_706
; %bb.693:
	v_div_scale_f64 v[6:7], s[0:1], v[4:5], v[4:5], v[2:3]
	v_rcp_f64_e32 v[10:11], v[6:7]
	v_div_scale_f64 v[14:15], vcc, v[2:3], v[4:5], v[2:3]
	v_readlane_b32 s0, v125, 62
	v_fma_f64 v[18:19], -v[6:7], v[10:11], 1.0
	v_fmac_f64_e32 v[10:11], v[10:11], v[18:19]
	v_fma_f64 v[18:19], -v[6:7], v[10:11], 1.0
	v_fmac_f64_e32 v[10:11], v[10:11], v[18:19]
	v_mul_f64 v[18:19], v[14:15], v[10:11]
	v_fma_f64 v[6:7], -v[6:7], v[18:19], v[14:15]
	v_div_fmas_f64 v[6:7], v[6:7], v[10:11], v[18:19]
	v_div_fixup_f64 v[2:3], v[6:7], v[4:5], v[2:3]
	v_cndmask_b32_e64 v1, v3, v0, s[34:35]
	v_cndmask_b32_e64 v0, v2, 0, s[34:35]
	v_add_co_u32_e32 v2, vcc, 0x3000, v62
	v_addc_co_u32_e32 v3, vcc, 0, v63, vcc
	v_readlane_b32 s1, v125, 63
	global_store_dwordx2 v[2:3], v[0:1], off offset:768
	s_and_b64 exec, exec, s[0:1]
	s_cbranch_execz .LBB695_706
; %bb.694:
	v_div_scale_f64 v[0:1], s[0:1], v[4:5], v[4:5], v[32:33]
	v_rcp_f64_e32 v[2:3], v[0:1]
	v_div_scale_f64 v[6:7], vcc, v[32:33], v[4:5], v[32:33]
	v_readlane_b32 s0, v126, 2
	v_fma_f64 v[10:11], -v[0:1], v[2:3], 1.0
	v_fmac_f64_e32 v[2:3], v[2:3], v[10:11]
	v_fma_f64 v[10:11], -v[0:1], v[2:3], 1.0
	v_fmac_f64_e32 v[2:3], v[2:3], v[10:11]
	v_mul_f64 v[10:11], v[6:7], v[2:3]
	v_fma_f64 v[0:1], -v[0:1], v[10:11], v[6:7]
	v_div_fmas_f64 v[0:1], v[0:1], v[2:3], v[10:11]
	v_div_fixup_f64 v[2:3], v[0:1], v[4:5], v[32:33]
	v_mov_b32_e32 v0, 0x7ff80000
	v_add_co_u32_e32 v6, vcc, 0x3000, v62
	v_cndmask_b32_e64 v3, v3, v0, s[34:35]
	v_cndmask_b32_e64 v2, v2, 0, s[34:35]
	v_addc_co_u32_e32 v7, vcc, 0, v63, vcc
	v_readlane_b32 s1, v126, 3
	global_store_dwordx2 v[6:7], v[2:3], off offset:1024
	;; [unrolled: 43-line block ×7, first 2 shown]
	s_and_b64 exec, exec, s[0:1]
	s_cbranch_execz .LBB695_706
; %bb.705:
	v_div_scale_f64 v[2:3], s[0:1], v[4:5], v[4:5], v[106:107]
	v_rcp_f64_e32 v[6:7], v[2:3]
	v_div_scale_f64 v[8:9], vcc, v[106:107], v[4:5], v[106:107]
	v_fma_f64 v[10:11], -v[2:3], v[6:7], 1.0
	v_fmac_f64_e32 v[6:7], v[6:7], v[10:11]
	v_fma_f64 v[10:11], -v[2:3], v[6:7], 1.0
	v_fmac_f64_e32 v[6:7], v[6:7], v[10:11]
	v_mul_f64 v[10:11], v[8:9], v[6:7]
	v_fma_f64 v[2:3], -v[2:3], v[10:11], v[8:9]
	v_div_fmas_f64 v[2:3], v[2:3], v[6:7], v[10:11]
	v_div_fixup_f64 v[2:3], v[2:3], v[4:5], v[106:107]
	v_cndmask_b32_e64 v1, v3, v0, s[34:35]
	v_cndmask_b32_e64 v0, v2, 0, s[34:35]
	v_add_co_u32_e32 v2, vcc, 0x3000, v62
	v_addc_co_u32_e32 v3, vcc, 0, v63, vcc
	global_store_dwordx2 v[2:3], v[0:1], off offset:3840
.LBB695_706:
	s_endpgm
	.section	.rodata,"a",@progbits
	.p2align	6, 0x0
	.amdhsa_kernel _ZN12_GLOBAL__N_120softmax_warp_forwardIdddLi11ELb0ELb1ELi32EEEvPT0_PKT_iiiPKbib
		.amdhsa_group_segment_fixed_size 0
		.amdhsa_private_segment_fixed_size 180
		.amdhsa_kernarg_size 304
		.amdhsa_user_sgpr_count 6
		.amdhsa_user_sgpr_private_segment_buffer 1
		.amdhsa_user_sgpr_dispatch_ptr 0
		.amdhsa_user_sgpr_queue_ptr 0
		.amdhsa_user_sgpr_kernarg_segment_ptr 1
		.amdhsa_user_sgpr_dispatch_id 0
		.amdhsa_user_sgpr_flat_scratch_init 0
		.amdhsa_user_sgpr_kernarg_preload_length 0
		.amdhsa_user_sgpr_kernarg_preload_offset 0
		.amdhsa_user_sgpr_private_segment_size 0
		.amdhsa_uses_dynamic_stack 0
		.amdhsa_system_sgpr_private_segment_wavefront_offset 1
		.amdhsa_system_sgpr_workgroup_id_x 1
		.amdhsa_system_sgpr_workgroup_id_y 0
		.amdhsa_system_sgpr_workgroup_id_z 0
		.amdhsa_system_sgpr_workgroup_info 0
		.amdhsa_system_vgpr_workitem_id 1
		.amdhsa_next_free_vgpr 128
		.amdhsa_next_free_sgpr 100
		.amdhsa_accum_offset 128
		.amdhsa_reserve_vcc 1
		.amdhsa_reserve_flat_scratch 0
		.amdhsa_float_round_mode_32 0
		.amdhsa_float_round_mode_16_64 0
		.amdhsa_float_denorm_mode_32 3
		.amdhsa_float_denorm_mode_16_64 3
		.amdhsa_dx10_clamp 1
		.amdhsa_ieee_mode 1
		.amdhsa_fp16_overflow 0
		.amdhsa_tg_split 0
		.amdhsa_exception_fp_ieee_invalid_op 0
		.amdhsa_exception_fp_denorm_src 0
		.amdhsa_exception_fp_ieee_div_zero 0
		.amdhsa_exception_fp_ieee_overflow 0
		.amdhsa_exception_fp_ieee_underflow 0
		.amdhsa_exception_fp_ieee_inexact 0
		.amdhsa_exception_int_div_zero 0
	.end_amdhsa_kernel
	.section	.text._ZN12_GLOBAL__N_120softmax_warp_forwardIdddLi11ELb0ELb1ELi32EEEvPT0_PKT_iiiPKbib,"axG",@progbits,_ZN12_GLOBAL__N_120softmax_warp_forwardIdddLi11ELb0ELb1ELi32EEEvPT0_PKT_iiiPKbib,comdat
.Lfunc_end695:
	.size	_ZN12_GLOBAL__N_120softmax_warp_forwardIdddLi11ELb0ELb1ELi32EEEvPT0_PKT_iiiPKbib, .Lfunc_end695-_ZN12_GLOBAL__N_120softmax_warp_forwardIdddLi11ELb0ELb1ELi32EEEvPT0_PKT_iiiPKbib
                                        ; -- End function
	.section	.AMDGPU.csdata,"",@progbits
; Kernel info:
; codeLenInByte = 51120
; NumSgprs: 104
; NumVgprs: 128
; NumAgprs: 0
; TotalNumVgprs: 128
; ScratchSize: 180
; MemoryBound: 0
; FloatMode: 240
; IeeeMode: 1
; LDSByteSize: 0 bytes/workgroup (compile time only)
; SGPRBlocks: 12
; VGPRBlocks: 15
; NumSGPRsForWavesPerEU: 104
; NumVGPRsForWavesPerEU: 128
; AccumOffset: 128
; Occupancy: 4
; WaveLimiterHint : 0
; COMPUTE_PGM_RSRC2:SCRATCH_EN: 1
; COMPUTE_PGM_RSRC2:USER_SGPR: 6
; COMPUTE_PGM_RSRC2:TRAP_HANDLER: 0
; COMPUTE_PGM_RSRC2:TGID_X_EN: 1
; COMPUTE_PGM_RSRC2:TGID_Y_EN: 0
; COMPUTE_PGM_RSRC2:TGID_Z_EN: 0
; COMPUTE_PGM_RSRC2:TIDIG_COMP_CNT: 1
; COMPUTE_PGM_RSRC3_GFX90A:ACCUM_OFFSET: 31
; COMPUTE_PGM_RSRC3_GFX90A:TG_SPLIT: 0
	.section	.text._ZN12_GLOBAL__N_120softmax_warp_forwardIfffLi0ELb0ELb1ELi64EEEvPT0_PKT_iiiPKbib,"axG",@progbits,_ZN12_GLOBAL__N_120softmax_warp_forwardIfffLi0ELb0ELb1ELi64EEEvPT0_PKT_iiiPKbib,comdat
	.globl	_ZN12_GLOBAL__N_120softmax_warp_forwardIfffLi0ELb0ELb1ELi64EEEvPT0_PKT_iiiPKbib ; -- Begin function _ZN12_GLOBAL__N_120softmax_warp_forwardIfffLi0ELb0ELb1ELi64EEEvPT0_PKT_iiiPKbib
	.p2align	8
	.type	_ZN12_GLOBAL__N_120softmax_warp_forwardIfffLi0ELb0ELb1ELi64EEEvPT0_PKT_iiiPKbib,@function
_ZN12_GLOBAL__N_120softmax_warp_forwardIfffLi0ELb0ELb1ELi64EEEvPT0_PKT_iiiPKbib: ; @_ZN12_GLOBAL__N_120softmax_warp_forwardIfffLi0ELb0ELb1ELi64EEEvPT0_PKT_iiiPKbib
; %bb.0:
	s_load_dwordx2 s[0:1], s[4:5], 0x28
	s_load_dword s2, s[4:5], 0x3c
	s_load_dwordx4 s[8:11], s[4:5], 0x10
	v_bfe_u32 v1, v0, 10, 10
	v_and_b32_e32 v4, 0x3ff, v0
	s_waitcnt lgkmcnt(0)
	s_bitcmp1_b32 s1, 0
	s_cselect_b64 s[16:17], -1, 0
	s_lshr_b32 s2, s2, 16
	s_mul_i32 s6, s6, s2
	v_add_lshl_u32 v5, s6, v1, 1
	v_mul_lo_u32 v6, v5, s9
	v_add_u32_e32 v0, v6, v4
	v_ashrrev_i32_e32 v1, 31, v0
	s_bitcmp0_b32 s1, 0
	v_pk_mov_b32 v[2:3], v[0:1], v[0:1] op_sel:[0,1]
	s_cbranch_scc1 .LBB696_2
; %bb.1:
	s_abs_i32 s1, s0
	v_cvt_f32_u32_e32 v2, s1
	v_xor_b32_e32 v3, s0, v6
	v_sub_u32_e32 v7, 0, v6
	s_sub_i32 s0, 0, s1
	v_rcp_iflag_f32_e32 v2, v2
	v_max_i32_e32 v6, v6, v7
	v_ashrrev_i32_e32 v3, 31, v3
	v_mul_f32_e32 v2, 0x4f7ffffe, v2
	v_cvt_u32_f32_e32 v2, v2
	v_mul_lo_u32 v7, s0, v2
	v_mul_hi_u32 v7, v2, v7
	v_add_u32_e32 v2, v2, v7
	v_mul_hi_u32 v2, v6, v2
	v_mul_lo_u32 v7, v2, s1
	v_sub_u32_e32 v6, v6, v7
	v_add_u32_e32 v8, 1, v2
	v_cmp_le_u32_e32 vcc, s1, v6
	v_subrev_u32_e32 v7, s1, v6
	v_cndmask_b32_e32 v2, v2, v8, vcc
	v_cndmask_b32_e32 v6, v6, v7, vcc
	v_add_u32_e32 v7, 1, v2
	v_cmp_le_u32_e32 vcc, s1, v6
	v_cndmask_b32_e32 v2, v2, v7, vcc
	v_xor_b32_e32 v2, v2, v3
	v_sub_u32_e32 v2, v2, v3
	v_mad_u64_u32 v[2:3], s[0:1], v2, s9, v[4:5]
	v_ashrrev_i32_e32 v3, 31, v2
.LBB696_2:
	s_load_dwordx4 s[12:15], s[4:5], 0x0
	v_lshlrev_b64 v[0:1], 2, v[0:1]
	v_sub_u32_e32 v8, s8, v5
	v_cmp_gt_i32_e64 s[0:1], s10, v4
	v_mov_b32_e32 v9, 0xff800000
	s_waitcnt lgkmcnt(0)
	v_mov_b32_e32 v5, s15
	v_add_co_u32_e32 v6, vcc, s14, v0
	v_addc_co_u32_e32 v7, vcc, v5, v1, vcc
	v_cmp_lt_i32_e32 vcc, 0, v8
	s_and_b64 s[8:9], s[0:1], vcc
	v_mov_b32_e32 v10, 0xff800000
	s_and_saveexec_b64 s[2:3], s[8:9]
	s_cbranch_execz .LBB696_4
; %bb.3:
	global_load_dword v10, v[6:7], off
.LBB696_4:
	s_or_b64 exec, exec, s[2:3]
	v_cmp_lt_i32_e64 s[2:3], 1, v8
	s_and_b64 s[6:7], s[0:1], s[2:3]
	s_and_saveexec_b64 s[14:15], s[6:7]
	s_cbranch_execz .LBB696_6
; %bb.5:
	s_mov_b32 s11, 0
	s_lshl_b64 s[2:3], s[10:11], 2
	v_mov_b32_e32 v5, s3
	v_add_co_u32_e64 v4, s[2:3], s2, v6
	v_addc_co_u32_e64 v5, s[2:3], v7, v5, s[2:3]
	global_load_dword v9, v[4:5], off
.LBB696_6:
	s_or_b64 exec, exec, s[14:15]
	s_load_dwordx2 s[2:3], s[4:5], 0x20
	s_waitcnt lgkmcnt(0)
	v_mov_b32_e32 v5, s3
	v_add_co_u32_e64 v4, s[2:3], s2, v2
	v_addc_co_u32_e64 v5, s[2:3], v5, v3, s[2:3]
	v_mov_b32_e32 v2, 0xff800000
	s_and_saveexec_b64 s[4:5], s[8:9]
	s_cbranch_execz .LBB696_8
; %bb.7:
	global_load_ubyte v2, v[4:5], off
	v_mov_b32_e32 v3, 0xff800000
	s_waitcnt vmcnt(0)
	v_and_b32_e32 v2, 1, v2
	v_cmp_eq_u32_e64 s[2:3], 1, v2
	v_cndmask_b32_e64 v2, v10, v3, s[2:3]
.LBB696_8:
	s_or_b64 exec, exec, s[4:5]
	s_mov_b64 s[2:3], 0
	s_and_saveexec_b64 s[4:5], s[6:7]
	s_cbranch_execz .LBB696_10
; %bb.9:
	s_and_b64 s[2:3], s[16:17], exec
	s_cselect_b32 s2, 0, 0
	s_cselect_b32 s3, 0, s10
	v_mov_b32_e32 v3, s2
	v_add_co_u32_e64 v6, s[2:3], s3, v4
	v_addc_co_u32_e64 v7, s[2:3], v5, v3, s[2:3]
	global_load_ubyte v3, v[6:7], off
	s_waitcnt vmcnt(0)
	v_and_b32_e32 v3, 1, v3
	v_cmp_eq_u32_e64 s[2:3], 1, v3
	s_xor_b64 s[2:3], s[2:3], -1
	s_and_b64 s[2:3], s[2:3], exec
.LBB696_10:
	s_or_b64 exec, exec, s[4:5]
	v_mov_b32_e32 v3, 0xff800000
	s_waitcnt vmcnt(0)
	v_cndmask_b32_e64 v11, v3, v9, s[2:3]
	v_cndmask_b32_e64 v12, v2, v2, s[2:3]
	s_mov_b32 s2, 0
	s_mov_b32 s3, s2
	v_mov_b32_e32 v6, 0
	v_pk_mov_b32 v[2:3], s[2:3], s[2:3] op_sel:[0,1]
	v_mov_b32_e32 v7, 0
	s_and_saveexec_b64 s[4:5], s[8:9]
	s_cbranch_execnz .LBB696_14
; %bb.11:
	s_or_b64 exec, exec, s[4:5]
	s_and_saveexec_b64 s[4:5], s[6:7]
	s_cbranch_execnz .LBB696_17
.LBB696_12:
	s_or_b64 exec, exec, s[4:5]
	s_and_saveexec_b64 s[2:3], vcc
	s_cbranch_execnz .LBB696_20
.LBB696_13:
	s_endpgm
.LBB696_14:
	global_load_ubyte v7, v[4:5], off
	v_pk_mov_b32 v[2:3], s[2:3], s[2:3] op_sel:[0,1]
	s_waitcnt vmcnt(0)
	v_and_b32_e32 v7, 1, v7
	v_cmp_eq_u32_e64 s[2:3], 1, v7
	s_xor_b64 s[2:3], s[2:3], -1
	v_mov_b32_e32 v7, 0
	s_and_saveexec_b64 s[8:9], s[2:3]
	s_cbranch_execz .LBB696_16
; %bb.15:
	v_sub_f32_e32 v2, v10, v12
	s_mov_b32 s2, 0x3fb8aa3b
	v_mul_f32_e32 v3, 0x3fb8aa3b, v2
	v_fma_f32 v7, v2, s2, -v3
	v_rndne_f32_e32 v10, v3
	v_fmac_f32_e32 v7, 0x32a5705f, v2
	v_sub_f32_e32 v3, v3, v10
	v_add_f32_e32 v3, v3, v7
	v_exp_f32_e32 v3, v3
	v_cvt_i32_f32_e32 v7, v10
	s_mov_b32 s2, 0xc2ce8ed0
	v_cmp_ngt_f32_e64 s[2:3], s2, v2
	v_mov_b32_e32 v10, 0x7f800000
	v_ldexp_f32 v7, v3, v7
	v_cndmask_b32_e64 v7, 0, v7, s[2:3]
	s_mov_b32 s2, 0x42b17218
	v_cmp_nlt_f32_e64 s[2:3], s2, v2
	v_cndmask_b32_e64 v2, v10, v7, s[2:3]
	v_mov_b32_e32 v3, 0
	v_mov_b32_e32 v7, v2
.LBB696_16:
	s_or_b64 exec, exec, s[8:9]
	s_or_b64 exec, exec, s[4:5]
	s_and_saveexec_b64 s[4:5], s[6:7]
	s_cbranch_execz .LBB696_12
.LBB696_17:
	s_and_b64 s[2:3], s[16:17], exec
	s_cselect_b32 s2, 0, 0
	s_cselect_b32 s3, 0, s10
	v_mov_b32_e32 v6, s2
	v_add_co_u32_e64 v4, s[2:3], s3, v4
	v_addc_co_u32_e64 v5, s[2:3], v5, v6, s[2:3]
	global_load_ubyte v4, v[4:5], off
	v_mov_b32_e32 v6, 0
	s_waitcnt vmcnt(0)
	v_and_b32_e32 v4, 1, v4
	v_cmp_eq_u32_e64 s[2:3], 1, v4
	s_xor_b64 s[2:3], s[2:3], -1
	s_and_saveexec_b64 s[6:7], s[2:3]
	s_cbranch_execz .LBB696_19
; %bb.18:
	v_sub_f32_e32 v4, v9, v11
	s_mov_b32 s2, 0x3fb8aa3b
	v_mul_f32_e32 v5, 0x3fb8aa3b, v4
	v_fma_f32 v6, v4, s2, -v5
	v_rndne_f32_e32 v9, v5
	v_fmac_f32_e32 v6, 0x32a5705f, v4
	v_sub_f32_e32 v5, v5, v9
	v_add_f32_e32 v5, v5, v6
	v_exp_f32_e32 v5, v5
	v_cvt_i32_f32_e32 v6, v9
	s_mov_b32 s2, 0xc2ce8ed0
	v_cmp_ngt_f32_e64 s[2:3], s2, v4
	v_ldexp_f32 v5, v5, v6
	v_cndmask_b32_e64 v5, 0, v5, s[2:3]
	s_mov_b32 s2, 0x42b17218
	v_mov_b32_e32 v6, 0x7f800000
	v_cmp_nlt_f32_e64 s[2:3], s2, v4
	v_cndmask_b32_e64 v6, v6, v5, s[2:3]
	v_add_f32_e32 v3, v3, v6
.LBB696_19:
	s_or_b64 exec, exec, s[6:7]
	s_or_b64 exec, exec, s[4:5]
	s_and_saveexec_b64 s[2:3], vcc
	s_cbranch_execz .LBB696_13
.LBB696_20:
	v_mov_b32_e32 v4, s13
	v_add_co_u32_e32 v0, vcc, s12, v0
	v_addc_co_u32_e32 v1, vcc, v4, v1, vcc
	s_and_saveexec_b64 s[2:3], s[0:1]
	s_cbranch_execz .LBB696_22
; %bb.21:
	v_div_scale_f32 v4, s[4:5], v2, v2, v7
	v_rcp_f32_e32 v5, v4
	v_div_scale_f32 v9, vcc, v7, v2, v7
	v_fma_f32 v10, -v4, v5, 1.0
	v_fmac_f32_e32 v5, v10, v5
	v_mul_f32_e32 v10, v9, v5
	v_fma_f32 v11, -v4, v10, v9
	v_fmac_f32_e32 v10, v11, v5
	v_fma_f32 v4, -v4, v10, v9
	v_div_fmas_f32 v4, v4, v5, v10
	v_div_fixup_f32 v4, v4, v2, v7
	v_mov_b32_e32 v5, 0x7fc00000
	v_cmp_neq_f32_e32 vcc, 0, v2
	v_cndmask_b32_e32 v2, v5, v4, vcc
	global_store_dword v[0:1], v2, off
.LBB696_22:
	s_or_b64 exec, exec, s[2:3]
	v_cmp_ne_u32_e32 vcc, 1, v8
	s_and_b64 exec, exec, vcc
	s_cbranch_execz .LBB696_13
; %bb.23:
	s_and_b64 exec, exec, s[0:1]
	s_cbranch_execz .LBB696_13
; %bb.24:
	v_div_scale_f32 v2, s[0:1], v3, v3, v6
	v_rcp_f32_e32 v4, v2
	v_div_scale_f32 v5, vcc, v6, v3, v6
	s_mov_b32 s11, 0
	v_fma_f32 v7, -v2, v4, 1.0
	v_fmac_f32_e32 v4, v7, v4
	v_mul_f32_e32 v7, v5, v4
	v_fma_f32 v8, -v2, v7, v5
	v_fmac_f32_e32 v7, v8, v4
	v_fma_f32 v2, -v2, v7, v5
	s_lshl_b64 s[0:1], s[10:11], 2
	v_div_fmas_f32 v2, v2, v4, v7
	v_mov_b32_e32 v4, s1
	v_add_co_u32_e32 v0, vcc, s0, v0
	v_addc_co_u32_e32 v1, vcc, v1, v4, vcc
	v_div_fixup_f32 v2, v2, v3, v6
	v_mov_b32_e32 v4, 0x7fc00000
	v_cmp_neq_f32_e32 vcc, 0, v3
	v_cndmask_b32_e32 v2, v4, v2, vcc
	global_store_dword v[0:1], v2, off
	s_endpgm
	.section	.rodata,"a",@progbits
	.p2align	6, 0x0
	.amdhsa_kernel _ZN12_GLOBAL__N_120softmax_warp_forwardIfffLi0ELb0ELb1ELi64EEEvPT0_PKT_iiiPKbib
		.amdhsa_group_segment_fixed_size 0
		.amdhsa_private_segment_fixed_size 0
		.amdhsa_kernarg_size 304
		.amdhsa_user_sgpr_count 6
		.amdhsa_user_sgpr_private_segment_buffer 1
		.amdhsa_user_sgpr_dispatch_ptr 0
		.amdhsa_user_sgpr_queue_ptr 0
		.amdhsa_user_sgpr_kernarg_segment_ptr 1
		.amdhsa_user_sgpr_dispatch_id 0
		.amdhsa_user_sgpr_flat_scratch_init 0
		.amdhsa_user_sgpr_kernarg_preload_length 0
		.amdhsa_user_sgpr_kernarg_preload_offset 0
		.amdhsa_user_sgpr_private_segment_size 0
		.amdhsa_uses_dynamic_stack 0
		.amdhsa_system_sgpr_private_segment_wavefront_offset 0
		.amdhsa_system_sgpr_workgroup_id_x 1
		.amdhsa_system_sgpr_workgroup_id_y 0
		.amdhsa_system_sgpr_workgroup_id_z 0
		.amdhsa_system_sgpr_workgroup_info 0
		.amdhsa_system_vgpr_workitem_id 1
		.amdhsa_next_free_vgpr 13
		.amdhsa_next_free_sgpr 18
		.amdhsa_accum_offset 16
		.amdhsa_reserve_vcc 1
		.amdhsa_reserve_flat_scratch 0
		.amdhsa_float_round_mode_32 0
		.amdhsa_float_round_mode_16_64 0
		.amdhsa_float_denorm_mode_32 3
		.amdhsa_float_denorm_mode_16_64 3
		.amdhsa_dx10_clamp 1
		.amdhsa_ieee_mode 1
		.amdhsa_fp16_overflow 0
		.amdhsa_tg_split 0
		.amdhsa_exception_fp_ieee_invalid_op 0
		.amdhsa_exception_fp_denorm_src 0
		.amdhsa_exception_fp_ieee_div_zero 0
		.amdhsa_exception_fp_ieee_overflow 0
		.amdhsa_exception_fp_ieee_underflow 0
		.amdhsa_exception_fp_ieee_inexact 0
		.amdhsa_exception_int_div_zero 0
	.end_amdhsa_kernel
	.section	.text._ZN12_GLOBAL__N_120softmax_warp_forwardIfffLi0ELb0ELb1ELi64EEEvPT0_PKT_iiiPKbib,"axG",@progbits,_ZN12_GLOBAL__N_120softmax_warp_forwardIfffLi0ELb0ELb1ELi64EEEvPT0_PKT_iiiPKbib,comdat
.Lfunc_end696:
	.size	_ZN12_GLOBAL__N_120softmax_warp_forwardIfffLi0ELb0ELb1ELi64EEEvPT0_PKT_iiiPKbib, .Lfunc_end696-_ZN12_GLOBAL__N_120softmax_warp_forwardIfffLi0ELb0ELb1ELi64EEEvPT0_PKT_iiiPKbib
                                        ; -- End function
	.section	.AMDGPU.csdata,"",@progbits
; Kernel info:
; codeLenInByte = 1308
; NumSgprs: 22
; NumVgprs: 13
; NumAgprs: 0
; TotalNumVgprs: 13
; ScratchSize: 0
; MemoryBound: 0
; FloatMode: 240
; IeeeMode: 1
; LDSByteSize: 0 bytes/workgroup (compile time only)
; SGPRBlocks: 2
; VGPRBlocks: 1
; NumSGPRsForWavesPerEU: 22
; NumVGPRsForWavesPerEU: 13
; AccumOffset: 16
; Occupancy: 8
; WaveLimiterHint : 0
; COMPUTE_PGM_RSRC2:SCRATCH_EN: 0
; COMPUTE_PGM_RSRC2:USER_SGPR: 6
; COMPUTE_PGM_RSRC2:TRAP_HANDLER: 0
; COMPUTE_PGM_RSRC2:TGID_X_EN: 1
; COMPUTE_PGM_RSRC2:TGID_Y_EN: 0
; COMPUTE_PGM_RSRC2:TGID_Z_EN: 0
; COMPUTE_PGM_RSRC2:TIDIG_COMP_CNT: 1
; COMPUTE_PGM_RSRC3_GFX90A:ACCUM_OFFSET: 3
; COMPUTE_PGM_RSRC3_GFX90A:TG_SPLIT: 0
	.section	.text._ZN12_GLOBAL__N_120softmax_warp_forwardIfffLi0ELb0ELb1ELi32EEEvPT0_PKT_iiiPKbib,"axG",@progbits,_ZN12_GLOBAL__N_120softmax_warp_forwardIfffLi0ELb0ELb1ELi32EEEvPT0_PKT_iiiPKbib,comdat
	.globl	_ZN12_GLOBAL__N_120softmax_warp_forwardIfffLi0ELb0ELb1ELi32EEEvPT0_PKT_iiiPKbib ; -- Begin function _ZN12_GLOBAL__N_120softmax_warp_forwardIfffLi0ELb0ELb1ELi32EEEvPT0_PKT_iiiPKbib
	.p2align	8
	.type	_ZN12_GLOBAL__N_120softmax_warp_forwardIfffLi0ELb0ELb1ELi32EEEvPT0_PKT_iiiPKbib,@function
_ZN12_GLOBAL__N_120softmax_warp_forwardIfffLi0ELb0ELb1ELi32EEEvPT0_PKT_iiiPKbib: ; @_ZN12_GLOBAL__N_120softmax_warp_forwardIfffLi0ELb0ELb1ELi32EEEvPT0_PKT_iiiPKbib
; %bb.0:
	s_load_dwordx2 s[0:1], s[4:5], 0x28
	s_load_dword s2, s[4:5], 0x3c
	s_load_dwordx4 s[8:11], s[4:5], 0x10
	v_bfe_u32 v1, v0, 10, 10
	v_and_b32_e32 v4, 0x3ff, v0
	s_waitcnt lgkmcnt(0)
	s_bitcmp1_b32 s1, 0
	s_cselect_b64 s[16:17], -1, 0
	s_lshr_b32 s2, s2, 16
	s_mul_i32 s6, s6, s2
	v_add_lshl_u32 v5, s6, v1, 1
	v_mul_lo_u32 v6, v5, s9
	v_add_u32_e32 v0, v6, v4
	v_ashrrev_i32_e32 v1, 31, v0
	s_bitcmp0_b32 s1, 0
	v_pk_mov_b32 v[2:3], v[0:1], v[0:1] op_sel:[0,1]
	s_cbranch_scc1 .LBB697_2
; %bb.1:
	s_abs_i32 s1, s0
	v_cvt_f32_u32_e32 v2, s1
	v_xor_b32_e32 v3, s0, v6
	v_sub_u32_e32 v7, 0, v6
	s_sub_i32 s0, 0, s1
	v_rcp_iflag_f32_e32 v2, v2
	v_max_i32_e32 v6, v6, v7
	v_ashrrev_i32_e32 v3, 31, v3
	v_mul_f32_e32 v2, 0x4f7ffffe, v2
	v_cvt_u32_f32_e32 v2, v2
	v_mul_lo_u32 v7, s0, v2
	v_mul_hi_u32 v7, v2, v7
	v_add_u32_e32 v2, v2, v7
	v_mul_hi_u32 v2, v6, v2
	v_mul_lo_u32 v7, v2, s1
	v_sub_u32_e32 v6, v6, v7
	v_add_u32_e32 v8, 1, v2
	v_cmp_le_u32_e32 vcc, s1, v6
	v_subrev_u32_e32 v7, s1, v6
	v_cndmask_b32_e32 v2, v2, v8, vcc
	v_cndmask_b32_e32 v6, v6, v7, vcc
	v_add_u32_e32 v7, 1, v2
	v_cmp_le_u32_e32 vcc, s1, v6
	v_cndmask_b32_e32 v2, v2, v7, vcc
	v_xor_b32_e32 v2, v2, v3
	v_sub_u32_e32 v2, v2, v3
	v_mad_u64_u32 v[2:3], s[0:1], v2, s9, v[4:5]
	v_ashrrev_i32_e32 v3, 31, v2
.LBB697_2:
	s_load_dwordx4 s[12:15], s[4:5], 0x0
	v_lshlrev_b64 v[0:1], 2, v[0:1]
	v_sub_u32_e32 v8, s8, v5
	v_cmp_gt_i32_e64 s[0:1], s10, v4
	v_mov_b32_e32 v9, 0xff800000
	s_waitcnt lgkmcnt(0)
	v_mov_b32_e32 v5, s15
	v_add_co_u32_e32 v6, vcc, s14, v0
	v_addc_co_u32_e32 v7, vcc, v5, v1, vcc
	v_cmp_lt_i32_e32 vcc, 0, v8
	s_and_b64 s[8:9], s[0:1], vcc
	v_mov_b32_e32 v10, 0xff800000
	s_and_saveexec_b64 s[2:3], s[8:9]
	s_cbranch_execz .LBB697_4
; %bb.3:
	global_load_dword v10, v[6:7], off
.LBB697_4:
	s_or_b64 exec, exec, s[2:3]
	v_cmp_lt_i32_e64 s[2:3], 1, v8
	s_and_b64 s[6:7], s[0:1], s[2:3]
	s_and_saveexec_b64 s[14:15], s[6:7]
	s_cbranch_execz .LBB697_6
; %bb.5:
	s_mov_b32 s11, 0
	s_lshl_b64 s[2:3], s[10:11], 2
	v_mov_b32_e32 v5, s3
	v_add_co_u32_e64 v4, s[2:3], s2, v6
	v_addc_co_u32_e64 v5, s[2:3], v7, v5, s[2:3]
	global_load_dword v9, v[4:5], off
.LBB697_6:
	s_or_b64 exec, exec, s[14:15]
	s_load_dwordx2 s[2:3], s[4:5], 0x20
	s_waitcnt lgkmcnt(0)
	v_mov_b32_e32 v5, s3
	v_add_co_u32_e64 v4, s[2:3], s2, v2
	v_addc_co_u32_e64 v5, s[2:3], v5, v3, s[2:3]
	v_mov_b32_e32 v2, 0xff800000
	s_and_saveexec_b64 s[4:5], s[8:9]
	s_cbranch_execz .LBB697_8
; %bb.7:
	global_load_ubyte v2, v[4:5], off
	v_mov_b32_e32 v3, 0xff800000
	s_waitcnt vmcnt(0)
	v_and_b32_e32 v2, 1, v2
	v_cmp_eq_u32_e64 s[2:3], 1, v2
	v_cndmask_b32_e64 v2, v10, v3, s[2:3]
.LBB697_8:
	s_or_b64 exec, exec, s[4:5]
	s_mov_b64 s[2:3], 0
	s_and_saveexec_b64 s[4:5], s[6:7]
	s_cbranch_execz .LBB697_10
; %bb.9:
	s_and_b64 s[2:3], s[16:17], exec
	s_cselect_b32 s2, 0, 0
	s_cselect_b32 s3, 0, s10
	v_mov_b32_e32 v3, s2
	v_add_co_u32_e64 v6, s[2:3], s3, v4
	v_addc_co_u32_e64 v7, s[2:3], v5, v3, s[2:3]
	global_load_ubyte v3, v[6:7], off
	s_waitcnt vmcnt(0)
	v_and_b32_e32 v3, 1, v3
	v_cmp_eq_u32_e64 s[2:3], 1, v3
	s_xor_b64 s[2:3], s[2:3], -1
	s_and_b64 s[2:3], s[2:3], exec
.LBB697_10:
	s_or_b64 exec, exec, s[4:5]
	v_mov_b32_e32 v3, 0xff800000
	s_waitcnt vmcnt(0)
	v_cndmask_b32_e64 v11, v3, v9, s[2:3]
	v_cndmask_b32_e64 v12, v2, v2, s[2:3]
	s_mov_b32 s2, 0
	s_mov_b32 s3, s2
	v_mov_b32_e32 v6, 0
	v_pk_mov_b32 v[2:3], s[2:3], s[2:3] op_sel:[0,1]
	v_mov_b32_e32 v7, 0
	s_and_saveexec_b64 s[4:5], s[8:9]
	s_cbranch_execnz .LBB697_14
; %bb.11:
	s_or_b64 exec, exec, s[4:5]
	s_and_saveexec_b64 s[4:5], s[6:7]
	s_cbranch_execnz .LBB697_17
.LBB697_12:
	s_or_b64 exec, exec, s[4:5]
	s_and_saveexec_b64 s[2:3], vcc
	s_cbranch_execnz .LBB697_20
.LBB697_13:
	s_endpgm
.LBB697_14:
	global_load_ubyte v7, v[4:5], off
	v_pk_mov_b32 v[2:3], s[2:3], s[2:3] op_sel:[0,1]
	s_waitcnt vmcnt(0)
	v_and_b32_e32 v7, 1, v7
	v_cmp_eq_u32_e64 s[2:3], 1, v7
	s_xor_b64 s[2:3], s[2:3], -1
	v_mov_b32_e32 v7, 0
	s_and_saveexec_b64 s[8:9], s[2:3]
	s_cbranch_execz .LBB697_16
; %bb.15:
	v_sub_f32_e32 v2, v10, v12
	s_mov_b32 s2, 0x3fb8aa3b
	v_mul_f32_e32 v3, 0x3fb8aa3b, v2
	v_fma_f32 v7, v2, s2, -v3
	v_rndne_f32_e32 v10, v3
	v_fmac_f32_e32 v7, 0x32a5705f, v2
	v_sub_f32_e32 v3, v3, v10
	v_add_f32_e32 v3, v3, v7
	v_exp_f32_e32 v3, v3
	v_cvt_i32_f32_e32 v7, v10
	s_mov_b32 s2, 0xc2ce8ed0
	v_cmp_ngt_f32_e64 s[2:3], s2, v2
	v_mov_b32_e32 v10, 0x7f800000
	v_ldexp_f32 v7, v3, v7
	v_cndmask_b32_e64 v7, 0, v7, s[2:3]
	s_mov_b32 s2, 0x42b17218
	v_cmp_nlt_f32_e64 s[2:3], s2, v2
	v_cndmask_b32_e64 v2, v10, v7, s[2:3]
	v_mov_b32_e32 v3, 0
	v_mov_b32_e32 v7, v2
.LBB697_16:
	s_or_b64 exec, exec, s[8:9]
	s_or_b64 exec, exec, s[4:5]
	s_and_saveexec_b64 s[4:5], s[6:7]
	s_cbranch_execz .LBB697_12
.LBB697_17:
	s_and_b64 s[2:3], s[16:17], exec
	s_cselect_b32 s2, 0, 0
	s_cselect_b32 s3, 0, s10
	v_mov_b32_e32 v6, s2
	v_add_co_u32_e64 v4, s[2:3], s3, v4
	v_addc_co_u32_e64 v5, s[2:3], v5, v6, s[2:3]
	global_load_ubyte v4, v[4:5], off
	v_mov_b32_e32 v6, 0
	s_waitcnt vmcnt(0)
	v_and_b32_e32 v4, 1, v4
	v_cmp_eq_u32_e64 s[2:3], 1, v4
	s_xor_b64 s[2:3], s[2:3], -1
	s_and_saveexec_b64 s[6:7], s[2:3]
	s_cbranch_execz .LBB697_19
; %bb.18:
	v_sub_f32_e32 v4, v9, v11
	s_mov_b32 s2, 0x3fb8aa3b
	v_mul_f32_e32 v5, 0x3fb8aa3b, v4
	v_fma_f32 v6, v4, s2, -v5
	v_rndne_f32_e32 v9, v5
	v_fmac_f32_e32 v6, 0x32a5705f, v4
	v_sub_f32_e32 v5, v5, v9
	v_add_f32_e32 v5, v5, v6
	v_exp_f32_e32 v5, v5
	v_cvt_i32_f32_e32 v6, v9
	s_mov_b32 s2, 0xc2ce8ed0
	v_cmp_ngt_f32_e64 s[2:3], s2, v4
	v_ldexp_f32 v5, v5, v6
	v_cndmask_b32_e64 v5, 0, v5, s[2:3]
	s_mov_b32 s2, 0x42b17218
	v_mov_b32_e32 v6, 0x7f800000
	v_cmp_nlt_f32_e64 s[2:3], s2, v4
	v_cndmask_b32_e64 v6, v6, v5, s[2:3]
	v_add_f32_e32 v3, v3, v6
.LBB697_19:
	s_or_b64 exec, exec, s[6:7]
	s_or_b64 exec, exec, s[4:5]
	s_and_saveexec_b64 s[2:3], vcc
	s_cbranch_execz .LBB697_13
.LBB697_20:
	v_mov_b32_e32 v4, s13
	v_add_co_u32_e32 v0, vcc, s12, v0
	v_addc_co_u32_e32 v1, vcc, v4, v1, vcc
	s_and_saveexec_b64 s[2:3], s[0:1]
	s_cbranch_execz .LBB697_22
; %bb.21:
	v_div_scale_f32 v4, s[4:5], v2, v2, v7
	v_rcp_f32_e32 v5, v4
	v_div_scale_f32 v9, vcc, v7, v2, v7
	v_fma_f32 v10, -v4, v5, 1.0
	v_fmac_f32_e32 v5, v10, v5
	v_mul_f32_e32 v10, v9, v5
	v_fma_f32 v11, -v4, v10, v9
	v_fmac_f32_e32 v10, v11, v5
	v_fma_f32 v4, -v4, v10, v9
	v_div_fmas_f32 v4, v4, v5, v10
	v_div_fixup_f32 v4, v4, v2, v7
	v_mov_b32_e32 v5, 0x7fc00000
	v_cmp_neq_f32_e32 vcc, 0, v2
	v_cndmask_b32_e32 v2, v5, v4, vcc
	global_store_dword v[0:1], v2, off
.LBB697_22:
	s_or_b64 exec, exec, s[2:3]
	v_cmp_ne_u32_e32 vcc, 1, v8
	s_and_b64 exec, exec, vcc
	s_cbranch_execz .LBB697_13
; %bb.23:
	s_and_b64 exec, exec, s[0:1]
	s_cbranch_execz .LBB697_13
; %bb.24:
	v_div_scale_f32 v2, s[0:1], v3, v3, v6
	v_rcp_f32_e32 v4, v2
	v_div_scale_f32 v5, vcc, v6, v3, v6
	s_mov_b32 s11, 0
	v_fma_f32 v7, -v2, v4, 1.0
	v_fmac_f32_e32 v4, v7, v4
	v_mul_f32_e32 v7, v5, v4
	v_fma_f32 v8, -v2, v7, v5
	v_fmac_f32_e32 v7, v8, v4
	v_fma_f32 v2, -v2, v7, v5
	s_lshl_b64 s[0:1], s[10:11], 2
	v_div_fmas_f32 v2, v2, v4, v7
	v_mov_b32_e32 v4, s1
	v_add_co_u32_e32 v0, vcc, s0, v0
	v_addc_co_u32_e32 v1, vcc, v1, v4, vcc
	v_div_fixup_f32 v2, v2, v3, v6
	v_mov_b32_e32 v4, 0x7fc00000
	v_cmp_neq_f32_e32 vcc, 0, v3
	v_cndmask_b32_e32 v2, v4, v2, vcc
	global_store_dword v[0:1], v2, off
	s_endpgm
	.section	.rodata,"a",@progbits
	.p2align	6, 0x0
	.amdhsa_kernel _ZN12_GLOBAL__N_120softmax_warp_forwardIfffLi0ELb0ELb1ELi32EEEvPT0_PKT_iiiPKbib
		.amdhsa_group_segment_fixed_size 0
		.amdhsa_private_segment_fixed_size 0
		.amdhsa_kernarg_size 304
		.amdhsa_user_sgpr_count 6
		.amdhsa_user_sgpr_private_segment_buffer 1
		.amdhsa_user_sgpr_dispatch_ptr 0
		.amdhsa_user_sgpr_queue_ptr 0
		.amdhsa_user_sgpr_kernarg_segment_ptr 1
		.amdhsa_user_sgpr_dispatch_id 0
		.amdhsa_user_sgpr_flat_scratch_init 0
		.amdhsa_user_sgpr_kernarg_preload_length 0
		.amdhsa_user_sgpr_kernarg_preload_offset 0
		.amdhsa_user_sgpr_private_segment_size 0
		.amdhsa_uses_dynamic_stack 0
		.amdhsa_system_sgpr_private_segment_wavefront_offset 0
		.amdhsa_system_sgpr_workgroup_id_x 1
		.amdhsa_system_sgpr_workgroup_id_y 0
		.amdhsa_system_sgpr_workgroup_id_z 0
		.amdhsa_system_sgpr_workgroup_info 0
		.amdhsa_system_vgpr_workitem_id 1
		.amdhsa_next_free_vgpr 13
		.amdhsa_next_free_sgpr 18
		.amdhsa_accum_offset 16
		.amdhsa_reserve_vcc 1
		.amdhsa_reserve_flat_scratch 0
		.amdhsa_float_round_mode_32 0
		.amdhsa_float_round_mode_16_64 0
		.amdhsa_float_denorm_mode_32 3
		.amdhsa_float_denorm_mode_16_64 3
		.amdhsa_dx10_clamp 1
		.amdhsa_ieee_mode 1
		.amdhsa_fp16_overflow 0
		.amdhsa_tg_split 0
		.amdhsa_exception_fp_ieee_invalid_op 0
		.amdhsa_exception_fp_denorm_src 0
		.amdhsa_exception_fp_ieee_div_zero 0
		.amdhsa_exception_fp_ieee_overflow 0
		.amdhsa_exception_fp_ieee_underflow 0
		.amdhsa_exception_fp_ieee_inexact 0
		.amdhsa_exception_int_div_zero 0
	.end_amdhsa_kernel
	.section	.text._ZN12_GLOBAL__N_120softmax_warp_forwardIfffLi0ELb0ELb1ELi32EEEvPT0_PKT_iiiPKbib,"axG",@progbits,_ZN12_GLOBAL__N_120softmax_warp_forwardIfffLi0ELb0ELb1ELi32EEEvPT0_PKT_iiiPKbib,comdat
.Lfunc_end697:
	.size	_ZN12_GLOBAL__N_120softmax_warp_forwardIfffLi0ELb0ELb1ELi32EEEvPT0_PKT_iiiPKbib, .Lfunc_end697-_ZN12_GLOBAL__N_120softmax_warp_forwardIfffLi0ELb0ELb1ELi32EEEvPT0_PKT_iiiPKbib
                                        ; -- End function
	.section	.AMDGPU.csdata,"",@progbits
; Kernel info:
; codeLenInByte = 1308
; NumSgprs: 22
; NumVgprs: 13
; NumAgprs: 0
; TotalNumVgprs: 13
; ScratchSize: 0
; MemoryBound: 0
; FloatMode: 240
; IeeeMode: 1
; LDSByteSize: 0 bytes/workgroup (compile time only)
; SGPRBlocks: 2
; VGPRBlocks: 1
; NumSGPRsForWavesPerEU: 22
; NumVGPRsForWavesPerEU: 13
; AccumOffset: 16
; Occupancy: 8
; WaveLimiterHint : 0
; COMPUTE_PGM_RSRC2:SCRATCH_EN: 0
; COMPUTE_PGM_RSRC2:USER_SGPR: 6
; COMPUTE_PGM_RSRC2:TRAP_HANDLER: 0
; COMPUTE_PGM_RSRC2:TGID_X_EN: 1
; COMPUTE_PGM_RSRC2:TGID_Y_EN: 0
; COMPUTE_PGM_RSRC2:TGID_Z_EN: 0
; COMPUTE_PGM_RSRC2:TIDIG_COMP_CNT: 1
; COMPUTE_PGM_RSRC3_GFX90A:ACCUM_OFFSET: 3
; COMPUTE_PGM_RSRC3_GFX90A:TG_SPLIT: 0
	.section	.text._ZN12_GLOBAL__N_120softmax_warp_forwardIfffLi1ELb0ELb1ELi64EEEvPT0_PKT_iiiPKbib,"axG",@progbits,_ZN12_GLOBAL__N_120softmax_warp_forwardIfffLi1ELb0ELb1ELi64EEEvPT0_PKT_iiiPKbib,comdat
	.globl	_ZN12_GLOBAL__N_120softmax_warp_forwardIfffLi1ELb0ELb1ELi64EEEvPT0_PKT_iiiPKbib ; -- Begin function _ZN12_GLOBAL__N_120softmax_warp_forwardIfffLi1ELb0ELb1ELi64EEEvPT0_PKT_iiiPKbib
	.p2align	8
	.type	_ZN12_GLOBAL__N_120softmax_warp_forwardIfffLi1ELb0ELb1ELi64EEEvPT0_PKT_iiiPKbib,@function
_ZN12_GLOBAL__N_120softmax_warp_forwardIfffLi1ELb0ELb1ELi64EEEvPT0_PKT_iiiPKbib: ; @_ZN12_GLOBAL__N_120softmax_warp_forwardIfffLi1ELb0ELb1ELi64EEEvPT0_PKT_iiiPKbib
; %bb.0:
	s_load_dwordx2 s[0:1], s[4:5], 0x28
	s_load_dword s2, s[4:5], 0x3c
	s_load_dwordx4 s[8:11], s[4:5], 0x10
	v_bfe_u32 v1, v0, 10, 10
	v_and_b32_e32 v4, 0x3ff, v0
	s_waitcnt lgkmcnt(0)
	s_bitcmp1_b32 s1, 0
	s_cselect_b64 s[16:17], -1, 0
	s_lshr_b32 s2, s2, 16
	s_mul_i32 s6, s6, s2
	v_add_lshl_u32 v5, s6, v1, 1
	v_mul_lo_u32 v6, v5, s9
	v_add_u32_e32 v0, v6, v4
	v_ashrrev_i32_e32 v1, 31, v0
	s_bitcmp0_b32 s1, 0
	v_pk_mov_b32 v[2:3], v[0:1], v[0:1] op_sel:[0,1]
	s_cbranch_scc1 .LBB698_2
; %bb.1:
	s_abs_i32 s1, s0
	v_cvt_f32_u32_e32 v2, s1
	v_xor_b32_e32 v3, s0, v6
	v_sub_u32_e32 v7, 0, v6
	s_sub_i32 s0, 0, s1
	v_rcp_iflag_f32_e32 v2, v2
	v_max_i32_e32 v6, v6, v7
	v_ashrrev_i32_e32 v3, 31, v3
	v_mul_f32_e32 v2, 0x4f7ffffe, v2
	v_cvt_u32_f32_e32 v2, v2
	v_mul_lo_u32 v7, s0, v2
	v_mul_hi_u32 v7, v2, v7
	v_add_u32_e32 v2, v2, v7
	v_mul_hi_u32 v2, v6, v2
	v_mul_lo_u32 v7, v2, s1
	v_sub_u32_e32 v6, v6, v7
	v_add_u32_e32 v8, 1, v2
	v_cmp_le_u32_e32 vcc, s1, v6
	v_subrev_u32_e32 v7, s1, v6
	v_cndmask_b32_e32 v2, v2, v8, vcc
	v_cndmask_b32_e32 v6, v6, v7, vcc
	v_add_u32_e32 v7, 1, v2
	v_cmp_le_u32_e32 vcc, s1, v6
	v_cndmask_b32_e32 v2, v2, v7, vcc
	v_xor_b32_e32 v2, v2, v3
	v_sub_u32_e32 v2, v2, v3
	v_mad_u64_u32 v[2:3], s[0:1], v2, s9, v[4:5]
	v_ashrrev_i32_e32 v3, 31, v2
.LBB698_2:
	s_load_dwordx4 s[12:15], s[4:5], 0x0
	v_lshlrev_b64 v[0:1], 2, v[0:1]
	v_sub_u32_e32 v8, s8, v5
	v_cmp_gt_i32_e64 s[0:1], s10, v4
	v_mov_b32_e32 v9, 0xff800000
	s_waitcnt lgkmcnt(0)
	v_mov_b32_e32 v5, s15
	v_add_co_u32_e32 v6, vcc, s14, v0
	v_addc_co_u32_e32 v7, vcc, v5, v1, vcc
	v_cmp_lt_i32_e32 vcc, 0, v8
	s_and_b64 s[8:9], s[0:1], vcc
	v_mov_b32_e32 v10, 0xff800000
	s_and_saveexec_b64 s[2:3], s[8:9]
	s_cbranch_execz .LBB698_4
; %bb.3:
	global_load_dword v10, v[6:7], off
.LBB698_4:
	s_or_b64 exec, exec, s[2:3]
	v_cmp_lt_i32_e64 s[2:3], 1, v8
	s_and_b64 s[6:7], s[0:1], s[2:3]
	s_and_saveexec_b64 s[14:15], s[6:7]
	s_cbranch_execz .LBB698_6
; %bb.5:
	s_mov_b32 s11, 0
	s_lshl_b64 s[2:3], s[10:11], 2
	v_mov_b32_e32 v5, s3
	v_add_co_u32_e64 v4, s[2:3], s2, v6
	v_addc_co_u32_e64 v5, s[2:3], v7, v5, s[2:3]
	global_load_dword v9, v[4:5], off
.LBB698_6:
	s_or_b64 exec, exec, s[14:15]
	s_load_dwordx2 s[2:3], s[4:5], 0x20
	s_waitcnt lgkmcnt(0)
	v_mov_b32_e32 v4, s3
	v_add_co_u32_e64 v2, s[2:3], s2, v2
	v_addc_co_u32_e64 v3, s[2:3], v4, v3, s[2:3]
	v_mov_b32_e32 v4, 0xff800000
	s_and_saveexec_b64 s[4:5], s[8:9]
	s_cbranch_execz .LBB698_8
; %bb.7:
	global_load_ubyte v4, v[2:3], off
	v_mov_b32_e32 v5, 0xff800000
	s_waitcnt vmcnt(0)
	v_and_b32_e32 v4, 1, v4
	v_cmp_eq_u32_e64 s[2:3], 1, v4
	v_cndmask_b32_e64 v4, v10, v5, s[2:3]
.LBB698_8:
	s_or_b64 exec, exec, s[4:5]
	s_mov_b64 s[2:3], 0
	s_and_saveexec_b64 s[4:5], s[6:7]
	s_cbranch_execz .LBB698_10
; %bb.9:
	s_and_b64 s[2:3], s[16:17], exec
	s_cselect_b32 s2, 0, 0
	s_cselect_b32 s3, 0, s10
	v_mov_b32_e32 v5, s2
	v_add_co_u32_e64 v6, s[2:3], s3, v2
	v_addc_co_u32_e64 v7, s[2:3], v3, v5, s[2:3]
	global_load_ubyte v5, v[6:7], off
	s_waitcnt vmcnt(0)
	v_and_b32_e32 v5, 1, v5
	v_cmp_eq_u32_e64 s[2:3], 1, v5
	s_xor_b64 s[2:3], s[2:3], -1
	s_and_b64 s[2:3], s[2:3], exec
.LBB698_10:
	s_or_b64 exec, exec, s[4:5]
	v_cndmask_b32_e64 v14, v4, v4, s[2:3]
	v_mbcnt_lo_u32_b32 v4, -1, 0
	v_mbcnt_hi_u32_b32 v4, -1, v4
	v_mov_b32_e32 v5, 0xff800000
	v_and_b32_e32 v6, 0x7e, v4
	s_waitcnt vmcnt(0)
	v_cndmask_b32_e64 v12, v5, v9, s[2:3]
	v_xor_b32_e32 v5, 1, v4
	v_add_u32_e32 v6, 2, v6
	v_cmp_lt_i32_e64 s[2:3], v5, v6
	v_cndmask_b32_e64 v4, v4, v5, s[2:3]
	v_lshlrev_b32_e32 v7, 2, v4
	ds_bpermute_b32 v15, v7, v14
	ds_bpermute_b32 v13, v7, v12
	s_mov_b32 s14, 0
	s_mov_b32 s15, s14
	v_mov_b32_e32 v6, 0
	v_pk_mov_b32 v[4:5], s[14:15], s[14:15] op_sel:[0,1]
	v_mov_b32_e32 v11, 0
	s_and_saveexec_b64 s[4:5], s[8:9]
	s_cbranch_execz .LBB698_14
; %bb.11:
	global_load_ubyte v11, v[2:3], off
	v_pk_mov_b32 v[4:5], s[14:15], s[14:15] op_sel:[0,1]
	s_waitcnt vmcnt(0)
	v_and_b32_e32 v11, 1, v11
	v_cmp_eq_u32_e64 s[2:3], 1, v11
	s_xor_b64 s[2:3], s[2:3], -1
	v_mov_b32_e32 v11, 0
	s_and_saveexec_b64 s[8:9], s[2:3]
	s_cbranch_execz .LBB698_13
; %bb.12:
	s_waitcnt lgkmcnt(1)
	v_cmp_lt_f32_e64 s[2:3], v14, v15
	v_cndmask_b32_e64 v4, v14, v15, s[2:3]
	v_sub_f32_e32 v4, v10, v4
	s_mov_b32 s2, 0x3fb8aa3b
	v_mul_f32_e32 v5, 0x3fb8aa3b, v4
	v_fma_f32 v10, v4, s2, -v5
	v_rndne_f32_e32 v11, v5
	v_fmac_f32_e32 v10, 0x32a5705f, v4
	v_sub_f32_e32 v5, v5, v11
	v_add_f32_e32 v5, v5, v10
	v_exp_f32_e32 v5, v5
	v_cvt_i32_f32_e32 v10, v11
	s_mov_b32 s2, 0xc2ce8ed0
	v_cmp_ngt_f32_e64 s[2:3], s2, v4
	v_mov_b32_e32 v11, 0x7f800000
	v_ldexp_f32 v10, v5, v10
	v_cndmask_b32_e64 v10, 0, v10, s[2:3]
	s_mov_b32 s2, 0x42b17218
	v_cmp_nlt_f32_e64 s[2:3], s2, v4
	v_cndmask_b32_e64 v4, v11, v10, s[2:3]
	v_mov_b32_e32 v5, 0
	v_mov_b32_e32 v11, v4
.LBB698_13:
	s_or_b64 exec, exec, s[8:9]
.LBB698_14:
	s_or_b64 exec, exec, s[4:5]
	s_and_saveexec_b64 s[4:5], s[6:7]
	s_cbranch_execz .LBB698_18
; %bb.15:
	s_and_b64 s[2:3], s[16:17], exec
	s_cselect_b32 s2, 0, 0
	s_cselect_b32 s3, 0, s10
	v_mov_b32_e32 v6, s2
	v_add_co_u32_e64 v2, s[2:3], s3, v2
	v_addc_co_u32_e64 v3, s[2:3], v3, v6, s[2:3]
	global_load_ubyte v2, v[2:3], off
	v_mov_b32_e32 v6, 0
	s_waitcnt vmcnt(0)
	v_and_b32_e32 v2, 1, v2
	v_cmp_eq_u32_e64 s[2:3], 1, v2
	s_xor_b64 s[2:3], s[2:3], -1
	s_and_saveexec_b64 s[6:7], s[2:3]
	s_cbranch_execz .LBB698_17
; %bb.16:
	s_waitcnt lgkmcnt(0)
	v_cmp_lt_f32_e64 s[2:3], v12, v13
	v_cndmask_b32_e64 v2, v12, v13, s[2:3]
	v_sub_f32_e32 v2, v9, v2
	s_mov_b32 s2, 0x3fb8aa3b
	v_mul_f32_e32 v3, 0x3fb8aa3b, v2
	v_fma_f32 v6, v2, s2, -v3
	v_rndne_f32_e32 v9, v3
	v_fmac_f32_e32 v6, 0x32a5705f, v2
	v_sub_f32_e32 v3, v3, v9
	v_add_f32_e32 v3, v3, v6
	v_exp_f32_e32 v3, v3
	v_cvt_i32_f32_e32 v6, v9
	s_mov_b32 s2, 0xc2ce8ed0
	v_cmp_ngt_f32_e64 s[2:3], s2, v2
	v_ldexp_f32 v3, v3, v6
	v_cndmask_b32_e64 v3, 0, v3, s[2:3]
	s_mov_b32 s2, 0x42b17218
	v_mov_b32_e32 v6, 0x7f800000
	v_cmp_nlt_f32_e64 s[2:3], s2, v2
	v_cndmask_b32_e64 v6, v6, v3, s[2:3]
	v_add_f32_e32 v5, v5, v6
.LBB698_17:
	s_or_b64 exec, exec, s[6:7]
.LBB698_18:
	s_or_b64 exec, exec, s[4:5]
	ds_bpermute_b32 v2, v7, v4
	ds_bpermute_b32 v3, v7, v5
	s_and_saveexec_b64 s[2:3], vcc
	s_cbranch_execz .LBB698_24
; %bb.19:
	s_waitcnt lgkmcnt(0)
	v_pk_add_f32 v[2:3], v[4:5], v[2:3]
	v_mov_b32_e32 v4, s13
	v_add_co_u32_e32 v0, vcc, s12, v0
	v_addc_co_u32_e32 v1, vcc, v4, v1, vcc
	s_and_saveexec_b64 s[2:3], s[0:1]
	s_cbranch_execz .LBB698_21
; %bb.20:
	v_div_scale_f32 v4, s[4:5], v2, v2, v11
	v_rcp_f32_e32 v5, v4
	v_div_scale_f32 v7, vcc, v11, v2, v11
	v_fma_f32 v9, -v4, v5, 1.0
	v_fmac_f32_e32 v5, v9, v5
	v_mul_f32_e32 v9, v7, v5
	v_fma_f32 v10, -v4, v9, v7
	v_fmac_f32_e32 v9, v10, v5
	v_fma_f32 v4, -v4, v9, v7
	v_div_fmas_f32 v4, v4, v5, v9
	v_div_fixup_f32 v4, v4, v2, v11
	v_mov_b32_e32 v5, 0x7fc00000
	v_cmp_neq_f32_e32 vcc, 0, v2
	v_cndmask_b32_e32 v2, v5, v4, vcc
	global_store_dword v[0:1], v2, off
.LBB698_21:
	s_or_b64 exec, exec, s[2:3]
	v_cmp_ne_u32_e32 vcc, 1, v8
	s_and_b64 exec, exec, vcc
	s_cbranch_execz .LBB698_24
; %bb.22:
	s_and_b64 exec, exec, s[0:1]
	s_cbranch_execz .LBB698_24
; %bb.23:
	v_div_scale_f32 v2, s[0:1], v3, v3, v6
	v_rcp_f32_e32 v4, v2
	v_div_scale_f32 v5, vcc, v6, v3, v6
	s_mov_b32 s11, 0
	v_fma_f32 v7, -v2, v4, 1.0
	v_fmac_f32_e32 v4, v7, v4
	v_mul_f32_e32 v7, v5, v4
	v_fma_f32 v8, -v2, v7, v5
	v_fmac_f32_e32 v7, v8, v4
	v_fma_f32 v2, -v2, v7, v5
	s_lshl_b64 s[0:1], s[10:11], 2
	v_div_fmas_f32 v2, v2, v4, v7
	v_mov_b32_e32 v4, s1
	v_add_co_u32_e32 v0, vcc, s0, v0
	v_addc_co_u32_e32 v1, vcc, v1, v4, vcc
	v_div_fixup_f32 v2, v2, v3, v6
	v_mov_b32_e32 v4, 0x7fc00000
	v_cmp_neq_f32_e32 vcc, 0, v3
	v_cndmask_b32_e32 v2, v4, v2, vcc
	global_store_dword v[0:1], v2, off
.LBB698_24:
	s_endpgm
	.section	.rodata,"a",@progbits
	.p2align	6, 0x0
	.amdhsa_kernel _ZN12_GLOBAL__N_120softmax_warp_forwardIfffLi1ELb0ELb1ELi64EEEvPT0_PKT_iiiPKbib
		.amdhsa_group_segment_fixed_size 0
		.amdhsa_private_segment_fixed_size 0
		.amdhsa_kernarg_size 304
		.amdhsa_user_sgpr_count 6
		.amdhsa_user_sgpr_private_segment_buffer 1
		.amdhsa_user_sgpr_dispatch_ptr 0
		.amdhsa_user_sgpr_queue_ptr 0
		.amdhsa_user_sgpr_kernarg_segment_ptr 1
		.amdhsa_user_sgpr_dispatch_id 0
		.amdhsa_user_sgpr_flat_scratch_init 0
		.amdhsa_user_sgpr_kernarg_preload_length 0
		.amdhsa_user_sgpr_kernarg_preload_offset 0
		.amdhsa_user_sgpr_private_segment_size 0
		.amdhsa_uses_dynamic_stack 0
		.amdhsa_system_sgpr_private_segment_wavefront_offset 0
		.amdhsa_system_sgpr_workgroup_id_x 1
		.amdhsa_system_sgpr_workgroup_id_y 0
		.amdhsa_system_sgpr_workgroup_id_z 0
		.amdhsa_system_sgpr_workgroup_info 0
		.amdhsa_system_vgpr_workitem_id 1
		.amdhsa_next_free_vgpr 16
		.amdhsa_next_free_sgpr 18
		.amdhsa_accum_offset 16
		.amdhsa_reserve_vcc 1
		.amdhsa_reserve_flat_scratch 0
		.amdhsa_float_round_mode_32 0
		.amdhsa_float_round_mode_16_64 0
		.amdhsa_float_denorm_mode_32 3
		.amdhsa_float_denorm_mode_16_64 3
		.amdhsa_dx10_clamp 1
		.amdhsa_ieee_mode 1
		.amdhsa_fp16_overflow 0
		.amdhsa_tg_split 0
		.amdhsa_exception_fp_ieee_invalid_op 0
		.amdhsa_exception_fp_denorm_src 0
		.amdhsa_exception_fp_ieee_div_zero 0
		.amdhsa_exception_fp_ieee_overflow 0
		.amdhsa_exception_fp_ieee_underflow 0
		.amdhsa_exception_fp_ieee_inexact 0
		.amdhsa_exception_int_div_zero 0
	.end_amdhsa_kernel
	.section	.text._ZN12_GLOBAL__N_120softmax_warp_forwardIfffLi1ELb0ELb1ELi64EEEvPT0_PKT_iiiPKbib,"axG",@progbits,_ZN12_GLOBAL__N_120softmax_warp_forwardIfffLi1ELb0ELb1ELi64EEEvPT0_PKT_iiiPKbib,comdat
.Lfunc_end698:
	.size	_ZN12_GLOBAL__N_120softmax_warp_forwardIfffLi1ELb0ELb1ELi64EEEvPT0_PKT_iiiPKbib, .Lfunc_end698-_ZN12_GLOBAL__N_120softmax_warp_forwardIfffLi1ELb0ELb1ELi64EEEvPT0_PKT_iiiPKbib
                                        ; -- End function
	.section	.AMDGPU.csdata,"",@progbits
; Kernel info:
; codeLenInByte = 1416
; NumSgprs: 22
; NumVgprs: 16
; NumAgprs: 0
; TotalNumVgprs: 16
; ScratchSize: 0
; MemoryBound: 0
; FloatMode: 240
; IeeeMode: 1
; LDSByteSize: 0 bytes/workgroup (compile time only)
; SGPRBlocks: 2
; VGPRBlocks: 1
; NumSGPRsForWavesPerEU: 22
; NumVGPRsForWavesPerEU: 16
; AccumOffset: 16
; Occupancy: 8
; WaveLimiterHint : 0
; COMPUTE_PGM_RSRC2:SCRATCH_EN: 0
; COMPUTE_PGM_RSRC2:USER_SGPR: 6
; COMPUTE_PGM_RSRC2:TRAP_HANDLER: 0
; COMPUTE_PGM_RSRC2:TGID_X_EN: 1
; COMPUTE_PGM_RSRC2:TGID_Y_EN: 0
; COMPUTE_PGM_RSRC2:TGID_Z_EN: 0
; COMPUTE_PGM_RSRC2:TIDIG_COMP_CNT: 1
; COMPUTE_PGM_RSRC3_GFX90A:ACCUM_OFFSET: 3
; COMPUTE_PGM_RSRC3_GFX90A:TG_SPLIT: 0
	.section	.text._ZN12_GLOBAL__N_120softmax_warp_forwardIfffLi1ELb0ELb1ELi32EEEvPT0_PKT_iiiPKbib,"axG",@progbits,_ZN12_GLOBAL__N_120softmax_warp_forwardIfffLi1ELb0ELb1ELi32EEEvPT0_PKT_iiiPKbib,comdat
	.globl	_ZN12_GLOBAL__N_120softmax_warp_forwardIfffLi1ELb0ELb1ELi32EEEvPT0_PKT_iiiPKbib ; -- Begin function _ZN12_GLOBAL__N_120softmax_warp_forwardIfffLi1ELb0ELb1ELi32EEEvPT0_PKT_iiiPKbib
	.p2align	8
	.type	_ZN12_GLOBAL__N_120softmax_warp_forwardIfffLi1ELb0ELb1ELi32EEEvPT0_PKT_iiiPKbib,@function
_ZN12_GLOBAL__N_120softmax_warp_forwardIfffLi1ELb0ELb1ELi32EEEvPT0_PKT_iiiPKbib: ; @_ZN12_GLOBAL__N_120softmax_warp_forwardIfffLi1ELb0ELb1ELi32EEEvPT0_PKT_iiiPKbib
; %bb.0:
	s_load_dwordx2 s[0:1], s[4:5], 0x28
	s_load_dword s2, s[4:5], 0x3c
	s_load_dwordx4 s[8:11], s[4:5], 0x10
	v_bfe_u32 v1, v0, 10, 10
	v_and_b32_e32 v4, 0x3ff, v0
	s_waitcnt lgkmcnt(0)
	s_bitcmp1_b32 s1, 0
	s_cselect_b64 s[16:17], -1, 0
	s_lshr_b32 s2, s2, 16
	s_mul_i32 s6, s6, s2
	v_add_lshl_u32 v5, s6, v1, 1
	v_mul_lo_u32 v6, v5, s9
	v_add_u32_e32 v0, v6, v4
	v_ashrrev_i32_e32 v1, 31, v0
	s_bitcmp0_b32 s1, 0
	v_pk_mov_b32 v[2:3], v[0:1], v[0:1] op_sel:[0,1]
	s_cbranch_scc1 .LBB699_2
; %bb.1:
	s_abs_i32 s1, s0
	v_cvt_f32_u32_e32 v2, s1
	v_xor_b32_e32 v3, s0, v6
	v_sub_u32_e32 v7, 0, v6
	s_sub_i32 s0, 0, s1
	v_rcp_iflag_f32_e32 v2, v2
	v_max_i32_e32 v6, v6, v7
	v_ashrrev_i32_e32 v3, 31, v3
	v_mul_f32_e32 v2, 0x4f7ffffe, v2
	v_cvt_u32_f32_e32 v2, v2
	v_mul_lo_u32 v7, s0, v2
	v_mul_hi_u32 v7, v2, v7
	v_add_u32_e32 v2, v2, v7
	v_mul_hi_u32 v2, v6, v2
	v_mul_lo_u32 v7, v2, s1
	v_sub_u32_e32 v6, v6, v7
	v_add_u32_e32 v8, 1, v2
	v_cmp_le_u32_e32 vcc, s1, v6
	v_subrev_u32_e32 v7, s1, v6
	v_cndmask_b32_e32 v2, v2, v8, vcc
	v_cndmask_b32_e32 v6, v6, v7, vcc
	v_add_u32_e32 v7, 1, v2
	v_cmp_le_u32_e32 vcc, s1, v6
	v_cndmask_b32_e32 v2, v2, v7, vcc
	v_xor_b32_e32 v2, v2, v3
	v_sub_u32_e32 v2, v2, v3
	v_mad_u64_u32 v[2:3], s[0:1], v2, s9, v[4:5]
	v_ashrrev_i32_e32 v3, 31, v2
.LBB699_2:
	s_load_dwordx4 s[12:15], s[4:5], 0x0
	v_lshlrev_b64 v[0:1], 2, v[0:1]
	v_sub_u32_e32 v8, s8, v5
	v_cmp_gt_i32_e64 s[0:1], s10, v4
	v_mov_b32_e32 v9, 0xff800000
	s_waitcnt lgkmcnt(0)
	v_mov_b32_e32 v5, s15
	v_add_co_u32_e32 v6, vcc, s14, v0
	v_addc_co_u32_e32 v7, vcc, v5, v1, vcc
	v_cmp_lt_i32_e32 vcc, 0, v8
	s_and_b64 s[8:9], s[0:1], vcc
	v_mov_b32_e32 v10, 0xff800000
	s_and_saveexec_b64 s[2:3], s[8:9]
	s_cbranch_execz .LBB699_4
; %bb.3:
	global_load_dword v10, v[6:7], off
.LBB699_4:
	s_or_b64 exec, exec, s[2:3]
	v_cmp_lt_i32_e64 s[2:3], 1, v8
	s_and_b64 s[6:7], s[0:1], s[2:3]
	s_and_saveexec_b64 s[14:15], s[6:7]
	s_cbranch_execz .LBB699_6
; %bb.5:
	s_mov_b32 s11, 0
	s_lshl_b64 s[2:3], s[10:11], 2
	v_mov_b32_e32 v5, s3
	v_add_co_u32_e64 v4, s[2:3], s2, v6
	v_addc_co_u32_e64 v5, s[2:3], v7, v5, s[2:3]
	global_load_dword v9, v[4:5], off
.LBB699_6:
	s_or_b64 exec, exec, s[14:15]
	s_load_dwordx2 s[2:3], s[4:5], 0x20
	s_waitcnt lgkmcnt(0)
	v_mov_b32_e32 v4, s3
	v_add_co_u32_e64 v2, s[2:3], s2, v2
	v_addc_co_u32_e64 v3, s[2:3], v4, v3, s[2:3]
	v_mov_b32_e32 v4, 0xff800000
	s_and_saveexec_b64 s[4:5], s[8:9]
	s_cbranch_execz .LBB699_8
; %bb.7:
	global_load_ubyte v4, v[2:3], off
	v_mov_b32_e32 v5, 0xff800000
	s_waitcnt vmcnt(0)
	v_and_b32_e32 v4, 1, v4
	v_cmp_eq_u32_e64 s[2:3], 1, v4
	v_cndmask_b32_e64 v4, v10, v5, s[2:3]
.LBB699_8:
	s_or_b64 exec, exec, s[4:5]
	s_mov_b64 s[2:3], 0
	s_and_saveexec_b64 s[4:5], s[6:7]
	s_cbranch_execz .LBB699_10
; %bb.9:
	s_and_b64 s[2:3], s[16:17], exec
	s_cselect_b32 s2, 0, 0
	s_cselect_b32 s3, 0, s10
	v_mov_b32_e32 v5, s2
	v_add_co_u32_e64 v6, s[2:3], s3, v2
	v_addc_co_u32_e64 v7, s[2:3], v3, v5, s[2:3]
	global_load_ubyte v5, v[6:7], off
	s_waitcnt vmcnt(0)
	v_and_b32_e32 v5, 1, v5
	v_cmp_eq_u32_e64 s[2:3], 1, v5
	s_xor_b64 s[2:3], s[2:3], -1
	s_and_b64 s[2:3], s[2:3], exec
.LBB699_10:
	s_or_b64 exec, exec, s[4:5]
	v_cndmask_b32_e64 v14, v4, v4, s[2:3]
	v_mbcnt_lo_u32_b32 v4, -1, 0
	v_mbcnt_hi_u32_b32 v4, -1, v4
	v_mov_b32_e32 v5, 0xff800000
	v_and_b32_e32 v6, 0x7e, v4
	s_waitcnt vmcnt(0)
	v_cndmask_b32_e64 v12, v5, v9, s[2:3]
	v_xor_b32_e32 v5, 1, v4
	v_add_u32_e32 v6, 2, v6
	v_cmp_lt_i32_e64 s[2:3], v5, v6
	v_cndmask_b32_e64 v4, v4, v5, s[2:3]
	v_lshlrev_b32_e32 v7, 2, v4
	ds_bpermute_b32 v15, v7, v14
	ds_bpermute_b32 v13, v7, v12
	s_mov_b32 s14, 0
	s_mov_b32 s15, s14
	v_mov_b32_e32 v6, 0
	v_pk_mov_b32 v[4:5], s[14:15], s[14:15] op_sel:[0,1]
	v_mov_b32_e32 v11, 0
	s_and_saveexec_b64 s[4:5], s[8:9]
	s_cbranch_execz .LBB699_14
; %bb.11:
	global_load_ubyte v11, v[2:3], off
	v_pk_mov_b32 v[4:5], s[14:15], s[14:15] op_sel:[0,1]
	s_waitcnt vmcnt(0)
	v_and_b32_e32 v11, 1, v11
	v_cmp_eq_u32_e64 s[2:3], 1, v11
	s_xor_b64 s[2:3], s[2:3], -1
	v_mov_b32_e32 v11, 0
	s_and_saveexec_b64 s[8:9], s[2:3]
	s_cbranch_execz .LBB699_13
; %bb.12:
	s_waitcnt lgkmcnt(1)
	v_cmp_lt_f32_e64 s[2:3], v14, v15
	v_cndmask_b32_e64 v4, v14, v15, s[2:3]
	v_sub_f32_e32 v4, v10, v4
	s_mov_b32 s2, 0x3fb8aa3b
	v_mul_f32_e32 v5, 0x3fb8aa3b, v4
	v_fma_f32 v10, v4, s2, -v5
	v_rndne_f32_e32 v11, v5
	v_fmac_f32_e32 v10, 0x32a5705f, v4
	v_sub_f32_e32 v5, v5, v11
	v_add_f32_e32 v5, v5, v10
	v_exp_f32_e32 v5, v5
	v_cvt_i32_f32_e32 v10, v11
	s_mov_b32 s2, 0xc2ce8ed0
	v_cmp_ngt_f32_e64 s[2:3], s2, v4
	v_mov_b32_e32 v11, 0x7f800000
	v_ldexp_f32 v10, v5, v10
	v_cndmask_b32_e64 v10, 0, v10, s[2:3]
	s_mov_b32 s2, 0x42b17218
	v_cmp_nlt_f32_e64 s[2:3], s2, v4
	v_cndmask_b32_e64 v4, v11, v10, s[2:3]
	v_mov_b32_e32 v5, 0
	v_mov_b32_e32 v11, v4
.LBB699_13:
	s_or_b64 exec, exec, s[8:9]
.LBB699_14:
	s_or_b64 exec, exec, s[4:5]
	s_and_saveexec_b64 s[4:5], s[6:7]
	s_cbranch_execz .LBB699_18
; %bb.15:
	s_and_b64 s[2:3], s[16:17], exec
	s_cselect_b32 s2, 0, 0
	s_cselect_b32 s3, 0, s10
	v_mov_b32_e32 v6, s2
	v_add_co_u32_e64 v2, s[2:3], s3, v2
	v_addc_co_u32_e64 v3, s[2:3], v3, v6, s[2:3]
	global_load_ubyte v2, v[2:3], off
	v_mov_b32_e32 v6, 0
	s_waitcnt vmcnt(0)
	v_and_b32_e32 v2, 1, v2
	v_cmp_eq_u32_e64 s[2:3], 1, v2
	s_xor_b64 s[2:3], s[2:3], -1
	s_and_saveexec_b64 s[6:7], s[2:3]
	s_cbranch_execz .LBB699_17
; %bb.16:
	s_waitcnt lgkmcnt(0)
	v_cmp_lt_f32_e64 s[2:3], v12, v13
	v_cndmask_b32_e64 v2, v12, v13, s[2:3]
	v_sub_f32_e32 v2, v9, v2
	s_mov_b32 s2, 0x3fb8aa3b
	v_mul_f32_e32 v3, 0x3fb8aa3b, v2
	v_fma_f32 v6, v2, s2, -v3
	v_rndne_f32_e32 v9, v3
	v_fmac_f32_e32 v6, 0x32a5705f, v2
	v_sub_f32_e32 v3, v3, v9
	v_add_f32_e32 v3, v3, v6
	v_exp_f32_e32 v3, v3
	v_cvt_i32_f32_e32 v6, v9
	s_mov_b32 s2, 0xc2ce8ed0
	v_cmp_ngt_f32_e64 s[2:3], s2, v2
	v_ldexp_f32 v3, v3, v6
	v_cndmask_b32_e64 v3, 0, v3, s[2:3]
	s_mov_b32 s2, 0x42b17218
	v_mov_b32_e32 v6, 0x7f800000
	v_cmp_nlt_f32_e64 s[2:3], s2, v2
	v_cndmask_b32_e64 v6, v6, v3, s[2:3]
	v_add_f32_e32 v5, v5, v6
.LBB699_17:
	s_or_b64 exec, exec, s[6:7]
.LBB699_18:
	s_or_b64 exec, exec, s[4:5]
	ds_bpermute_b32 v2, v7, v4
	ds_bpermute_b32 v3, v7, v5
	s_and_saveexec_b64 s[2:3], vcc
	s_cbranch_execz .LBB699_24
; %bb.19:
	s_waitcnt lgkmcnt(0)
	v_pk_add_f32 v[2:3], v[4:5], v[2:3]
	v_mov_b32_e32 v4, s13
	v_add_co_u32_e32 v0, vcc, s12, v0
	v_addc_co_u32_e32 v1, vcc, v4, v1, vcc
	s_and_saveexec_b64 s[2:3], s[0:1]
	s_cbranch_execz .LBB699_21
; %bb.20:
	v_div_scale_f32 v4, s[4:5], v2, v2, v11
	v_rcp_f32_e32 v5, v4
	v_div_scale_f32 v7, vcc, v11, v2, v11
	v_fma_f32 v9, -v4, v5, 1.0
	v_fmac_f32_e32 v5, v9, v5
	v_mul_f32_e32 v9, v7, v5
	v_fma_f32 v10, -v4, v9, v7
	v_fmac_f32_e32 v9, v10, v5
	v_fma_f32 v4, -v4, v9, v7
	v_div_fmas_f32 v4, v4, v5, v9
	v_div_fixup_f32 v4, v4, v2, v11
	v_mov_b32_e32 v5, 0x7fc00000
	v_cmp_neq_f32_e32 vcc, 0, v2
	v_cndmask_b32_e32 v2, v5, v4, vcc
	global_store_dword v[0:1], v2, off
.LBB699_21:
	s_or_b64 exec, exec, s[2:3]
	v_cmp_ne_u32_e32 vcc, 1, v8
	s_and_b64 exec, exec, vcc
	s_cbranch_execz .LBB699_24
; %bb.22:
	s_and_b64 exec, exec, s[0:1]
	s_cbranch_execz .LBB699_24
; %bb.23:
	v_div_scale_f32 v2, s[0:1], v3, v3, v6
	v_rcp_f32_e32 v4, v2
	v_div_scale_f32 v5, vcc, v6, v3, v6
	s_mov_b32 s11, 0
	v_fma_f32 v7, -v2, v4, 1.0
	v_fmac_f32_e32 v4, v7, v4
	v_mul_f32_e32 v7, v5, v4
	v_fma_f32 v8, -v2, v7, v5
	v_fmac_f32_e32 v7, v8, v4
	v_fma_f32 v2, -v2, v7, v5
	s_lshl_b64 s[0:1], s[10:11], 2
	v_div_fmas_f32 v2, v2, v4, v7
	v_mov_b32_e32 v4, s1
	v_add_co_u32_e32 v0, vcc, s0, v0
	v_addc_co_u32_e32 v1, vcc, v1, v4, vcc
	v_div_fixup_f32 v2, v2, v3, v6
	v_mov_b32_e32 v4, 0x7fc00000
	v_cmp_neq_f32_e32 vcc, 0, v3
	v_cndmask_b32_e32 v2, v4, v2, vcc
	global_store_dword v[0:1], v2, off
.LBB699_24:
	s_endpgm
	.section	.rodata,"a",@progbits
	.p2align	6, 0x0
	.amdhsa_kernel _ZN12_GLOBAL__N_120softmax_warp_forwardIfffLi1ELb0ELb1ELi32EEEvPT0_PKT_iiiPKbib
		.amdhsa_group_segment_fixed_size 0
		.amdhsa_private_segment_fixed_size 0
		.amdhsa_kernarg_size 304
		.amdhsa_user_sgpr_count 6
		.amdhsa_user_sgpr_private_segment_buffer 1
		.amdhsa_user_sgpr_dispatch_ptr 0
		.amdhsa_user_sgpr_queue_ptr 0
		.amdhsa_user_sgpr_kernarg_segment_ptr 1
		.amdhsa_user_sgpr_dispatch_id 0
		.amdhsa_user_sgpr_flat_scratch_init 0
		.amdhsa_user_sgpr_kernarg_preload_length 0
		.amdhsa_user_sgpr_kernarg_preload_offset 0
		.amdhsa_user_sgpr_private_segment_size 0
		.amdhsa_uses_dynamic_stack 0
		.amdhsa_system_sgpr_private_segment_wavefront_offset 0
		.amdhsa_system_sgpr_workgroup_id_x 1
		.amdhsa_system_sgpr_workgroup_id_y 0
		.amdhsa_system_sgpr_workgroup_id_z 0
		.amdhsa_system_sgpr_workgroup_info 0
		.amdhsa_system_vgpr_workitem_id 1
		.amdhsa_next_free_vgpr 16
		.amdhsa_next_free_sgpr 18
		.amdhsa_accum_offset 16
		.amdhsa_reserve_vcc 1
		.amdhsa_reserve_flat_scratch 0
		.amdhsa_float_round_mode_32 0
		.amdhsa_float_round_mode_16_64 0
		.amdhsa_float_denorm_mode_32 3
		.amdhsa_float_denorm_mode_16_64 3
		.amdhsa_dx10_clamp 1
		.amdhsa_ieee_mode 1
		.amdhsa_fp16_overflow 0
		.amdhsa_tg_split 0
		.amdhsa_exception_fp_ieee_invalid_op 0
		.amdhsa_exception_fp_denorm_src 0
		.amdhsa_exception_fp_ieee_div_zero 0
		.amdhsa_exception_fp_ieee_overflow 0
		.amdhsa_exception_fp_ieee_underflow 0
		.amdhsa_exception_fp_ieee_inexact 0
		.amdhsa_exception_int_div_zero 0
	.end_amdhsa_kernel
	.section	.text._ZN12_GLOBAL__N_120softmax_warp_forwardIfffLi1ELb0ELb1ELi32EEEvPT0_PKT_iiiPKbib,"axG",@progbits,_ZN12_GLOBAL__N_120softmax_warp_forwardIfffLi1ELb0ELb1ELi32EEEvPT0_PKT_iiiPKbib,comdat
.Lfunc_end699:
	.size	_ZN12_GLOBAL__N_120softmax_warp_forwardIfffLi1ELb0ELb1ELi32EEEvPT0_PKT_iiiPKbib, .Lfunc_end699-_ZN12_GLOBAL__N_120softmax_warp_forwardIfffLi1ELb0ELb1ELi32EEEvPT0_PKT_iiiPKbib
                                        ; -- End function
	.section	.AMDGPU.csdata,"",@progbits
; Kernel info:
; codeLenInByte = 1416
; NumSgprs: 22
; NumVgprs: 16
; NumAgprs: 0
; TotalNumVgprs: 16
; ScratchSize: 0
; MemoryBound: 0
; FloatMode: 240
; IeeeMode: 1
; LDSByteSize: 0 bytes/workgroup (compile time only)
; SGPRBlocks: 2
; VGPRBlocks: 1
; NumSGPRsForWavesPerEU: 22
; NumVGPRsForWavesPerEU: 16
; AccumOffset: 16
; Occupancy: 8
; WaveLimiterHint : 0
; COMPUTE_PGM_RSRC2:SCRATCH_EN: 0
; COMPUTE_PGM_RSRC2:USER_SGPR: 6
; COMPUTE_PGM_RSRC2:TRAP_HANDLER: 0
; COMPUTE_PGM_RSRC2:TGID_X_EN: 1
; COMPUTE_PGM_RSRC2:TGID_Y_EN: 0
; COMPUTE_PGM_RSRC2:TGID_Z_EN: 0
; COMPUTE_PGM_RSRC2:TIDIG_COMP_CNT: 1
; COMPUTE_PGM_RSRC3_GFX90A:ACCUM_OFFSET: 3
; COMPUTE_PGM_RSRC3_GFX90A:TG_SPLIT: 0
	.section	.text._ZN12_GLOBAL__N_120softmax_warp_forwardIfffLi2ELb0ELb1ELi64EEEvPT0_PKT_iiiPKbib,"axG",@progbits,_ZN12_GLOBAL__N_120softmax_warp_forwardIfffLi2ELb0ELb1ELi64EEEvPT0_PKT_iiiPKbib,comdat
	.globl	_ZN12_GLOBAL__N_120softmax_warp_forwardIfffLi2ELb0ELb1ELi64EEEvPT0_PKT_iiiPKbib ; -- Begin function _ZN12_GLOBAL__N_120softmax_warp_forwardIfffLi2ELb0ELb1ELi64EEEvPT0_PKT_iiiPKbib
	.p2align	8
	.type	_ZN12_GLOBAL__N_120softmax_warp_forwardIfffLi2ELb0ELb1ELi64EEEvPT0_PKT_iiiPKbib,@function
_ZN12_GLOBAL__N_120softmax_warp_forwardIfffLi2ELb0ELb1ELi64EEEvPT0_PKT_iiiPKbib: ; @_ZN12_GLOBAL__N_120softmax_warp_forwardIfffLi2ELb0ELb1ELi64EEEvPT0_PKT_iiiPKbib
; %bb.0:
	s_load_dwordx2 s[0:1], s[4:5], 0x28
	s_load_dword s2, s[4:5], 0x3c
	s_load_dwordx4 s[8:11], s[4:5], 0x10
	v_bfe_u32 v1, v0, 10, 10
	v_and_b32_e32 v4, 0x3ff, v0
	s_waitcnt lgkmcnt(0)
	s_bitcmp1_b32 s1, 0
	s_cselect_b64 s[16:17], -1, 0
	s_lshr_b32 s2, s2, 16
	s_mul_i32 s6, s6, s2
	v_add_lshl_u32 v5, s6, v1, 1
	v_mul_lo_u32 v6, v5, s9
	v_add_u32_e32 v0, v6, v4
	v_ashrrev_i32_e32 v1, 31, v0
	s_bitcmp0_b32 s1, 0
	v_pk_mov_b32 v[2:3], v[0:1], v[0:1] op_sel:[0,1]
	s_cbranch_scc1 .LBB700_2
; %bb.1:
	s_abs_i32 s1, s0
	v_cvt_f32_u32_e32 v2, s1
	v_xor_b32_e32 v3, s0, v6
	v_sub_u32_e32 v7, 0, v6
	s_sub_i32 s0, 0, s1
	v_rcp_iflag_f32_e32 v2, v2
	v_max_i32_e32 v6, v6, v7
	v_ashrrev_i32_e32 v3, 31, v3
	v_mul_f32_e32 v2, 0x4f7ffffe, v2
	v_cvt_u32_f32_e32 v2, v2
	v_mul_lo_u32 v7, s0, v2
	v_mul_hi_u32 v7, v2, v7
	v_add_u32_e32 v2, v2, v7
	v_mul_hi_u32 v2, v6, v2
	v_mul_lo_u32 v7, v2, s1
	v_sub_u32_e32 v6, v6, v7
	v_add_u32_e32 v8, 1, v2
	v_cmp_le_u32_e32 vcc, s1, v6
	v_subrev_u32_e32 v7, s1, v6
	v_cndmask_b32_e32 v2, v2, v8, vcc
	v_cndmask_b32_e32 v6, v6, v7, vcc
	v_add_u32_e32 v7, 1, v2
	v_cmp_le_u32_e32 vcc, s1, v6
	v_cndmask_b32_e32 v2, v2, v7, vcc
	v_xor_b32_e32 v2, v2, v3
	v_sub_u32_e32 v2, v2, v3
	v_mad_u64_u32 v[2:3], s[0:1], v2, s9, v[4:5]
	v_ashrrev_i32_e32 v3, 31, v2
.LBB700_2:
	s_load_dwordx4 s[12:15], s[4:5], 0x0
	v_lshlrev_b64 v[0:1], 2, v[0:1]
	v_sub_u32_e32 v8, s8, v5
	v_cmp_gt_i32_e64 s[0:1], s10, v4
	v_mov_b32_e32 v9, 0xff800000
	s_waitcnt lgkmcnt(0)
	v_mov_b32_e32 v5, s15
	v_add_co_u32_e32 v6, vcc, s14, v0
	v_addc_co_u32_e32 v7, vcc, v5, v1, vcc
	v_cmp_lt_i32_e32 vcc, 0, v8
	s_and_b64 s[8:9], s[0:1], vcc
	v_mov_b32_e32 v10, 0xff800000
	s_and_saveexec_b64 s[2:3], s[8:9]
	s_cbranch_execz .LBB700_4
; %bb.3:
	global_load_dword v10, v[6:7], off
.LBB700_4:
	s_or_b64 exec, exec, s[2:3]
	v_cmp_lt_i32_e64 s[2:3], 1, v8
	s_and_b64 s[6:7], s[0:1], s[2:3]
	s_and_saveexec_b64 s[14:15], s[6:7]
	s_cbranch_execz .LBB700_6
; %bb.5:
	s_mov_b32 s11, 0
	s_lshl_b64 s[2:3], s[10:11], 2
	v_mov_b32_e32 v5, s3
	v_add_co_u32_e64 v4, s[2:3], s2, v6
	v_addc_co_u32_e64 v5, s[2:3], v7, v5, s[2:3]
	global_load_dword v9, v[4:5], off
.LBB700_6:
	s_or_b64 exec, exec, s[14:15]
	s_load_dwordx2 s[2:3], s[4:5], 0x20
	s_waitcnt lgkmcnt(0)
	v_mov_b32_e32 v4, s3
	v_add_co_u32_e64 v2, s[2:3], s2, v2
	v_addc_co_u32_e64 v3, s[2:3], v4, v3, s[2:3]
	v_mov_b32_e32 v4, 0xff800000
	s_and_saveexec_b64 s[4:5], s[8:9]
	s_cbranch_execz .LBB700_8
; %bb.7:
	global_load_ubyte v4, v[2:3], off
	v_mov_b32_e32 v5, 0xff800000
	s_waitcnt vmcnt(0)
	v_and_b32_e32 v4, 1, v4
	v_cmp_eq_u32_e64 s[2:3], 1, v4
	v_cndmask_b32_e64 v4, v10, v5, s[2:3]
.LBB700_8:
	s_or_b64 exec, exec, s[4:5]
	s_mov_b64 s[4:5], 0
	s_and_saveexec_b64 s[14:15], s[6:7]
	s_cbranch_execz .LBB700_10
; %bb.9:
	s_and_b64 s[2:3], s[16:17], exec
	s_cselect_b32 s2, 0, 0
	s_cselect_b32 s3, 0, s10
	v_mov_b32_e32 v5, s2
	v_add_co_u32_e64 v6, s[2:3], s3, v2
	v_addc_co_u32_e64 v7, s[2:3], v3, v5, s[2:3]
	global_load_ubyte v5, v[6:7], off
	s_waitcnt vmcnt(0)
	v_and_b32_e32 v5, 1, v5
	v_cmp_eq_u32_e64 s[2:3], 1, v5
	s_xor_b64 s[2:3], s[2:3], -1
	s_and_b64 s[4:5], s[2:3], exec
.LBB700_10:
	s_or_b64 exec, exec, s[14:15]
	v_mbcnt_lo_u32_b32 v6, -1, 0
	v_mbcnt_hi_u32_b32 v6, -1, v6
	v_and_b32_e32 v7, 0x7c, v6
	v_add_u32_e32 v11, 4, v7
	v_xor_b32_e32 v7, 2, v6
	v_cmp_lt_i32_e64 s[2:3], v7, v11
	v_cndmask_b32_e64 v7, v6, v7, s[2:3]
	v_mov_b32_e32 v5, 0xff800000
	v_cndmask_b32_e64 v4, v4, v4, s[4:5]
	v_lshlrev_b32_e32 v7, 2, v7
	ds_bpermute_b32 v12, v7, v4
	s_waitcnt vmcnt(0)
	v_cndmask_b32_e64 v5, v5, v9, s[4:5]
	ds_bpermute_b32 v13, v7, v5
	s_mov_b32 s14, 0
	s_mov_b32 s15, s14
	s_waitcnt lgkmcnt(1)
	v_cmp_lt_f32_e64 s[2:3], v4, v12
	v_cndmask_b32_e64 v15, v4, v12, s[2:3]
	s_waitcnt lgkmcnt(0)
	v_cmp_lt_f32_e64 s[2:3], v5, v13
	v_xor_b32_e32 v4, 1, v6
	v_cndmask_b32_e64 v13, v5, v13, s[2:3]
	v_cmp_lt_i32_e64 s[2:3], v4, v11
	v_cndmask_b32_e64 v4, v6, v4, s[2:3]
	v_lshlrev_b32_e32 v11, 2, v4
	ds_bpermute_b32 v16, v11, v15
	ds_bpermute_b32 v14, v11, v13
	v_mov_b32_e32 v6, 0
	v_pk_mov_b32 v[4:5], s[14:15], s[14:15] op_sel:[0,1]
	v_mov_b32_e32 v12, 0
	s_and_saveexec_b64 s[4:5], s[8:9]
	s_cbranch_execz .LBB700_14
; %bb.11:
	global_load_ubyte v12, v[2:3], off
	v_pk_mov_b32 v[4:5], s[14:15], s[14:15] op_sel:[0,1]
	s_waitcnt vmcnt(0)
	v_and_b32_e32 v12, 1, v12
	v_cmp_eq_u32_e64 s[2:3], 1, v12
	s_xor_b64 s[2:3], s[2:3], -1
	v_mov_b32_e32 v12, 0
	s_and_saveexec_b64 s[8:9], s[2:3]
	s_cbranch_execz .LBB700_13
; %bb.12:
	s_waitcnt lgkmcnt(1)
	v_cmp_lt_f32_e64 s[2:3], v15, v16
	v_cndmask_b32_e64 v4, v15, v16, s[2:3]
	v_sub_f32_e32 v4, v10, v4
	s_mov_b32 s2, 0x3fb8aa3b
	v_mul_f32_e32 v5, 0x3fb8aa3b, v4
	v_fma_f32 v10, v4, s2, -v5
	v_rndne_f32_e32 v12, v5
	v_fmac_f32_e32 v10, 0x32a5705f, v4
	v_sub_f32_e32 v5, v5, v12
	v_add_f32_e32 v5, v5, v10
	v_exp_f32_e32 v5, v5
	v_cvt_i32_f32_e32 v10, v12
	s_mov_b32 s2, 0xc2ce8ed0
	v_cmp_ngt_f32_e64 s[2:3], s2, v4
	v_mov_b32_e32 v12, 0x7f800000
	v_ldexp_f32 v10, v5, v10
	v_cndmask_b32_e64 v10, 0, v10, s[2:3]
	s_mov_b32 s2, 0x42b17218
	v_cmp_nlt_f32_e64 s[2:3], s2, v4
	v_cndmask_b32_e64 v4, v12, v10, s[2:3]
	v_mov_b32_e32 v5, 0
	v_mov_b32_e32 v12, v4
.LBB700_13:
	s_or_b64 exec, exec, s[8:9]
.LBB700_14:
	s_or_b64 exec, exec, s[4:5]
	s_and_saveexec_b64 s[4:5], s[6:7]
	s_cbranch_execz .LBB700_18
; %bb.15:
	s_and_b64 s[2:3], s[16:17], exec
	s_cselect_b32 s2, 0, 0
	s_cselect_b32 s3, 0, s10
	v_mov_b32_e32 v6, s2
	v_add_co_u32_e64 v2, s[2:3], s3, v2
	v_addc_co_u32_e64 v3, s[2:3], v3, v6, s[2:3]
	global_load_ubyte v2, v[2:3], off
	v_mov_b32_e32 v6, 0
	s_waitcnt vmcnt(0)
	v_and_b32_e32 v2, 1, v2
	v_cmp_eq_u32_e64 s[2:3], 1, v2
	s_xor_b64 s[2:3], s[2:3], -1
	s_and_saveexec_b64 s[6:7], s[2:3]
	s_cbranch_execz .LBB700_17
; %bb.16:
	s_waitcnt lgkmcnt(0)
	v_cmp_lt_f32_e64 s[2:3], v13, v14
	v_cndmask_b32_e64 v2, v13, v14, s[2:3]
	v_sub_f32_e32 v2, v9, v2
	s_mov_b32 s2, 0x3fb8aa3b
	v_mul_f32_e32 v3, 0x3fb8aa3b, v2
	v_fma_f32 v6, v2, s2, -v3
	v_rndne_f32_e32 v9, v3
	v_fmac_f32_e32 v6, 0x32a5705f, v2
	v_sub_f32_e32 v3, v3, v9
	v_add_f32_e32 v3, v3, v6
	v_exp_f32_e32 v3, v3
	v_cvt_i32_f32_e32 v6, v9
	s_mov_b32 s2, 0xc2ce8ed0
	v_cmp_ngt_f32_e64 s[2:3], s2, v2
	v_ldexp_f32 v3, v3, v6
	v_cndmask_b32_e64 v3, 0, v3, s[2:3]
	s_mov_b32 s2, 0x42b17218
	v_mov_b32_e32 v6, 0x7f800000
	v_cmp_nlt_f32_e64 s[2:3], s2, v2
	v_cndmask_b32_e64 v6, v6, v3, s[2:3]
	v_add_f32_e32 v5, v5, v6
.LBB700_17:
	s_or_b64 exec, exec, s[6:7]
.LBB700_18:
	s_or_b64 exec, exec, s[4:5]
	ds_bpermute_b32 v2, v7, v4
	ds_bpermute_b32 v3, v7, v5
	s_waitcnt lgkmcnt(0)
	v_pk_add_f32 v[2:3], v[4:5], v[2:3]
	ds_bpermute_b32 v4, v11, v2
	ds_bpermute_b32 v5, v11, v3
	s_and_saveexec_b64 s[2:3], vcc
	s_cbranch_execz .LBB700_24
; %bb.19:
	s_waitcnt lgkmcnt(0)
	v_pk_add_f32 v[2:3], v[2:3], v[4:5]
	v_mov_b32_e32 v4, s13
	v_add_co_u32_e32 v0, vcc, s12, v0
	v_addc_co_u32_e32 v1, vcc, v4, v1, vcc
	s_and_saveexec_b64 s[2:3], s[0:1]
	s_cbranch_execz .LBB700_21
; %bb.20:
	v_div_scale_f32 v4, s[4:5], v2, v2, v12
	v_rcp_f32_e32 v5, v4
	v_div_scale_f32 v7, vcc, v12, v2, v12
	v_fma_f32 v9, -v4, v5, 1.0
	v_fmac_f32_e32 v5, v9, v5
	v_mul_f32_e32 v9, v7, v5
	v_fma_f32 v10, -v4, v9, v7
	v_fmac_f32_e32 v9, v10, v5
	v_fma_f32 v4, -v4, v9, v7
	v_div_fmas_f32 v4, v4, v5, v9
	v_div_fixup_f32 v4, v4, v2, v12
	v_mov_b32_e32 v5, 0x7fc00000
	v_cmp_neq_f32_e32 vcc, 0, v2
	v_cndmask_b32_e32 v2, v5, v4, vcc
	global_store_dword v[0:1], v2, off
.LBB700_21:
	s_or_b64 exec, exec, s[2:3]
	v_cmp_ne_u32_e32 vcc, 1, v8
	s_and_b64 exec, exec, vcc
	s_cbranch_execz .LBB700_24
; %bb.22:
	s_and_b64 exec, exec, s[0:1]
	s_cbranch_execz .LBB700_24
; %bb.23:
	v_div_scale_f32 v2, s[0:1], v3, v3, v6
	v_rcp_f32_e32 v4, v2
	v_div_scale_f32 v5, vcc, v6, v3, v6
	s_mov_b32 s11, 0
	v_fma_f32 v7, -v2, v4, 1.0
	v_fmac_f32_e32 v4, v7, v4
	v_mul_f32_e32 v7, v5, v4
	v_fma_f32 v8, -v2, v7, v5
	v_fmac_f32_e32 v7, v8, v4
	v_fma_f32 v2, -v2, v7, v5
	s_lshl_b64 s[0:1], s[10:11], 2
	v_div_fmas_f32 v2, v2, v4, v7
	v_mov_b32_e32 v4, s1
	v_add_co_u32_e32 v0, vcc, s0, v0
	v_addc_co_u32_e32 v1, vcc, v1, v4, vcc
	v_div_fixup_f32 v2, v2, v3, v6
	v_mov_b32_e32 v4, 0x7fc00000
	v_cmp_neq_f32_e32 vcc, 0, v3
	v_cndmask_b32_e32 v2, v4, v2, vcc
	global_store_dword v[0:1], v2, off
.LBB700_24:
	s_endpgm
	.section	.rodata,"a",@progbits
	.p2align	6, 0x0
	.amdhsa_kernel _ZN12_GLOBAL__N_120softmax_warp_forwardIfffLi2ELb0ELb1ELi64EEEvPT0_PKT_iiiPKbib
		.amdhsa_group_segment_fixed_size 0
		.amdhsa_private_segment_fixed_size 0
		.amdhsa_kernarg_size 304
		.amdhsa_user_sgpr_count 6
		.amdhsa_user_sgpr_private_segment_buffer 1
		.amdhsa_user_sgpr_dispatch_ptr 0
		.amdhsa_user_sgpr_queue_ptr 0
		.amdhsa_user_sgpr_kernarg_segment_ptr 1
		.amdhsa_user_sgpr_dispatch_id 0
		.amdhsa_user_sgpr_flat_scratch_init 0
		.amdhsa_user_sgpr_kernarg_preload_length 0
		.amdhsa_user_sgpr_kernarg_preload_offset 0
		.amdhsa_user_sgpr_private_segment_size 0
		.amdhsa_uses_dynamic_stack 0
		.amdhsa_system_sgpr_private_segment_wavefront_offset 0
		.amdhsa_system_sgpr_workgroup_id_x 1
		.amdhsa_system_sgpr_workgroup_id_y 0
		.amdhsa_system_sgpr_workgroup_id_z 0
		.amdhsa_system_sgpr_workgroup_info 0
		.amdhsa_system_vgpr_workitem_id 1
		.amdhsa_next_free_vgpr 17
		.amdhsa_next_free_sgpr 18
		.amdhsa_accum_offset 20
		.amdhsa_reserve_vcc 1
		.amdhsa_reserve_flat_scratch 0
		.amdhsa_float_round_mode_32 0
		.amdhsa_float_round_mode_16_64 0
		.amdhsa_float_denorm_mode_32 3
		.amdhsa_float_denorm_mode_16_64 3
		.amdhsa_dx10_clamp 1
		.amdhsa_ieee_mode 1
		.amdhsa_fp16_overflow 0
		.amdhsa_tg_split 0
		.amdhsa_exception_fp_ieee_invalid_op 0
		.amdhsa_exception_fp_denorm_src 0
		.amdhsa_exception_fp_ieee_div_zero 0
		.amdhsa_exception_fp_ieee_overflow 0
		.amdhsa_exception_fp_ieee_underflow 0
		.amdhsa_exception_fp_ieee_inexact 0
		.amdhsa_exception_int_div_zero 0
	.end_amdhsa_kernel
	.section	.text._ZN12_GLOBAL__N_120softmax_warp_forwardIfffLi2ELb0ELb1ELi64EEEvPT0_PKT_iiiPKbib,"axG",@progbits,_ZN12_GLOBAL__N_120softmax_warp_forwardIfffLi2ELb0ELb1ELi64EEEvPT0_PKT_iiiPKbib,comdat
.Lfunc_end700:
	.size	_ZN12_GLOBAL__N_120softmax_warp_forwardIfffLi2ELb0ELb1ELi64EEEvPT0_PKT_iiiPKbib, .Lfunc_end700-_ZN12_GLOBAL__N_120softmax_warp_forwardIfffLi2ELb0ELb1ELi64EEEvPT0_PKT_iiiPKbib
                                        ; -- End function
	.section	.AMDGPU.csdata,"",@progbits
; Kernel info:
; codeLenInByte = 1524
; NumSgprs: 22
; NumVgprs: 17
; NumAgprs: 0
; TotalNumVgprs: 17
; ScratchSize: 0
; MemoryBound: 0
; FloatMode: 240
; IeeeMode: 1
; LDSByteSize: 0 bytes/workgroup (compile time only)
; SGPRBlocks: 2
; VGPRBlocks: 2
; NumSGPRsForWavesPerEU: 22
; NumVGPRsForWavesPerEU: 17
; AccumOffset: 20
; Occupancy: 8
; WaveLimiterHint : 0
; COMPUTE_PGM_RSRC2:SCRATCH_EN: 0
; COMPUTE_PGM_RSRC2:USER_SGPR: 6
; COMPUTE_PGM_RSRC2:TRAP_HANDLER: 0
; COMPUTE_PGM_RSRC2:TGID_X_EN: 1
; COMPUTE_PGM_RSRC2:TGID_Y_EN: 0
; COMPUTE_PGM_RSRC2:TGID_Z_EN: 0
; COMPUTE_PGM_RSRC2:TIDIG_COMP_CNT: 1
; COMPUTE_PGM_RSRC3_GFX90A:ACCUM_OFFSET: 4
; COMPUTE_PGM_RSRC3_GFX90A:TG_SPLIT: 0
	.section	.text._ZN12_GLOBAL__N_120softmax_warp_forwardIfffLi2ELb0ELb1ELi32EEEvPT0_PKT_iiiPKbib,"axG",@progbits,_ZN12_GLOBAL__N_120softmax_warp_forwardIfffLi2ELb0ELb1ELi32EEEvPT0_PKT_iiiPKbib,comdat
	.globl	_ZN12_GLOBAL__N_120softmax_warp_forwardIfffLi2ELb0ELb1ELi32EEEvPT0_PKT_iiiPKbib ; -- Begin function _ZN12_GLOBAL__N_120softmax_warp_forwardIfffLi2ELb0ELb1ELi32EEEvPT0_PKT_iiiPKbib
	.p2align	8
	.type	_ZN12_GLOBAL__N_120softmax_warp_forwardIfffLi2ELb0ELb1ELi32EEEvPT0_PKT_iiiPKbib,@function
_ZN12_GLOBAL__N_120softmax_warp_forwardIfffLi2ELb0ELb1ELi32EEEvPT0_PKT_iiiPKbib: ; @_ZN12_GLOBAL__N_120softmax_warp_forwardIfffLi2ELb0ELb1ELi32EEEvPT0_PKT_iiiPKbib
; %bb.0:
	s_load_dwordx2 s[0:1], s[4:5], 0x28
	s_load_dword s2, s[4:5], 0x3c
	s_load_dwordx4 s[8:11], s[4:5], 0x10
	v_bfe_u32 v1, v0, 10, 10
	v_and_b32_e32 v4, 0x3ff, v0
	s_waitcnt lgkmcnt(0)
	s_bitcmp1_b32 s1, 0
	s_cselect_b64 s[16:17], -1, 0
	s_lshr_b32 s2, s2, 16
	s_mul_i32 s6, s6, s2
	v_add_lshl_u32 v5, s6, v1, 1
	v_mul_lo_u32 v6, v5, s9
	v_add_u32_e32 v0, v6, v4
	v_ashrrev_i32_e32 v1, 31, v0
	s_bitcmp0_b32 s1, 0
	v_pk_mov_b32 v[2:3], v[0:1], v[0:1] op_sel:[0,1]
	s_cbranch_scc1 .LBB701_2
; %bb.1:
	s_abs_i32 s1, s0
	v_cvt_f32_u32_e32 v2, s1
	v_xor_b32_e32 v3, s0, v6
	v_sub_u32_e32 v7, 0, v6
	s_sub_i32 s0, 0, s1
	v_rcp_iflag_f32_e32 v2, v2
	v_max_i32_e32 v6, v6, v7
	v_ashrrev_i32_e32 v3, 31, v3
	v_mul_f32_e32 v2, 0x4f7ffffe, v2
	v_cvt_u32_f32_e32 v2, v2
	v_mul_lo_u32 v7, s0, v2
	v_mul_hi_u32 v7, v2, v7
	v_add_u32_e32 v2, v2, v7
	v_mul_hi_u32 v2, v6, v2
	v_mul_lo_u32 v7, v2, s1
	v_sub_u32_e32 v6, v6, v7
	v_add_u32_e32 v8, 1, v2
	v_cmp_le_u32_e32 vcc, s1, v6
	v_subrev_u32_e32 v7, s1, v6
	v_cndmask_b32_e32 v2, v2, v8, vcc
	v_cndmask_b32_e32 v6, v6, v7, vcc
	v_add_u32_e32 v7, 1, v2
	v_cmp_le_u32_e32 vcc, s1, v6
	v_cndmask_b32_e32 v2, v2, v7, vcc
	v_xor_b32_e32 v2, v2, v3
	v_sub_u32_e32 v2, v2, v3
	v_mad_u64_u32 v[2:3], s[0:1], v2, s9, v[4:5]
	v_ashrrev_i32_e32 v3, 31, v2
.LBB701_2:
	s_load_dwordx4 s[12:15], s[4:5], 0x0
	v_lshlrev_b64 v[0:1], 2, v[0:1]
	v_sub_u32_e32 v8, s8, v5
	v_cmp_gt_i32_e64 s[0:1], s10, v4
	v_mov_b32_e32 v9, 0xff800000
	s_waitcnt lgkmcnt(0)
	v_mov_b32_e32 v5, s15
	v_add_co_u32_e32 v6, vcc, s14, v0
	v_addc_co_u32_e32 v7, vcc, v5, v1, vcc
	v_cmp_lt_i32_e32 vcc, 0, v8
	s_and_b64 s[8:9], s[0:1], vcc
	v_mov_b32_e32 v10, 0xff800000
	s_and_saveexec_b64 s[2:3], s[8:9]
	s_cbranch_execz .LBB701_4
; %bb.3:
	global_load_dword v10, v[6:7], off
.LBB701_4:
	s_or_b64 exec, exec, s[2:3]
	v_cmp_lt_i32_e64 s[2:3], 1, v8
	s_and_b64 s[6:7], s[0:1], s[2:3]
	s_and_saveexec_b64 s[14:15], s[6:7]
	s_cbranch_execz .LBB701_6
; %bb.5:
	s_mov_b32 s11, 0
	s_lshl_b64 s[2:3], s[10:11], 2
	v_mov_b32_e32 v5, s3
	v_add_co_u32_e64 v4, s[2:3], s2, v6
	v_addc_co_u32_e64 v5, s[2:3], v7, v5, s[2:3]
	global_load_dword v9, v[4:5], off
.LBB701_6:
	s_or_b64 exec, exec, s[14:15]
	s_load_dwordx2 s[2:3], s[4:5], 0x20
	s_waitcnt lgkmcnt(0)
	v_mov_b32_e32 v4, s3
	v_add_co_u32_e64 v2, s[2:3], s2, v2
	v_addc_co_u32_e64 v3, s[2:3], v4, v3, s[2:3]
	v_mov_b32_e32 v4, 0xff800000
	s_and_saveexec_b64 s[4:5], s[8:9]
	s_cbranch_execz .LBB701_8
; %bb.7:
	global_load_ubyte v4, v[2:3], off
	v_mov_b32_e32 v5, 0xff800000
	s_waitcnt vmcnt(0)
	v_and_b32_e32 v4, 1, v4
	v_cmp_eq_u32_e64 s[2:3], 1, v4
	v_cndmask_b32_e64 v4, v10, v5, s[2:3]
.LBB701_8:
	s_or_b64 exec, exec, s[4:5]
	s_mov_b64 s[4:5], 0
	s_and_saveexec_b64 s[14:15], s[6:7]
	s_cbranch_execz .LBB701_10
; %bb.9:
	s_and_b64 s[2:3], s[16:17], exec
	s_cselect_b32 s2, 0, 0
	s_cselect_b32 s3, 0, s10
	v_mov_b32_e32 v5, s2
	v_add_co_u32_e64 v6, s[2:3], s3, v2
	v_addc_co_u32_e64 v7, s[2:3], v3, v5, s[2:3]
	global_load_ubyte v5, v[6:7], off
	s_waitcnt vmcnt(0)
	v_and_b32_e32 v5, 1, v5
	v_cmp_eq_u32_e64 s[2:3], 1, v5
	s_xor_b64 s[2:3], s[2:3], -1
	s_and_b64 s[4:5], s[2:3], exec
.LBB701_10:
	s_or_b64 exec, exec, s[14:15]
	v_mbcnt_lo_u32_b32 v6, -1, 0
	v_mbcnt_hi_u32_b32 v6, -1, v6
	v_and_b32_e32 v7, 0x7c, v6
	v_add_u32_e32 v11, 4, v7
	v_xor_b32_e32 v7, 2, v6
	v_cmp_lt_i32_e64 s[2:3], v7, v11
	v_cndmask_b32_e64 v7, v6, v7, s[2:3]
	v_mov_b32_e32 v5, 0xff800000
	v_cndmask_b32_e64 v4, v4, v4, s[4:5]
	v_lshlrev_b32_e32 v7, 2, v7
	ds_bpermute_b32 v12, v7, v4
	s_waitcnt vmcnt(0)
	v_cndmask_b32_e64 v5, v5, v9, s[4:5]
	ds_bpermute_b32 v13, v7, v5
	s_mov_b32 s14, 0
	s_mov_b32 s15, s14
	s_waitcnt lgkmcnt(1)
	v_cmp_lt_f32_e64 s[2:3], v4, v12
	v_cndmask_b32_e64 v15, v4, v12, s[2:3]
	s_waitcnt lgkmcnt(0)
	v_cmp_lt_f32_e64 s[2:3], v5, v13
	v_xor_b32_e32 v4, 1, v6
	v_cndmask_b32_e64 v13, v5, v13, s[2:3]
	v_cmp_lt_i32_e64 s[2:3], v4, v11
	v_cndmask_b32_e64 v4, v6, v4, s[2:3]
	v_lshlrev_b32_e32 v11, 2, v4
	ds_bpermute_b32 v16, v11, v15
	ds_bpermute_b32 v14, v11, v13
	v_mov_b32_e32 v6, 0
	v_pk_mov_b32 v[4:5], s[14:15], s[14:15] op_sel:[0,1]
	v_mov_b32_e32 v12, 0
	s_and_saveexec_b64 s[4:5], s[8:9]
	s_cbranch_execz .LBB701_14
; %bb.11:
	global_load_ubyte v12, v[2:3], off
	v_pk_mov_b32 v[4:5], s[14:15], s[14:15] op_sel:[0,1]
	s_waitcnt vmcnt(0)
	v_and_b32_e32 v12, 1, v12
	v_cmp_eq_u32_e64 s[2:3], 1, v12
	s_xor_b64 s[2:3], s[2:3], -1
	v_mov_b32_e32 v12, 0
	s_and_saveexec_b64 s[8:9], s[2:3]
	s_cbranch_execz .LBB701_13
; %bb.12:
	s_waitcnt lgkmcnt(1)
	v_cmp_lt_f32_e64 s[2:3], v15, v16
	v_cndmask_b32_e64 v4, v15, v16, s[2:3]
	v_sub_f32_e32 v4, v10, v4
	s_mov_b32 s2, 0x3fb8aa3b
	v_mul_f32_e32 v5, 0x3fb8aa3b, v4
	v_fma_f32 v10, v4, s2, -v5
	v_rndne_f32_e32 v12, v5
	v_fmac_f32_e32 v10, 0x32a5705f, v4
	v_sub_f32_e32 v5, v5, v12
	v_add_f32_e32 v5, v5, v10
	v_exp_f32_e32 v5, v5
	v_cvt_i32_f32_e32 v10, v12
	s_mov_b32 s2, 0xc2ce8ed0
	v_cmp_ngt_f32_e64 s[2:3], s2, v4
	v_mov_b32_e32 v12, 0x7f800000
	v_ldexp_f32 v10, v5, v10
	v_cndmask_b32_e64 v10, 0, v10, s[2:3]
	s_mov_b32 s2, 0x42b17218
	v_cmp_nlt_f32_e64 s[2:3], s2, v4
	v_cndmask_b32_e64 v4, v12, v10, s[2:3]
	v_mov_b32_e32 v5, 0
	v_mov_b32_e32 v12, v4
.LBB701_13:
	s_or_b64 exec, exec, s[8:9]
.LBB701_14:
	s_or_b64 exec, exec, s[4:5]
	s_and_saveexec_b64 s[4:5], s[6:7]
	s_cbranch_execz .LBB701_18
; %bb.15:
	s_and_b64 s[2:3], s[16:17], exec
	s_cselect_b32 s2, 0, 0
	s_cselect_b32 s3, 0, s10
	v_mov_b32_e32 v6, s2
	v_add_co_u32_e64 v2, s[2:3], s3, v2
	v_addc_co_u32_e64 v3, s[2:3], v3, v6, s[2:3]
	global_load_ubyte v2, v[2:3], off
	v_mov_b32_e32 v6, 0
	s_waitcnt vmcnt(0)
	v_and_b32_e32 v2, 1, v2
	v_cmp_eq_u32_e64 s[2:3], 1, v2
	s_xor_b64 s[2:3], s[2:3], -1
	s_and_saveexec_b64 s[6:7], s[2:3]
	s_cbranch_execz .LBB701_17
; %bb.16:
	s_waitcnt lgkmcnt(0)
	v_cmp_lt_f32_e64 s[2:3], v13, v14
	v_cndmask_b32_e64 v2, v13, v14, s[2:3]
	v_sub_f32_e32 v2, v9, v2
	s_mov_b32 s2, 0x3fb8aa3b
	v_mul_f32_e32 v3, 0x3fb8aa3b, v2
	v_fma_f32 v6, v2, s2, -v3
	v_rndne_f32_e32 v9, v3
	v_fmac_f32_e32 v6, 0x32a5705f, v2
	v_sub_f32_e32 v3, v3, v9
	v_add_f32_e32 v3, v3, v6
	v_exp_f32_e32 v3, v3
	v_cvt_i32_f32_e32 v6, v9
	s_mov_b32 s2, 0xc2ce8ed0
	v_cmp_ngt_f32_e64 s[2:3], s2, v2
	v_ldexp_f32 v3, v3, v6
	v_cndmask_b32_e64 v3, 0, v3, s[2:3]
	s_mov_b32 s2, 0x42b17218
	v_mov_b32_e32 v6, 0x7f800000
	v_cmp_nlt_f32_e64 s[2:3], s2, v2
	v_cndmask_b32_e64 v6, v6, v3, s[2:3]
	v_add_f32_e32 v5, v5, v6
.LBB701_17:
	s_or_b64 exec, exec, s[6:7]
.LBB701_18:
	s_or_b64 exec, exec, s[4:5]
	ds_bpermute_b32 v2, v7, v4
	ds_bpermute_b32 v3, v7, v5
	s_waitcnt lgkmcnt(0)
	v_pk_add_f32 v[2:3], v[4:5], v[2:3]
	ds_bpermute_b32 v4, v11, v2
	ds_bpermute_b32 v5, v11, v3
	s_and_saveexec_b64 s[2:3], vcc
	s_cbranch_execz .LBB701_24
; %bb.19:
	s_waitcnt lgkmcnt(0)
	v_pk_add_f32 v[2:3], v[2:3], v[4:5]
	v_mov_b32_e32 v4, s13
	v_add_co_u32_e32 v0, vcc, s12, v0
	v_addc_co_u32_e32 v1, vcc, v4, v1, vcc
	s_and_saveexec_b64 s[2:3], s[0:1]
	s_cbranch_execz .LBB701_21
; %bb.20:
	v_div_scale_f32 v4, s[4:5], v2, v2, v12
	v_rcp_f32_e32 v5, v4
	v_div_scale_f32 v7, vcc, v12, v2, v12
	v_fma_f32 v9, -v4, v5, 1.0
	v_fmac_f32_e32 v5, v9, v5
	v_mul_f32_e32 v9, v7, v5
	v_fma_f32 v10, -v4, v9, v7
	v_fmac_f32_e32 v9, v10, v5
	v_fma_f32 v4, -v4, v9, v7
	v_div_fmas_f32 v4, v4, v5, v9
	v_div_fixup_f32 v4, v4, v2, v12
	v_mov_b32_e32 v5, 0x7fc00000
	v_cmp_neq_f32_e32 vcc, 0, v2
	v_cndmask_b32_e32 v2, v5, v4, vcc
	global_store_dword v[0:1], v2, off
.LBB701_21:
	s_or_b64 exec, exec, s[2:3]
	v_cmp_ne_u32_e32 vcc, 1, v8
	s_and_b64 exec, exec, vcc
	s_cbranch_execz .LBB701_24
; %bb.22:
	s_and_b64 exec, exec, s[0:1]
	s_cbranch_execz .LBB701_24
; %bb.23:
	v_div_scale_f32 v2, s[0:1], v3, v3, v6
	v_rcp_f32_e32 v4, v2
	v_div_scale_f32 v5, vcc, v6, v3, v6
	s_mov_b32 s11, 0
	v_fma_f32 v7, -v2, v4, 1.0
	v_fmac_f32_e32 v4, v7, v4
	v_mul_f32_e32 v7, v5, v4
	v_fma_f32 v8, -v2, v7, v5
	v_fmac_f32_e32 v7, v8, v4
	v_fma_f32 v2, -v2, v7, v5
	s_lshl_b64 s[0:1], s[10:11], 2
	v_div_fmas_f32 v2, v2, v4, v7
	v_mov_b32_e32 v4, s1
	v_add_co_u32_e32 v0, vcc, s0, v0
	v_addc_co_u32_e32 v1, vcc, v1, v4, vcc
	v_div_fixup_f32 v2, v2, v3, v6
	v_mov_b32_e32 v4, 0x7fc00000
	v_cmp_neq_f32_e32 vcc, 0, v3
	v_cndmask_b32_e32 v2, v4, v2, vcc
	global_store_dword v[0:1], v2, off
.LBB701_24:
	s_endpgm
	.section	.rodata,"a",@progbits
	.p2align	6, 0x0
	.amdhsa_kernel _ZN12_GLOBAL__N_120softmax_warp_forwardIfffLi2ELb0ELb1ELi32EEEvPT0_PKT_iiiPKbib
		.amdhsa_group_segment_fixed_size 0
		.amdhsa_private_segment_fixed_size 0
		.amdhsa_kernarg_size 304
		.amdhsa_user_sgpr_count 6
		.amdhsa_user_sgpr_private_segment_buffer 1
		.amdhsa_user_sgpr_dispatch_ptr 0
		.amdhsa_user_sgpr_queue_ptr 0
		.amdhsa_user_sgpr_kernarg_segment_ptr 1
		.amdhsa_user_sgpr_dispatch_id 0
		.amdhsa_user_sgpr_flat_scratch_init 0
		.amdhsa_user_sgpr_kernarg_preload_length 0
		.amdhsa_user_sgpr_kernarg_preload_offset 0
		.amdhsa_user_sgpr_private_segment_size 0
		.amdhsa_uses_dynamic_stack 0
		.amdhsa_system_sgpr_private_segment_wavefront_offset 0
		.amdhsa_system_sgpr_workgroup_id_x 1
		.amdhsa_system_sgpr_workgroup_id_y 0
		.amdhsa_system_sgpr_workgroup_id_z 0
		.amdhsa_system_sgpr_workgroup_info 0
		.amdhsa_system_vgpr_workitem_id 1
		.amdhsa_next_free_vgpr 17
		.amdhsa_next_free_sgpr 18
		.amdhsa_accum_offset 20
		.amdhsa_reserve_vcc 1
		.amdhsa_reserve_flat_scratch 0
		.amdhsa_float_round_mode_32 0
		.amdhsa_float_round_mode_16_64 0
		.amdhsa_float_denorm_mode_32 3
		.amdhsa_float_denorm_mode_16_64 3
		.amdhsa_dx10_clamp 1
		.amdhsa_ieee_mode 1
		.amdhsa_fp16_overflow 0
		.amdhsa_tg_split 0
		.amdhsa_exception_fp_ieee_invalid_op 0
		.amdhsa_exception_fp_denorm_src 0
		.amdhsa_exception_fp_ieee_div_zero 0
		.amdhsa_exception_fp_ieee_overflow 0
		.amdhsa_exception_fp_ieee_underflow 0
		.amdhsa_exception_fp_ieee_inexact 0
		.amdhsa_exception_int_div_zero 0
	.end_amdhsa_kernel
	.section	.text._ZN12_GLOBAL__N_120softmax_warp_forwardIfffLi2ELb0ELb1ELi32EEEvPT0_PKT_iiiPKbib,"axG",@progbits,_ZN12_GLOBAL__N_120softmax_warp_forwardIfffLi2ELb0ELb1ELi32EEEvPT0_PKT_iiiPKbib,comdat
.Lfunc_end701:
	.size	_ZN12_GLOBAL__N_120softmax_warp_forwardIfffLi2ELb0ELb1ELi32EEEvPT0_PKT_iiiPKbib, .Lfunc_end701-_ZN12_GLOBAL__N_120softmax_warp_forwardIfffLi2ELb0ELb1ELi32EEEvPT0_PKT_iiiPKbib
                                        ; -- End function
	.section	.AMDGPU.csdata,"",@progbits
; Kernel info:
; codeLenInByte = 1524
; NumSgprs: 22
; NumVgprs: 17
; NumAgprs: 0
; TotalNumVgprs: 17
; ScratchSize: 0
; MemoryBound: 0
; FloatMode: 240
; IeeeMode: 1
; LDSByteSize: 0 bytes/workgroup (compile time only)
; SGPRBlocks: 2
; VGPRBlocks: 2
; NumSGPRsForWavesPerEU: 22
; NumVGPRsForWavesPerEU: 17
; AccumOffset: 20
; Occupancy: 8
; WaveLimiterHint : 0
; COMPUTE_PGM_RSRC2:SCRATCH_EN: 0
; COMPUTE_PGM_RSRC2:USER_SGPR: 6
; COMPUTE_PGM_RSRC2:TRAP_HANDLER: 0
; COMPUTE_PGM_RSRC2:TGID_X_EN: 1
; COMPUTE_PGM_RSRC2:TGID_Y_EN: 0
; COMPUTE_PGM_RSRC2:TGID_Z_EN: 0
; COMPUTE_PGM_RSRC2:TIDIG_COMP_CNT: 1
; COMPUTE_PGM_RSRC3_GFX90A:ACCUM_OFFSET: 4
; COMPUTE_PGM_RSRC3_GFX90A:TG_SPLIT: 0
	.section	.text._ZN12_GLOBAL__N_120softmax_warp_forwardIfffLi3ELb0ELb1ELi64EEEvPT0_PKT_iiiPKbib,"axG",@progbits,_ZN12_GLOBAL__N_120softmax_warp_forwardIfffLi3ELb0ELb1ELi64EEEvPT0_PKT_iiiPKbib,comdat
	.globl	_ZN12_GLOBAL__N_120softmax_warp_forwardIfffLi3ELb0ELb1ELi64EEEvPT0_PKT_iiiPKbib ; -- Begin function _ZN12_GLOBAL__N_120softmax_warp_forwardIfffLi3ELb0ELb1ELi64EEEvPT0_PKT_iiiPKbib
	.p2align	8
	.type	_ZN12_GLOBAL__N_120softmax_warp_forwardIfffLi3ELb0ELb1ELi64EEEvPT0_PKT_iiiPKbib,@function
_ZN12_GLOBAL__N_120softmax_warp_forwardIfffLi3ELb0ELb1ELi64EEEvPT0_PKT_iiiPKbib: ; @_ZN12_GLOBAL__N_120softmax_warp_forwardIfffLi3ELb0ELb1ELi64EEEvPT0_PKT_iiiPKbib
; %bb.0:
	s_load_dwordx2 s[0:1], s[4:5], 0x28
	s_load_dword s2, s[4:5], 0x3c
	s_load_dwordx4 s[8:11], s[4:5], 0x10
	v_bfe_u32 v1, v0, 10, 10
	v_and_b32_e32 v4, 0x3ff, v0
	s_waitcnt lgkmcnt(0)
	s_bitcmp1_b32 s1, 0
	s_cselect_b64 s[16:17], -1, 0
	s_lshr_b32 s2, s2, 16
	s_mul_i32 s6, s6, s2
	v_add_lshl_u32 v5, s6, v1, 1
	v_mul_lo_u32 v6, v5, s9
	v_add_u32_e32 v0, v6, v4
	v_ashrrev_i32_e32 v1, 31, v0
	s_bitcmp0_b32 s1, 0
	v_pk_mov_b32 v[2:3], v[0:1], v[0:1] op_sel:[0,1]
	s_cbranch_scc1 .LBB702_2
; %bb.1:
	s_abs_i32 s1, s0
	v_cvt_f32_u32_e32 v2, s1
	v_xor_b32_e32 v3, s0, v6
	v_sub_u32_e32 v7, 0, v6
	s_sub_i32 s0, 0, s1
	v_rcp_iflag_f32_e32 v2, v2
	v_max_i32_e32 v6, v6, v7
	v_ashrrev_i32_e32 v3, 31, v3
	v_mul_f32_e32 v2, 0x4f7ffffe, v2
	v_cvt_u32_f32_e32 v2, v2
	v_mul_lo_u32 v7, s0, v2
	v_mul_hi_u32 v7, v2, v7
	v_add_u32_e32 v2, v2, v7
	v_mul_hi_u32 v2, v6, v2
	v_mul_lo_u32 v7, v2, s1
	v_sub_u32_e32 v6, v6, v7
	v_add_u32_e32 v8, 1, v2
	v_cmp_le_u32_e32 vcc, s1, v6
	v_subrev_u32_e32 v7, s1, v6
	v_cndmask_b32_e32 v2, v2, v8, vcc
	v_cndmask_b32_e32 v6, v6, v7, vcc
	v_add_u32_e32 v7, 1, v2
	v_cmp_le_u32_e32 vcc, s1, v6
	v_cndmask_b32_e32 v2, v2, v7, vcc
	v_xor_b32_e32 v2, v2, v3
	v_sub_u32_e32 v2, v2, v3
	v_mad_u64_u32 v[2:3], s[0:1], v2, s9, v[4:5]
	v_ashrrev_i32_e32 v3, 31, v2
.LBB702_2:
	s_load_dwordx4 s[12:15], s[4:5], 0x0
	v_lshlrev_b64 v[0:1], 2, v[0:1]
	v_sub_u32_e32 v8, s8, v5
	v_cmp_gt_i32_e64 s[0:1], s10, v4
	v_mov_b32_e32 v9, 0xff800000
	s_waitcnt lgkmcnt(0)
	v_mov_b32_e32 v5, s15
	v_add_co_u32_e32 v6, vcc, s14, v0
	v_addc_co_u32_e32 v7, vcc, v5, v1, vcc
	v_cmp_lt_i32_e32 vcc, 0, v8
	s_and_b64 s[8:9], s[0:1], vcc
	v_mov_b32_e32 v10, 0xff800000
	s_and_saveexec_b64 s[2:3], s[8:9]
	s_cbranch_execz .LBB702_4
; %bb.3:
	global_load_dword v10, v[6:7], off
.LBB702_4:
	s_or_b64 exec, exec, s[2:3]
	v_cmp_lt_i32_e64 s[2:3], 1, v8
	s_and_b64 s[6:7], s[0:1], s[2:3]
	s_and_saveexec_b64 s[14:15], s[6:7]
	s_cbranch_execz .LBB702_6
; %bb.5:
	s_mov_b32 s11, 0
	s_lshl_b64 s[2:3], s[10:11], 2
	v_mov_b32_e32 v5, s3
	v_add_co_u32_e64 v4, s[2:3], s2, v6
	v_addc_co_u32_e64 v5, s[2:3], v7, v5, s[2:3]
	global_load_dword v9, v[4:5], off
.LBB702_6:
	s_or_b64 exec, exec, s[14:15]
	s_load_dwordx2 s[2:3], s[4:5], 0x20
	s_waitcnt lgkmcnt(0)
	v_mov_b32_e32 v4, s3
	v_add_co_u32_e64 v2, s[2:3], s2, v2
	v_addc_co_u32_e64 v3, s[2:3], v4, v3, s[2:3]
	v_mov_b32_e32 v4, 0xff800000
	s_and_saveexec_b64 s[4:5], s[8:9]
	s_cbranch_execz .LBB702_8
; %bb.7:
	global_load_ubyte v4, v[2:3], off
	v_mov_b32_e32 v5, 0xff800000
	s_waitcnt vmcnt(0)
	v_and_b32_e32 v4, 1, v4
	v_cmp_eq_u32_e64 s[2:3], 1, v4
	v_cndmask_b32_e64 v4, v10, v5, s[2:3]
.LBB702_8:
	s_or_b64 exec, exec, s[4:5]
	s_mov_b64 s[4:5], 0
	s_and_saveexec_b64 s[14:15], s[6:7]
	s_cbranch_execz .LBB702_10
; %bb.9:
	s_and_b64 s[2:3], s[16:17], exec
	s_cselect_b32 s2, 0, 0
	s_cselect_b32 s3, 0, s10
	v_mov_b32_e32 v5, s2
	v_add_co_u32_e64 v6, s[2:3], s3, v2
	v_addc_co_u32_e64 v7, s[2:3], v3, v5, s[2:3]
	global_load_ubyte v5, v[6:7], off
	s_waitcnt vmcnt(0)
	v_and_b32_e32 v5, 1, v5
	v_cmp_eq_u32_e64 s[2:3], 1, v5
	s_xor_b64 s[2:3], s[2:3], -1
	s_and_b64 s[4:5], s[2:3], exec
.LBB702_10:
	s_or_b64 exec, exec, s[14:15]
	v_mbcnt_lo_u32_b32 v5, -1, 0
	v_mbcnt_hi_u32_b32 v5, -1, v5
	v_and_b32_e32 v6, 0x78, v5
	v_add_u32_e32 v6, 8, v6
	v_xor_b32_e32 v7, 4, v5
	v_cmp_lt_i32_e64 s[2:3], v7, v6
	v_cndmask_b32_e64 v7, v5, v7, s[2:3]
	v_cndmask_b32_e64 v4, v4, v4, s[4:5]
	v_lshlrev_b32_e32 v7, 2, v7
	ds_bpermute_b32 v11, v7, v4
	v_mov_b32_e32 v12, 0xff800000
	s_waitcnt vmcnt(0)
	v_cndmask_b32_e64 v12, v12, v9, s[4:5]
	ds_bpermute_b32 v13, v7, v12
	s_mov_b32 s14, 0
	s_waitcnt lgkmcnt(1)
	v_cmp_lt_f32_e64 s[2:3], v4, v11
	v_cndmask_b32_e64 v4, v4, v11, s[2:3]
	v_xor_b32_e32 v11, 2, v5
	v_cmp_lt_i32_e64 s[2:3], v11, v6
	v_cndmask_b32_e64 v11, v5, v11, s[2:3]
	v_lshlrev_b32_e32 v11, 2, v11
	s_waitcnt lgkmcnt(0)
	v_cmp_lt_f32_e64 s[2:3], v12, v13
	ds_bpermute_b32 v14, v11, v4
	v_cndmask_b32_e64 v12, v12, v13, s[2:3]
	ds_bpermute_b32 v13, v11, v12
	s_mov_b32 s15, s14
	s_waitcnt lgkmcnt(1)
	v_cmp_lt_f32_e64 s[2:3], v4, v14
	v_cndmask_b32_e64 v16, v4, v14, s[2:3]
	s_waitcnt lgkmcnt(0)
	v_cmp_lt_f32_e64 s[2:3], v12, v13
	v_xor_b32_e32 v4, 1, v5
	v_cndmask_b32_e64 v14, v12, v13, s[2:3]
	v_cmp_lt_i32_e64 s[2:3], v4, v6
	v_cndmask_b32_e64 v4, v5, v4, s[2:3]
	v_lshlrev_b32_e32 v12, 2, v4
	ds_bpermute_b32 v17, v12, v16
	ds_bpermute_b32 v15, v12, v14
	v_mov_b32_e32 v6, 0
	v_pk_mov_b32 v[4:5], s[14:15], s[14:15] op_sel:[0,1]
	v_mov_b32_e32 v13, 0
	s_and_saveexec_b64 s[4:5], s[8:9]
	s_cbranch_execz .LBB702_14
; %bb.11:
	global_load_ubyte v13, v[2:3], off
	v_pk_mov_b32 v[4:5], s[14:15], s[14:15] op_sel:[0,1]
	s_waitcnt vmcnt(0)
	v_and_b32_e32 v13, 1, v13
	v_cmp_eq_u32_e64 s[2:3], 1, v13
	s_xor_b64 s[2:3], s[2:3], -1
	v_mov_b32_e32 v13, 0
	s_and_saveexec_b64 s[8:9], s[2:3]
	s_cbranch_execz .LBB702_13
; %bb.12:
	s_waitcnt lgkmcnt(1)
	v_cmp_lt_f32_e64 s[2:3], v16, v17
	v_cndmask_b32_e64 v4, v16, v17, s[2:3]
	v_sub_f32_e32 v4, v10, v4
	s_mov_b32 s2, 0x3fb8aa3b
	v_mul_f32_e32 v5, 0x3fb8aa3b, v4
	v_fma_f32 v10, v4, s2, -v5
	v_rndne_f32_e32 v13, v5
	v_fmac_f32_e32 v10, 0x32a5705f, v4
	v_sub_f32_e32 v5, v5, v13
	v_add_f32_e32 v5, v5, v10
	v_exp_f32_e32 v5, v5
	v_cvt_i32_f32_e32 v10, v13
	s_mov_b32 s2, 0xc2ce8ed0
	v_cmp_ngt_f32_e64 s[2:3], s2, v4
	v_mov_b32_e32 v13, 0x7f800000
	v_ldexp_f32 v10, v5, v10
	v_cndmask_b32_e64 v10, 0, v10, s[2:3]
	s_mov_b32 s2, 0x42b17218
	v_cmp_nlt_f32_e64 s[2:3], s2, v4
	v_cndmask_b32_e64 v4, v13, v10, s[2:3]
	v_mov_b32_e32 v5, 0
	v_mov_b32_e32 v13, v4
.LBB702_13:
	s_or_b64 exec, exec, s[8:9]
.LBB702_14:
	s_or_b64 exec, exec, s[4:5]
	s_and_saveexec_b64 s[4:5], s[6:7]
	s_cbranch_execz .LBB702_18
; %bb.15:
	s_and_b64 s[2:3], s[16:17], exec
	s_cselect_b32 s2, 0, 0
	s_cselect_b32 s3, 0, s10
	v_mov_b32_e32 v6, s2
	v_add_co_u32_e64 v2, s[2:3], s3, v2
	v_addc_co_u32_e64 v3, s[2:3], v3, v6, s[2:3]
	global_load_ubyte v2, v[2:3], off
	v_mov_b32_e32 v6, 0
	s_waitcnt vmcnt(0)
	v_and_b32_e32 v2, 1, v2
	v_cmp_eq_u32_e64 s[2:3], 1, v2
	s_xor_b64 s[2:3], s[2:3], -1
	s_and_saveexec_b64 s[6:7], s[2:3]
	s_cbranch_execz .LBB702_17
; %bb.16:
	s_waitcnt lgkmcnt(0)
	v_cmp_lt_f32_e64 s[2:3], v14, v15
	v_cndmask_b32_e64 v2, v14, v15, s[2:3]
	v_sub_f32_e32 v2, v9, v2
	s_mov_b32 s2, 0x3fb8aa3b
	v_mul_f32_e32 v3, 0x3fb8aa3b, v2
	v_fma_f32 v6, v2, s2, -v3
	v_rndne_f32_e32 v9, v3
	v_fmac_f32_e32 v6, 0x32a5705f, v2
	v_sub_f32_e32 v3, v3, v9
	v_add_f32_e32 v3, v3, v6
	v_exp_f32_e32 v3, v3
	v_cvt_i32_f32_e32 v6, v9
	s_mov_b32 s2, 0xc2ce8ed0
	v_cmp_ngt_f32_e64 s[2:3], s2, v2
	v_ldexp_f32 v3, v3, v6
	v_cndmask_b32_e64 v3, 0, v3, s[2:3]
	s_mov_b32 s2, 0x42b17218
	v_mov_b32_e32 v6, 0x7f800000
	v_cmp_nlt_f32_e64 s[2:3], s2, v2
	v_cndmask_b32_e64 v6, v6, v3, s[2:3]
	v_add_f32_e32 v5, v5, v6
.LBB702_17:
	s_or_b64 exec, exec, s[6:7]
.LBB702_18:
	s_or_b64 exec, exec, s[4:5]
	ds_bpermute_b32 v2, v7, v4
	ds_bpermute_b32 v3, v7, v5
	s_waitcnt lgkmcnt(0)
	v_pk_add_f32 v[2:3], v[4:5], v[2:3]
	ds_bpermute_b32 v4, v11, v2
	ds_bpermute_b32 v5, v11, v3
	s_waitcnt lgkmcnt(0)
	v_pk_add_f32 v[2:3], v[2:3], v[4:5]
	ds_bpermute_b32 v4, v12, v2
	ds_bpermute_b32 v5, v12, v3
	s_and_saveexec_b64 s[2:3], vcc
	s_cbranch_execz .LBB702_24
; %bb.19:
	s_waitcnt lgkmcnt(0)
	v_pk_add_f32 v[2:3], v[2:3], v[4:5]
	v_mov_b32_e32 v4, s13
	v_add_co_u32_e32 v0, vcc, s12, v0
	v_addc_co_u32_e32 v1, vcc, v4, v1, vcc
	s_and_saveexec_b64 s[2:3], s[0:1]
	s_cbranch_execz .LBB702_21
; %bb.20:
	v_div_scale_f32 v4, s[4:5], v2, v2, v13
	v_rcp_f32_e32 v5, v4
	v_div_scale_f32 v7, vcc, v13, v2, v13
	v_fma_f32 v9, -v4, v5, 1.0
	v_fmac_f32_e32 v5, v9, v5
	v_mul_f32_e32 v9, v7, v5
	v_fma_f32 v10, -v4, v9, v7
	v_fmac_f32_e32 v9, v10, v5
	v_fma_f32 v4, -v4, v9, v7
	v_div_fmas_f32 v4, v4, v5, v9
	v_div_fixup_f32 v4, v4, v2, v13
	v_mov_b32_e32 v5, 0x7fc00000
	v_cmp_neq_f32_e32 vcc, 0, v2
	v_cndmask_b32_e32 v2, v5, v4, vcc
	global_store_dword v[0:1], v2, off
.LBB702_21:
	s_or_b64 exec, exec, s[2:3]
	v_cmp_ne_u32_e32 vcc, 1, v8
	s_and_b64 exec, exec, vcc
	s_cbranch_execz .LBB702_24
; %bb.22:
	s_and_b64 exec, exec, s[0:1]
	s_cbranch_execz .LBB702_24
; %bb.23:
	v_div_scale_f32 v2, s[0:1], v3, v3, v6
	v_rcp_f32_e32 v4, v2
	v_div_scale_f32 v5, vcc, v6, v3, v6
	s_mov_b32 s11, 0
	v_fma_f32 v7, -v2, v4, 1.0
	v_fmac_f32_e32 v4, v7, v4
	v_mul_f32_e32 v7, v5, v4
	v_fma_f32 v8, -v2, v7, v5
	v_fmac_f32_e32 v7, v8, v4
	v_fma_f32 v2, -v2, v7, v5
	s_lshl_b64 s[0:1], s[10:11], 2
	v_div_fmas_f32 v2, v2, v4, v7
	v_mov_b32_e32 v4, s1
	v_add_co_u32_e32 v0, vcc, s0, v0
	v_addc_co_u32_e32 v1, vcc, v1, v4, vcc
	v_div_fixup_f32 v2, v2, v3, v6
	v_mov_b32_e32 v4, 0x7fc00000
	v_cmp_neq_f32_e32 vcc, 0, v3
	v_cndmask_b32_e32 v2, v4, v2, vcc
	global_store_dword v[0:1], v2, off
.LBB702_24:
	s_endpgm
	.section	.rodata,"a",@progbits
	.p2align	6, 0x0
	.amdhsa_kernel _ZN12_GLOBAL__N_120softmax_warp_forwardIfffLi3ELb0ELb1ELi64EEEvPT0_PKT_iiiPKbib
		.amdhsa_group_segment_fixed_size 0
		.amdhsa_private_segment_fixed_size 0
		.amdhsa_kernarg_size 304
		.amdhsa_user_sgpr_count 6
		.amdhsa_user_sgpr_private_segment_buffer 1
		.amdhsa_user_sgpr_dispatch_ptr 0
		.amdhsa_user_sgpr_queue_ptr 0
		.amdhsa_user_sgpr_kernarg_segment_ptr 1
		.amdhsa_user_sgpr_dispatch_id 0
		.amdhsa_user_sgpr_flat_scratch_init 0
		.amdhsa_user_sgpr_kernarg_preload_length 0
		.amdhsa_user_sgpr_kernarg_preload_offset 0
		.amdhsa_user_sgpr_private_segment_size 0
		.amdhsa_uses_dynamic_stack 0
		.amdhsa_system_sgpr_private_segment_wavefront_offset 0
		.amdhsa_system_sgpr_workgroup_id_x 1
		.amdhsa_system_sgpr_workgroup_id_y 0
		.amdhsa_system_sgpr_workgroup_id_z 0
		.amdhsa_system_sgpr_workgroup_info 0
		.amdhsa_system_vgpr_workitem_id 1
		.amdhsa_next_free_vgpr 18
		.amdhsa_next_free_sgpr 18
		.amdhsa_accum_offset 20
		.amdhsa_reserve_vcc 1
		.amdhsa_reserve_flat_scratch 0
		.amdhsa_float_round_mode_32 0
		.amdhsa_float_round_mode_16_64 0
		.amdhsa_float_denorm_mode_32 3
		.amdhsa_float_denorm_mode_16_64 3
		.amdhsa_dx10_clamp 1
		.amdhsa_ieee_mode 1
		.amdhsa_fp16_overflow 0
		.amdhsa_tg_split 0
		.amdhsa_exception_fp_ieee_invalid_op 0
		.amdhsa_exception_fp_denorm_src 0
		.amdhsa_exception_fp_ieee_div_zero 0
		.amdhsa_exception_fp_ieee_overflow 0
		.amdhsa_exception_fp_ieee_underflow 0
		.amdhsa_exception_fp_ieee_inexact 0
		.amdhsa_exception_int_div_zero 0
	.end_amdhsa_kernel
	.section	.text._ZN12_GLOBAL__N_120softmax_warp_forwardIfffLi3ELb0ELb1ELi64EEEvPT0_PKT_iiiPKbib,"axG",@progbits,_ZN12_GLOBAL__N_120softmax_warp_forwardIfffLi3ELb0ELb1ELi64EEEvPT0_PKT_iiiPKbib,comdat
.Lfunc_end702:
	.size	_ZN12_GLOBAL__N_120softmax_warp_forwardIfffLi3ELb0ELb1ELi64EEEvPT0_PKT_iiiPKbib, .Lfunc_end702-_ZN12_GLOBAL__N_120softmax_warp_forwardIfffLi3ELb0ELb1ELi64EEEvPT0_PKT_iiiPKbib
                                        ; -- End function
	.section	.AMDGPU.csdata,"",@progbits
; Kernel info:
; codeLenInByte = 1632
; NumSgprs: 22
; NumVgprs: 18
; NumAgprs: 0
; TotalNumVgprs: 18
; ScratchSize: 0
; MemoryBound: 0
; FloatMode: 240
; IeeeMode: 1
; LDSByteSize: 0 bytes/workgroup (compile time only)
; SGPRBlocks: 2
; VGPRBlocks: 2
; NumSGPRsForWavesPerEU: 22
; NumVGPRsForWavesPerEU: 18
; AccumOffset: 20
; Occupancy: 8
; WaveLimiterHint : 0
; COMPUTE_PGM_RSRC2:SCRATCH_EN: 0
; COMPUTE_PGM_RSRC2:USER_SGPR: 6
; COMPUTE_PGM_RSRC2:TRAP_HANDLER: 0
; COMPUTE_PGM_RSRC2:TGID_X_EN: 1
; COMPUTE_PGM_RSRC2:TGID_Y_EN: 0
; COMPUTE_PGM_RSRC2:TGID_Z_EN: 0
; COMPUTE_PGM_RSRC2:TIDIG_COMP_CNT: 1
; COMPUTE_PGM_RSRC3_GFX90A:ACCUM_OFFSET: 4
; COMPUTE_PGM_RSRC3_GFX90A:TG_SPLIT: 0
	.section	.text._ZN12_GLOBAL__N_120softmax_warp_forwardIfffLi3ELb0ELb1ELi32EEEvPT0_PKT_iiiPKbib,"axG",@progbits,_ZN12_GLOBAL__N_120softmax_warp_forwardIfffLi3ELb0ELb1ELi32EEEvPT0_PKT_iiiPKbib,comdat
	.globl	_ZN12_GLOBAL__N_120softmax_warp_forwardIfffLi3ELb0ELb1ELi32EEEvPT0_PKT_iiiPKbib ; -- Begin function _ZN12_GLOBAL__N_120softmax_warp_forwardIfffLi3ELb0ELb1ELi32EEEvPT0_PKT_iiiPKbib
	.p2align	8
	.type	_ZN12_GLOBAL__N_120softmax_warp_forwardIfffLi3ELb0ELb1ELi32EEEvPT0_PKT_iiiPKbib,@function
_ZN12_GLOBAL__N_120softmax_warp_forwardIfffLi3ELb0ELb1ELi32EEEvPT0_PKT_iiiPKbib: ; @_ZN12_GLOBAL__N_120softmax_warp_forwardIfffLi3ELb0ELb1ELi32EEEvPT0_PKT_iiiPKbib
; %bb.0:
	s_load_dwordx2 s[0:1], s[4:5], 0x28
	s_load_dword s2, s[4:5], 0x3c
	s_load_dwordx4 s[8:11], s[4:5], 0x10
	v_bfe_u32 v1, v0, 10, 10
	v_and_b32_e32 v4, 0x3ff, v0
	s_waitcnt lgkmcnt(0)
	s_bitcmp1_b32 s1, 0
	s_cselect_b64 s[16:17], -1, 0
	s_lshr_b32 s2, s2, 16
	s_mul_i32 s6, s6, s2
	v_add_lshl_u32 v5, s6, v1, 1
	v_mul_lo_u32 v6, v5, s9
	v_add_u32_e32 v0, v6, v4
	v_ashrrev_i32_e32 v1, 31, v0
	s_bitcmp0_b32 s1, 0
	v_pk_mov_b32 v[2:3], v[0:1], v[0:1] op_sel:[0,1]
	s_cbranch_scc1 .LBB703_2
; %bb.1:
	s_abs_i32 s1, s0
	v_cvt_f32_u32_e32 v2, s1
	v_xor_b32_e32 v3, s0, v6
	v_sub_u32_e32 v7, 0, v6
	s_sub_i32 s0, 0, s1
	v_rcp_iflag_f32_e32 v2, v2
	v_max_i32_e32 v6, v6, v7
	v_ashrrev_i32_e32 v3, 31, v3
	v_mul_f32_e32 v2, 0x4f7ffffe, v2
	v_cvt_u32_f32_e32 v2, v2
	v_mul_lo_u32 v7, s0, v2
	v_mul_hi_u32 v7, v2, v7
	v_add_u32_e32 v2, v2, v7
	v_mul_hi_u32 v2, v6, v2
	v_mul_lo_u32 v7, v2, s1
	v_sub_u32_e32 v6, v6, v7
	v_add_u32_e32 v8, 1, v2
	v_cmp_le_u32_e32 vcc, s1, v6
	v_subrev_u32_e32 v7, s1, v6
	v_cndmask_b32_e32 v2, v2, v8, vcc
	v_cndmask_b32_e32 v6, v6, v7, vcc
	v_add_u32_e32 v7, 1, v2
	v_cmp_le_u32_e32 vcc, s1, v6
	v_cndmask_b32_e32 v2, v2, v7, vcc
	v_xor_b32_e32 v2, v2, v3
	v_sub_u32_e32 v2, v2, v3
	v_mad_u64_u32 v[2:3], s[0:1], v2, s9, v[4:5]
	v_ashrrev_i32_e32 v3, 31, v2
.LBB703_2:
	s_load_dwordx4 s[12:15], s[4:5], 0x0
	v_lshlrev_b64 v[0:1], 2, v[0:1]
	v_sub_u32_e32 v8, s8, v5
	v_cmp_gt_i32_e64 s[0:1], s10, v4
	v_mov_b32_e32 v9, 0xff800000
	s_waitcnt lgkmcnt(0)
	v_mov_b32_e32 v5, s15
	v_add_co_u32_e32 v6, vcc, s14, v0
	v_addc_co_u32_e32 v7, vcc, v5, v1, vcc
	v_cmp_lt_i32_e32 vcc, 0, v8
	s_and_b64 s[8:9], s[0:1], vcc
	v_mov_b32_e32 v10, 0xff800000
	s_and_saveexec_b64 s[2:3], s[8:9]
	s_cbranch_execz .LBB703_4
; %bb.3:
	global_load_dword v10, v[6:7], off
.LBB703_4:
	s_or_b64 exec, exec, s[2:3]
	v_cmp_lt_i32_e64 s[2:3], 1, v8
	s_and_b64 s[6:7], s[0:1], s[2:3]
	s_and_saveexec_b64 s[14:15], s[6:7]
	s_cbranch_execz .LBB703_6
; %bb.5:
	s_mov_b32 s11, 0
	s_lshl_b64 s[2:3], s[10:11], 2
	v_mov_b32_e32 v5, s3
	v_add_co_u32_e64 v4, s[2:3], s2, v6
	v_addc_co_u32_e64 v5, s[2:3], v7, v5, s[2:3]
	global_load_dword v9, v[4:5], off
.LBB703_6:
	s_or_b64 exec, exec, s[14:15]
	s_load_dwordx2 s[2:3], s[4:5], 0x20
	s_waitcnt lgkmcnt(0)
	v_mov_b32_e32 v4, s3
	v_add_co_u32_e64 v2, s[2:3], s2, v2
	v_addc_co_u32_e64 v3, s[2:3], v4, v3, s[2:3]
	v_mov_b32_e32 v4, 0xff800000
	s_and_saveexec_b64 s[4:5], s[8:9]
	s_cbranch_execz .LBB703_8
; %bb.7:
	global_load_ubyte v4, v[2:3], off
	v_mov_b32_e32 v5, 0xff800000
	s_waitcnt vmcnt(0)
	v_and_b32_e32 v4, 1, v4
	v_cmp_eq_u32_e64 s[2:3], 1, v4
	v_cndmask_b32_e64 v4, v10, v5, s[2:3]
.LBB703_8:
	s_or_b64 exec, exec, s[4:5]
	s_mov_b64 s[4:5], 0
	s_and_saveexec_b64 s[14:15], s[6:7]
	s_cbranch_execz .LBB703_10
; %bb.9:
	s_and_b64 s[2:3], s[16:17], exec
	s_cselect_b32 s2, 0, 0
	s_cselect_b32 s3, 0, s10
	v_mov_b32_e32 v5, s2
	v_add_co_u32_e64 v6, s[2:3], s3, v2
	v_addc_co_u32_e64 v7, s[2:3], v3, v5, s[2:3]
	global_load_ubyte v5, v[6:7], off
	s_waitcnt vmcnt(0)
	v_and_b32_e32 v5, 1, v5
	v_cmp_eq_u32_e64 s[2:3], 1, v5
	s_xor_b64 s[2:3], s[2:3], -1
	s_and_b64 s[4:5], s[2:3], exec
.LBB703_10:
	s_or_b64 exec, exec, s[14:15]
	v_mbcnt_lo_u32_b32 v5, -1, 0
	v_mbcnt_hi_u32_b32 v5, -1, v5
	v_and_b32_e32 v6, 0x78, v5
	v_add_u32_e32 v6, 8, v6
	v_xor_b32_e32 v7, 4, v5
	v_cmp_lt_i32_e64 s[2:3], v7, v6
	v_cndmask_b32_e64 v7, v5, v7, s[2:3]
	v_cndmask_b32_e64 v4, v4, v4, s[4:5]
	v_lshlrev_b32_e32 v7, 2, v7
	ds_bpermute_b32 v11, v7, v4
	v_mov_b32_e32 v12, 0xff800000
	s_waitcnt vmcnt(0)
	v_cndmask_b32_e64 v12, v12, v9, s[4:5]
	ds_bpermute_b32 v13, v7, v12
	s_mov_b32 s14, 0
	s_waitcnt lgkmcnt(1)
	v_cmp_lt_f32_e64 s[2:3], v4, v11
	v_cndmask_b32_e64 v4, v4, v11, s[2:3]
	v_xor_b32_e32 v11, 2, v5
	v_cmp_lt_i32_e64 s[2:3], v11, v6
	v_cndmask_b32_e64 v11, v5, v11, s[2:3]
	v_lshlrev_b32_e32 v11, 2, v11
	s_waitcnt lgkmcnt(0)
	v_cmp_lt_f32_e64 s[2:3], v12, v13
	ds_bpermute_b32 v14, v11, v4
	v_cndmask_b32_e64 v12, v12, v13, s[2:3]
	ds_bpermute_b32 v13, v11, v12
	s_mov_b32 s15, s14
	s_waitcnt lgkmcnt(1)
	v_cmp_lt_f32_e64 s[2:3], v4, v14
	v_cndmask_b32_e64 v16, v4, v14, s[2:3]
	s_waitcnt lgkmcnt(0)
	v_cmp_lt_f32_e64 s[2:3], v12, v13
	v_xor_b32_e32 v4, 1, v5
	v_cndmask_b32_e64 v14, v12, v13, s[2:3]
	v_cmp_lt_i32_e64 s[2:3], v4, v6
	v_cndmask_b32_e64 v4, v5, v4, s[2:3]
	v_lshlrev_b32_e32 v12, 2, v4
	ds_bpermute_b32 v17, v12, v16
	ds_bpermute_b32 v15, v12, v14
	v_mov_b32_e32 v6, 0
	v_pk_mov_b32 v[4:5], s[14:15], s[14:15] op_sel:[0,1]
	v_mov_b32_e32 v13, 0
	s_and_saveexec_b64 s[4:5], s[8:9]
	s_cbranch_execz .LBB703_14
; %bb.11:
	global_load_ubyte v13, v[2:3], off
	v_pk_mov_b32 v[4:5], s[14:15], s[14:15] op_sel:[0,1]
	s_waitcnt vmcnt(0)
	v_and_b32_e32 v13, 1, v13
	v_cmp_eq_u32_e64 s[2:3], 1, v13
	s_xor_b64 s[2:3], s[2:3], -1
	v_mov_b32_e32 v13, 0
	s_and_saveexec_b64 s[8:9], s[2:3]
	s_cbranch_execz .LBB703_13
; %bb.12:
	s_waitcnt lgkmcnt(1)
	v_cmp_lt_f32_e64 s[2:3], v16, v17
	v_cndmask_b32_e64 v4, v16, v17, s[2:3]
	v_sub_f32_e32 v4, v10, v4
	s_mov_b32 s2, 0x3fb8aa3b
	v_mul_f32_e32 v5, 0x3fb8aa3b, v4
	v_fma_f32 v10, v4, s2, -v5
	v_rndne_f32_e32 v13, v5
	v_fmac_f32_e32 v10, 0x32a5705f, v4
	v_sub_f32_e32 v5, v5, v13
	v_add_f32_e32 v5, v5, v10
	v_exp_f32_e32 v5, v5
	v_cvt_i32_f32_e32 v10, v13
	s_mov_b32 s2, 0xc2ce8ed0
	v_cmp_ngt_f32_e64 s[2:3], s2, v4
	v_mov_b32_e32 v13, 0x7f800000
	v_ldexp_f32 v10, v5, v10
	v_cndmask_b32_e64 v10, 0, v10, s[2:3]
	s_mov_b32 s2, 0x42b17218
	v_cmp_nlt_f32_e64 s[2:3], s2, v4
	v_cndmask_b32_e64 v4, v13, v10, s[2:3]
	v_mov_b32_e32 v5, 0
	v_mov_b32_e32 v13, v4
.LBB703_13:
	s_or_b64 exec, exec, s[8:9]
.LBB703_14:
	s_or_b64 exec, exec, s[4:5]
	s_and_saveexec_b64 s[4:5], s[6:7]
	s_cbranch_execz .LBB703_18
; %bb.15:
	s_and_b64 s[2:3], s[16:17], exec
	s_cselect_b32 s2, 0, 0
	s_cselect_b32 s3, 0, s10
	v_mov_b32_e32 v6, s2
	v_add_co_u32_e64 v2, s[2:3], s3, v2
	v_addc_co_u32_e64 v3, s[2:3], v3, v6, s[2:3]
	global_load_ubyte v2, v[2:3], off
	v_mov_b32_e32 v6, 0
	s_waitcnt vmcnt(0)
	v_and_b32_e32 v2, 1, v2
	v_cmp_eq_u32_e64 s[2:3], 1, v2
	s_xor_b64 s[2:3], s[2:3], -1
	s_and_saveexec_b64 s[6:7], s[2:3]
	s_cbranch_execz .LBB703_17
; %bb.16:
	s_waitcnt lgkmcnt(0)
	v_cmp_lt_f32_e64 s[2:3], v14, v15
	v_cndmask_b32_e64 v2, v14, v15, s[2:3]
	v_sub_f32_e32 v2, v9, v2
	s_mov_b32 s2, 0x3fb8aa3b
	v_mul_f32_e32 v3, 0x3fb8aa3b, v2
	v_fma_f32 v6, v2, s2, -v3
	v_rndne_f32_e32 v9, v3
	v_fmac_f32_e32 v6, 0x32a5705f, v2
	v_sub_f32_e32 v3, v3, v9
	v_add_f32_e32 v3, v3, v6
	v_exp_f32_e32 v3, v3
	v_cvt_i32_f32_e32 v6, v9
	s_mov_b32 s2, 0xc2ce8ed0
	v_cmp_ngt_f32_e64 s[2:3], s2, v2
	v_ldexp_f32 v3, v3, v6
	v_cndmask_b32_e64 v3, 0, v3, s[2:3]
	s_mov_b32 s2, 0x42b17218
	v_mov_b32_e32 v6, 0x7f800000
	v_cmp_nlt_f32_e64 s[2:3], s2, v2
	v_cndmask_b32_e64 v6, v6, v3, s[2:3]
	v_add_f32_e32 v5, v5, v6
.LBB703_17:
	s_or_b64 exec, exec, s[6:7]
.LBB703_18:
	s_or_b64 exec, exec, s[4:5]
	ds_bpermute_b32 v2, v7, v4
	ds_bpermute_b32 v3, v7, v5
	s_waitcnt lgkmcnt(0)
	v_pk_add_f32 v[2:3], v[4:5], v[2:3]
	ds_bpermute_b32 v4, v11, v2
	ds_bpermute_b32 v5, v11, v3
	s_waitcnt lgkmcnt(0)
	v_pk_add_f32 v[2:3], v[2:3], v[4:5]
	ds_bpermute_b32 v4, v12, v2
	ds_bpermute_b32 v5, v12, v3
	s_and_saveexec_b64 s[2:3], vcc
	s_cbranch_execz .LBB703_24
; %bb.19:
	s_waitcnt lgkmcnt(0)
	v_pk_add_f32 v[2:3], v[2:3], v[4:5]
	v_mov_b32_e32 v4, s13
	v_add_co_u32_e32 v0, vcc, s12, v0
	v_addc_co_u32_e32 v1, vcc, v4, v1, vcc
	s_and_saveexec_b64 s[2:3], s[0:1]
	s_cbranch_execz .LBB703_21
; %bb.20:
	v_div_scale_f32 v4, s[4:5], v2, v2, v13
	v_rcp_f32_e32 v5, v4
	v_div_scale_f32 v7, vcc, v13, v2, v13
	v_fma_f32 v9, -v4, v5, 1.0
	v_fmac_f32_e32 v5, v9, v5
	v_mul_f32_e32 v9, v7, v5
	v_fma_f32 v10, -v4, v9, v7
	v_fmac_f32_e32 v9, v10, v5
	v_fma_f32 v4, -v4, v9, v7
	v_div_fmas_f32 v4, v4, v5, v9
	v_div_fixup_f32 v4, v4, v2, v13
	v_mov_b32_e32 v5, 0x7fc00000
	v_cmp_neq_f32_e32 vcc, 0, v2
	v_cndmask_b32_e32 v2, v5, v4, vcc
	global_store_dword v[0:1], v2, off
.LBB703_21:
	s_or_b64 exec, exec, s[2:3]
	v_cmp_ne_u32_e32 vcc, 1, v8
	s_and_b64 exec, exec, vcc
	s_cbranch_execz .LBB703_24
; %bb.22:
	s_and_b64 exec, exec, s[0:1]
	s_cbranch_execz .LBB703_24
; %bb.23:
	v_div_scale_f32 v2, s[0:1], v3, v3, v6
	v_rcp_f32_e32 v4, v2
	v_div_scale_f32 v5, vcc, v6, v3, v6
	s_mov_b32 s11, 0
	v_fma_f32 v7, -v2, v4, 1.0
	v_fmac_f32_e32 v4, v7, v4
	v_mul_f32_e32 v7, v5, v4
	v_fma_f32 v8, -v2, v7, v5
	v_fmac_f32_e32 v7, v8, v4
	v_fma_f32 v2, -v2, v7, v5
	s_lshl_b64 s[0:1], s[10:11], 2
	v_div_fmas_f32 v2, v2, v4, v7
	v_mov_b32_e32 v4, s1
	v_add_co_u32_e32 v0, vcc, s0, v0
	v_addc_co_u32_e32 v1, vcc, v1, v4, vcc
	v_div_fixup_f32 v2, v2, v3, v6
	v_mov_b32_e32 v4, 0x7fc00000
	v_cmp_neq_f32_e32 vcc, 0, v3
	v_cndmask_b32_e32 v2, v4, v2, vcc
	global_store_dword v[0:1], v2, off
.LBB703_24:
	s_endpgm
	.section	.rodata,"a",@progbits
	.p2align	6, 0x0
	.amdhsa_kernel _ZN12_GLOBAL__N_120softmax_warp_forwardIfffLi3ELb0ELb1ELi32EEEvPT0_PKT_iiiPKbib
		.amdhsa_group_segment_fixed_size 0
		.amdhsa_private_segment_fixed_size 0
		.amdhsa_kernarg_size 304
		.amdhsa_user_sgpr_count 6
		.amdhsa_user_sgpr_private_segment_buffer 1
		.amdhsa_user_sgpr_dispatch_ptr 0
		.amdhsa_user_sgpr_queue_ptr 0
		.amdhsa_user_sgpr_kernarg_segment_ptr 1
		.amdhsa_user_sgpr_dispatch_id 0
		.amdhsa_user_sgpr_flat_scratch_init 0
		.amdhsa_user_sgpr_kernarg_preload_length 0
		.amdhsa_user_sgpr_kernarg_preload_offset 0
		.amdhsa_user_sgpr_private_segment_size 0
		.amdhsa_uses_dynamic_stack 0
		.amdhsa_system_sgpr_private_segment_wavefront_offset 0
		.amdhsa_system_sgpr_workgroup_id_x 1
		.amdhsa_system_sgpr_workgroup_id_y 0
		.amdhsa_system_sgpr_workgroup_id_z 0
		.amdhsa_system_sgpr_workgroup_info 0
		.amdhsa_system_vgpr_workitem_id 1
		.amdhsa_next_free_vgpr 18
		.amdhsa_next_free_sgpr 18
		.amdhsa_accum_offset 20
		.amdhsa_reserve_vcc 1
		.amdhsa_reserve_flat_scratch 0
		.amdhsa_float_round_mode_32 0
		.amdhsa_float_round_mode_16_64 0
		.amdhsa_float_denorm_mode_32 3
		.amdhsa_float_denorm_mode_16_64 3
		.amdhsa_dx10_clamp 1
		.amdhsa_ieee_mode 1
		.amdhsa_fp16_overflow 0
		.amdhsa_tg_split 0
		.amdhsa_exception_fp_ieee_invalid_op 0
		.amdhsa_exception_fp_denorm_src 0
		.amdhsa_exception_fp_ieee_div_zero 0
		.amdhsa_exception_fp_ieee_overflow 0
		.amdhsa_exception_fp_ieee_underflow 0
		.amdhsa_exception_fp_ieee_inexact 0
		.amdhsa_exception_int_div_zero 0
	.end_amdhsa_kernel
	.section	.text._ZN12_GLOBAL__N_120softmax_warp_forwardIfffLi3ELb0ELb1ELi32EEEvPT0_PKT_iiiPKbib,"axG",@progbits,_ZN12_GLOBAL__N_120softmax_warp_forwardIfffLi3ELb0ELb1ELi32EEEvPT0_PKT_iiiPKbib,comdat
.Lfunc_end703:
	.size	_ZN12_GLOBAL__N_120softmax_warp_forwardIfffLi3ELb0ELb1ELi32EEEvPT0_PKT_iiiPKbib, .Lfunc_end703-_ZN12_GLOBAL__N_120softmax_warp_forwardIfffLi3ELb0ELb1ELi32EEEvPT0_PKT_iiiPKbib
                                        ; -- End function
	.section	.AMDGPU.csdata,"",@progbits
; Kernel info:
; codeLenInByte = 1632
; NumSgprs: 22
; NumVgprs: 18
; NumAgprs: 0
; TotalNumVgprs: 18
; ScratchSize: 0
; MemoryBound: 0
; FloatMode: 240
; IeeeMode: 1
; LDSByteSize: 0 bytes/workgroup (compile time only)
; SGPRBlocks: 2
; VGPRBlocks: 2
; NumSGPRsForWavesPerEU: 22
; NumVGPRsForWavesPerEU: 18
; AccumOffset: 20
; Occupancy: 8
; WaveLimiterHint : 0
; COMPUTE_PGM_RSRC2:SCRATCH_EN: 0
; COMPUTE_PGM_RSRC2:USER_SGPR: 6
; COMPUTE_PGM_RSRC2:TRAP_HANDLER: 0
; COMPUTE_PGM_RSRC2:TGID_X_EN: 1
; COMPUTE_PGM_RSRC2:TGID_Y_EN: 0
; COMPUTE_PGM_RSRC2:TGID_Z_EN: 0
; COMPUTE_PGM_RSRC2:TIDIG_COMP_CNT: 1
; COMPUTE_PGM_RSRC3_GFX90A:ACCUM_OFFSET: 4
; COMPUTE_PGM_RSRC3_GFX90A:TG_SPLIT: 0
	.section	.text._ZN12_GLOBAL__N_120softmax_warp_forwardIfffLi4ELb0ELb1ELi64EEEvPT0_PKT_iiiPKbib,"axG",@progbits,_ZN12_GLOBAL__N_120softmax_warp_forwardIfffLi4ELb0ELb1ELi64EEEvPT0_PKT_iiiPKbib,comdat
	.globl	_ZN12_GLOBAL__N_120softmax_warp_forwardIfffLi4ELb0ELb1ELi64EEEvPT0_PKT_iiiPKbib ; -- Begin function _ZN12_GLOBAL__N_120softmax_warp_forwardIfffLi4ELb0ELb1ELi64EEEvPT0_PKT_iiiPKbib
	.p2align	8
	.type	_ZN12_GLOBAL__N_120softmax_warp_forwardIfffLi4ELb0ELb1ELi64EEEvPT0_PKT_iiiPKbib,@function
_ZN12_GLOBAL__N_120softmax_warp_forwardIfffLi4ELb0ELb1ELi64EEEvPT0_PKT_iiiPKbib: ; @_ZN12_GLOBAL__N_120softmax_warp_forwardIfffLi4ELb0ELb1ELi64EEEvPT0_PKT_iiiPKbib
; %bb.0:
	s_load_dwordx2 s[0:1], s[4:5], 0x28
	s_load_dword s2, s[4:5], 0x3c
	s_load_dwordx4 s[8:11], s[4:5], 0x10
	v_bfe_u32 v1, v0, 10, 10
	v_and_b32_e32 v4, 0x3ff, v0
	s_waitcnt lgkmcnt(0)
	s_bitcmp1_b32 s1, 0
	s_cselect_b64 s[16:17], -1, 0
	s_lshr_b32 s2, s2, 16
	s_mul_i32 s6, s6, s2
	v_add_lshl_u32 v5, s6, v1, 1
	v_mul_lo_u32 v6, v5, s9
	v_add_u32_e32 v0, v6, v4
	v_ashrrev_i32_e32 v1, 31, v0
	s_bitcmp0_b32 s1, 0
	v_pk_mov_b32 v[2:3], v[0:1], v[0:1] op_sel:[0,1]
	s_cbranch_scc1 .LBB704_2
; %bb.1:
	s_abs_i32 s1, s0
	v_cvt_f32_u32_e32 v2, s1
	v_xor_b32_e32 v3, s0, v6
	v_sub_u32_e32 v7, 0, v6
	s_sub_i32 s0, 0, s1
	v_rcp_iflag_f32_e32 v2, v2
	v_max_i32_e32 v6, v6, v7
	v_ashrrev_i32_e32 v3, 31, v3
	v_mul_f32_e32 v2, 0x4f7ffffe, v2
	v_cvt_u32_f32_e32 v2, v2
	v_mul_lo_u32 v7, s0, v2
	v_mul_hi_u32 v7, v2, v7
	v_add_u32_e32 v2, v2, v7
	v_mul_hi_u32 v2, v6, v2
	v_mul_lo_u32 v7, v2, s1
	v_sub_u32_e32 v6, v6, v7
	v_add_u32_e32 v8, 1, v2
	v_cmp_le_u32_e32 vcc, s1, v6
	v_subrev_u32_e32 v7, s1, v6
	v_cndmask_b32_e32 v2, v2, v8, vcc
	v_cndmask_b32_e32 v6, v6, v7, vcc
	v_add_u32_e32 v7, 1, v2
	v_cmp_le_u32_e32 vcc, s1, v6
	v_cndmask_b32_e32 v2, v2, v7, vcc
	v_xor_b32_e32 v2, v2, v3
	v_sub_u32_e32 v2, v2, v3
	v_mad_u64_u32 v[2:3], s[0:1], v2, s9, v[4:5]
	v_ashrrev_i32_e32 v3, 31, v2
.LBB704_2:
	s_load_dwordx4 s[12:15], s[4:5], 0x0
	v_lshlrev_b64 v[0:1], 2, v[0:1]
	v_sub_u32_e32 v8, s8, v5
	v_cmp_gt_i32_e64 s[0:1], s10, v4
	v_mov_b32_e32 v9, 0xff800000
	s_waitcnt lgkmcnt(0)
	v_mov_b32_e32 v5, s15
	v_add_co_u32_e32 v6, vcc, s14, v0
	v_addc_co_u32_e32 v7, vcc, v5, v1, vcc
	v_cmp_lt_i32_e32 vcc, 0, v8
	s_and_b64 s[8:9], s[0:1], vcc
	v_mov_b32_e32 v10, 0xff800000
	s_and_saveexec_b64 s[2:3], s[8:9]
	s_cbranch_execz .LBB704_4
; %bb.3:
	global_load_dword v10, v[6:7], off
.LBB704_4:
	s_or_b64 exec, exec, s[2:3]
	v_cmp_lt_i32_e64 s[2:3], 1, v8
	s_and_b64 s[6:7], s[0:1], s[2:3]
	s_and_saveexec_b64 s[14:15], s[6:7]
	s_cbranch_execz .LBB704_6
; %bb.5:
	s_mov_b32 s11, 0
	s_lshl_b64 s[2:3], s[10:11], 2
	v_mov_b32_e32 v5, s3
	v_add_co_u32_e64 v4, s[2:3], s2, v6
	v_addc_co_u32_e64 v5, s[2:3], v7, v5, s[2:3]
	global_load_dword v9, v[4:5], off
.LBB704_6:
	s_or_b64 exec, exec, s[14:15]
	s_load_dwordx2 s[2:3], s[4:5], 0x20
	s_waitcnt lgkmcnt(0)
	v_mov_b32_e32 v4, s3
	v_add_co_u32_e64 v2, s[2:3], s2, v2
	v_addc_co_u32_e64 v3, s[2:3], v4, v3, s[2:3]
	v_mov_b32_e32 v4, 0xff800000
	s_and_saveexec_b64 s[4:5], s[8:9]
	s_cbranch_execz .LBB704_8
; %bb.7:
	global_load_ubyte v4, v[2:3], off
	v_mov_b32_e32 v5, 0xff800000
	s_waitcnt vmcnt(0)
	v_and_b32_e32 v4, 1, v4
	v_cmp_eq_u32_e64 s[2:3], 1, v4
	v_cndmask_b32_e64 v4, v10, v5, s[2:3]
.LBB704_8:
	s_or_b64 exec, exec, s[4:5]
	s_mov_b64 s[4:5], 0
	s_and_saveexec_b64 s[14:15], s[6:7]
	s_cbranch_execz .LBB704_10
; %bb.9:
	s_and_b64 s[2:3], s[16:17], exec
	s_cselect_b32 s2, 0, 0
	s_cselect_b32 s3, 0, s10
	v_mov_b32_e32 v5, s2
	v_add_co_u32_e64 v6, s[2:3], s3, v2
	v_addc_co_u32_e64 v7, s[2:3], v3, v5, s[2:3]
	global_load_ubyte v5, v[6:7], off
	s_waitcnt vmcnt(0)
	v_and_b32_e32 v5, 1, v5
	v_cmp_eq_u32_e64 s[2:3], 1, v5
	s_xor_b64 s[2:3], s[2:3], -1
	s_and_b64 s[4:5], s[2:3], exec
.LBB704_10:
	s_or_b64 exec, exec, s[14:15]
	v_mbcnt_lo_u32_b32 v5, -1, 0
	v_mbcnt_hi_u32_b32 v5, -1, v5
	v_and_b32_e32 v6, 0x70, v5
	v_add_u32_e32 v6, 16, v6
	v_xor_b32_e32 v7, 8, v5
	v_cmp_lt_i32_e64 s[2:3], v7, v6
	v_cndmask_b32_e64 v7, v5, v7, s[2:3]
	v_cndmask_b32_e64 v4, v4, v4, s[4:5]
	v_lshlrev_b32_e32 v7, 2, v7
	ds_bpermute_b32 v11, v7, v4
	v_mov_b32_e32 v12, 0xff800000
	s_waitcnt vmcnt(0)
	v_cndmask_b32_e64 v12, v12, v9, s[4:5]
	ds_bpermute_b32 v13, v7, v12
	s_mov_b32 s14, 0
	s_waitcnt lgkmcnt(1)
	v_cmp_lt_f32_e64 s[2:3], v4, v11
	v_cndmask_b32_e64 v4, v4, v11, s[2:3]
	v_xor_b32_e32 v11, 4, v5
	v_cmp_lt_i32_e64 s[2:3], v11, v6
	v_cndmask_b32_e64 v11, v5, v11, s[2:3]
	v_lshlrev_b32_e32 v11, 2, v11
	ds_bpermute_b32 v14, v11, v4
	s_waitcnt lgkmcnt(1)
	v_cmp_lt_f32_e64 s[2:3], v12, v13
	v_cndmask_b32_e64 v13, v12, v13, s[2:3]
	v_xor_b32_e32 v12, 2, v5
	s_mov_b32 s15, s14
	s_waitcnt lgkmcnt(0)
	v_cmp_lt_f32_e64 s[2:3], v4, v14
	v_cndmask_b32_e64 v4, v4, v14, s[2:3]
	ds_bpermute_b32 v14, v11, v13
	v_cmp_lt_i32_e64 s[2:3], v12, v6
	v_cndmask_b32_e64 v12, v5, v12, s[2:3]
	v_lshlrev_b32_e32 v12, 2, v12
	ds_bpermute_b32 v15, v12, v4
	s_waitcnt lgkmcnt(1)
	v_cmp_lt_f32_e64 s[2:3], v13, v14
	v_cndmask_b32_e64 v13, v13, v14, s[2:3]
	ds_bpermute_b32 v14, v12, v13
	s_waitcnt lgkmcnt(1)
	v_cmp_lt_f32_e64 s[2:3], v4, v15
	v_cndmask_b32_e64 v17, v4, v15, s[2:3]
	v_xor_b32_e32 v4, 1, v5
	s_waitcnt lgkmcnt(0)
	v_cmp_lt_f32_e64 s[2:3], v13, v14
	v_cndmask_b32_e64 v15, v13, v14, s[2:3]
	v_cmp_lt_i32_e64 s[2:3], v4, v6
	v_cndmask_b32_e64 v4, v5, v4, s[2:3]
	v_lshlrev_b32_e32 v13, 2, v4
	ds_bpermute_b32 v18, v13, v17
	ds_bpermute_b32 v16, v13, v15
	v_mov_b32_e32 v6, 0
	v_pk_mov_b32 v[4:5], s[14:15], s[14:15] op_sel:[0,1]
	v_mov_b32_e32 v14, 0
	s_and_saveexec_b64 s[4:5], s[8:9]
	s_cbranch_execz .LBB704_14
; %bb.11:
	global_load_ubyte v14, v[2:3], off
	v_pk_mov_b32 v[4:5], s[14:15], s[14:15] op_sel:[0,1]
	s_waitcnt vmcnt(0)
	v_and_b32_e32 v14, 1, v14
	v_cmp_eq_u32_e64 s[2:3], 1, v14
	s_xor_b64 s[2:3], s[2:3], -1
	v_mov_b32_e32 v14, 0
	s_and_saveexec_b64 s[8:9], s[2:3]
	s_cbranch_execz .LBB704_13
; %bb.12:
	s_waitcnt lgkmcnt(1)
	v_cmp_lt_f32_e64 s[2:3], v17, v18
	v_cndmask_b32_e64 v4, v17, v18, s[2:3]
	v_sub_f32_e32 v4, v10, v4
	s_mov_b32 s2, 0x3fb8aa3b
	v_mul_f32_e32 v5, 0x3fb8aa3b, v4
	v_fma_f32 v10, v4, s2, -v5
	v_rndne_f32_e32 v14, v5
	v_fmac_f32_e32 v10, 0x32a5705f, v4
	v_sub_f32_e32 v5, v5, v14
	v_add_f32_e32 v5, v5, v10
	v_exp_f32_e32 v5, v5
	v_cvt_i32_f32_e32 v10, v14
	s_mov_b32 s2, 0xc2ce8ed0
	v_cmp_ngt_f32_e64 s[2:3], s2, v4
	v_mov_b32_e32 v14, 0x7f800000
	v_ldexp_f32 v10, v5, v10
	v_cndmask_b32_e64 v10, 0, v10, s[2:3]
	s_mov_b32 s2, 0x42b17218
	v_cmp_nlt_f32_e64 s[2:3], s2, v4
	v_cndmask_b32_e64 v4, v14, v10, s[2:3]
	v_mov_b32_e32 v5, 0
	v_mov_b32_e32 v14, v4
.LBB704_13:
	s_or_b64 exec, exec, s[8:9]
.LBB704_14:
	s_or_b64 exec, exec, s[4:5]
	s_and_saveexec_b64 s[4:5], s[6:7]
	s_cbranch_execz .LBB704_18
; %bb.15:
	s_and_b64 s[2:3], s[16:17], exec
	s_cselect_b32 s2, 0, 0
	s_cselect_b32 s3, 0, s10
	v_mov_b32_e32 v6, s2
	v_add_co_u32_e64 v2, s[2:3], s3, v2
	v_addc_co_u32_e64 v3, s[2:3], v3, v6, s[2:3]
	global_load_ubyte v2, v[2:3], off
	v_mov_b32_e32 v6, 0
	s_waitcnt vmcnt(0)
	v_and_b32_e32 v2, 1, v2
	v_cmp_eq_u32_e64 s[2:3], 1, v2
	s_xor_b64 s[2:3], s[2:3], -1
	s_and_saveexec_b64 s[6:7], s[2:3]
	s_cbranch_execz .LBB704_17
; %bb.16:
	s_waitcnt lgkmcnt(0)
	v_cmp_lt_f32_e64 s[2:3], v15, v16
	v_cndmask_b32_e64 v2, v15, v16, s[2:3]
	v_sub_f32_e32 v2, v9, v2
	s_mov_b32 s2, 0x3fb8aa3b
	v_mul_f32_e32 v3, 0x3fb8aa3b, v2
	v_fma_f32 v6, v2, s2, -v3
	v_rndne_f32_e32 v9, v3
	v_fmac_f32_e32 v6, 0x32a5705f, v2
	v_sub_f32_e32 v3, v3, v9
	v_add_f32_e32 v3, v3, v6
	v_exp_f32_e32 v3, v3
	v_cvt_i32_f32_e32 v6, v9
	s_mov_b32 s2, 0xc2ce8ed0
	v_cmp_ngt_f32_e64 s[2:3], s2, v2
	v_ldexp_f32 v3, v3, v6
	v_cndmask_b32_e64 v3, 0, v3, s[2:3]
	s_mov_b32 s2, 0x42b17218
	v_mov_b32_e32 v6, 0x7f800000
	v_cmp_nlt_f32_e64 s[2:3], s2, v2
	v_cndmask_b32_e64 v6, v6, v3, s[2:3]
	v_add_f32_e32 v5, v5, v6
.LBB704_17:
	s_or_b64 exec, exec, s[6:7]
.LBB704_18:
	s_or_b64 exec, exec, s[4:5]
	ds_bpermute_b32 v2, v7, v4
	ds_bpermute_b32 v3, v7, v5
	s_waitcnt lgkmcnt(0)
	v_pk_add_f32 v[2:3], v[4:5], v[2:3]
	ds_bpermute_b32 v4, v11, v2
	ds_bpermute_b32 v5, v11, v3
	s_waitcnt lgkmcnt(0)
	v_pk_add_f32 v[2:3], v[2:3], v[4:5]
	ds_bpermute_b32 v4, v12, v2
	ds_bpermute_b32 v5, v12, v3
	s_waitcnt lgkmcnt(0)
	v_pk_add_f32 v[2:3], v[2:3], v[4:5]
	ds_bpermute_b32 v4, v13, v2
	ds_bpermute_b32 v5, v13, v3
	s_and_saveexec_b64 s[2:3], vcc
	s_cbranch_execz .LBB704_24
; %bb.19:
	s_waitcnt lgkmcnt(0)
	v_pk_add_f32 v[2:3], v[2:3], v[4:5]
	v_mov_b32_e32 v4, s13
	v_add_co_u32_e32 v0, vcc, s12, v0
	v_addc_co_u32_e32 v1, vcc, v4, v1, vcc
	s_and_saveexec_b64 s[2:3], s[0:1]
	s_cbranch_execz .LBB704_21
; %bb.20:
	v_div_scale_f32 v4, s[4:5], v2, v2, v14
	v_rcp_f32_e32 v5, v4
	v_div_scale_f32 v7, vcc, v14, v2, v14
	v_fma_f32 v9, -v4, v5, 1.0
	v_fmac_f32_e32 v5, v9, v5
	v_mul_f32_e32 v9, v7, v5
	v_fma_f32 v10, -v4, v9, v7
	v_fmac_f32_e32 v9, v10, v5
	v_fma_f32 v4, -v4, v9, v7
	v_div_fmas_f32 v4, v4, v5, v9
	v_div_fixup_f32 v4, v4, v2, v14
	v_mov_b32_e32 v5, 0x7fc00000
	v_cmp_neq_f32_e32 vcc, 0, v2
	v_cndmask_b32_e32 v2, v5, v4, vcc
	global_store_dword v[0:1], v2, off
.LBB704_21:
	s_or_b64 exec, exec, s[2:3]
	v_cmp_ne_u32_e32 vcc, 1, v8
	s_and_b64 exec, exec, vcc
	s_cbranch_execz .LBB704_24
; %bb.22:
	s_and_b64 exec, exec, s[0:1]
	s_cbranch_execz .LBB704_24
; %bb.23:
	v_div_scale_f32 v2, s[0:1], v3, v3, v6
	v_rcp_f32_e32 v4, v2
	v_div_scale_f32 v5, vcc, v6, v3, v6
	s_mov_b32 s11, 0
	v_fma_f32 v7, -v2, v4, 1.0
	v_fmac_f32_e32 v4, v7, v4
	v_mul_f32_e32 v7, v5, v4
	v_fma_f32 v8, -v2, v7, v5
	v_fmac_f32_e32 v7, v8, v4
	v_fma_f32 v2, -v2, v7, v5
	s_lshl_b64 s[0:1], s[10:11], 2
	v_div_fmas_f32 v2, v2, v4, v7
	v_mov_b32_e32 v4, s1
	v_add_co_u32_e32 v0, vcc, s0, v0
	v_addc_co_u32_e32 v1, vcc, v1, v4, vcc
	v_div_fixup_f32 v2, v2, v3, v6
	v_mov_b32_e32 v4, 0x7fc00000
	v_cmp_neq_f32_e32 vcc, 0, v3
	v_cndmask_b32_e32 v2, v4, v2, vcc
	global_store_dword v[0:1], v2, off
.LBB704_24:
	s_endpgm
	.section	.rodata,"a",@progbits
	.p2align	6, 0x0
	.amdhsa_kernel _ZN12_GLOBAL__N_120softmax_warp_forwardIfffLi4ELb0ELb1ELi64EEEvPT0_PKT_iiiPKbib
		.amdhsa_group_segment_fixed_size 0
		.amdhsa_private_segment_fixed_size 0
		.amdhsa_kernarg_size 304
		.amdhsa_user_sgpr_count 6
		.amdhsa_user_sgpr_private_segment_buffer 1
		.amdhsa_user_sgpr_dispatch_ptr 0
		.amdhsa_user_sgpr_queue_ptr 0
		.amdhsa_user_sgpr_kernarg_segment_ptr 1
		.amdhsa_user_sgpr_dispatch_id 0
		.amdhsa_user_sgpr_flat_scratch_init 0
		.amdhsa_user_sgpr_kernarg_preload_length 0
		.amdhsa_user_sgpr_kernarg_preload_offset 0
		.amdhsa_user_sgpr_private_segment_size 0
		.amdhsa_uses_dynamic_stack 0
		.amdhsa_system_sgpr_private_segment_wavefront_offset 0
		.amdhsa_system_sgpr_workgroup_id_x 1
		.amdhsa_system_sgpr_workgroup_id_y 0
		.amdhsa_system_sgpr_workgroup_id_z 0
		.amdhsa_system_sgpr_workgroup_info 0
		.amdhsa_system_vgpr_workitem_id 1
		.amdhsa_next_free_vgpr 19
		.amdhsa_next_free_sgpr 18
		.amdhsa_accum_offset 20
		.amdhsa_reserve_vcc 1
		.amdhsa_reserve_flat_scratch 0
		.amdhsa_float_round_mode_32 0
		.amdhsa_float_round_mode_16_64 0
		.amdhsa_float_denorm_mode_32 3
		.amdhsa_float_denorm_mode_16_64 3
		.amdhsa_dx10_clamp 1
		.amdhsa_ieee_mode 1
		.amdhsa_fp16_overflow 0
		.amdhsa_tg_split 0
		.amdhsa_exception_fp_ieee_invalid_op 0
		.amdhsa_exception_fp_denorm_src 0
		.amdhsa_exception_fp_ieee_div_zero 0
		.amdhsa_exception_fp_ieee_overflow 0
		.amdhsa_exception_fp_ieee_underflow 0
		.amdhsa_exception_fp_ieee_inexact 0
		.amdhsa_exception_int_div_zero 0
	.end_amdhsa_kernel
	.section	.text._ZN12_GLOBAL__N_120softmax_warp_forwardIfffLi4ELb0ELb1ELi64EEEvPT0_PKT_iiiPKbib,"axG",@progbits,_ZN12_GLOBAL__N_120softmax_warp_forwardIfffLi4ELb0ELb1ELi64EEEvPT0_PKT_iiiPKbib,comdat
.Lfunc_end704:
	.size	_ZN12_GLOBAL__N_120softmax_warp_forwardIfffLi4ELb0ELb1ELi64EEEvPT0_PKT_iiiPKbib, .Lfunc_end704-_ZN12_GLOBAL__N_120softmax_warp_forwardIfffLi4ELb0ELb1ELi64EEEvPT0_PKT_iiiPKbib
                                        ; -- End function
	.section	.AMDGPU.csdata,"",@progbits
; Kernel info:
; codeLenInByte = 1740
; NumSgprs: 22
; NumVgprs: 19
; NumAgprs: 0
; TotalNumVgprs: 19
; ScratchSize: 0
; MemoryBound: 0
; FloatMode: 240
; IeeeMode: 1
; LDSByteSize: 0 bytes/workgroup (compile time only)
; SGPRBlocks: 2
; VGPRBlocks: 2
; NumSGPRsForWavesPerEU: 22
; NumVGPRsForWavesPerEU: 19
; AccumOffset: 20
; Occupancy: 8
; WaveLimiterHint : 0
; COMPUTE_PGM_RSRC2:SCRATCH_EN: 0
; COMPUTE_PGM_RSRC2:USER_SGPR: 6
; COMPUTE_PGM_RSRC2:TRAP_HANDLER: 0
; COMPUTE_PGM_RSRC2:TGID_X_EN: 1
; COMPUTE_PGM_RSRC2:TGID_Y_EN: 0
; COMPUTE_PGM_RSRC2:TGID_Z_EN: 0
; COMPUTE_PGM_RSRC2:TIDIG_COMP_CNT: 1
; COMPUTE_PGM_RSRC3_GFX90A:ACCUM_OFFSET: 4
; COMPUTE_PGM_RSRC3_GFX90A:TG_SPLIT: 0
	.section	.text._ZN12_GLOBAL__N_120softmax_warp_forwardIfffLi4ELb0ELb1ELi32EEEvPT0_PKT_iiiPKbib,"axG",@progbits,_ZN12_GLOBAL__N_120softmax_warp_forwardIfffLi4ELb0ELb1ELi32EEEvPT0_PKT_iiiPKbib,comdat
	.globl	_ZN12_GLOBAL__N_120softmax_warp_forwardIfffLi4ELb0ELb1ELi32EEEvPT0_PKT_iiiPKbib ; -- Begin function _ZN12_GLOBAL__N_120softmax_warp_forwardIfffLi4ELb0ELb1ELi32EEEvPT0_PKT_iiiPKbib
	.p2align	8
	.type	_ZN12_GLOBAL__N_120softmax_warp_forwardIfffLi4ELb0ELb1ELi32EEEvPT0_PKT_iiiPKbib,@function
_ZN12_GLOBAL__N_120softmax_warp_forwardIfffLi4ELb0ELb1ELi32EEEvPT0_PKT_iiiPKbib: ; @_ZN12_GLOBAL__N_120softmax_warp_forwardIfffLi4ELb0ELb1ELi32EEEvPT0_PKT_iiiPKbib
; %bb.0:
	s_load_dwordx2 s[0:1], s[4:5], 0x28
	s_load_dword s2, s[4:5], 0x3c
	s_load_dwordx4 s[8:11], s[4:5], 0x10
	v_bfe_u32 v1, v0, 10, 10
	v_and_b32_e32 v4, 0x3ff, v0
	s_waitcnt lgkmcnt(0)
	s_bitcmp1_b32 s1, 0
	s_cselect_b64 s[16:17], -1, 0
	s_lshr_b32 s2, s2, 16
	s_mul_i32 s6, s6, s2
	v_add_lshl_u32 v5, s6, v1, 1
	v_mul_lo_u32 v6, v5, s9
	v_add_u32_e32 v0, v6, v4
	v_ashrrev_i32_e32 v1, 31, v0
	s_bitcmp0_b32 s1, 0
	v_pk_mov_b32 v[2:3], v[0:1], v[0:1] op_sel:[0,1]
	s_cbranch_scc1 .LBB705_2
; %bb.1:
	s_abs_i32 s1, s0
	v_cvt_f32_u32_e32 v2, s1
	v_xor_b32_e32 v3, s0, v6
	v_sub_u32_e32 v7, 0, v6
	s_sub_i32 s0, 0, s1
	v_rcp_iflag_f32_e32 v2, v2
	v_max_i32_e32 v6, v6, v7
	v_ashrrev_i32_e32 v3, 31, v3
	v_mul_f32_e32 v2, 0x4f7ffffe, v2
	v_cvt_u32_f32_e32 v2, v2
	v_mul_lo_u32 v7, s0, v2
	v_mul_hi_u32 v7, v2, v7
	v_add_u32_e32 v2, v2, v7
	v_mul_hi_u32 v2, v6, v2
	v_mul_lo_u32 v7, v2, s1
	v_sub_u32_e32 v6, v6, v7
	v_add_u32_e32 v8, 1, v2
	v_cmp_le_u32_e32 vcc, s1, v6
	v_subrev_u32_e32 v7, s1, v6
	v_cndmask_b32_e32 v2, v2, v8, vcc
	v_cndmask_b32_e32 v6, v6, v7, vcc
	v_add_u32_e32 v7, 1, v2
	v_cmp_le_u32_e32 vcc, s1, v6
	v_cndmask_b32_e32 v2, v2, v7, vcc
	v_xor_b32_e32 v2, v2, v3
	v_sub_u32_e32 v2, v2, v3
	v_mad_u64_u32 v[2:3], s[0:1], v2, s9, v[4:5]
	v_ashrrev_i32_e32 v3, 31, v2
.LBB705_2:
	s_load_dwordx4 s[12:15], s[4:5], 0x0
	v_lshlrev_b64 v[0:1], 2, v[0:1]
	v_sub_u32_e32 v8, s8, v5
	v_cmp_gt_i32_e64 s[0:1], s10, v4
	v_mov_b32_e32 v9, 0xff800000
	s_waitcnt lgkmcnt(0)
	v_mov_b32_e32 v5, s15
	v_add_co_u32_e32 v6, vcc, s14, v0
	v_addc_co_u32_e32 v7, vcc, v5, v1, vcc
	v_cmp_lt_i32_e32 vcc, 0, v8
	s_and_b64 s[8:9], s[0:1], vcc
	v_mov_b32_e32 v10, 0xff800000
	s_and_saveexec_b64 s[2:3], s[8:9]
	s_cbranch_execz .LBB705_4
; %bb.3:
	global_load_dword v10, v[6:7], off
.LBB705_4:
	s_or_b64 exec, exec, s[2:3]
	v_cmp_lt_i32_e64 s[2:3], 1, v8
	s_and_b64 s[6:7], s[0:1], s[2:3]
	s_and_saveexec_b64 s[14:15], s[6:7]
	s_cbranch_execz .LBB705_6
; %bb.5:
	s_mov_b32 s11, 0
	s_lshl_b64 s[2:3], s[10:11], 2
	v_mov_b32_e32 v5, s3
	v_add_co_u32_e64 v4, s[2:3], s2, v6
	v_addc_co_u32_e64 v5, s[2:3], v7, v5, s[2:3]
	global_load_dword v9, v[4:5], off
.LBB705_6:
	s_or_b64 exec, exec, s[14:15]
	s_load_dwordx2 s[2:3], s[4:5], 0x20
	s_waitcnt lgkmcnt(0)
	v_mov_b32_e32 v4, s3
	v_add_co_u32_e64 v2, s[2:3], s2, v2
	v_addc_co_u32_e64 v3, s[2:3], v4, v3, s[2:3]
	v_mov_b32_e32 v4, 0xff800000
	s_and_saveexec_b64 s[4:5], s[8:9]
	s_cbranch_execz .LBB705_8
; %bb.7:
	global_load_ubyte v4, v[2:3], off
	v_mov_b32_e32 v5, 0xff800000
	s_waitcnt vmcnt(0)
	v_and_b32_e32 v4, 1, v4
	v_cmp_eq_u32_e64 s[2:3], 1, v4
	v_cndmask_b32_e64 v4, v10, v5, s[2:3]
.LBB705_8:
	s_or_b64 exec, exec, s[4:5]
	s_mov_b64 s[4:5], 0
	s_and_saveexec_b64 s[14:15], s[6:7]
	s_cbranch_execz .LBB705_10
; %bb.9:
	s_and_b64 s[2:3], s[16:17], exec
	s_cselect_b32 s2, 0, 0
	s_cselect_b32 s3, 0, s10
	v_mov_b32_e32 v5, s2
	v_add_co_u32_e64 v6, s[2:3], s3, v2
	v_addc_co_u32_e64 v7, s[2:3], v3, v5, s[2:3]
	global_load_ubyte v5, v[6:7], off
	s_waitcnt vmcnt(0)
	v_and_b32_e32 v5, 1, v5
	v_cmp_eq_u32_e64 s[2:3], 1, v5
	s_xor_b64 s[2:3], s[2:3], -1
	s_and_b64 s[4:5], s[2:3], exec
.LBB705_10:
	s_or_b64 exec, exec, s[14:15]
	v_mbcnt_lo_u32_b32 v5, -1, 0
	v_mbcnt_hi_u32_b32 v5, -1, v5
	v_and_b32_e32 v6, 0x70, v5
	v_add_u32_e32 v6, 16, v6
	v_xor_b32_e32 v7, 8, v5
	v_cmp_lt_i32_e64 s[2:3], v7, v6
	v_cndmask_b32_e64 v7, v5, v7, s[2:3]
	v_cndmask_b32_e64 v4, v4, v4, s[4:5]
	v_lshlrev_b32_e32 v7, 2, v7
	ds_bpermute_b32 v11, v7, v4
	v_mov_b32_e32 v12, 0xff800000
	s_waitcnt vmcnt(0)
	v_cndmask_b32_e64 v12, v12, v9, s[4:5]
	ds_bpermute_b32 v13, v7, v12
	s_mov_b32 s14, 0
	s_waitcnt lgkmcnt(1)
	v_cmp_lt_f32_e64 s[2:3], v4, v11
	v_cndmask_b32_e64 v4, v4, v11, s[2:3]
	v_xor_b32_e32 v11, 4, v5
	v_cmp_lt_i32_e64 s[2:3], v11, v6
	v_cndmask_b32_e64 v11, v5, v11, s[2:3]
	v_lshlrev_b32_e32 v11, 2, v11
	ds_bpermute_b32 v14, v11, v4
	s_waitcnt lgkmcnt(1)
	v_cmp_lt_f32_e64 s[2:3], v12, v13
	v_cndmask_b32_e64 v13, v12, v13, s[2:3]
	v_xor_b32_e32 v12, 2, v5
	s_mov_b32 s15, s14
	s_waitcnt lgkmcnt(0)
	v_cmp_lt_f32_e64 s[2:3], v4, v14
	v_cndmask_b32_e64 v4, v4, v14, s[2:3]
	ds_bpermute_b32 v14, v11, v13
	v_cmp_lt_i32_e64 s[2:3], v12, v6
	v_cndmask_b32_e64 v12, v5, v12, s[2:3]
	v_lshlrev_b32_e32 v12, 2, v12
	ds_bpermute_b32 v15, v12, v4
	s_waitcnt lgkmcnt(1)
	v_cmp_lt_f32_e64 s[2:3], v13, v14
	v_cndmask_b32_e64 v13, v13, v14, s[2:3]
	ds_bpermute_b32 v14, v12, v13
	s_waitcnt lgkmcnt(1)
	v_cmp_lt_f32_e64 s[2:3], v4, v15
	v_cndmask_b32_e64 v17, v4, v15, s[2:3]
	v_xor_b32_e32 v4, 1, v5
	s_waitcnt lgkmcnt(0)
	v_cmp_lt_f32_e64 s[2:3], v13, v14
	v_cndmask_b32_e64 v15, v13, v14, s[2:3]
	v_cmp_lt_i32_e64 s[2:3], v4, v6
	v_cndmask_b32_e64 v4, v5, v4, s[2:3]
	v_lshlrev_b32_e32 v13, 2, v4
	ds_bpermute_b32 v18, v13, v17
	ds_bpermute_b32 v16, v13, v15
	v_mov_b32_e32 v6, 0
	v_pk_mov_b32 v[4:5], s[14:15], s[14:15] op_sel:[0,1]
	v_mov_b32_e32 v14, 0
	s_and_saveexec_b64 s[4:5], s[8:9]
	s_cbranch_execz .LBB705_14
; %bb.11:
	global_load_ubyte v14, v[2:3], off
	v_pk_mov_b32 v[4:5], s[14:15], s[14:15] op_sel:[0,1]
	s_waitcnt vmcnt(0)
	v_and_b32_e32 v14, 1, v14
	v_cmp_eq_u32_e64 s[2:3], 1, v14
	s_xor_b64 s[2:3], s[2:3], -1
	v_mov_b32_e32 v14, 0
	s_and_saveexec_b64 s[8:9], s[2:3]
	s_cbranch_execz .LBB705_13
; %bb.12:
	s_waitcnt lgkmcnt(1)
	v_cmp_lt_f32_e64 s[2:3], v17, v18
	v_cndmask_b32_e64 v4, v17, v18, s[2:3]
	v_sub_f32_e32 v4, v10, v4
	s_mov_b32 s2, 0x3fb8aa3b
	v_mul_f32_e32 v5, 0x3fb8aa3b, v4
	v_fma_f32 v10, v4, s2, -v5
	v_rndne_f32_e32 v14, v5
	v_fmac_f32_e32 v10, 0x32a5705f, v4
	v_sub_f32_e32 v5, v5, v14
	v_add_f32_e32 v5, v5, v10
	v_exp_f32_e32 v5, v5
	v_cvt_i32_f32_e32 v10, v14
	s_mov_b32 s2, 0xc2ce8ed0
	v_cmp_ngt_f32_e64 s[2:3], s2, v4
	v_mov_b32_e32 v14, 0x7f800000
	v_ldexp_f32 v10, v5, v10
	v_cndmask_b32_e64 v10, 0, v10, s[2:3]
	s_mov_b32 s2, 0x42b17218
	v_cmp_nlt_f32_e64 s[2:3], s2, v4
	v_cndmask_b32_e64 v4, v14, v10, s[2:3]
	v_mov_b32_e32 v5, 0
	v_mov_b32_e32 v14, v4
.LBB705_13:
	s_or_b64 exec, exec, s[8:9]
.LBB705_14:
	s_or_b64 exec, exec, s[4:5]
	s_and_saveexec_b64 s[4:5], s[6:7]
	s_cbranch_execz .LBB705_18
; %bb.15:
	s_and_b64 s[2:3], s[16:17], exec
	s_cselect_b32 s2, 0, 0
	s_cselect_b32 s3, 0, s10
	v_mov_b32_e32 v6, s2
	v_add_co_u32_e64 v2, s[2:3], s3, v2
	v_addc_co_u32_e64 v3, s[2:3], v3, v6, s[2:3]
	global_load_ubyte v2, v[2:3], off
	v_mov_b32_e32 v6, 0
	s_waitcnt vmcnt(0)
	v_and_b32_e32 v2, 1, v2
	v_cmp_eq_u32_e64 s[2:3], 1, v2
	s_xor_b64 s[2:3], s[2:3], -1
	s_and_saveexec_b64 s[6:7], s[2:3]
	s_cbranch_execz .LBB705_17
; %bb.16:
	s_waitcnt lgkmcnt(0)
	v_cmp_lt_f32_e64 s[2:3], v15, v16
	v_cndmask_b32_e64 v2, v15, v16, s[2:3]
	v_sub_f32_e32 v2, v9, v2
	s_mov_b32 s2, 0x3fb8aa3b
	v_mul_f32_e32 v3, 0x3fb8aa3b, v2
	v_fma_f32 v6, v2, s2, -v3
	v_rndne_f32_e32 v9, v3
	v_fmac_f32_e32 v6, 0x32a5705f, v2
	v_sub_f32_e32 v3, v3, v9
	v_add_f32_e32 v3, v3, v6
	v_exp_f32_e32 v3, v3
	v_cvt_i32_f32_e32 v6, v9
	s_mov_b32 s2, 0xc2ce8ed0
	v_cmp_ngt_f32_e64 s[2:3], s2, v2
	v_ldexp_f32 v3, v3, v6
	v_cndmask_b32_e64 v3, 0, v3, s[2:3]
	s_mov_b32 s2, 0x42b17218
	v_mov_b32_e32 v6, 0x7f800000
	v_cmp_nlt_f32_e64 s[2:3], s2, v2
	v_cndmask_b32_e64 v6, v6, v3, s[2:3]
	v_add_f32_e32 v5, v5, v6
.LBB705_17:
	s_or_b64 exec, exec, s[6:7]
.LBB705_18:
	s_or_b64 exec, exec, s[4:5]
	ds_bpermute_b32 v2, v7, v4
	ds_bpermute_b32 v3, v7, v5
	s_waitcnt lgkmcnt(0)
	v_pk_add_f32 v[2:3], v[4:5], v[2:3]
	ds_bpermute_b32 v4, v11, v2
	ds_bpermute_b32 v5, v11, v3
	s_waitcnt lgkmcnt(0)
	v_pk_add_f32 v[2:3], v[2:3], v[4:5]
	;; [unrolled: 4-line block ×3, first 2 shown]
	ds_bpermute_b32 v4, v13, v2
	ds_bpermute_b32 v5, v13, v3
	s_and_saveexec_b64 s[2:3], vcc
	s_cbranch_execz .LBB705_24
; %bb.19:
	s_waitcnt lgkmcnt(0)
	v_pk_add_f32 v[2:3], v[2:3], v[4:5]
	v_mov_b32_e32 v4, s13
	v_add_co_u32_e32 v0, vcc, s12, v0
	v_addc_co_u32_e32 v1, vcc, v4, v1, vcc
	s_and_saveexec_b64 s[2:3], s[0:1]
	s_cbranch_execz .LBB705_21
; %bb.20:
	v_div_scale_f32 v4, s[4:5], v2, v2, v14
	v_rcp_f32_e32 v5, v4
	v_div_scale_f32 v7, vcc, v14, v2, v14
	v_fma_f32 v9, -v4, v5, 1.0
	v_fmac_f32_e32 v5, v9, v5
	v_mul_f32_e32 v9, v7, v5
	v_fma_f32 v10, -v4, v9, v7
	v_fmac_f32_e32 v9, v10, v5
	v_fma_f32 v4, -v4, v9, v7
	v_div_fmas_f32 v4, v4, v5, v9
	v_div_fixup_f32 v4, v4, v2, v14
	v_mov_b32_e32 v5, 0x7fc00000
	v_cmp_neq_f32_e32 vcc, 0, v2
	v_cndmask_b32_e32 v2, v5, v4, vcc
	global_store_dword v[0:1], v2, off
.LBB705_21:
	s_or_b64 exec, exec, s[2:3]
	v_cmp_ne_u32_e32 vcc, 1, v8
	s_and_b64 exec, exec, vcc
	s_cbranch_execz .LBB705_24
; %bb.22:
	s_and_b64 exec, exec, s[0:1]
	s_cbranch_execz .LBB705_24
; %bb.23:
	v_div_scale_f32 v2, s[0:1], v3, v3, v6
	v_rcp_f32_e32 v4, v2
	v_div_scale_f32 v5, vcc, v6, v3, v6
	s_mov_b32 s11, 0
	v_fma_f32 v7, -v2, v4, 1.0
	v_fmac_f32_e32 v4, v7, v4
	v_mul_f32_e32 v7, v5, v4
	v_fma_f32 v8, -v2, v7, v5
	v_fmac_f32_e32 v7, v8, v4
	v_fma_f32 v2, -v2, v7, v5
	s_lshl_b64 s[0:1], s[10:11], 2
	v_div_fmas_f32 v2, v2, v4, v7
	v_mov_b32_e32 v4, s1
	v_add_co_u32_e32 v0, vcc, s0, v0
	v_addc_co_u32_e32 v1, vcc, v1, v4, vcc
	v_div_fixup_f32 v2, v2, v3, v6
	v_mov_b32_e32 v4, 0x7fc00000
	v_cmp_neq_f32_e32 vcc, 0, v3
	v_cndmask_b32_e32 v2, v4, v2, vcc
	global_store_dword v[0:1], v2, off
.LBB705_24:
	s_endpgm
	.section	.rodata,"a",@progbits
	.p2align	6, 0x0
	.amdhsa_kernel _ZN12_GLOBAL__N_120softmax_warp_forwardIfffLi4ELb0ELb1ELi32EEEvPT0_PKT_iiiPKbib
		.amdhsa_group_segment_fixed_size 0
		.amdhsa_private_segment_fixed_size 0
		.amdhsa_kernarg_size 304
		.amdhsa_user_sgpr_count 6
		.amdhsa_user_sgpr_private_segment_buffer 1
		.amdhsa_user_sgpr_dispatch_ptr 0
		.amdhsa_user_sgpr_queue_ptr 0
		.amdhsa_user_sgpr_kernarg_segment_ptr 1
		.amdhsa_user_sgpr_dispatch_id 0
		.amdhsa_user_sgpr_flat_scratch_init 0
		.amdhsa_user_sgpr_kernarg_preload_length 0
		.amdhsa_user_sgpr_kernarg_preload_offset 0
		.amdhsa_user_sgpr_private_segment_size 0
		.amdhsa_uses_dynamic_stack 0
		.amdhsa_system_sgpr_private_segment_wavefront_offset 0
		.amdhsa_system_sgpr_workgroup_id_x 1
		.amdhsa_system_sgpr_workgroup_id_y 0
		.amdhsa_system_sgpr_workgroup_id_z 0
		.amdhsa_system_sgpr_workgroup_info 0
		.amdhsa_system_vgpr_workitem_id 1
		.amdhsa_next_free_vgpr 19
		.amdhsa_next_free_sgpr 18
		.amdhsa_accum_offset 20
		.amdhsa_reserve_vcc 1
		.amdhsa_reserve_flat_scratch 0
		.amdhsa_float_round_mode_32 0
		.amdhsa_float_round_mode_16_64 0
		.amdhsa_float_denorm_mode_32 3
		.amdhsa_float_denorm_mode_16_64 3
		.amdhsa_dx10_clamp 1
		.amdhsa_ieee_mode 1
		.amdhsa_fp16_overflow 0
		.amdhsa_tg_split 0
		.amdhsa_exception_fp_ieee_invalid_op 0
		.amdhsa_exception_fp_denorm_src 0
		.amdhsa_exception_fp_ieee_div_zero 0
		.amdhsa_exception_fp_ieee_overflow 0
		.amdhsa_exception_fp_ieee_underflow 0
		.amdhsa_exception_fp_ieee_inexact 0
		.amdhsa_exception_int_div_zero 0
	.end_amdhsa_kernel
	.section	.text._ZN12_GLOBAL__N_120softmax_warp_forwardIfffLi4ELb0ELb1ELi32EEEvPT0_PKT_iiiPKbib,"axG",@progbits,_ZN12_GLOBAL__N_120softmax_warp_forwardIfffLi4ELb0ELb1ELi32EEEvPT0_PKT_iiiPKbib,comdat
.Lfunc_end705:
	.size	_ZN12_GLOBAL__N_120softmax_warp_forwardIfffLi4ELb0ELb1ELi32EEEvPT0_PKT_iiiPKbib, .Lfunc_end705-_ZN12_GLOBAL__N_120softmax_warp_forwardIfffLi4ELb0ELb1ELi32EEEvPT0_PKT_iiiPKbib
                                        ; -- End function
	.section	.AMDGPU.csdata,"",@progbits
; Kernel info:
; codeLenInByte = 1740
; NumSgprs: 22
; NumVgprs: 19
; NumAgprs: 0
; TotalNumVgprs: 19
; ScratchSize: 0
; MemoryBound: 0
; FloatMode: 240
; IeeeMode: 1
; LDSByteSize: 0 bytes/workgroup (compile time only)
; SGPRBlocks: 2
; VGPRBlocks: 2
; NumSGPRsForWavesPerEU: 22
; NumVGPRsForWavesPerEU: 19
; AccumOffset: 20
; Occupancy: 8
; WaveLimiterHint : 0
; COMPUTE_PGM_RSRC2:SCRATCH_EN: 0
; COMPUTE_PGM_RSRC2:USER_SGPR: 6
; COMPUTE_PGM_RSRC2:TRAP_HANDLER: 0
; COMPUTE_PGM_RSRC2:TGID_X_EN: 1
; COMPUTE_PGM_RSRC2:TGID_Y_EN: 0
; COMPUTE_PGM_RSRC2:TGID_Z_EN: 0
; COMPUTE_PGM_RSRC2:TIDIG_COMP_CNT: 1
; COMPUTE_PGM_RSRC3_GFX90A:ACCUM_OFFSET: 4
; COMPUTE_PGM_RSRC3_GFX90A:TG_SPLIT: 0
	.section	.text._ZN12_GLOBAL__N_120softmax_warp_forwardIfffLi5ELb0ELb1ELi64EEEvPT0_PKT_iiiPKbib,"axG",@progbits,_ZN12_GLOBAL__N_120softmax_warp_forwardIfffLi5ELb0ELb1ELi64EEEvPT0_PKT_iiiPKbib,comdat
	.globl	_ZN12_GLOBAL__N_120softmax_warp_forwardIfffLi5ELb0ELb1ELi64EEEvPT0_PKT_iiiPKbib ; -- Begin function _ZN12_GLOBAL__N_120softmax_warp_forwardIfffLi5ELb0ELb1ELi64EEEvPT0_PKT_iiiPKbib
	.p2align	8
	.type	_ZN12_GLOBAL__N_120softmax_warp_forwardIfffLi5ELb0ELb1ELi64EEEvPT0_PKT_iiiPKbib,@function
_ZN12_GLOBAL__N_120softmax_warp_forwardIfffLi5ELb0ELb1ELi64EEEvPT0_PKT_iiiPKbib: ; @_ZN12_GLOBAL__N_120softmax_warp_forwardIfffLi5ELb0ELb1ELi64EEEvPT0_PKT_iiiPKbib
; %bb.0:
	s_load_dwordx2 s[0:1], s[4:5], 0x28
	s_load_dword s2, s[4:5], 0x3c
	s_load_dwordx4 s[8:11], s[4:5], 0x10
	v_bfe_u32 v1, v0, 10, 10
	v_and_b32_e32 v4, 0x3ff, v0
	s_waitcnt lgkmcnt(0)
	s_bitcmp1_b32 s1, 0
	s_cselect_b64 s[16:17], -1, 0
	s_lshr_b32 s2, s2, 16
	s_mul_i32 s6, s6, s2
	v_add_lshl_u32 v5, s6, v1, 1
	v_mul_lo_u32 v6, v5, s9
	v_add_u32_e32 v0, v6, v4
	v_ashrrev_i32_e32 v1, 31, v0
	s_bitcmp0_b32 s1, 0
	v_pk_mov_b32 v[2:3], v[0:1], v[0:1] op_sel:[0,1]
	s_cbranch_scc1 .LBB706_2
; %bb.1:
	s_abs_i32 s1, s0
	v_cvt_f32_u32_e32 v2, s1
	v_xor_b32_e32 v3, s0, v6
	v_sub_u32_e32 v7, 0, v6
	s_sub_i32 s0, 0, s1
	v_rcp_iflag_f32_e32 v2, v2
	v_max_i32_e32 v6, v6, v7
	v_ashrrev_i32_e32 v3, 31, v3
	v_mul_f32_e32 v2, 0x4f7ffffe, v2
	v_cvt_u32_f32_e32 v2, v2
	v_mul_lo_u32 v7, s0, v2
	v_mul_hi_u32 v7, v2, v7
	v_add_u32_e32 v2, v2, v7
	v_mul_hi_u32 v2, v6, v2
	v_mul_lo_u32 v7, v2, s1
	v_sub_u32_e32 v6, v6, v7
	v_add_u32_e32 v8, 1, v2
	v_cmp_le_u32_e32 vcc, s1, v6
	v_subrev_u32_e32 v7, s1, v6
	v_cndmask_b32_e32 v2, v2, v8, vcc
	v_cndmask_b32_e32 v6, v6, v7, vcc
	v_add_u32_e32 v7, 1, v2
	v_cmp_le_u32_e32 vcc, s1, v6
	v_cndmask_b32_e32 v2, v2, v7, vcc
	v_xor_b32_e32 v2, v2, v3
	v_sub_u32_e32 v2, v2, v3
	v_mad_u64_u32 v[2:3], s[0:1], v2, s9, v[4:5]
	v_ashrrev_i32_e32 v3, 31, v2
.LBB706_2:
	s_load_dwordx4 s[12:15], s[4:5], 0x0
	v_lshlrev_b64 v[0:1], 2, v[0:1]
	v_sub_u32_e32 v8, s8, v5
	v_cmp_gt_i32_e64 s[0:1], s10, v4
	v_mov_b32_e32 v9, 0xff800000
	s_waitcnt lgkmcnt(0)
	v_mov_b32_e32 v5, s15
	v_add_co_u32_e32 v6, vcc, s14, v0
	v_addc_co_u32_e32 v7, vcc, v5, v1, vcc
	v_cmp_lt_i32_e32 vcc, 0, v8
	s_and_b64 s[8:9], s[0:1], vcc
	v_mov_b32_e32 v10, 0xff800000
	s_and_saveexec_b64 s[2:3], s[8:9]
	s_cbranch_execz .LBB706_4
; %bb.3:
	global_load_dword v10, v[6:7], off
.LBB706_4:
	s_or_b64 exec, exec, s[2:3]
	v_cmp_lt_i32_e64 s[2:3], 1, v8
	s_and_b64 s[6:7], s[0:1], s[2:3]
	s_and_saveexec_b64 s[14:15], s[6:7]
	s_cbranch_execz .LBB706_6
; %bb.5:
	s_mov_b32 s11, 0
	s_lshl_b64 s[2:3], s[10:11], 2
	v_mov_b32_e32 v5, s3
	v_add_co_u32_e64 v4, s[2:3], s2, v6
	v_addc_co_u32_e64 v5, s[2:3], v7, v5, s[2:3]
	global_load_dword v9, v[4:5], off
.LBB706_6:
	s_or_b64 exec, exec, s[14:15]
	s_load_dwordx2 s[2:3], s[4:5], 0x20
	s_waitcnt lgkmcnt(0)
	v_mov_b32_e32 v4, s3
	v_add_co_u32_e64 v2, s[2:3], s2, v2
	v_addc_co_u32_e64 v3, s[2:3], v4, v3, s[2:3]
	v_mov_b32_e32 v4, 0xff800000
	s_and_saveexec_b64 s[4:5], s[8:9]
	s_cbranch_execz .LBB706_8
; %bb.7:
	global_load_ubyte v4, v[2:3], off
	v_mov_b32_e32 v5, 0xff800000
	s_waitcnt vmcnt(0)
	v_and_b32_e32 v4, 1, v4
	v_cmp_eq_u32_e64 s[2:3], 1, v4
	v_cndmask_b32_e64 v4, v10, v5, s[2:3]
.LBB706_8:
	s_or_b64 exec, exec, s[4:5]
	s_mov_b64 s[4:5], 0
	s_and_saveexec_b64 s[14:15], s[6:7]
	s_cbranch_execz .LBB706_10
; %bb.9:
	s_and_b64 s[2:3], s[16:17], exec
	s_cselect_b32 s2, 0, 0
	s_cselect_b32 s3, 0, s10
	v_mov_b32_e32 v5, s2
	v_add_co_u32_e64 v6, s[2:3], s3, v2
	v_addc_co_u32_e64 v7, s[2:3], v3, v5, s[2:3]
	global_load_ubyte v5, v[6:7], off
	s_waitcnt vmcnt(0)
	v_and_b32_e32 v5, 1, v5
	v_cmp_eq_u32_e64 s[2:3], 1, v5
	s_xor_b64 s[2:3], s[2:3], -1
	s_and_b64 s[4:5], s[2:3], exec
.LBB706_10:
	s_or_b64 exec, exec, s[14:15]
	v_mbcnt_lo_u32_b32 v5, -1, 0
	v_mbcnt_hi_u32_b32 v5, -1, v5
	v_and_b32_e32 v6, 0x60, v5
	v_add_u32_e32 v6, 32, v6
	v_xor_b32_e32 v7, 16, v5
	v_cmp_lt_i32_e64 s[2:3], v7, v6
	v_cndmask_b32_e64 v7, v5, v7, s[2:3]
	v_cndmask_b32_e64 v4, v4, v4, s[4:5]
	v_lshlrev_b32_e32 v7, 2, v7
	ds_bpermute_b32 v11, v7, v4
	v_mov_b32_e32 v12, 0xff800000
	s_waitcnt vmcnt(0)
	v_cndmask_b32_e64 v12, v12, v9, s[4:5]
	ds_bpermute_b32 v13, v7, v12
	s_mov_b32 s14, 0
	s_waitcnt lgkmcnt(1)
	v_cmp_lt_f32_e64 s[2:3], v4, v11
	v_cndmask_b32_e64 v4, v4, v11, s[2:3]
	v_xor_b32_e32 v11, 8, v5
	v_cmp_lt_i32_e64 s[2:3], v11, v6
	v_cndmask_b32_e64 v11, v5, v11, s[2:3]
	v_lshlrev_b32_e32 v11, 2, v11
	ds_bpermute_b32 v14, v11, v4
	s_waitcnt lgkmcnt(1)
	v_cmp_lt_f32_e64 s[2:3], v12, v13
	v_cndmask_b32_e64 v13, v12, v13, s[2:3]
	v_xor_b32_e32 v12, 4, v5
	s_mov_b32 s15, s14
	s_waitcnt lgkmcnt(0)
	v_cmp_lt_f32_e64 s[2:3], v4, v14
	v_cndmask_b32_e64 v4, v4, v14, s[2:3]
	v_cmp_lt_i32_e64 s[2:3], v12, v6
	v_cndmask_b32_e64 v12, v5, v12, s[2:3]
	ds_bpermute_b32 v14, v11, v13
	v_lshlrev_b32_e32 v12, 2, v12
	ds_bpermute_b32 v15, v12, v4
	s_waitcnt lgkmcnt(1)
	v_cmp_lt_f32_e64 s[2:3], v13, v14
	v_cndmask_b32_e64 v14, v13, v14, s[2:3]
	s_waitcnt lgkmcnt(0)
	v_cmp_lt_f32_e64 s[2:3], v4, v15
	v_cndmask_b32_e64 v4, v4, v15, s[2:3]
	ds_bpermute_b32 v15, v12, v14
	v_xor_b32_e32 v13, 2, v5
	v_cmp_lt_i32_e64 s[2:3], v13, v6
	v_cndmask_b32_e64 v13, v5, v13, s[2:3]
	v_lshlrev_b32_e32 v13, 2, v13
	s_waitcnt lgkmcnt(0)
	v_cmp_lt_f32_e64 s[2:3], v14, v15
	ds_bpermute_b32 v16, v13, v4
	v_cndmask_b32_e64 v14, v14, v15, s[2:3]
	ds_bpermute_b32 v15, v13, v14
	s_waitcnt lgkmcnt(1)
	v_cmp_lt_f32_e64 s[2:3], v4, v16
	v_cndmask_b32_e64 v18, v4, v16, s[2:3]
	s_waitcnt lgkmcnt(0)
	v_cmp_lt_f32_e64 s[2:3], v14, v15
	v_xor_b32_e32 v4, 1, v5
	v_cndmask_b32_e64 v16, v14, v15, s[2:3]
	v_cmp_lt_i32_e64 s[2:3], v4, v6
	v_cndmask_b32_e64 v4, v5, v4, s[2:3]
	v_lshlrev_b32_e32 v14, 2, v4
	ds_bpermute_b32 v19, v14, v18
	ds_bpermute_b32 v17, v14, v16
	v_mov_b32_e32 v6, 0
	v_pk_mov_b32 v[4:5], s[14:15], s[14:15] op_sel:[0,1]
	v_mov_b32_e32 v15, 0
	s_and_saveexec_b64 s[4:5], s[8:9]
	s_cbranch_execz .LBB706_14
; %bb.11:
	global_load_ubyte v15, v[2:3], off
	v_pk_mov_b32 v[4:5], s[14:15], s[14:15] op_sel:[0,1]
	s_waitcnt vmcnt(0)
	v_and_b32_e32 v15, 1, v15
	v_cmp_eq_u32_e64 s[2:3], 1, v15
	s_xor_b64 s[2:3], s[2:3], -1
	v_mov_b32_e32 v15, 0
	s_and_saveexec_b64 s[8:9], s[2:3]
	s_cbranch_execz .LBB706_13
; %bb.12:
	s_waitcnt lgkmcnt(1)
	v_cmp_lt_f32_e64 s[2:3], v18, v19
	v_cndmask_b32_e64 v4, v18, v19, s[2:3]
	v_sub_f32_e32 v4, v10, v4
	s_mov_b32 s2, 0x3fb8aa3b
	v_mul_f32_e32 v5, 0x3fb8aa3b, v4
	v_fma_f32 v10, v4, s2, -v5
	v_rndne_f32_e32 v15, v5
	v_fmac_f32_e32 v10, 0x32a5705f, v4
	v_sub_f32_e32 v5, v5, v15
	v_add_f32_e32 v5, v5, v10
	v_exp_f32_e32 v5, v5
	v_cvt_i32_f32_e32 v10, v15
	s_mov_b32 s2, 0xc2ce8ed0
	v_cmp_ngt_f32_e64 s[2:3], s2, v4
	v_mov_b32_e32 v15, 0x7f800000
	v_ldexp_f32 v10, v5, v10
	v_cndmask_b32_e64 v10, 0, v10, s[2:3]
	s_mov_b32 s2, 0x42b17218
	v_cmp_nlt_f32_e64 s[2:3], s2, v4
	v_cndmask_b32_e64 v4, v15, v10, s[2:3]
	v_mov_b32_e32 v5, 0
	v_mov_b32_e32 v15, v4
.LBB706_13:
	s_or_b64 exec, exec, s[8:9]
.LBB706_14:
	s_or_b64 exec, exec, s[4:5]
	s_and_saveexec_b64 s[4:5], s[6:7]
	s_cbranch_execz .LBB706_18
; %bb.15:
	s_and_b64 s[2:3], s[16:17], exec
	s_cselect_b32 s2, 0, 0
	s_cselect_b32 s3, 0, s10
	v_mov_b32_e32 v6, s2
	v_add_co_u32_e64 v2, s[2:3], s3, v2
	v_addc_co_u32_e64 v3, s[2:3], v3, v6, s[2:3]
	global_load_ubyte v2, v[2:3], off
	v_mov_b32_e32 v6, 0
	s_waitcnt vmcnt(0)
	v_and_b32_e32 v2, 1, v2
	v_cmp_eq_u32_e64 s[2:3], 1, v2
	s_xor_b64 s[2:3], s[2:3], -1
	s_and_saveexec_b64 s[6:7], s[2:3]
	s_cbranch_execz .LBB706_17
; %bb.16:
	s_waitcnt lgkmcnt(0)
	v_cmp_lt_f32_e64 s[2:3], v16, v17
	v_cndmask_b32_e64 v2, v16, v17, s[2:3]
	v_sub_f32_e32 v2, v9, v2
	s_mov_b32 s2, 0x3fb8aa3b
	v_mul_f32_e32 v3, 0x3fb8aa3b, v2
	v_fma_f32 v6, v2, s2, -v3
	v_rndne_f32_e32 v9, v3
	v_fmac_f32_e32 v6, 0x32a5705f, v2
	v_sub_f32_e32 v3, v3, v9
	v_add_f32_e32 v3, v3, v6
	v_exp_f32_e32 v3, v3
	v_cvt_i32_f32_e32 v6, v9
	s_mov_b32 s2, 0xc2ce8ed0
	v_cmp_ngt_f32_e64 s[2:3], s2, v2
	v_ldexp_f32 v3, v3, v6
	v_cndmask_b32_e64 v3, 0, v3, s[2:3]
	s_mov_b32 s2, 0x42b17218
	v_mov_b32_e32 v6, 0x7f800000
	v_cmp_nlt_f32_e64 s[2:3], s2, v2
	v_cndmask_b32_e64 v6, v6, v3, s[2:3]
	v_add_f32_e32 v5, v5, v6
.LBB706_17:
	s_or_b64 exec, exec, s[6:7]
.LBB706_18:
	s_or_b64 exec, exec, s[4:5]
	ds_bpermute_b32 v2, v7, v4
	ds_bpermute_b32 v3, v7, v5
	s_waitcnt lgkmcnt(0)
	v_pk_add_f32 v[2:3], v[4:5], v[2:3]
	ds_bpermute_b32 v4, v11, v2
	ds_bpermute_b32 v5, v11, v3
	s_waitcnt lgkmcnt(0)
	v_pk_add_f32 v[2:3], v[2:3], v[4:5]
	;; [unrolled: 4-line block ×4, first 2 shown]
	ds_bpermute_b32 v4, v14, v2
	ds_bpermute_b32 v5, v14, v3
	s_and_saveexec_b64 s[2:3], vcc
	s_cbranch_execz .LBB706_24
; %bb.19:
	s_waitcnt lgkmcnt(0)
	v_pk_add_f32 v[2:3], v[2:3], v[4:5]
	v_mov_b32_e32 v4, s13
	v_add_co_u32_e32 v0, vcc, s12, v0
	v_addc_co_u32_e32 v1, vcc, v4, v1, vcc
	s_and_saveexec_b64 s[2:3], s[0:1]
	s_cbranch_execz .LBB706_21
; %bb.20:
	v_div_scale_f32 v4, s[4:5], v2, v2, v15
	v_rcp_f32_e32 v5, v4
	v_div_scale_f32 v7, vcc, v15, v2, v15
	v_fma_f32 v9, -v4, v5, 1.0
	v_fmac_f32_e32 v5, v9, v5
	v_mul_f32_e32 v9, v7, v5
	v_fma_f32 v10, -v4, v9, v7
	v_fmac_f32_e32 v9, v10, v5
	v_fma_f32 v4, -v4, v9, v7
	v_div_fmas_f32 v4, v4, v5, v9
	v_div_fixup_f32 v4, v4, v2, v15
	v_mov_b32_e32 v5, 0x7fc00000
	v_cmp_neq_f32_e32 vcc, 0, v2
	v_cndmask_b32_e32 v2, v5, v4, vcc
	global_store_dword v[0:1], v2, off
.LBB706_21:
	s_or_b64 exec, exec, s[2:3]
	v_cmp_ne_u32_e32 vcc, 1, v8
	s_and_b64 exec, exec, vcc
	s_cbranch_execz .LBB706_24
; %bb.22:
	s_and_b64 exec, exec, s[0:1]
	s_cbranch_execz .LBB706_24
; %bb.23:
	v_div_scale_f32 v2, s[0:1], v3, v3, v6
	v_rcp_f32_e32 v4, v2
	v_div_scale_f32 v5, vcc, v6, v3, v6
	s_mov_b32 s11, 0
	v_fma_f32 v7, -v2, v4, 1.0
	v_fmac_f32_e32 v4, v7, v4
	v_mul_f32_e32 v7, v5, v4
	v_fma_f32 v8, -v2, v7, v5
	v_fmac_f32_e32 v7, v8, v4
	v_fma_f32 v2, -v2, v7, v5
	s_lshl_b64 s[0:1], s[10:11], 2
	v_div_fmas_f32 v2, v2, v4, v7
	v_mov_b32_e32 v4, s1
	v_add_co_u32_e32 v0, vcc, s0, v0
	v_addc_co_u32_e32 v1, vcc, v1, v4, vcc
	v_div_fixup_f32 v2, v2, v3, v6
	v_mov_b32_e32 v4, 0x7fc00000
	v_cmp_neq_f32_e32 vcc, 0, v3
	v_cndmask_b32_e32 v2, v4, v2, vcc
	global_store_dword v[0:1], v2, off
.LBB706_24:
	s_endpgm
	.section	.rodata,"a",@progbits
	.p2align	6, 0x0
	.amdhsa_kernel _ZN12_GLOBAL__N_120softmax_warp_forwardIfffLi5ELb0ELb1ELi64EEEvPT0_PKT_iiiPKbib
		.amdhsa_group_segment_fixed_size 0
		.amdhsa_private_segment_fixed_size 0
		.amdhsa_kernarg_size 304
		.amdhsa_user_sgpr_count 6
		.amdhsa_user_sgpr_private_segment_buffer 1
		.amdhsa_user_sgpr_dispatch_ptr 0
		.amdhsa_user_sgpr_queue_ptr 0
		.amdhsa_user_sgpr_kernarg_segment_ptr 1
		.amdhsa_user_sgpr_dispatch_id 0
		.amdhsa_user_sgpr_flat_scratch_init 0
		.amdhsa_user_sgpr_kernarg_preload_length 0
		.amdhsa_user_sgpr_kernarg_preload_offset 0
		.amdhsa_user_sgpr_private_segment_size 0
		.amdhsa_uses_dynamic_stack 0
		.amdhsa_system_sgpr_private_segment_wavefront_offset 0
		.amdhsa_system_sgpr_workgroup_id_x 1
		.amdhsa_system_sgpr_workgroup_id_y 0
		.amdhsa_system_sgpr_workgroup_id_z 0
		.amdhsa_system_sgpr_workgroup_info 0
		.amdhsa_system_vgpr_workitem_id 1
		.amdhsa_next_free_vgpr 20
		.amdhsa_next_free_sgpr 18
		.amdhsa_accum_offset 20
		.amdhsa_reserve_vcc 1
		.amdhsa_reserve_flat_scratch 0
		.amdhsa_float_round_mode_32 0
		.amdhsa_float_round_mode_16_64 0
		.amdhsa_float_denorm_mode_32 3
		.amdhsa_float_denorm_mode_16_64 3
		.amdhsa_dx10_clamp 1
		.amdhsa_ieee_mode 1
		.amdhsa_fp16_overflow 0
		.amdhsa_tg_split 0
		.amdhsa_exception_fp_ieee_invalid_op 0
		.amdhsa_exception_fp_denorm_src 0
		.amdhsa_exception_fp_ieee_div_zero 0
		.amdhsa_exception_fp_ieee_overflow 0
		.amdhsa_exception_fp_ieee_underflow 0
		.amdhsa_exception_fp_ieee_inexact 0
		.amdhsa_exception_int_div_zero 0
	.end_amdhsa_kernel
	.section	.text._ZN12_GLOBAL__N_120softmax_warp_forwardIfffLi5ELb0ELb1ELi64EEEvPT0_PKT_iiiPKbib,"axG",@progbits,_ZN12_GLOBAL__N_120softmax_warp_forwardIfffLi5ELb0ELb1ELi64EEEvPT0_PKT_iiiPKbib,comdat
.Lfunc_end706:
	.size	_ZN12_GLOBAL__N_120softmax_warp_forwardIfffLi5ELb0ELb1ELi64EEEvPT0_PKT_iiiPKbib, .Lfunc_end706-_ZN12_GLOBAL__N_120softmax_warp_forwardIfffLi5ELb0ELb1ELi64EEEvPT0_PKT_iiiPKbib
                                        ; -- End function
	.section	.AMDGPU.csdata,"",@progbits
; Kernel info:
; codeLenInByte = 1848
; NumSgprs: 22
; NumVgprs: 20
; NumAgprs: 0
; TotalNumVgprs: 20
; ScratchSize: 0
; MemoryBound: 0
; FloatMode: 240
; IeeeMode: 1
; LDSByteSize: 0 bytes/workgroup (compile time only)
; SGPRBlocks: 2
; VGPRBlocks: 2
; NumSGPRsForWavesPerEU: 22
; NumVGPRsForWavesPerEU: 20
; AccumOffset: 20
; Occupancy: 8
; WaveLimiterHint : 0
; COMPUTE_PGM_RSRC2:SCRATCH_EN: 0
; COMPUTE_PGM_RSRC2:USER_SGPR: 6
; COMPUTE_PGM_RSRC2:TRAP_HANDLER: 0
; COMPUTE_PGM_RSRC2:TGID_X_EN: 1
; COMPUTE_PGM_RSRC2:TGID_Y_EN: 0
; COMPUTE_PGM_RSRC2:TGID_Z_EN: 0
; COMPUTE_PGM_RSRC2:TIDIG_COMP_CNT: 1
; COMPUTE_PGM_RSRC3_GFX90A:ACCUM_OFFSET: 4
; COMPUTE_PGM_RSRC3_GFX90A:TG_SPLIT: 0
	.section	.text._ZN12_GLOBAL__N_120softmax_warp_forwardIfffLi5ELb0ELb1ELi32EEEvPT0_PKT_iiiPKbib,"axG",@progbits,_ZN12_GLOBAL__N_120softmax_warp_forwardIfffLi5ELb0ELb1ELi32EEEvPT0_PKT_iiiPKbib,comdat
	.globl	_ZN12_GLOBAL__N_120softmax_warp_forwardIfffLi5ELb0ELb1ELi32EEEvPT0_PKT_iiiPKbib ; -- Begin function _ZN12_GLOBAL__N_120softmax_warp_forwardIfffLi5ELb0ELb1ELi32EEEvPT0_PKT_iiiPKbib
	.p2align	8
	.type	_ZN12_GLOBAL__N_120softmax_warp_forwardIfffLi5ELb0ELb1ELi32EEEvPT0_PKT_iiiPKbib,@function
_ZN12_GLOBAL__N_120softmax_warp_forwardIfffLi5ELb0ELb1ELi32EEEvPT0_PKT_iiiPKbib: ; @_ZN12_GLOBAL__N_120softmax_warp_forwardIfffLi5ELb0ELb1ELi32EEEvPT0_PKT_iiiPKbib
; %bb.0:
	s_load_dwordx2 s[0:1], s[4:5], 0x28
	s_load_dword s2, s[4:5], 0x3c
	s_load_dwordx4 s[8:11], s[4:5], 0x10
	v_bfe_u32 v1, v0, 10, 10
	v_and_b32_e32 v4, 0x3ff, v0
	s_waitcnt lgkmcnt(0)
	s_bitcmp1_b32 s1, 0
	s_cselect_b64 s[16:17], -1, 0
	s_lshr_b32 s2, s2, 16
	s_mul_i32 s6, s6, s2
	v_add_lshl_u32 v5, s6, v1, 1
	v_mul_lo_u32 v6, v5, s9
	v_add_u32_e32 v0, v6, v4
	v_ashrrev_i32_e32 v1, 31, v0
	s_bitcmp0_b32 s1, 0
	v_pk_mov_b32 v[2:3], v[0:1], v[0:1] op_sel:[0,1]
	s_cbranch_scc1 .LBB707_2
; %bb.1:
	s_abs_i32 s1, s0
	v_cvt_f32_u32_e32 v2, s1
	v_xor_b32_e32 v3, s0, v6
	v_sub_u32_e32 v7, 0, v6
	s_sub_i32 s0, 0, s1
	v_rcp_iflag_f32_e32 v2, v2
	v_max_i32_e32 v6, v6, v7
	v_ashrrev_i32_e32 v3, 31, v3
	v_mul_f32_e32 v2, 0x4f7ffffe, v2
	v_cvt_u32_f32_e32 v2, v2
	v_mul_lo_u32 v7, s0, v2
	v_mul_hi_u32 v7, v2, v7
	v_add_u32_e32 v2, v2, v7
	v_mul_hi_u32 v2, v6, v2
	v_mul_lo_u32 v7, v2, s1
	v_sub_u32_e32 v6, v6, v7
	v_add_u32_e32 v8, 1, v2
	v_cmp_le_u32_e32 vcc, s1, v6
	v_subrev_u32_e32 v7, s1, v6
	v_cndmask_b32_e32 v2, v2, v8, vcc
	v_cndmask_b32_e32 v6, v6, v7, vcc
	v_add_u32_e32 v7, 1, v2
	v_cmp_le_u32_e32 vcc, s1, v6
	v_cndmask_b32_e32 v2, v2, v7, vcc
	v_xor_b32_e32 v2, v2, v3
	v_sub_u32_e32 v2, v2, v3
	v_mad_u64_u32 v[2:3], s[0:1], v2, s9, v[4:5]
	v_ashrrev_i32_e32 v3, 31, v2
.LBB707_2:
	s_load_dwordx4 s[12:15], s[4:5], 0x0
	v_lshlrev_b64 v[0:1], 2, v[0:1]
	v_sub_u32_e32 v8, s8, v5
	v_cmp_gt_i32_e64 s[0:1], s10, v4
	v_mov_b32_e32 v9, 0xff800000
	s_waitcnt lgkmcnt(0)
	v_mov_b32_e32 v5, s15
	v_add_co_u32_e32 v6, vcc, s14, v0
	v_addc_co_u32_e32 v7, vcc, v5, v1, vcc
	v_cmp_lt_i32_e32 vcc, 0, v8
	s_and_b64 s[8:9], s[0:1], vcc
	v_mov_b32_e32 v10, 0xff800000
	s_and_saveexec_b64 s[2:3], s[8:9]
	s_cbranch_execz .LBB707_4
; %bb.3:
	global_load_dword v10, v[6:7], off
.LBB707_4:
	s_or_b64 exec, exec, s[2:3]
	v_cmp_lt_i32_e64 s[2:3], 1, v8
	s_and_b64 s[6:7], s[0:1], s[2:3]
	s_and_saveexec_b64 s[14:15], s[6:7]
	s_cbranch_execz .LBB707_6
; %bb.5:
	s_mov_b32 s11, 0
	s_lshl_b64 s[2:3], s[10:11], 2
	v_mov_b32_e32 v5, s3
	v_add_co_u32_e64 v4, s[2:3], s2, v6
	v_addc_co_u32_e64 v5, s[2:3], v7, v5, s[2:3]
	global_load_dword v9, v[4:5], off
.LBB707_6:
	s_or_b64 exec, exec, s[14:15]
	s_load_dwordx2 s[2:3], s[4:5], 0x20
	s_waitcnt lgkmcnt(0)
	v_mov_b32_e32 v4, s3
	v_add_co_u32_e64 v2, s[2:3], s2, v2
	v_addc_co_u32_e64 v3, s[2:3], v4, v3, s[2:3]
	v_mov_b32_e32 v4, 0xff800000
	s_and_saveexec_b64 s[4:5], s[8:9]
	s_cbranch_execz .LBB707_8
; %bb.7:
	global_load_ubyte v4, v[2:3], off
	v_mov_b32_e32 v5, 0xff800000
	s_waitcnt vmcnt(0)
	v_and_b32_e32 v4, 1, v4
	v_cmp_eq_u32_e64 s[2:3], 1, v4
	v_cndmask_b32_e64 v4, v10, v5, s[2:3]
.LBB707_8:
	s_or_b64 exec, exec, s[4:5]
	s_mov_b64 s[4:5], 0
	s_and_saveexec_b64 s[14:15], s[6:7]
	s_cbranch_execz .LBB707_10
; %bb.9:
	s_and_b64 s[2:3], s[16:17], exec
	s_cselect_b32 s2, 0, 0
	s_cselect_b32 s3, 0, s10
	v_mov_b32_e32 v5, s2
	v_add_co_u32_e64 v6, s[2:3], s3, v2
	v_addc_co_u32_e64 v7, s[2:3], v3, v5, s[2:3]
	global_load_ubyte v5, v[6:7], off
	s_waitcnt vmcnt(0)
	v_and_b32_e32 v5, 1, v5
	v_cmp_eq_u32_e64 s[2:3], 1, v5
	s_xor_b64 s[2:3], s[2:3], -1
	s_and_b64 s[4:5], s[2:3], exec
.LBB707_10:
	s_or_b64 exec, exec, s[14:15]
	v_mbcnt_lo_u32_b32 v5, -1, 0
	v_mbcnt_hi_u32_b32 v5, -1, v5
	v_and_b32_e32 v6, 0x60, v5
	v_add_u32_e32 v6, 32, v6
	v_xor_b32_e32 v7, 16, v5
	v_cmp_lt_i32_e64 s[2:3], v7, v6
	v_cndmask_b32_e64 v7, v5, v7, s[2:3]
	v_cndmask_b32_e64 v4, v4, v4, s[4:5]
	v_lshlrev_b32_e32 v7, 2, v7
	ds_bpermute_b32 v11, v7, v4
	v_mov_b32_e32 v12, 0xff800000
	s_waitcnt vmcnt(0)
	v_cndmask_b32_e64 v12, v12, v9, s[4:5]
	ds_bpermute_b32 v13, v7, v12
	s_mov_b32 s14, 0
	s_waitcnt lgkmcnt(1)
	v_cmp_lt_f32_e64 s[2:3], v4, v11
	v_cndmask_b32_e64 v4, v4, v11, s[2:3]
	v_xor_b32_e32 v11, 8, v5
	v_cmp_lt_i32_e64 s[2:3], v11, v6
	v_cndmask_b32_e64 v11, v5, v11, s[2:3]
	v_lshlrev_b32_e32 v11, 2, v11
	ds_bpermute_b32 v14, v11, v4
	s_waitcnt lgkmcnt(1)
	v_cmp_lt_f32_e64 s[2:3], v12, v13
	v_cndmask_b32_e64 v13, v12, v13, s[2:3]
	v_xor_b32_e32 v12, 4, v5
	s_mov_b32 s15, s14
	s_waitcnt lgkmcnt(0)
	v_cmp_lt_f32_e64 s[2:3], v4, v14
	v_cndmask_b32_e64 v4, v4, v14, s[2:3]
	v_cmp_lt_i32_e64 s[2:3], v12, v6
	v_cndmask_b32_e64 v12, v5, v12, s[2:3]
	ds_bpermute_b32 v14, v11, v13
	v_lshlrev_b32_e32 v12, 2, v12
	ds_bpermute_b32 v15, v12, v4
	s_waitcnt lgkmcnt(1)
	v_cmp_lt_f32_e64 s[2:3], v13, v14
	v_cndmask_b32_e64 v14, v13, v14, s[2:3]
	s_waitcnt lgkmcnt(0)
	v_cmp_lt_f32_e64 s[2:3], v4, v15
	v_cndmask_b32_e64 v4, v4, v15, s[2:3]
	ds_bpermute_b32 v15, v12, v14
	v_xor_b32_e32 v13, 2, v5
	v_cmp_lt_i32_e64 s[2:3], v13, v6
	v_cndmask_b32_e64 v13, v5, v13, s[2:3]
	v_lshlrev_b32_e32 v13, 2, v13
	s_waitcnt lgkmcnt(0)
	v_cmp_lt_f32_e64 s[2:3], v14, v15
	ds_bpermute_b32 v16, v13, v4
	v_cndmask_b32_e64 v14, v14, v15, s[2:3]
	ds_bpermute_b32 v15, v13, v14
	s_waitcnt lgkmcnt(1)
	v_cmp_lt_f32_e64 s[2:3], v4, v16
	v_cndmask_b32_e64 v18, v4, v16, s[2:3]
	s_waitcnt lgkmcnt(0)
	v_cmp_lt_f32_e64 s[2:3], v14, v15
	v_xor_b32_e32 v4, 1, v5
	v_cndmask_b32_e64 v16, v14, v15, s[2:3]
	v_cmp_lt_i32_e64 s[2:3], v4, v6
	v_cndmask_b32_e64 v4, v5, v4, s[2:3]
	v_lshlrev_b32_e32 v14, 2, v4
	ds_bpermute_b32 v19, v14, v18
	ds_bpermute_b32 v17, v14, v16
	v_mov_b32_e32 v6, 0
	v_pk_mov_b32 v[4:5], s[14:15], s[14:15] op_sel:[0,1]
	v_mov_b32_e32 v15, 0
	s_and_saveexec_b64 s[4:5], s[8:9]
	s_cbranch_execz .LBB707_14
; %bb.11:
	global_load_ubyte v15, v[2:3], off
	v_pk_mov_b32 v[4:5], s[14:15], s[14:15] op_sel:[0,1]
	s_waitcnt vmcnt(0)
	v_and_b32_e32 v15, 1, v15
	v_cmp_eq_u32_e64 s[2:3], 1, v15
	s_xor_b64 s[2:3], s[2:3], -1
	v_mov_b32_e32 v15, 0
	s_and_saveexec_b64 s[8:9], s[2:3]
	s_cbranch_execz .LBB707_13
; %bb.12:
	s_waitcnt lgkmcnt(1)
	v_cmp_lt_f32_e64 s[2:3], v18, v19
	v_cndmask_b32_e64 v4, v18, v19, s[2:3]
	v_sub_f32_e32 v4, v10, v4
	s_mov_b32 s2, 0x3fb8aa3b
	v_mul_f32_e32 v5, 0x3fb8aa3b, v4
	v_fma_f32 v10, v4, s2, -v5
	v_rndne_f32_e32 v15, v5
	v_fmac_f32_e32 v10, 0x32a5705f, v4
	v_sub_f32_e32 v5, v5, v15
	v_add_f32_e32 v5, v5, v10
	v_exp_f32_e32 v5, v5
	v_cvt_i32_f32_e32 v10, v15
	s_mov_b32 s2, 0xc2ce8ed0
	v_cmp_ngt_f32_e64 s[2:3], s2, v4
	v_mov_b32_e32 v15, 0x7f800000
	v_ldexp_f32 v10, v5, v10
	v_cndmask_b32_e64 v10, 0, v10, s[2:3]
	s_mov_b32 s2, 0x42b17218
	v_cmp_nlt_f32_e64 s[2:3], s2, v4
	v_cndmask_b32_e64 v4, v15, v10, s[2:3]
	v_mov_b32_e32 v5, 0
	v_mov_b32_e32 v15, v4
.LBB707_13:
	s_or_b64 exec, exec, s[8:9]
.LBB707_14:
	s_or_b64 exec, exec, s[4:5]
	s_and_saveexec_b64 s[4:5], s[6:7]
	s_cbranch_execz .LBB707_18
; %bb.15:
	s_and_b64 s[2:3], s[16:17], exec
	s_cselect_b32 s2, 0, 0
	s_cselect_b32 s3, 0, s10
	v_mov_b32_e32 v6, s2
	v_add_co_u32_e64 v2, s[2:3], s3, v2
	v_addc_co_u32_e64 v3, s[2:3], v3, v6, s[2:3]
	global_load_ubyte v2, v[2:3], off
	v_mov_b32_e32 v6, 0
	s_waitcnt vmcnt(0)
	v_and_b32_e32 v2, 1, v2
	v_cmp_eq_u32_e64 s[2:3], 1, v2
	s_xor_b64 s[2:3], s[2:3], -1
	s_and_saveexec_b64 s[6:7], s[2:3]
	s_cbranch_execz .LBB707_17
; %bb.16:
	s_waitcnt lgkmcnt(0)
	v_cmp_lt_f32_e64 s[2:3], v16, v17
	v_cndmask_b32_e64 v2, v16, v17, s[2:3]
	v_sub_f32_e32 v2, v9, v2
	s_mov_b32 s2, 0x3fb8aa3b
	v_mul_f32_e32 v3, 0x3fb8aa3b, v2
	v_fma_f32 v6, v2, s2, -v3
	v_rndne_f32_e32 v9, v3
	v_fmac_f32_e32 v6, 0x32a5705f, v2
	v_sub_f32_e32 v3, v3, v9
	v_add_f32_e32 v3, v3, v6
	v_exp_f32_e32 v3, v3
	v_cvt_i32_f32_e32 v6, v9
	s_mov_b32 s2, 0xc2ce8ed0
	v_cmp_ngt_f32_e64 s[2:3], s2, v2
	v_ldexp_f32 v3, v3, v6
	v_cndmask_b32_e64 v3, 0, v3, s[2:3]
	s_mov_b32 s2, 0x42b17218
	v_mov_b32_e32 v6, 0x7f800000
	v_cmp_nlt_f32_e64 s[2:3], s2, v2
	v_cndmask_b32_e64 v6, v6, v3, s[2:3]
	v_add_f32_e32 v5, v5, v6
.LBB707_17:
	s_or_b64 exec, exec, s[6:7]
.LBB707_18:
	s_or_b64 exec, exec, s[4:5]
	ds_bpermute_b32 v2, v7, v4
	ds_bpermute_b32 v3, v7, v5
	s_waitcnt lgkmcnt(0)
	v_pk_add_f32 v[2:3], v[4:5], v[2:3]
	ds_bpermute_b32 v4, v11, v2
	ds_bpermute_b32 v5, v11, v3
	s_waitcnt lgkmcnt(0)
	v_pk_add_f32 v[2:3], v[2:3], v[4:5]
	;; [unrolled: 4-line block ×4, first 2 shown]
	ds_bpermute_b32 v4, v14, v2
	ds_bpermute_b32 v5, v14, v3
	s_and_saveexec_b64 s[2:3], vcc
	s_cbranch_execz .LBB707_24
; %bb.19:
	s_waitcnt lgkmcnt(0)
	v_pk_add_f32 v[2:3], v[2:3], v[4:5]
	v_mov_b32_e32 v4, s13
	v_add_co_u32_e32 v0, vcc, s12, v0
	v_addc_co_u32_e32 v1, vcc, v4, v1, vcc
	s_and_saveexec_b64 s[2:3], s[0:1]
	s_cbranch_execz .LBB707_21
; %bb.20:
	v_div_scale_f32 v4, s[4:5], v2, v2, v15
	v_rcp_f32_e32 v5, v4
	v_div_scale_f32 v7, vcc, v15, v2, v15
	v_fma_f32 v9, -v4, v5, 1.0
	v_fmac_f32_e32 v5, v9, v5
	v_mul_f32_e32 v9, v7, v5
	v_fma_f32 v10, -v4, v9, v7
	v_fmac_f32_e32 v9, v10, v5
	v_fma_f32 v4, -v4, v9, v7
	v_div_fmas_f32 v4, v4, v5, v9
	v_div_fixup_f32 v4, v4, v2, v15
	v_mov_b32_e32 v5, 0x7fc00000
	v_cmp_neq_f32_e32 vcc, 0, v2
	v_cndmask_b32_e32 v2, v5, v4, vcc
	global_store_dword v[0:1], v2, off
.LBB707_21:
	s_or_b64 exec, exec, s[2:3]
	v_cmp_ne_u32_e32 vcc, 1, v8
	s_and_b64 exec, exec, vcc
	s_cbranch_execz .LBB707_24
; %bb.22:
	s_and_b64 exec, exec, s[0:1]
	s_cbranch_execz .LBB707_24
; %bb.23:
	v_div_scale_f32 v2, s[0:1], v3, v3, v6
	v_rcp_f32_e32 v4, v2
	v_div_scale_f32 v5, vcc, v6, v3, v6
	s_mov_b32 s11, 0
	v_fma_f32 v7, -v2, v4, 1.0
	v_fmac_f32_e32 v4, v7, v4
	v_mul_f32_e32 v7, v5, v4
	v_fma_f32 v8, -v2, v7, v5
	v_fmac_f32_e32 v7, v8, v4
	v_fma_f32 v2, -v2, v7, v5
	s_lshl_b64 s[0:1], s[10:11], 2
	v_div_fmas_f32 v2, v2, v4, v7
	v_mov_b32_e32 v4, s1
	v_add_co_u32_e32 v0, vcc, s0, v0
	v_addc_co_u32_e32 v1, vcc, v1, v4, vcc
	v_div_fixup_f32 v2, v2, v3, v6
	v_mov_b32_e32 v4, 0x7fc00000
	v_cmp_neq_f32_e32 vcc, 0, v3
	v_cndmask_b32_e32 v2, v4, v2, vcc
	global_store_dword v[0:1], v2, off
.LBB707_24:
	s_endpgm
	.section	.rodata,"a",@progbits
	.p2align	6, 0x0
	.amdhsa_kernel _ZN12_GLOBAL__N_120softmax_warp_forwardIfffLi5ELb0ELb1ELi32EEEvPT0_PKT_iiiPKbib
		.amdhsa_group_segment_fixed_size 0
		.amdhsa_private_segment_fixed_size 0
		.amdhsa_kernarg_size 304
		.amdhsa_user_sgpr_count 6
		.amdhsa_user_sgpr_private_segment_buffer 1
		.amdhsa_user_sgpr_dispatch_ptr 0
		.amdhsa_user_sgpr_queue_ptr 0
		.amdhsa_user_sgpr_kernarg_segment_ptr 1
		.amdhsa_user_sgpr_dispatch_id 0
		.amdhsa_user_sgpr_flat_scratch_init 0
		.amdhsa_user_sgpr_kernarg_preload_length 0
		.amdhsa_user_sgpr_kernarg_preload_offset 0
		.amdhsa_user_sgpr_private_segment_size 0
		.amdhsa_uses_dynamic_stack 0
		.amdhsa_system_sgpr_private_segment_wavefront_offset 0
		.amdhsa_system_sgpr_workgroup_id_x 1
		.amdhsa_system_sgpr_workgroup_id_y 0
		.amdhsa_system_sgpr_workgroup_id_z 0
		.amdhsa_system_sgpr_workgroup_info 0
		.amdhsa_system_vgpr_workitem_id 1
		.amdhsa_next_free_vgpr 20
		.amdhsa_next_free_sgpr 18
		.amdhsa_accum_offset 20
		.amdhsa_reserve_vcc 1
		.amdhsa_reserve_flat_scratch 0
		.amdhsa_float_round_mode_32 0
		.amdhsa_float_round_mode_16_64 0
		.amdhsa_float_denorm_mode_32 3
		.amdhsa_float_denorm_mode_16_64 3
		.amdhsa_dx10_clamp 1
		.amdhsa_ieee_mode 1
		.amdhsa_fp16_overflow 0
		.amdhsa_tg_split 0
		.amdhsa_exception_fp_ieee_invalid_op 0
		.amdhsa_exception_fp_denorm_src 0
		.amdhsa_exception_fp_ieee_div_zero 0
		.amdhsa_exception_fp_ieee_overflow 0
		.amdhsa_exception_fp_ieee_underflow 0
		.amdhsa_exception_fp_ieee_inexact 0
		.amdhsa_exception_int_div_zero 0
	.end_amdhsa_kernel
	.section	.text._ZN12_GLOBAL__N_120softmax_warp_forwardIfffLi5ELb0ELb1ELi32EEEvPT0_PKT_iiiPKbib,"axG",@progbits,_ZN12_GLOBAL__N_120softmax_warp_forwardIfffLi5ELb0ELb1ELi32EEEvPT0_PKT_iiiPKbib,comdat
.Lfunc_end707:
	.size	_ZN12_GLOBAL__N_120softmax_warp_forwardIfffLi5ELb0ELb1ELi32EEEvPT0_PKT_iiiPKbib, .Lfunc_end707-_ZN12_GLOBAL__N_120softmax_warp_forwardIfffLi5ELb0ELb1ELi32EEEvPT0_PKT_iiiPKbib
                                        ; -- End function
	.section	.AMDGPU.csdata,"",@progbits
; Kernel info:
; codeLenInByte = 1848
; NumSgprs: 22
; NumVgprs: 20
; NumAgprs: 0
; TotalNumVgprs: 20
; ScratchSize: 0
; MemoryBound: 0
; FloatMode: 240
; IeeeMode: 1
; LDSByteSize: 0 bytes/workgroup (compile time only)
; SGPRBlocks: 2
; VGPRBlocks: 2
; NumSGPRsForWavesPerEU: 22
; NumVGPRsForWavesPerEU: 20
; AccumOffset: 20
; Occupancy: 8
; WaveLimiterHint : 0
; COMPUTE_PGM_RSRC2:SCRATCH_EN: 0
; COMPUTE_PGM_RSRC2:USER_SGPR: 6
; COMPUTE_PGM_RSRC2:TRAP_HANDLER: 0
; COMPUTE_PGM_RSRC2:TGID_X_EN: 1
; COMPUTE_PGM_RSRC2:TGID_Y_EN: 0
; COMPUTE_PGM_RSRC2:TGID_Z_EN: 0
; COMPUTE_PGM_RSRC2:TIDIG_COMP_CNT: 1
; COMPUTE_PGM_RSRC3_GFX90A:ACCUM_OFFSET: 4
; COMPUTE_PGM_RSRC3_GFX90A:TG_SPLIT: 0
	.section	.text._ZN12_GLOBAL__N_120softmax_warp_forwardIfffLi6ELb0ELb1ELi64EEEvPT0_PKT_iiiPKbib,"axG",@progbits,_ZN12_GLOBAL__N_120softmax_warp_forwardIfffLi6ELb0ELb1ELi64EEEvPT0_PKT_iiiPKbib,comdat
	.globl	_ZN12_GLOBAL__N_120softmax_warp_forwardIfffLi6ELb0ELb1ELi64EEEvPT0_PKT_iiiPKbib ; -- Begin function _ZN12_GLOBAL__N_120softmax_warp_forwardIfffLi6ELb0ELb1ELi64EEEvPT0_PKT_iiiPKbib
	.p2align	8
	.type	_ZN12_GLOBAL__N_120softmax_warp_forwardIfffLi6ELb0ELb1ELi64EEEvPT0_PKT_iiiPKbib,@function
_ZN12_GLOBAL__N_120softmax_warp_forwardIfffLi6ELb0ELb1ELi64EEEvPT0_PKT_iiiPKbib: ; @_ZN12_GLOBAL__N_120softmax_warp_forwardIfffLi6ELb0ELb1ELi64EEEvPT0_PKT_iiiPKbib
; %bb.0:
	s_load_dwordx2 s[0:1], s[4:5], 0x28
	s_load_dword s2, s[4:5], 0x3c
	s_load_dwordx4 s[8:11], s[4:5], 0x10
	v_bfe_u32 v1, v0, 10, 10
	v_and_b32_e32 v4, 0x3ff, v0
	s_waitcnt lgkmcnt(0)
	s_bitcmp1_b32 s1, 0
	s_cselect_b64 s[16:17], -1, 0
	s_lshr_b32 s2, s2, 16
	s_mul_i32 s6, s6, s2
	v_add_lshl_u32 v5, s6, v1, 1
	v_mul_lo_u32 v6, v5, s9
	v_add_u32_e32 v0, v6, v4
	v_ashrrev_i32_e32 v1, 31, v0
	s_bitcmp0_b32 s1, 0
	v_pk_mov_b32 v[2:3], v[0:1], v[0:1] op_sel:[0,1]
	s_cbranch_scc1 .LBB708_2
; %bb.1:
	s_abs_i32 s1, s0
	v_cvt_f32_u32_e32 v2, s1
	v_xor_b32_e32 v3, s0, v6
	v_sub_u32_e32 v7, 0, v6
	s_sub_i32 s0, 0, s1
	v_rcp_iflag_f32_e32 v2, v2
	v_max_i32_e32 v6, v6, v7
	v_ashrrev_i32_e32 v3, 31, v3
	v_mul_f32_e32 v2, 0x4f7ffffe, v2
	v_cvt_u32_f32_e32 v2, v2
	v_mul_lo_u32 v7, s0, v2
	v_mul_hi_u32 v7, v2, v7
	v_add_u32_e32 v2, v2, v7
	v_mul_hi_u32 v2, v6, v2
	v_mul_lo_u32 v7, v2, s1
	v_sub_u32_e32 v6, v6, v7
	v_add_u32_e32 v8, 1, v2
	v_cmp_le_u32_e32 vcc, s1, v6
	v_subrev_u32_e32 v7, s1, v6
	v_cndmask_b32_e32 v2, v2, v8, vcc
	v_cndmask_b32_e32 v6, v6, v7, vcc
	v_add_u32_e32 v7, 1, v2
	v_cmp_le_u32_e32 vcc, s1, v6
	v_cndmask_b32_e32 v2, v2, v7, vcc
	v_xor_b32_e32 v2, v2, v3
	v_sub_u32_e32 v2, v2, v3
	v_mad_u64_u32 v[2:3], s[0:1], v2, s9, v[4:5]
	v_ashrrev_i32_e32 v3, 31, v2
.LBB708_2:
	s_load_dwordx4 s[12:15], s[4:5], 0x0
	v_lshlrev_b64 v[0:1], 2, v[0:1]
	v_sub_u32_e32 v8, s8, v5
	v_cmp_gt_i32_e64 s[0:1], s10, v4
	v_mov_b32_e32 v9, 0xff800000
	s_waitcnt lgkmcnt(0)
	v_mov_b32_e32 v5, s15
	v_add_co_u32_e32 v6, vcc, s14, v0
	v_addc_co_u32_e32 v7, vcc, v5, v1, vcc
	v_cmp_lt_i32_e32 vcc, 0, v8
	s_and_b64 s[8:9], s[0:1], vcc
	v_mov_b32_e32 v10, 0xff800000
	s_and_saveexec_b64 s[2:3], s[8:9]
	s_cbranch_execz .LBB708_4
; %bb.3:
	global_load_dword v10, v[6:7], off
.LBB708_4:
	s_or_b64 exec, exec, s[2:3]
	v_cmp_lt_i32_e64 s[2:3], 1, v8
	s_and_b64 s[6:7], s[0:1], s[2:3]
	s_and_saveexec_b64 s[14:15], s[6:7]
	s_cbranch_execz .LBB708_6
; %bb.5:
	s_mov_b32 s11, 0
	s_lshl_b64 s[2:3], s[10:11], 2
	v_mov_b32_e32 v5, s3
	v_add_co_u32_e64 v4, s[2:3], s2, v6
	v_addc_co_u32_e64 v5, s[2:3], v7, v5, s[2:3]
	global_load_dword v9, v[4:5], off
.LBB708_6:
	s_or_b64 exec, exec, s[14:15]
	s_load_dwordx2 s[2:3], s[4:5], 0x20
	s_waitcnt lgkmcnt(0)
	v_mov_b32_e32 v4, s3
	v_add_co_u32_e64 v2, s[2:3], s2, v2
	v_addc_co_u32_e64 v3, s[2:3], v4, v3, s[2:3]
	v_mov_b32_e32 v4, 0xff800000
	s_and_saveexec_b64 s[4:5], s[8:9]
	s_cbranch_execz .LBB708_8
; %bb.7:
	global_load_ubyte v4, v[2:3], off
	v_mov_b32_e32 v5, 0xff800000
	s_waitcnt vmcnt(0)
	v_and_b32_e32 v4, 1, v4
	v_cmp_eq_u32_e64 s[2:3], 1, v4
	v_cndmask_b32_e64 v4, v10, v5, s[2:3]
.LBB708_8:
	s_or_b64 exec, exec, s[4:5]
	s_mov_b64 s[4:5], 0
	s_and_saveexec_b64 s[14:15], s[6:7]
	s_cbranch_execz .LBB708_10
; %bb.9:
	s_and_b64 s[2:3], s[16:17], exec
	s_cselect_b32 s2, 0, 0
	s_cselect_b32 s3, 0, s10
	v_mov_b32_e32 v5, s2
	v_add_co_u32_e64 v6, s[2:3], s3, v2
	v_addc_co_u32_e64 v7, s[2:3], v3, v5, s[2:3]
	global_load_ubyte v5, v[6:7], off
	s_waitcnt vmcnt(0)
	v_and_b32_e32 v5, 1, v5
	v_cmp_eq_u32_e64 s[2:3], 1, v5
	s_xor_b64 s[2:3], s[2:3], -1
	s_and_b64 s[4:5], s[2:3], exec
.LBB708_10:
	s_or_b64 exec, exec, s[14:15]
	v_mbcnt_lo_u32_b32 v5, -1, 0
	v_mbcnt_hi_u32_b32 v5, -1, v5
	v_and_b32_e32 v6, 64, v5
	v_add_u32_e32 v7, 64, v6
	v_xor_b32_e32 v6, 32, v5
	v_cmp_lt_i32_e64 s[2:3], v6, v7
	v_cndmask_b32_e64 v6, v5, v6, s[2:3]
	v_cndmask_b32_e64 v4, v4, v4, s[4:5]
	v_lshlrev_b32_e32 v6, 2, v6
	ds_bpermute_b32 v11, v6, v4
	v_mov_b32_e32 v12, 0xff800000
	s_waitcnt vmcnt(0)
	v_cndmask_b32_e64 v12, v12, v9, s[4:5]
	ds_bpermute_b32 v13, v6, v12
	s_mov_b32 s14, 0
	s_waitcnt lgkmcnt(1)
	v_cmp_lt_f32_e64 s[2:3], v4, v11
	v_cndmask_b32_e64 v4, v4, v11, s[2:3]
	v_xor_b32_e32 v11, 16, v5
	v_cmp_lt_i32_e64 s[2:3], v11, v7
	v_cndmask_b32_e64 v11, v5, v11, s[2:3]
	v_lshlrev_b32_e32 v11, 2, v11
	ds_bpermute_b32 v14, v11, v4
	s_waitcnt lgkmcnt(1)
	v_cmp_lt_f32_e64 s[2:3], v12, v13
	v_cndmask_b32_e64 v13, v12, v13, s[2:3]
	v_xor_b32_e32 v12, 8, v5
	s_mov_b32 s15, s14
	s_waitcnt lgkmcnt(0)
	v_cmp_lt_f32_e64 s[2:3], v4, v14
	v_cndmask_b32_e64 v4, v4, v14, s[2:3]
	v_cmp_lt_i32_e64 s[2:3], v12, v7
	v_cndmask_b32_e64 v12, v5, v12, s[2:3]
	ds_bpermute_b32 v14, v11, v13
	v_lshlrev_b32_e32 v12, 2, v12
	ds_bpermute_b32 v15, v12, v4
	s_waitcnt lgkmcnt(1)
	v_cmp_lt_f32_e64 s[2:3], v13, v14
	v_cndmask_b32_e64 v14, v13, v14, s[2:3]
	s_waitcnt lgkmcnt(0)
	v_cmp_lt_f32_e64 s[2:3], v4, v15
	v_xor_b32_e32 v13, 4, v5
	v_cndmask_b32_e64 v4, v4, v15, s[2:3]
	v_cmp_lt_i32_e64 s[2:3], v13, v7
	v_cndmask_b32_e64 v13, v5, v13, s[2:3]
	ds_bpermute_b32 v15, v12, v14
	v_lshlrev_b32_e32 v13, 2, v13
	ds_bpermute_b32 v16, v13, v4
	s_waitcnt lgkmcnt(1)
	v_cmp_lt_f32_e64 s[2:3], v14, v15
	v_cndmask_b32_e64 v15, v14, v15, s[2:3]
	s_waitcnt lgkmcnt(0)
	v_cmp_lt_f32_e64 s[2:3], v4, v16
	v_cndmask_b32_e64 v4, v4, v16, s[2:3]
	ds_bpermute_b32 v16, v13, v15
	v_xor_b32_e32 v14, 2, v5
	v_cmp_lt_i32_e64 s[2:3], v14, v7
	v_cndmask_b32_e64 v14, v5, v14, s[2:3]
	v_lshlrev_b32_e32 v14, 2, v14
	s_waitcnt lgkmcnt(0)
	v_cmp_lt_f32_e64 s[2:3], v15, v16
	ds_bpermute_b32 v17, v14, v4
	v_cndmask_b32_e64 v15, v15, v16, s[2:3]
	ds_bpermute_b32 v16, v14, v15
	s_waitcnt lgkmcnt(1)
	v_cmp_lt_f32_e64 s[2:3], v4, v17
	v_cndmask_b32_e64 v19, v4, v17, s[2:3]
	s_waitcnt lgkmcnt(0)
	v_cmp_lt_f32_e64 s[2:3], v15, v16
	v_xor_b32_e32 v4, 1, v5
	v_cndmask_b32_e64 v17, v15, v16, s[2:3]
	v_cmp_lt_i32_e64 s[2:3], v4, v7
	v_cndmask_b32_e64 v4, v5, v4, s[2:3]
	v_lshlrev_b32_e32 v15, 2, v4
	ds_bpermute_b32 v20, v15, v19
	ds_bpermute_b32 v18, v15, v17
	v_mov_b32_e32 v7, 0
	v_pk_mov_b32 v[4:5], s[14:15], s[14:15] op_sel:[0,1]
	v_mov_b32_e32 v16, 0
	s_and_saveexec_b64 s[4:5], s[8:9]
	s_cbranch_execz .LBB708_14
; %bb.11:
	global_load_ubyte v16, v[2:3], off
	v_pk_mov_b32 v[4:5], s[14:15], s[14:15] op_sel:[0,1]
	s_waitcnt vmcnt(0)
	v_and_b32_e32 v16, 1, v16
	v_cmp_eq_u32_e64 s[2:3], 1, v16
	s_xor_b64 s[2:3], s[2:3], -1
	v_mov_b32_e32 v16, 0
	s_and_saveexec_b64 s[8:9], s[2:3]
	s_cbranch_execz .LBB708_13
; %bb.12:
	s_waitcnt lgkmcnt(1)
	v_cmp_lt_f32_e64 s[2:3], v19, v20
	v_cndmask_b32_e64 v4, v19, v20, s[2:3]
	v_sub_f32_e32 v4, v10, v4
	s_mov_b32 s2, 0x3fb8aa3b
	v_mul_f32_e32 v5, 0x3fb8aa3b, v4
	v_fma_f32 v10, v4, s2, -v5
	v_rndne_f32_e32 v16, v5
	v_fmac_f32_e32 v10, 0x32a5705f, v4
	v_sub_f32_e32 v5, v5, v16
	v_add_f32_e32 v5, v5, v10
	v_exp_f32_e32 v5, v5
	v_cvt_i32_f32_e32 v10, v16
	s_mov_b32 s2, 0xc2ce8ed0
	v_cmp_ngt_f32_e64 s[2:3], s2, v4
	v_mov_b32_e32 v16, 0x7f800000
	v_ldexp_f32 v10, v5, v10
	v_cndmask_b32_e64 v10, 0, v10, s[2:3]
	s_mov_b32 s2, 0x42b17218
	v_cmp_nlt_f32_e64 s[2:3], s2, v4
	v_cndmask_b32_e64 v4, v16, v10, s[2:3]
	v_mov_b32_e32 v5, 0
	v_mov_b32_e32 v16, v4
.LBB708_13:
	s_or_b64 exec, exec, s[8:9]
.LBB708_14:
	s_or_b64 exec, exec, s[4:5]
	s_and_saveexec_b64 s[4:5], s[6:7]
	s_cbranch_execz .LBB708_18
; %bb.15:
	s_and_b64 s[2:3], s[16:17], exec
	s_cselect_b32 s2, 0, 0
	s_cselect_b32 s3, 0, s10
	v_mov_b32_e32 v7, s2
	v_add_co_u32_e64 v2, s[2:3], s3, v2
	v_addc_co_u32_e64 v3, s[2:3], v3, v7, s[2:3]
	global_load_ubyte v2, v[2:3], off
	v_mov_b32_e32 v7, 0
	s_waitcnt vmcnt(0)
	v_and_b32_e32 v2, 1, v2
	v_cmp_eq_u32_e64 s[2:3], 1, v2
	s_xor_b64 s[2:3], s[2:3], -1
	s_and_saveexec_b64 s[6:7], s[2:3]
	s_cbranch_execz .LBB708_17
; %bb.16:
	s_waitcnt lgkmcnt(0)
	v_cmp_lt_f32_e64 s[2:3], v17, v18
	v_cndmask_b32_e64 v2, v17, v18, s[2:3]
	v_sub_f32_e32 v2, v9, v2
	s_mov_b32 s2, 0x3fb8aa3b
	v_mul_f32_e32 v3, 0x3fb8aa3b, v2
	v_fma_f32 v7, v2, s2, -v3
	v_rndne_f32_e32 v9, v3
	v_fmac_f32_e32 v7, 0x32a5705f, v2
	v_sub_f32_e32 v3, v3, v9
	v_add_f32_e32 v3, v3, v7
	v_exp_f32_e32 v3, v3
	v_cvt_i32_f32_e32 v7, v9
	s_mov_b32 s2, 0xc2ce8ed0
	v_cmp_ngt_f32_e64 s[2:3], s2, v2
	v_ldexp_f32 v3, v3, v7
	v_cndmask_b32_e64 v3, 0, v3, s[2:3]
	s_mov_b32 s2, 0x42b17218
	v_mov_b32_e32 v7, 0x7f800000
	v_cmp_nlt_f32_e64 s[2:3], s2, v2
	v_cndmask_b32_e64 v7, v7, v3, s[2:3]
	v_add_f32_e32 v5, v5, v7
.LBB708_17:
	s_or_b64 exec, exec, s[6:7]
.LBB708_18:
	s_or_b64 exec, exec, s[4:5]
	ds_bpermute_b32 v2, v6, v4
	ds_bpermute_b32 v3, v6, v5
	s_waitcnt lgkmcnt(0)
	v_pk_add_f32 v[2:3], v[4:5], v[2:3]
	ds_bpermute_b32 v4, v11, v2
	ds_bpermute_b32 v5, v11, v3
	s_waitcnt lgkmcnt(0)
	v_pk_add_f32 v[2:3], v[2:3], v[4:5]
	;; [unrolled: 4-line block ×5, first 2 shown]
	ds_bpermute_b32 v4, v15, v2
	ds_bpermute_b32 v5, v15, v3
	s_and_saveexec_b64 s[2:3], vcc
	s_cbranch_execz .LBB708_24
; %bb.19:
	s_waitcnt lgkmcnt(0)
	v_pk_add_f32 v[2:3], v[2:3], v[4:5]
	v_mov_b32_e32 v4, s13
	v_add_co_u32_e32 v0, vcc, s12, v0
	v_addc_co_u32_e32 v1, vcc, v4, v1, vcc
	s_and_saveexec_b64 s[2:3], s[0:1]
	s_cbranch_execz .LBB708_21
; %bb.20:
	v_div_scale_f32 v4, s[4:5], v2, v2, v16
	v_rcp_f32_e32 v5, v4
	v_div_scale_f32 v6, vcc, v16, v2, v16
	v_fma_f32 v9, -v4, v5, 1.0
	v_fmac_f32_e32 v5, v9, v5
	v_mul_f32_e32 v9, v6, v5
	v_fma_f32 v10, -v4, v9, v6
	v_fmac_f32_e32 v9, v10, v5
	v_fma_f32 v4, -v4, v9, v6
	v_div_fmas_f32 v4, v4, v5, v9
	v_div_fixup_f32 v4, v4, v2, v16
	v_mov_b32_e32 v5, 0x7fc00000
	v_cmp_neq_f32_e32 vcc, 0, v2
	v_cndmask_b32_e32 v2, v5, v4, vcc
	global_store_dword v[0:1], v2, off
.LBB708_21:
	s_or_b64 exec, exec, s[2:3]
	v_cmp_ne_u32_e32 vcc, 1, v8
	s_and_b64 exec, exec, vcc
	s_cbranch_execz .LBB708_24
; %bb.22:
	s_and_b64 exec, exec, s[0:1]
	s_cbranch_execz .LBB708_24
; %bb.23:
	v_div_scale_f32 v2, s[0:1], v3, v3, v7
	v_rcp_f32_e32 v4, v2
	v_div_scale_f32 v5, vcc, v7, v3, v7
	s_mov_b32 s11, 0
	v_fma_f32 v6, -v2, v4, 1.0
	v_fmac_f32_e32 v4, v6, v4
	v_mul_f32_e32 v6, v5, v4
	v_fma_f32 v8, -v2, v6, v5
	v_fmac_f32_e32 v6, v8, v4
	v_fma_f32 v2, -v2, v6, v5
	s_lshl_b64 s[0:1], s[10:11], 2
	v_div_fmas_f32 v2, v2, v4, v6
	v_mov_b32_e32 v4, s1
	v_add_co_u32_e32 v0, vcc, s0, v0
	v_addc_co_u32_e32 v1, vcc, v1, v4, vcc
	v_div_fixup_f32 v2, v2, v3, v7
	v_mov_b32_e32 v4, 0x7fc00000
	v_cmp_neq_f32_e32 vcc, 0, v3
	v_cndmask_b32_e32 v2, v4, v2, vcc
	global_store_dword v[0:1], v2, off
.LBB708_24:
	s_endpgm
	.section	.rodata,"a",@progbits
	.p2align	6, 0x0
	.amdhsa_kernel _ZN12_GLOBAL__N_120softmax_warp_forwardIfffLi6ELb0ELb1ELi64EEEvPT0_PKT_iiiPKbib
		.amdhsa_group_segment_fixed_size 0
		.amdhsa_private_segment_fixed_size 0
		.amdhsa_kernarg_size 304
		.amdhsa_user_sgpr_count 6
		.amdhsa_user_sgpr_private_segment_buffer 1
		.amdhsa_user_sgpr_dispatch_ptr 0
		.amdhsa_user_sgpr_queue_ptr 0
		.amdhsa_user_sgpr_kernarg_segment_ptr 1
		.amdhsa_user_sgpr_dispatch_id 0
		.amdhsa_user_sgpr_flat_scratch_init 0
		.amdhsa_user_sgpr_kernarg_preload_length 0
		.amdhsa_user_sgpr_kernarg_preload_offset 0
		.amdhsa_user_sgpr_private_segment_size 0
		.amdhsa_uses_dynamic_stack 0
		.amdhsa_system_sgpr_private_segment_wavefront_offset 0
		.amdhsa_system_sgpr_workgroup_id_x 1
		.amdhsa_system_sgpr_workgroup_id_y 0
		.amdhsa_system_sgpr_workgroup_id_z 0
		.amdhsa_system_sgpr_workgroup_info 0
		.amdhsa_system_vgpr_workitem_id 1
		.amdhsa_next_free_vgpr 21
		.amdhsa_next_free_sgpr 18
		.amdhsa_accum_offset 24
		.amdhsa_reserve_vcc 1
		.amdhsa_reserve_flat_scratch 0
		.amdhsa_float_round_mode_32 0
		.amdhsa_float_round_mode_16_64 0
		.amdhsa_float_denorm_mode_32 3
		.amdhsa_float_denorm_mode_16_64 3
		.amdhsa_dx10_clamp 1
		.amdhsa_ieee_mode 1
		.amdhsa_fp16_overflow 0
		.amdhsa_tg_split 0
		.amdhsa_exception_fp_ieee_invalid_op 0
		.amdhsa_exception_fp_denorm_src 0
		.amdhsa_exception_fp_ieee_div_zero 0
		.amdhsa_exception_fp_ieee_overflow 0
		.amdhsa_exception_fp_ieee_underflow 0
		.amdhsa_exception_fp_ieee_inexact 0
		.amdhsa_exception_int_div_zero 0
	.end_amdhsa_kernel
	.section	.text._ZN12_GLOBAL__N_120softmax_warp_forwardIfffLi6ELb0ELb1ELi64EEEvPT0_PKT_iiiPKbib,"axG",@progbits,_ZN12_GLOBAL__N_120softmax_warp_forwardIfffLi6ELb0ELb1ELi64EEEvPT0_PKT_iiiPKbib,comdat
.Lfunc_end708:
	.size	_ZN12_GLOBAL__N_120softmax_warp_forwardIfffLi6ELb0ELb1ELi64EEEvPT0_PKT_iiiPKbib, .Lfunc_end708-_ZN12_GLOBAL__N_120softmax_warp_forwardIfffLi6ELb0ELb1ELi64EEEvPT0_PKT_iiiPKbib
                                        ; -- End function
	.section	.AMDGPU.csdata,"",@progbits
; Kernel info:
; codeLenInByte = 1952
; NumSgprs: 22
; NumVgprs: 21
; NumAgprs: 0
; TotalNumVgprs: 21
; ScratchSize: 0
; MemoryBound: 0
; FloatMode: 240
; IeeeMode: 1
; LDSByteSize: 0 bytes/workgroup (compile time only)
; SGPRBlocks: 2
; VGPRBlocks: 2
; NumSGPRsForWavesPerEU: 22
; NumVGPRsForWavesPerEU: 21
; AccumOffset: 24
; Occupancy: 8
; WaveLimiterHint : 0
; COMPUTE_PGM_RSRC2:SCRATCH_EN: 0
; COMPUTE_PGM_RSRC2:USER_SGPR: 6
; COMPUTE_PGM_RSRC2:TRAP_HANDLER: 0
; COMPUTE_PGM_RSRC2:TGID_X_EN: 1
; COMPUTE_PGM_RSRC2:TGID_Y_EN: 0
; COMPUTE_PGM_RSRC2:TGID_Z_EN: 0
; COMPUTE_PGM_RSRC2:TIDIG_COMP_CNT: 1
; COMPUTE_PGM_RSRC3_GFX90A:ACCUM_OFFSET: 5
; COMPUTE_PGM_RSRC3_GFX90A:TG_SPLIT: 0
	.section	.text._ZN12_GLOBAL__N_120softmax_warp_forwardIfffLi6ELb0ELb1ELi32EEEvPT0_PKT_iiiPKbib,"axG",@progbits,_ZN12_GLOBAL__N_120softmax_warp_forwardIfffLi6ELb0ELb1ELi32EEEvPT0_PKT_iiiPKbib,comdat
	.globl	_ZN12_GLOBAL__N_120softmax_warp_forwardIfffLi6ELb0ELb1ELi32EEEvPT0_PKT_iiiPKbib ; -- Begin function _ZN12_GLOBAL__N_120softmax_warp_forwardIfffLi6ELb0ELb1ELi32EEEvPT0_PKT_iiiPKbib
	.p2align	8
	.type	_ZN12_GLOBAL__N_120softmax_warp_forwardIfffLi6ELb0ELb1ELi32EEEvPT0_PKT_iiiPKbib,@function
_ZN12_GLOBAL__N_120softmax_warp_forwardIfffLi6ELb0ELb1ELi32EEEvPT0_PKT_iiiPKbib: ; @_ZN12_GLOBAL__N_120softmax_warp_forwardIfffLi6ELb0ELb1ELi32EEEvPT0_PKT_iiiPKbib
; %bb.0:
	s_load_dwordx2 s[0:1], s[4:5], 0x28
	s_load_dword s2, s[4:5], 0x3c
	s_load_dwordx4 s[8:11], s[4:5], 0x10
	v_bfe_u32 v1, v0, 10, 10
	v_and_b32_e32 v4, 0x3ff, v0
	s_waitcnt lgkmcnt(0)
	s_bitcmp1_b32 s1, 0
	s_cselect_b64 s[20:21], -1, 0
	s_lshr_b32 s2, s2, 16
	s_mul_i32 s6, s6, s2
	v_add_lshl_u32 v5, s6, v1, 1
	v_mul_lo_u32 v6, v5, s9
	v_add_u32_e32 v0, v6, v4
	v_ashrrev_i32_e32 v1, 31, v0
	s_bitcmp0_b32 s1, 0
	v_pk_mov_b32 v[2:3], v[0:1], v[0:1] op_sel:[0,1]
	s_cbranch_scc1 .LBB709_2
; %bb.1:
	s_abs_i32 s1, s0
	v_cvt_f32_u32_e32 v2, s1
	v_xor_b32_e32 v3, s0, v6
	v_sub_u32_e32 v7, 0, v6
	s_sub_i32 s0, 0, s1
	v_rcp_iflag_f32_e32 v2, v2
	v_max_i32_e32 v6, v6, v7
	v_ashrrev_i32_e32 v3, 31, v3
	v_mul_f32_e32 v2, 0x4f7ffffe, v2
	v_cvt_u32_f32_e32 v2, v2
	v_mul_lo_u32 v7, s0, v2
	v_mul_hi_u32 v7, v2, v7
	v_add_u32_e32 v2, v2, v7
	v_mul_hi_u32 v2, v6, v2
	v_mul_lo_u32 v7, v2, s1
	v_sub_u32_e32 v6, v6, v7
	v_add_u32_e32 v8, 1, v2
	v_cmp_le_u32_e32 vcc, s1, v6
	v_subrev_u32_e32 v7, s1, v6
	v_cndmask_b32_e32 v2, v2, v8, vcc
	v_cndmask_b32_e32 v6, v6, v7, vcc
	v_add_u32_e32 v7, 1, v2
	v_cmp_le_u32_e32 vcc, s1, v6
	v_cndmask_b32_e32 v2, v2, v7, vcc
	v_xor_b32_e32 v2, v2, v3
	v_sub_u32_e32 v2, v2, v3
	v_mad_u64_u32 v[2:3], s[0:1], v2, s9, v[4:5]
	v_ashrrev_i32_e32 v3, 31, v2
.LBB709_2:
	s_load_dwordx4 s[12:15], s[4:5], 0x0
	v_lshlrev_b64 v[0:1], 2, v[0:1]
	v_sub_u32_e32 v7, s8, v5
	v_cmp_gt_i32_e64 s[2:3], s10, v4
	v_mov_b32_e32 v11, 0xff800000
	s_waitcnt lgkmcnt(0)
	v_mov_b32_e32 v5, s15
	v_add_co_u32_e32 v8, vcc, s14, v0
	v_addc_co_u32_e32 v9, vcc, v5, v1, vcc
	v_cmp_lt_i32_e32 vcc, 0, v7
	s_and_b64 s[18:19], vcc, s[2:3]
	v_mov_b32_e32 v6, 0xff800000
	s_and_saveexec_b64 s[0:1], s[18:19]
	s_cbranch_execz .LBB709_4
; %bb.3:
	global_load_dword v6, v[8:9], off
.LBB709_4:
	s_or_b64 exec, exec, s[0:1]
	v_add_u32_e32 v4, 32, v4
	v_cmp_gt_i32_e64 s[0:1], s10, v4
	s_and_b64 s[16:17], vcc, s[0:1]
	s_and_saveexec_b64 s[6:7], s[16:17]
	s_cbranch_execz .LBB709_6
; %bb.5:
	global_load_dword v11, v[8:9], off offset:128
.LBB709_6:
	s_or_b64 exec, exec, s[6:7]
	v_cmp_lt_i32_e64 s[6:7], 1, v7
	s_and_b64 s[14:15], s[6:7], s[2:3]
	v_mov_b32_e32 v10, 0xff800000
	v_mov_b32_e32 v5, 0xff800000
	s_and_saveexec_b64 s[22:23], s[14:15]
	s_cbranch_execz .LBB709_8
; %bb.7:
	s_mov_b32 s11, 0
	s_lshl_b64 s[8:9], s[10:11], 2
	v_mov_b32_e32 v5, s9
	v_add_co_u32_e64 v4, s[8:9], s8, v8
	v_addc_co_u32_e64 v5, s[8:9], v9, v5, s[8:9]
	global_load_dword v5, v[4:5], off
.LBB709_8:
	s_or_b64 exec, exec, s[22:23]
	s_and_b64 s[8:9], s[6:7], s[0:1]
	s_and_saveexec_b64 s[22:23], s[8:9]
	s_cbranch_execz .LBB709_10
; %bb.9:
	s_mov_b32 s11, 0
	s_lshl_b64 s[6:7], s[10:11], 2
	v_mov_b32_e32 v4, s7
	v_add_co_u32_e64 v8, s[6:7], s6, v8
	v_addc_co_u32_e64 v9, s[6:7], v9, v4, s[6:7]
	global_load_dword v10, v[8:9], off offset:128
.LBB709_10:
	s_or_b64 exec, exec, s[22:23]
	s_load_dwordx2 s[4:5], s[4:5], 0x20
	s_mov_b64 s[6:7], 0
	s_waitcnt vmcnt(0)
	v_pk_mov_b32 v[8:9], v[6:7], v[6:7] op_sel:[0,1]
	s_waitcnt lgkmcnt(0)
	v_mov_b32_e32 v4, s5
	v_add_co_u32_e64 v2, s[4:5], s4, v2
	v_addc_co_u32_e64 v3, s[4:5], v4, v3, s[4:5]
	s_and_saveexec_b64 s[22:23], s[18:19]
	s_cbranch_execz .LBB709_12
; %bb.11:
	global_load_ubyte v4, v[2:3], off
	v_pk_mov_b32 v[8:9], v[6:7], v[6:7] op_sel:[0,1]
	s_waitcnt vmcnt(0)
	v_and_b32_e32 v4, 1, v4
	v_cmp_eq_u32_e64 s[4:5], 1, v4
	s_xor_b64 s[4:5], s[4:5], -1
	s_and_b64 s[6:7], s[4:5], exec
.LBB709_12:
	s_or_b64 exec, exec, s[22:23]
	s_and_saveexec_b64 s[22:23], s[16:17]
	s_cbranch_execz .LBB709_16
; %bb.13:
	global_load_ubyte v4, v[2:3], off offset:32
	s_waitcnt vmcnt(0)
	v_and_b32_e32 v4, 1, v4
	v_cmp_eq_u32_e64 s[4:5], 1, v4
	s_xor_b64 s[26:27], s[4:5], -1
	s_mov_b64 s[4:5], s[6:7]
	s_and_saveexec_b64 s[24:25], s[26:27]
; %bb.14:
	v_cmp_gt_f32_e64 s[4:5], v8, v11
	s_and_b64 s[4:5], s[6:7], s[4:5]
	v_cndmask_b32_e64 v8, v11, v8, s[4:5]
	s_or_b64 s[4:5], s[6:7], exec
; %bb.15:
	s_or_b64 exec, exec, s[24:25]
	s_andn2_b64 s[6:7], s[6:7], exec
	s_and_b64 s[4:5], s[4:5], exec
	s_or_b64 s[6:7], s[6:7], s[4:5]
.LBB709_16:
	s_or_b64 exec, exec, s[22:23]
	v_mov_b32_e32 v4, 0xff800000
	v_cndmask_b32_e64 v4, v4, v8, s[6:7]
	s_and_b64 s[4:5], s[20:21], exec
	s_cselect_b32 s11, 0, s10
	s_mov_b64 s[6:7], 0
	v_pk_mov_b32 v[8:9], v[4:5], v[4:5] op_sel:[0,1]
	s_and_saveexec_b64 s[20:21], s[14:15]
	s_cbranch_execz .LBB709_18
; %bb.17:
	s_ashr_i32 s4, s11, 31
	v_mov_b32_e32 v9, s4
	v_add_co_u32_e64 v8, s[4:5], s11, v2
	v_addc_co_u32_e64 v9, s[4:5], v3, v9, s[4:5]
	global_load_ubyte v8, v[8:9], off
	s_waitcnt vmcnt(0)
	v_and_b32_e32 v8, 1, v8
	v_cmp_eq_u32_e64 s[4:5], 1, v8
	s_xor_b64 s[4:5], s[4:5], -1
	s_and_b64 s[6:7], s[4:5], exec
	v_pk_mov_b32 v[8:9], v[4:5], v[4:5] op_sel:[0,1]
.LBB709_18:
	s_or_b64 exec, exec, s[20:21]
	s_and_saveexec_b64 s[20:21], s[8:9]
	s_cbranch_execz .LBB709_22
; %bb.19:
	s_ashr_i32 s4, s11, 31
	v_mov_b32_e32 v4, s4
	v_add_co_u32_e64 v12, s[4:5], s11, v2
	v_addc_co_u32_e64 v13, s[4:5], v3, v4, s[4:5]
	global_load_ubyte v4, v[12:13], off offset:32
	s_waitcnt vmcnt(0)
	v_and_b32_e32 v4, 1, v4
	v_cmp_eq_u32_e64 s[4:5], 1, v4
	s_xor_b64 s[24:25], s[4:5], -1
	s_mov_b64 s[4:5], s[6:7]
	s_and_saveexec_b64 s[22:23], s[24:25]
; %bb.20:
	v_cmp_gt_f32_e64 s[4:5], v9, v10
	s_and_b64 s[4:5], s[6:7], s[4:5]
	v_cndmask_b32_e64 v9, v10, v9, s[4:5]
	s_or_b64 s[4:5], s[6:7], exec
; %bb.21:
	s_or_b64 exec, exec, s[22:23]
	s_andn2_b64 s[6:7], s[6:7], exec
	s_and_b64 s[4:5], s[4:5], exec
	s_or_b64 s[6:7], s[6:7], s[4:5]
.LBB709_22:
	s_or_b64 exec, exec, s[20:21]
	v_mbcnt_lo_u32_b32 v4, -1, 0
	v_mbcnt_hi_u32_b32 v12, -1, v4
	v_and_b32_e32 v4, 0x60, v12
	v_add_u32_e32 v16, 32, v4
	v_xor_b32_e32 v4, 16, v12
	v_cmp_lt_i32_e64 s[4:5], v4, v16
	v_cndmask_b32_e64 v4, v12, v4, s[4:5]
	v_cndmask_b32_e64 v8, v8, v8, s[6:7]
	v_lshlrev_b32_e32 v4, 2, v4
	ds_bpermute_b32 v13, v4, v8
	v_mov_b32_e32 v14, 0xff800000
	v_cndmask_b32_e64 v9, v14, v9, s[6:7]
	ds_bpermute_b32 v14, v4, v9
	s_mov_b32 s20, 0
	s_waitcnt lgkmcnt(1)
	v_cmp_lt_f32_e64 s[4:5], v8, v13
	v_cndmask_b32_e64 v8, v8, v13, s[4:5]
	v_xor_b32_e32 v13, 8, v12
	v_cmp_lt_i32_e64 s[4:5], v13, v16
	v_cndmask_b32_e64 v13, v12, v13, s[4:5]
	v_lshlrev_b32_e32 v13, 2, v13
	ds_bpermute_b32 v15, v13, v8
	s_waitcnt lgkmcnt(1)
	v_cmp_lt_f32_e64 s[4:5], v9, v14
	v_cndmask_b32_e64 v9, v9, v14, s[4:5]
	v_xor_b32_e32 v14, 4, v12
	s_mov_b32 s21, s20
	s_waitcnt lgkmcnt(0)
	v_cmp_lt_f32_e64 s[4:5], v8, v15
	v_cndmask_b32_e64 v8, v8, v15, s[4:5]
	v_cmp_lt_i32_e64 s[4:5], v14, v16
	v_cndmask_b32_e64 v14, v12, v14, s[4:5]
	ds_bpermute_b32 v15, v13, v9
	v_lshlrev_b32_e32 v14, 2, v14
	ds_bpermute_b32 v17, v14, v8
	s_waitcnt lgkmcnt(1)
	v_cmp_lt_f32_e64 s[4:5], v9, v15
	v_cndmask_b32_e64 v9, v9, v15, s[4:5]
	s_waitcnt lgkmcnt(0)
	v_cmp_lt_f32_e64 s[4:5], v8, v17
	v_xor_b32_e32 v15, 2, v12
	v_cndmask_b32_e64 v8, v8, v17, s[4:5]
	v_cmp_lt_i32_e64 s[4:5], v15, v16
	ds_bpermute_b32 v17, v14, v9
	v_cndmask_b32_e64 v15, v12, v15, s[4:5]
	v_lshlrev_b32_e32 v15, 2, v15
	ds_bpermute_b32 v18, v15, v8
	s_waitcnt lgkmcnt(1)
	v_cmp_lt_f32_e64 s[4:5], v9, v17
	v_cndmask_b32_e64 v9, v9, v17, s[4:5]
	ds_bpermute_b32 v17, v15, v9
	s_waitcnt lgkmcnt(1)
	v_cmp_lt_f32_e64 s[4:5], v8, v18
	v_cndmask_b32_e64 v8, v8, v18, s[4:5]
	v_xor_b32_e32 v18, 1, v12
	v_cmp_lt_i32_e64 s[4:5], v18, v16
	v_cndmask_b32_e64 v12, v12, v18, s[4:5]
	v_lshlrev_b32_e32 v16, 2, v12
	ds_bpermute_b32 v20, v16, v8
	s_waitcnt lgkmcnt(1)
	v_cmp_lt_f32_e64 s[4:5], v9, v17
	v_cndmask_b32_e64 v18, v9, v17, s[4:5]
	ds_bpermute_b32 v19, v16, v18
	v_mov_b32_e32 v12, 0
	s_waitcnt lgkmcnt(1)
	v_cmp_lt_f32_e64 s[4:5], v8, v20
	v_cndmask_b32_e64 v20, v8, v20, s[4:5]
	v_pk_mov_b32 v[8:9], s[20:21], s[20:21] op_sel:[0,1]
	v_mov_b32_e32 v17, 0
	s_and_saveexec_b64 s[6:7], s[18:19]
	s_cbranch_execz .LBB709_26
; %bb.23:
	global_load_ubyte v17, v[2:3], off
	v_pk_mov_b32 v[8:9], s[20:21], s[20:21] op_sel:[0,1]
	s_waitcnt vmcnt(0)
	v_and_b32_e32 v17, 1, v17
	v_cmp_eq_u32_e64 s[4:5], 1, v17
	s_xor_b64 s[4:5], s[4:5], -1
	v_mov_b32_e32 v17, 0
	s_and_saveexec_b64 s[18:19], s[4:5]
	s_cbranch_execz .LBB709_25
; %bb.24:
	v_sub_f32_e32 v6, v6, v20
	s_mov_b32 s4, 0x3fb8aa3b
	v_mul_f32_e32 v8, 0x3fb8aa3b, v6
	v_fma_f32 v9, v6, s4, -v8
	v_rndne_f32_e32 v17, v8
	v_fmac_f32_e32 v9, 0x32a5705f, v6
	v_sub_f32_e32 v8, v8, v17
	v_add_f32_e32 v8, v8, v9
	v_exp_f32_e32 v8, v8
	v_cvt_i32_f32_e32 v9, v17
	s_mov_b32 s4, 0xc2ce8ed0
	v_cmp_ngt_f32_e64 s[4:5], s4, v6
	v_mov_b32_e32 v17, 0x7f800000
	v_ldexp_f32 v8, v8, v9
	v_cndmask_b32_e64 v8, 0, v8, s[4:5]
	s_mov_b32 s4, 0x42b17218
	v_cmp_nlt_f32_e64 s[4:5], s4, v6
	v_cndmask_b32_e64 v8, v17, v8, s[4:5]
	v_mov_b32_e32 v9, 0
	v_mov_b32_e32 v17, v8
.LBB709_25:
	s_or_b64 exec, exec, s[18:19]
.LBB709_26:
	s_or_b64 exec, exec, s[6:7]
	v_mov_b32_e32 v6, 0
	s_and_saveexec_b64 s[6:7], s[16:17]
	s_cbranch_execz .LBB709_30
; %bb.27:
	global_load_ubyte v6, v[2:3], off offset:32
	s_waitcnt vmcnt(0)
	v_and_b32_e32 v6, 1, v6
	v_cmp_eq_u32_e64 s[4:5], 1, v6
	s_xor_b64 s[4:5], s[4:5], -1
	v_mov_b32_e32 v6, 0
	s_and_saveexec_b64 s[16:17], s[4:5]
	s_cbranch_execz .LBB709_29
; %bb.28:
	v_sub_f32_e32 v6, v11, v20
	s_mov_b32 s4, 0x3fb8aa3b
	v_mul_f32_e32 v11, 0x3fb8aa3b, v6
	v_fma_f32 v20, v6, s4, -v11
	v_rndne_f32_e32 v21, v11
	v_fmac_f32_e32 v20, 0x32a5705f, v6
	v_sub_f32_e32 v11, v11, v21
	v_add_f32_e32 v11, v11, v20
	v_exp_f32_e32 v11, v11
	v_cvt_i32_f32_e32 v20, v21
	s_mov_b32 s4, 0xc2ce8ed0
	v_cmp_ngt_f32_e64 s[4:5], s4, v6
	v_ldexp_f32 v11, v11, v20
	v_cndmask_b32_e64 v11, 0, v11, s[4:5]
	s_mov_b32 s4, 0x42b17218
	v_mov_b32_e32 v20, 0x7f800000
	v_cmp_nlt_f32_e64 s[4:5], s4, v6
	v_cndmask_b32_e64 v6, v20, v11, s[4:5]
	v_add_f32_e32 v8, v8, v6
.LBB709_29:
	s_or_b64 exec, exec, s[16:17]
.LBB709_30:
	s_or_b64 exec, exec, s[6:7]
	s_waitcnt lgkmcnt(0)
	v_cmp_lt_f32_e64 s[4:5], v18, v19
	v_cndmask_b32_e64 v18, v18, v19, s[4:5]
	s_and_saveexec_b64 s[6:7], s[14:15]
	s_cbranch_execz .LBB709_34
; %bb.31:
	s_ashr_i32 s4, s11, 31
	v_mov_b32_e32 v11, s4
	v_add_co_u32_e64 v20, s[4:5], s11, v2
	v_addc_co_u32_e64 v21, s[4:5], v3, v11, s[4:5]
	global_load_ubyte v11, v[20:21], off
	v_mov_b32_e32 v12, 0
	s_waitcnt vmcnt(0)
	v_and_b32_e32 v11, 1, v11
	v_cmp_eq_u32_e64 s[4:5], 1, v11
	s_xor_b64 s[4:5], s[4:5], -1
	s_and_saveexec_b64 s[14:15], s[4:5]
	s_cbranch_execz .LBB709_33
; %bb.32:
	v_sub_f32_e32 v5, v5, v18
	s_mov_b32 s4, 0x3fb8aa3b
	v_mul_f32_e32 v11, 0x3fb8aa3b, v5
	v_fma_f32 v12, v5, s4, -v11
	v_rndne_f32_e32 v19, v11
	v_fmac_f32_e32 v12, 0x32a5705f, v5
	v_sub_f32_e32 v11, v11, v19
	v_add_f32_e32 v11, v11, v12
	v_exp_f32_e32 v11, v11
	v_cvt_i32_f32_e32 v12, v19
	s_mov_b32 s4, 0xc2ce8ed0
	v_cmp_ngt_f32_e64 s[4:5], s4, v5
	v_ldexp_f32 v11, v11, v12
	v_cndmask_b32_e64 v11, 0, v11, s[4:5]
	s_mov_b32 s4, 0x42b17218
	v_mov_b32_e32 v12, 0x7f800000
	v_cmp_nlt_f32_e64 s[4:5], s4, v5
	v_cndmask_b32_e64 v12, v12, v11, s[4:5]
	v_add_f32_e32 v9, v9, v12
.LBB709_33:
	s_or_b64 exec, exec, s[14:15]
.LBB709_34:
	s_or_b64 exec, exec, s[6:7]
	v_mov_b32_e32 v11, 0
	s_and_saveexec_b64 s[6:7], s[8:9]
	s_cbranch_execz .LBB709_38
; %bb.35:
	s_ashr_i32 s4, s11, 31
	v_mov_b32_e32 v5, s4
	v_add_co_u32_e64 v2, s[4:5], s11, v2
	v_addc_co_u32_e64 v3, s[4:5], v3, v5, s[4:5]
	global_load_ubyte v2, v[2:3], off offset:32
	v_mov_b32_e32 v11, 0
	s_waitcnt vmcnt(0)
	v_and_b32_e32 v2, 1, v2
	v_cmp_eq_u32_e64 s[4:5], 1, v2
	s_xor_b64 s[4:5], s[4:5], -1
	s_and_saveexec_b64 s[8:9], s[4:5]
	s_cbranch_execz .LBB709_37
; %bb.36:
	v_sub_f32_e32 v2, v10, v18
	s_mov_b32 s4, 0x3fb8aa3b
	v_mul_f32_e32 v3, 0x3fb8aa3b, v2
	v_fma_f32 v5, v2, s4, -v3
	v_rndne_f32_e32 v10, v3
	v_fmac_f32_e32 v5, 0x32a5705f, v2
	v_sub_f32_e32 v3, v3, v10
	v_add_f32_e32 v3, v3, v5
	v_exp_f32_e32 v3, v3
	v_cvt_i32_f32_e32 v5, v10
	s_mov_b32 s4, 0xc2ce8ed0
	v_cmp_ngt_f32_e64 s[4:5], s4, v2
	v_ldexp_f32 v3, v3, v5
	v_cndmask_b32_e64 v3, 0, v3, s[4:5]
	s_mov_b32 s4, 0x42b17218
	v_mov_b32_e32 v5, 0x7f800000
	v_cmp_nlt_f32_e64 s[4:5], s4, v2
	v_cndmask_b32_e64 v11, v5, v3, s[4:5]
	v_add_f32_e32 v9, v9, v11
.LBB709_37:
	s_or_b64 exec, exec, s[8:9]
.LBB709_38:
	s_or_b64 exec, exec, s[6:7]
	ds_bpermute_b32 v2, v4, v8
	ds_bpermute_b32 v3, v4, v9
	s_waitcnt lgkmcnt(0)
	v_pk_add_f32 v[2:3], v[8:9], v[2:3]
	ds_bpermute_b32 v4, v13, v2
	ds_bpermute_b32 v5, v13, v3
	s_waitcnt lgkmcnt(0)
	v_pk_add_f32 v[2:3], v[2:3], v[4:5]
	;; [unrolled: 4-line block ×4, first 2 shown]
	ds_bpermute_b32 v4, v16, v2
	ds_bpermute_b32 v5, v16, v3
	s_and_saveexec_b64 s[4:5], vcc
	s_cbranch_execz .LBB709_46
; %bb.39:
	s_waitcnt lgkmcnt(0)
	v_pk_add_f32 v[2:3], v[2:3], v[4:5]
	v_mov_b32_e32 v4, s13
	v_add_co_u32_e32 v0, vcc, s12, v0
	v_addc_co_u32_e32 v1, vcc, v4, v1, vcc
	s_and_saveexec_b64 s[6:7], s[2:3]
	s_cbranch_execz .LBB709_42
; %bb.40:
	v_div_scale_f32 v4, s[4:5], v2, v2, v17
	v_rcp_f32_e32 v5, v4
	v_div_scale_f32 v8, vcc, v17, v2, v17
	v_cmp_eq_f32_e64 s[4:5], 0, v2
	v_fma_f32 v9, -v4, v5, 1.0
	v_fmac_f32_e32 v5, v9, v5
	v_mul_f32_e32 v9, v8, v5
	v_fma_f32 v10, -v4, v9, v8
	v_fmac_f32_e32 v9, v10, v5
	v_fma_f32 v4, -v4, v9, v8
	v_div_fmas_f32 v4, v4, v5, v9
	v_div_fixup_f32 v5, v4, v2, v17
	v_mov_b32_e32 v4, 0x7fc00000
	v_cndmask_b32_e64 v5, v5, v4, s[4:5]
	global_store_dword v[0:1], v5, off
	s_and_b64 exec, exec, s[0:1]
	s_cbranch_execz .LBB709_42
; %bb.41:
	v_div_scale_f32 v5, s[8:9], v2, v2, v6
	v_rcp_f32_e32 v8, v5
	v_div_scale_f32 v9, vcc, v6, v2, v6
	v_fma_f32 v10, -v5, v8, 1.0
	v_fmac_f32_e32 v8, v10, v8
	v_mul_f32_e32 v10, v9, v8
	v_fma_f32 v13, -v5, v10, v9
	v_fmac_f32_e32 v10, v13, v8
	v_fma_f32 v5, -v5, v10, v9
	v_div_fmas_f32 v5, v5, v8, v10
	v_div_fixup_f32 v2, v5, v2, v6
	v_cndmask_b32_e64 v2, v2, v4, s[4:5]
	global_store_dword v[0:1], v2, off offset:128
.LBB709_42:
	s_or_b64 exec, exec, s[6:7]
	v_cmp_ne_u32_e32 vcc, 1, v7
	s_and_b64 exec, exec, vcc
	s_cbranch_execz .LBB709_46
; %bb.43:
	s_and_b64 exec, exec, s[2:3]
	s_cbranch_execz .LBB709_46
; %bb.44:
	v_div_scale_f32 v2, s[2:3], v3, v3, v12
	v_rcp_f32_e32 v4, v2
	s_mov_b32 s11, 0
	s_lshl_b64 s[2:3], s[10:11], 2
	v_fma_f32 v5, -v2, v4, 1.0
	v_fmac_f32_e32 v4, v5, v4
	v_div_scale_f32 v5, vcc, v12, v3, v12
	v_mul_f32_e32 v6, v5, v4
	v_fma_f32 v7, -v2, v6, v5
	v_fmac_f32_e32 v6, v7, v4
	v_fma_f32 v2, -v2, v6, v5
	v_div_fmas_f32 v2, v2, v4, v6
	v_div_fixup_f32 v6, v2, v3, v12
	v_mov_b32_e32 v2, s3
	v_add_co_u32_e32 v4, vcc, s2, v0
	v_addc_co_u32_e32 v5, vcc, v1, v2, vcc
	v_mov_b32_e32 v2, 0x7fc00000
	v_cmp_eq_f32_e64 s[2:3], 0, v3
	v_cndmask_b32_e64 v6, v6, v2, s[2:3]
	global_store_dword v[4:5], v6, off
	s_and_b64 exec, exec, s[0:1]
	s_cbranch_execz .LBB709_46
; %bb.45:
	v_div_scale_f32 v4, s[0:1], v3, v3, v11
	v_rcp_f32_e32 v5, v4
	v_div_scale_f32 v6, vcc, v11, v3, v11
	s_ashr_i32 s11, s10, 31
	v_fma_f32 v7, -v4, v5, 1.0
	v_fmac_f32_e32 v5, v7, v5
	v_mul_f32_e32 v7, v6, v5
	v_fma_f32 v8, -v4, v7, v6
	v_fmac_f32_e32 v7, v8, v5
	v_fma_f32 v4, -v4, v7, v6
	v_div_fmas_f32 v4, v4, v5, v7
	s_lshl_b64 s[0:1], s[10:11], 2
	v_div_fixup_f32 v3, v4, v3, v11
	v_mov_b32_e32 v4, s1
	v_add_co_u32_e32 v0, vcc, s0, v0
	v_addc_co_u32_e32 v1, vcc, v1, v4, vcc
	v_cndmask_b32_e64 v2, v3, v2, s[2:3]
	global_store_dword v[0:1], v2, off offset:128
.LBB709_46:
	s_endpgm
	.section	.rodata,"a",@progbits
	.p2align	6, 0x0
	.amdhsa_kernel _ZN12_GLOBAL__N_120softmax_warp_forwardIfffLi6ELb0ELb1ELi32EEEvPT0_PKT_iiiPKbib
		.amdhsa_group_segment_fixed_size 0
		.amdhsa_private_segment_fixed_size 0
		.amdhsa_kernarg_size 304
		.amdhsa_user_sgpr_count 6
		.amdhsa_user_sgpr_private_segment_buffer 1
		.amdhsa_user_sgpr_dispatch_ptr 0
		.amdhsa_user_sgpr_queue_ptr 0
		.amdhsa_user_sgpr_kernarg_segment_ptr 1
		.amdhsa_user_sgpr_dispatch_id 0
		.amdhsa_user_sgpr_flat_scratch_init 0
		.amdhsa_user_sgpr_kernarg_preload_length 0
		.amdhsa_user_sgpr_kernarg_preload_offset 0
		.amdhsa_user_sgpr_private_segment_size 0
		.amdhsa_uses_dynamic_stack 0
		.amdhsa_system_sgpr_private_segment_wavefront_offset 0
		.amdhsa_system_sgpr_workgroup_id_x 1
		.amdhsa_system_sgpr_workgroup_id_y 0
		.amdhsa_system_sgpr_workgroup_id_z 0
		.amdhsa_system_sgpr_workgroup_info 0
		.amdhsa_system_vgpr_workitem_id 1
		.amdhsa_next_free_vgpr 22
		.amdhsa_next_free_sgpr 28
		.amdhsa_accum_offset 24
		.amdhsa_reserve_vcc 1
		.amdhsa_reserve_flat_scratch 0
		.amdhsa_float_round_mode_32 0
		.amdhsa_float_round_mode_16_64 0
		.amdhsa_float_denorm_mode_32 3
		.amdhsa_float_denorm_mode_16_64 3
		.amdhsa_dx10_clamp 1
		.amdhsa_ieee_mode 1
		.amdhsa_fp16_overflow 0
		.amdhsa_tg_split 0
		.amdhsa_exception_fp_ieee_invalid_op 0
		.amdhsa_exception_fp_denorm_src 0
		.amdhsa_exception_fp_ieee_div_zero 0
		.amdhsa_exception_fp_ieee_overflow 0
		.amdhsa_exception_fp_ieee_underflow 0
		.amdhsa_exception_fp_ieee_inexact 0
		.amdhsa_exception_int_div_zero 0
	.end_amdhsa_kernel
	.section	.text._ZN12_GLOBAL__N_120softmax_warp_forwardIfffLi6ELb0ELb1ELi32EEEvPT0_PKT_iiiPKbib,"axG",@progbits,_ZN12_GLOBAL__N_120softmax_warp_forwardIfffLi6ELb0ELb1ELi32EEEvPT0_PKT_iiiPKbib,comdat
.Lfunc_end709:
	.size	_ZN12_GLOBAL__N_120softmax_warp_forwardIfffLi6ELb0ELb1ELi32EEEvPT0_PKT_iiiPKbib, .Lfunc_end709-_ZN12_GLOBAL__N_120softmax_warp_forwardIfffLi6ELb0ELb1ELi32EEEvPT0_PKT_iiiPKbib
                                        ; -- End function
	.section	.AMDGPU.csdata,"",@progbits
; Kernel info:
; codeLenInByte = 2800
; NumSgprs: 32
; NumVgprs: 22
; NumAgprs: 0
; TotalNumVgprs: 22
; ScratchSize: 0
; MemoryBound: 0
; FloatMode: 240
; IeeeMode: 1
; LDSByteSize: 0 bytes/workgroup (compile time only)
; SGPRBlocks: 3
; VGPRBlocks: 2
; NumSGPRsForWavesPerEU: 32
; NumVGPRsForWavesPerEU: 22
; AccumOffset: 24
; Occupancy: 8
; WaveLimiterHint : 0
; COMPUTE_PGM_RSRC2:SCRATCH_EN: 0
; COMPUTE_PGM_RSRC2:USER_SGPR: 6
; COMPUTE_PGM_RSRC2:TRAP_HANDLER: 0
; COMPUTE_PGM_RSRC2:TGID_X_EN: 1
; COMPUTE_PGM_RSRC2:TGID_Y_EN: 0
; COMPUTE_PGM_RSRC2:TGID_Z_EN: 0
; COMPUTE_PGM_RSRC2:TIDIG_COMP_CNT: 1
; COMPUTE_PGM_RSRC3_GFX90A:ACCUM_OFFSET: 5
; COMPUTE_PGM_RSRC3_GFX90A:TG_SPLIT: 0
	.section	.text._ZN12_GLOBAL__N_120softmax_warp_forwardIfffLi7ELb0ELb1ELi64EEEvPT0_PKT_iiiPKbib,"axG",@progbits,_ZN12_GLOBAL__N_120softmax_warp_forwardIfffLi7ELb0ELb1ELi64EEEvPT0_PKT_iiiPKbib,comdat
	.globl	_ZN12_GLOBAL__N_120softmax_warp_forwardIfffLi7ELb0ELb1ELi64EEEvPT0_PKT_iiiPKbib ; -- Begin function _ZN12_GLOBAL__N_120softmax_warp_forwardIfffLi7ELb0ELb1ELi64EEEvPT0_PKT_iiiPKbib
	.p2align	8
	.type	_ZN12_GLOBAL__N_120softmax_warp_forwardIfffLi7ELb0ELb1ELi64EEEvPT0_PKT_iiiPKbib,@function
_ZN12_GLOBAL__N_120softmax_warp_forwardIfffLi7ELb0ELb1ELi64EEEvPT0_PKT_iiiPKbib: ; @_ZN12_GLOBAL__N_120softmax_warp_forwardIfffLi7ELb0ELb1ELi64EEEvPT0_PKT_iiiPKbib
; %bb.0:
	s_load_dwordx2 s[0:1], s[4:5], 0x28
	s_load_dword s2, s[4:5], 0x3c
	s_load_dwordx4 s[8:11], s[4:5], 0x10
	v_bfe_u32 v1, v0, 10, 10
	v_and_b32_e32 v4, 0x3ff, v0
	s_waitcnt lgkmcnt(0)
	s_bitcmp1_b32 s1, 0
	s_cselect_b64 s[20:21], -1, 0
	s_lshr_b32 s2, s2, 16
	s_mul_i32 s6, s6, s2
	v_add_lshl_u32 v5, s6, v1, 1
	v_mul_lo_u32 v6, v5, s9
	v_add_u32_e32 v0, v6, v4
	v_ashrrev_i32_e32 v1, 31, v0
	s_bitcmp0_b32 s1, 0
	v_pk_mov_b32 v[2:3], v[0:1], v[0:1] op_sel:[0,1]
	s_cbranch_scc1 .LBB710_2
; %bb.1:
	s_abs_i32 s1, s0
	v_cvt_f32_u32_e32 v2, s1
	v_xor_b32_e32 v3, s0, v6
	v_sub_u32_e32 v7, 0, v6
	s_sub_i32 s0, 0, s1
	v_rcp_iflag_f32_e32 v2, v2
	v_max_i32_e32 v6, v6, v7
	v_ashrrev_i32_e32 v3, 31, v3
	v_mul_f32_e32 v2, 0x4f7ffffe, v2
	v_cvt_u32_f32_e32 v2, v2
	v_mul_lo_u32 v7, s0, v2
	v_mul_hi_u32 v7, v2, v7
	v_add_u32_e32 v2, v2, v7
	v_mul_hi_u32 v2, v6, v2
	v_mul_lo_u32 v7, v2, s1
	v_sub_u32_e32 v6, v6, v7
	v_add_u32_e32 v8, 1, v2
	v_cmp_le_u32_e32 vcc, s1, v6
	v_subrev_u32_e32 v7, s1, v6
	v_cndmask_b32_e32 v2, v2, v8, vcc
	v_cndmask_b32_e32 v6, v6, v7, vcc
	v_add_u32_e32 v7, 1, v2
	v_cmp_le_u32_e32 vcc, s1, v6
	v_cndmask_b32_e32 v2, v2, v7, vcc
	v_xor_b32_e32 v2, v2, v3
	v_sub_u32_e32 v2, v2, v3
	v_mad_u64_u32 v[2:3], s[0:1], v2, s9, v[4:5]
	v_ashrrev_i32_e32 v3, 31, v2
.LBB710_2:
	s_load_dwordx4 s[12:15], s[4:5], 0x0
	v_lshlrev_b64 v[0:1], 2, v[0:1]
	v_sub_u32_e32 v7, s8, v5
	v_cmp_gt_i32_e64 s[2:3], s10, v4
	v_mov_b32_e32 v11, 0xff800000
	s_waitcnt lgkmcnt(0)
	v_mov_b32_e32 v5, s15
	v_add_co_u32_e32 v8, vcc, s14, v0
	v_addc_co_u32_e32 v9, vcc, v5, v1, vcc
	v_cmp_lt_i32_e32 vcc, 0, v7
	s_and_b64 s[18:19], vcc, s[2:3]
	v_mov_b32_e32 v6, 0xff800000
	s_and_saveexec_b64 s[0:1], s[18:19]
	s_cbranch_execz .LBB710_4
; %bb.3:
	global_load_dword v6, v[8:9], off
.LBB710_4:
	s_or_b64 exec, exec, s[0:1]
	v_add_u32_e32 v4, 64, v4
	v_cmp_gt_i32_e64 s[0:1], s10, v4
	s_and_b64 s[16:17], vcc, s[0:1]
	s_and_saveexec_b64 s[6:7], s[16:17]
	s_cbranch_execz .LBB710_6
; %bb.5:
	global_load_dword v11, v[8:9], off offset:256
.LBB710_6:
	s_or_b64 exec, exec, s[6:7]
	v_cmp_lt_i32_e64 s[6:7], 1, v7
	s_and_b64 s[14:15], s[6:7], s[2:3]
	v_mov_b32_e32 v10, 0xff800000
	v_mov_b32_e32 v5, 0xff800000
	s_and_saveexec_b64 s[22:23], s[14:15]
	s_cbranch_execz .LBB710_8
; %bb.7:
	s_mov_b32 s11, 0
	s_lshl_b64 s[8:9], s[10:11], 2
	v_mov_b32_e32 v5, s9
	v_add_co_u32_e64 v4, s[8:9], s8, v8
	v_addc_co_u32_e64 v5, s[8:9], v9, v5, s[8:9]
	global_load_dword v5, v[4:5], off
.LBB710_8:
	s_or_b64 exec, exec, s[22:23]
	s_and_b64 s[8:9], s[6:7], s[0:1]
	s_and_saveexec_b64 s[22:23], s[8:9]
	s_cbranch_execz .LBB710_10
; %bb.9:
	s_mov_b32 s11, 0
	s_lshl_b64 s[6:7], s[10:11], 2
	v_mov_b32_e32 v4, s7
	v_add_co_u32_e64 v8, s[6:7], s6, v8
	v_addc_co_u32_e64 v9, s[6:7], v9, v4, s[6:7]
	global_load_dword v10, v[8:9], off offset:256
.LBB710_10:
	s_or_b64 exec, exec, s[22:23]
	s_load_dwordx2 s[4:5], s[4:5], 0x20
	s_mov_b64 s[6:7], 0
	s_waitcnt vmcnt(0)
	v_pk_mov_b32 v[8:9], v[6:7], v[6:7] op_sel:[0,1]
	s_waitcnt lgkmcnt(0)
	v_mov_b32_e32 v4, s5
	v_add_co_u32_e64 v2, s[4:5], s4, v2
	v_addc_co_u32_e64 v3, s[4:5], v4, v3, s[4:5]
	s_and_saveexec_b64 s[22:23], s[18:19]
	s_cbranch_execz .LBB710_12
; %bb.11:
	global_load_ubyte v4, v[2:3], off
	v_pk_mov_b32 v[8:9], v[6:7], v[6:7] op_sel:[0,1]
	s_waitcnt vmcnt(0)
	v_and_b32_e32 v4, 1, v4
	v_cmp_eq_u32_e64 s[4:5], 1, v4
	s_xor_b64 s[4:5], s[4:5], -1
	s_and_b64 s[6:7], s[4:5], exec
.LBB710_12:
	s_or_b64 exec, exec, s[22:23]
	s_and_saveexec_b64 s[22:23], s[16:17]
	s_cbranch_execz .LBB710_16
; %bb.13:
	global_load_ubyte v4, v[2:3], off offset:64
	s_waitcnt vmcnt(0)
	v_and_b32_e32 v4, 1, v4
	v_cmp_eq_u32_e64 s[4:5], 1, v4
	s_xor_b64 s[26:27], s[4:5], -1
	s_mov_b64 s[4:5], s[6:7]
	s_and_saveexec_b64 s[24:25], s[26:27]
; %bb.14:
	v_cmp_gt_f32_e64 s[4:5], v8, v11
	s_and_b64 s[4:5], s[6:7], s[4:5]
	v_cndmask_b32_e64 v8, v11, v8, s[4:5]
	s_or_b64 s[4:5], s[6:7], exec
; %bb.15:
	s_or_b64 exec, exec, s[24:25]
	s_andn2_b64 s[6:7], s[6:7], exec
	s_and_b64 s[4:5], s[4:5], exec
	s_or_b64 s[6:7], s[6:7], s[4:5]
.LBB710_16:
	s_or_b64 exec, exec, s[22:23]
	v_mov_b32_e32 v4, 0xff800000
	v_cndmask_b32_e64 v4, v4, v8, s[6:7]
	s_and_b64 s[4:5], s[20:21], exec
	s_cselect_b32 s11, 0, s10
	s_mov_b64 s[6:7], 0
	v_pk_mov_b32 v[8:9], v[4:5], v[4:5] op_sel:[0,1]
	s_and_saveexec_b64 s[20:21], s[14:15]
	s_cbranch_execz .LBB710_18
; %bb.17:
	s_ashr_i32 s4, s11, 31
	v_mov_b32_e32 v9, s4
	v_add_co_u32_e64 v8, s[4:5], s11, v2
	v_addc_co_u32_e64 v9, s[4:5], v3, v9, s[4:5]
	global_load_ubyte v8, v[8:9], off
	s_waitcnt vmcnt(0)
	v_and_b32_e32 v8, 1, v8
	v_cmp_eq_u32_e64 s[4:5], 1, v8
	s_xor_b64 s[4:5], s[4:5], -1
	s_and_b64 s[6:7], s[4:5], exec
	v_pk_mov_b32 v[8:9], v[4:5], v[4:5] op_sel:[0,1]
.LBB710_18:
	s_or_b64 exec, exec, s[20:21]
	s_and_saveexec_b64 s[20:21], s[8:9]
	s_cbranch_execz .LBB710_22
; %bb.19:
	s_ashr_i32 s4, s11, 31
	v_mov_b32_e32 v4, s4
	v_add_co_u32_e64 v12, s[4:5], s11, v2
	v_addc_co_u32_e64 v13, s[4:5], v3, v4, s[4:5]
	global_load_ubyte v4, v[12:13], off offset:64
	s_waitcnt vmcnt(0)
	v_and_b32_e32 v4, 1, v4
	v_cmp_eq_u32_e64 s[4:5], 1, v4
	s_xor_b64 s[24:25], s[4:5], -1
	s_mov_b64 s[4:5], s[6:7]
	s_and_saveexec_b64 s[22:23], s[24:25]
; %bb.20:
	v_cmp_gt_f32_e64 s[4:5], v9, v10
	s_and_b64 s[4:5], s[6:7], s[4:5]
	v_cndmask_b32_e64 v9, v10, v9, s[4:5]
	s_or_b64 s[4:5], s[6:7], exec
; %bb.21:
	s_or_b64 exec, exec, s[22:23]
	s_andn2_b64 s[6:7], s[6:7], exec
	s_and_b64 s[4:5], s[4:5], exec
	s_or_b64 s[6:7], s[6:7], s[4:5]
.LBB710_22:
	s_or_b64 exec, exec, s[20:21]
	v_mbcnt_lo_u32_b32 v4, -1, 0
	v_mbcnt_hi_u32_b32 v12, -1, v4
	v_and_b32_e32 v4, 64, v12
	v_add_u32_e32 v17, 64, v4
	v_xor_b32_e32 v4, 32, v12
	v_cmp_lt_i32_e64 s[4:5], v4, v17
	v_cndmask_b32_e64 v4, v12, v4, s[4:5]
	v_cndmask_b32_e64 v8, v8, v8, s[6:7]
	v_lshlrev_b32_e32 v4, 2, v4
	ds_bpermute_b32 v13, v4, v8
	v_mov_b32_e32 v14, 0xff800000
	v_cndmask_b32_e64 v9, v14, v9, s[6:7]
	ds_bpermute_b32 v14, v4, v9
	s_mov_b32 s20, 0
	s_waitcnt lgkmcnt(1)
	v_cmp_lt_f32_e64 s[4:5], v8, v13
	v_cndmask_b32_e64 v8, v8, v13, s[4:5]
	v_xor_b32_e32 v13, 16, v12
	v_cmp_lt_i32_e64 s[4:5], v13, v17
	v_cndmask_b32_e64 v13, v12, v13, s[4:5]
	v_lshlrev_b32_e32 v13, 2, v13
	ds_bpermute_b32 v15, v13, v8
	s_waitcnt lgkmcnt(1)
	v_cmp_lt_f32_e64 s[4:5], v9, v14
	v_cndmask_b32_e64 v9, v9, v14, s[4:5]
	v_xor_b32_e32 v14, 8, v12
	s_mov_b32 s21, s20
	s_waitcnt lgkmcnt(0)
	v_cmp_lt_f32_e64 s[4:5], v8, v15
	v_cndmask_b32_e64 v8, v8, v15, s[4:5]
	v_cmp_lt_i32_e64 s[4:5], v14, v17
	v_cndmask_b32_e64 v14, v12, v14, s[4:5]
	ds_bpermute_b32 v15, v13, v9
	v_lshlrev_b32_e32 v14, 2, v14
	ds_bpermute_b32 v16, v14, v8
	s_waitcnt lgkmcnt(1)
	v_cmp_lt_f32_e64 s[4:5], v9, v15
	v_cndmask_b32_e64 v9, v9, v15, s[4:5]
	s_waitcnt lgkmcnt(0)
	v_cmp_lt_f32_e64 s[4:5], v8, v16
	v_xor_b32_e32 v15, 4, v12
	v_cndmask_b32_e64 v8, v8, v16, s[4:5]
	v_cmp_lt_i32_e64 s[4:5], v15, v17
	v_cndmask_b32_e64 v15, v12, v15, s[4:5]
	ds_bpermute_b32 v16, v14, v9
	v_lshlrev_b32_e32 v15, 2, v15
	ds_bpermute_b32 v18, v15, v8
	s_waitcnt lgkmcnt(1)
	v_cmp_lt_f32_e64 s[4:5], v9, v16
	v_cndmask_b32_e64 v9, v9, v16, s[4:5]
	s_waitcnt lgkmcnt(0)
	v_cmp_lt_f32_e64 s[4:5], v8, v18
	v_xor_b32_e32 v16, 2, v12
	v_cndmask_b32_e64 v8, v8, v18, s[4:5]
	v_cmp_lt_i32_e64 s[4:5], v16, v17
	ds_bpermute_b32 v18, v15, v9
	v_cndmask_b32_e64 v16, v12, v16, s[4:5]
	v_lshlrev_b32_e32 v16, 2, v16
	ds_bpermute_b32 v19, v16, v8
	s_waitcnt lgkmcnt(1)
	v_cmp_lt_f32_e64 s[4:5], v9, v18
	v_cndmask_b32_e64 v9, v9, v18, s[4:5]
	ds_bpermute_b32 v18, v16, v9
	s_waitcnt lgkmcnt(1)
	v_cmp_lt_f32_e64 s[4:5], v8, v19
	v_cndmask_b32_e64 v8, v8, v19, s[4:5]
	v_xor_b32_e32 v19, 1, v12
	v_cmp_lt_i32_e64 s[4:5], v19, v17
	v_cndmask_b32_e64 v12, v12, v19, s[4:5]
	v_lshlrev_b32_e32 v17, 2, v12
	ds_bpermute_b32 v21, v17, v8
	s_waitcnt lgkmcnt(1)
	v_cmp_lt_f32_e64 s[4:5], v9, v18
	v_cndmask_b32_e64 v19, v9, v18, s[4:5]
	ds_bpermute_b32 v20, v17, v19
	v_mov_b32_e32 v12, 0
	s_waitcnt lgkmcnt(1)
	v_cmp_lt_f32_e64 s[4:5], v8, v21
	v_cndmask_b32_e64 v21, v8, v21, s[4:5]
	v_pk_mov_b32 v[8:9], s[20:21], s[20:21] op_sel:[0,1]
	v_mov_b32_e32 v18, 0
	s_and_saveexec_b64 s[6:7], s[18:19]
	s_cbranch_execz .LBB710_26
; %bb.23:
	global_load_ubyte v18, v[2:3], off
	v_pk_mov_b32 v[8:9], s[20:21], s[20:21] op_sel:[0,1]
	s_waitcnt vmcnt(0)
	v_and_b32_e32 v18, 1, v18
	v_cmp_eq_u32_e64 s[4:5], 1, v18
	s_xor_b64 s[4:5], s[4:5], -1
	v_mov_b32_e32 v18, 0
	s_and_saveexec_b64 s[18:19], s[4:5]
	s_cbranch_execz .LBB710_25
; %bb.24:
	v_sub_f32_e32 v6, v6, v21
	s_mov_b32 s4, 0x3fb8aa3b
	v_mul_f32_e32 v8, 0x3fb8aa3b, v6
	v_fma_f32 v9, v6, s4, -v8
	v_rndne_f32_e32 v18, v8
	v_fmac_f32_e32 v9, 0x32a5705f, v6
	v_sub_f32_e32 v8, v8, v18
	v_add_f32_e32 v8, v8, v9
	v_exp_f32_e32 v8, v8
	v_cvt_i32_f32_e32 v9, v18
	s_mov_b32 s4, 0xc2ce8ed0
	v_cmp_ngt_f32_e64 s[4:5], s4, v6
	v_mov_b32_e32 v18, 0x7f800000
	v_ldexp_f32 v8, v8, v9
	v_cndmask_b32_e64 v8, 0, v8, s[4:5]
	s_mov_b32 s4, 0x42b17218
	v_cmp_nlt_f32_e64 s[4:5], s4, v6
	v_cndmask_b32_e64 v8, v18, v8, s[4:5]
	v_mov_b32_e32 v9, 0
	v_mov_b32_e32 v18, v8
.LBB710_25:
	s_or_b64 exec, exec, s[18:19]
.LBB710_26:
	s_or_b64 exec, exec, s[6:7]
	v_mov_b32_e32 v6, 0
	s_and_saveexec_b64 s[6:7], s[16:17]
	s_cbranch_execz .LBB710_30
; %bb.27:
	global_load_ubyte v6, v[2:3], off offset:64
	s_waitcnt vmcnt(0)
	v_and_b32_e32 v6, 1, v6
	v_cmp_eq_u32_e64 s[4:5], 1, v6
	s_xor_b64 s[4:5], s[4:5], -1
	v_mov_b32_e32 v6, 0
	s_and_saveexec_b64 s[16:17], s[4:5]
	s_cbranch_execz .LBB710_29
; %bb.28:
	v_sub_f32_e32 v6, v11, v21
	s_mov_b32 s4, 0x3fb8aa3b
	v_mul_f32_e32 v11, 0x3fb8aa3b, v6
	v_fma_f32 v21, v6, s4, -v11
	v_rndne_f32_e32 v22, v11
	v_fmac_f32_e32 v21, 0x32a5705f, v6
	v_sub_f32_e32 v11, v11, v22
	v_add_f32_e32 v11, v11, v21
	v_exp_f32_e32 v11, v11
	v_cvt_i32_f32_e32 v21, v22
	s_mov_b32 s4, 0xc2ce8ed0
	v_cmp_ngt_f32_e64 s[4:5], s4, v6
	v_ldexp_f32 v11, v11, v21
	v_cndmask_b32_e64 v11, 0, v11, s[4:5]
	s_mov_b32 s4, 0x42b17218
	v_mov_b32_e32 v21, 0x7f800000
	v_cmp_nlt_f32_e64 s[4:5], s4, v6
	v_cndmask_b32_e64 v6, v21, v11, s[4:5]
	v_add_f32_e32 v8, v8, v6
.LBB710_29:
	s_or_b64 exec, exec, s[16:17]
.LBB710_30:
	s_or_b64 exec, exec, s[6:7]
	s_waitcnt lgkmcnt(0)
	v_cmp_lt_f32_e64 s[4:5], v19, v20
	v_cndmask_b32_e64 v19, v19, v20, s[4:5]
	s_and_saveexec_b64 s[6:7], s[14:15]
	s_cbranch_execz .LBB710_34
; %bb.31:
	s_ashr_i32 s4, s11, 31
	v_mov_b32_e32 v11, s4
	v_add_co_u32_e64 v20, s[4:5], s11, v2
	v_addc_co_u32_e64 v21, s[4:5], v3, v11, s[4:5]
	global_load_ubyte v11, v[20:21], off
	v_mov_b32_e32 v12, 0
	s_waitcnt vmcnt(0)
	v_and_b32_e32 v11, 1, v11
	v_cmp_eq_u32_e64 s[4:5], 1, v11
	s_xor_b64 s[4:5], s[4:5], -1
	s_and_saveexec_b64 s[14:15], s[4:5]
	s_cbranch_execz .LBB710_33
; %bb.32:
	v_sub_f32_e32 v5, v5, v19
	s_mov_b32 s4, 0x3fb8aa3b
	v_mul_f32_e32 v11, 0x3fb8aa3b, v5
	v_fma_f32 v12, v5, s4, -v11
	v_rndne_f32_e32 v20, v11
	v_fmac_f32_e32 v12, 0x32a5705f, v5
	v_sub_f32_e32 v11, v11, v20
	v_add_f32_e32 v11, v11, v12
	v_exp_f32_e32 v11, v11
	v_cvt_i32_f32_e32 v12, v20
	s_mov_b32 s4, 0xc2ce8ed0
	v_cmp_ngt_f32_e64 s[4:5], s4, v5
	v_ldexp_f32 v11, v11, v12
	v_cndmask_b32_e64 v11, 0, v11, s[4:5]
	s_mov_b32 s4, 0x42b17218
	v_mov_b32_e32 v12, 0x7f800000
	v_cmp_nlt_f32_e64 s[4:5], s4, v5
	v_cndmask_b32_e64 v12, v12, v11, s[4:5]
	v_add_f32_e32 v9, v9, v12
.LBB710_33:
	s_or_b64 exec, exec, s[14:15]
.LBB710_34:
	s_or_b64 exec, exec, s[6:7]
	v_mov_b32_e32 v11, 0
	s_and_saveexec_b64 s[6:7], s[8:9]
	s_cbranch_execz .LBB710_38
; %bb.35:
	s_ashr_i32 s4, s11, 31
	v_mov_b32_e32 v5, s4
	v_add_co_u32_e64 v2, s[4:5], s11, v2
	v_addc_co_u32_e64 v3, s[4:5], v3, v5, s[4:5]
	global_load_ubyte v2, v[2:3], off offset:64
	v_mov_b32_e32 v11, 0
	s_waitcnt vmcnt(0)
	v_and_b32_e32 v2, 1, v2
	v_cmp_eq_u32_e64 s[4:5], 1, v2
	s_xor_b64 s[4:5], s[4:5], -1
	s_and_saveexec_b64 s[8:9], s[4:5]
	s_cbranch_execz .LBB710_37
; %bb.36:
	v_sub_f32_e32 v2, v10, v19
	s_mov_b32 s4, 0x3fb8aa3b
	v_mul_f32_e32 v3, 0x3fb8aa3b, v2
	v_fma_f32 v5, v2, s4, -v3
	v_rndne_f32_e32 v10, v3
	v_fmac_f32_e32 v5, 0x32a5705f, v2
	v_sub_f32_e32 v3, v3, v10
	v_add_f32_e32 v3, v3, v5
	v_exp_f32_e32 v3, v3
	v_cvt_i32_f32_e32 v5, v10
	s_mov_b32 s4, 0xc2ce8ed0
	v_cmp_ngt_f32_e64 s[4:5], s4, v2
	v_ldexp_f32 v3, v3, v5
	v_cndmask_b32_e64 v3, 0, v3, s[4:5]
	s_mov_b32 s4, 0x42b17218
	v_mov_b32_e32 v5, 0x7f800000
	v_cmp_nlt_f32_e64 s[4:5], s4, v2
	v_cndmask_b32_e64 v11, v5, v3, s[4:5]
	v_add_f32_e32 v9, v9, v11
.LBB710_37:
	s_or_b64 exec, exec, s[8:9]
.LBB710_38:
	s_or_b64 exec, exec, s[6:7]
	ds_bpermute_b32 v2, v4, v8
	ds_bpermute_b32 v3, v4, v9
	s_waitcnt lgkmcnt(0)
	v_pk_add_f32 v[2:3], v[8:9], v[2:3]
	ds_bpermute_b32 v4, v13, v2
	ds_bpermute_b32 v5, v13, v3
	s_waitcnt lgkmcnt(0)
	v_pk_add_f32 v[2:3], v[2:3], v[4:5]
	ds_bpermute_b32 v4, v14, v2
	ds_bpermute_b32 v5, v14, v3
	s_waitcnt lgkmcnt(0)
	v_pk_add_f32 v[2:3], v[2:3], v[4:5]
	ds_bpermute_b32 v4, v15, v2
	ds_bpermute_b32 v5, v15, v3
	s_waitcnt lgkmcnt(0)
	v_pk_add_f32 v[2:3], v[2:3], v[4:5]
	ds_bpermute_b32 v4, v16, v2
	ds_bpermute_b32 v5, v16, v3
	s_waitcnt lgkmcnt(0)
	v_pk_add_f32 v[2:3], v[2:3], v[4:5]
	ds_bpermute_b32 v4, v17, v2
	ds_bpermute_b32 v5, v17, v3
	s_and_saveexec_b64 s[4:5], vcc
	s_cbranch_execz .LBB710_46
; %bb.39:
	s_waitcnt lgkmcnt(0)
	v_pk_add_f32 v[2:3], v[2:3], v[4:5]
	v_mov_b32_e32 v4, s13
	v_add_co_u32_e32 v0, vcc, s12, v0
	v_addc_co_u32_e32 v1, vcc, v4, v1, vcc
	s_and_saveexec_b64 s[6:7], s[2:3]
	s_cbranch_execz .LBB710_42
; %bb.40:
	v_div_scale_f32 v4, s[4:5], v2, v2, v18
	v_rcp_f32_e32 v5, v4
	v_div_scale_f32 v8, vcc, v18, v2, v18
	v_cmp_eq_f32_e64 s[4:5], 0, v2
	v_fma_f32 v9, -v4, v5, 1.0
	v_fmac_f32_e32 v5, v9, v5
	v_mul_f32_e32 v9, v8, v5
	v_fma_f32 v10, -v4, v9, v8
	v_fmac_f32_e32 v9, v10, v5
	v_fma_f32 v4, -v4, v9, v8
	v_div_fmas_f32 v4, v4, v5, v9
	v_div_fixup_f32 v5, v4, v2, v18
	v_mov_b32_e32 v4, 0x7fc00000
	v_cndmask_b32_e64 v5, v5, v4, s[4:5]
	global_store_dword v[0:1], v5, off
	s_and_b64 exec, exec, s[0:1]
	s_cbranch_execz .LBB710_42
; %bb.41:
	v_div_scale_f32 v5, s[8:9], v2, v2, v6
	v_rcp_f32_e32 v8, v5
	v_div_scale_f32 v9, vcc, v6, v2, v6
	v_fma_f32 v10, -v5, v8, 1.0
	v_fmac_f32_e32 v8, v10, v8
	v_mul_f32_e32 v10, v9, v8
	v_fma_f32 v13, -v5, v10, v9
	v_fmac_f32_e32 v10, v13, v8
	v_fma_f32 v5, -v5, v10, v9
	v_div_fmas_f32 v5, v5, v8, v10
	v_div_fixup_f32 v2, v5, v2, v6
	v_cndmask_b32_e64 v2, v2, v4, s[4:5]
	global_store_dword v[0:1], v2, off offset:256
.LBB710_42:
	s_or_b64 exec, exec, s[6:7]
	v_cmp_ne_u32_e32 vcc, 1, v7
	s_and_b64 exec, exec, vcc
	s_cbranch_execz .LBB710_46
; %bb.43:
	s_and_b64 exec, exec, s[2:3]
	s_cbranch_execz .LBB710_46
; %bb.44:
	v_div_scale_f32 v2, s[2:3], v3, v3, v12
	v_rcp_f32_e32 v4, v2
	s_mov_b32 s11, 0
	s_lshl_b64 s[2:3], s[10:11], 2
	v_fma_f32 v5, -v2, v4, 1.0
	v_fmac_f32_e32 v4, v5, v4
	v_div_scale_f32 v5, vcc, v12, v3, v12
	v_mul_f32_e32 v6, v5, v4
	v_fma_f32 v7, -v2, v6, v5
	v_fmac_f32_e32 v6, v7, v4
	v_fma_f32 v2, -v2, v6, v5
	v_div_fmas_f32 v2, v2, v4, v6
	v_div_fixup_f32 v6, v2, v3, v12
	v_mov_b32_e32 v2, s3
	v_add_co_u32_e32 v4, vcc, s2, v0
	v_addc_co_u32_e32 v5, vcc, v1, v2, vcc
	v_mov_b32_e32 v2, 0x7fc00000
	v_cmp_eq_f32_e64 s[2:3], 0, v3
	v_cndmask_b32_e64 v6, v6, v2, s[2:3]
	global_store_dword v[4:5], v6, off
	s_and_b64 exec, exec, s[0:1]
	s_cbranch_execz .LBB710_46
; %bb.45:
	v_div_scale_f32 v4, s[0:1], v3, v3, v11
	v_rcp_f32_e32 v5, v4
	v_div_scale_f32 v6, vcc, v11, v3, v11
	s_ashr_i32 s11, s10, 31
	v_fma_f32 v7, -v4, v5, 1.0
	v_fmac_f32_e32 v5, v7, v5
	v_mul_f32_e32 v7, v6, v5
	v_fma_f32 v8, -v4, v7, v6
	v_fmac_f32_e32 v7, v8, v5
	v_fma_f32 v4, -v4, v7, v6
	v_div_fmas_f32 v4, v4, v5, v7
	s_lshl_b64 s[0:1], s[10:11], 2
	v_div_fixup_f32 v3, v4, v3, v11
	v_mov_b32_e32 v4, s1
	v_add_co_u32_e32 v0, vcc, s0, v0
	v_addc_co_u32_e32 v1, vcc, v1, v4, vcc
	v_cndmask_b32_e64 v2, v3, v2, s[2:3]
	global_store_dword v[0:1], v2, off offset:256
.LBB710_46:
	s_endpgm
	.section	.rodata,"a",@progbits
	.p2align	6, 0x0
	.amdhsa_kernel _ZN12_GLOBAL__N_120softmax_warp_forwardIfffLi7ELb0ELb1ELi64EEEvPT0_PKT_iiiPKbib
		.amdhsa_group_segment_fixed_size 0
		.amdhsa_private_segment_fixed_size 0
		.amdhsa_kernarg_size 304
		.amdhsa_user_sgpr_count 6
		.amdhsa_user_sgpr_private_segment_buffer 1
		.amdhsa_user_sgpr_dispatch_ptr 0
		.amdhsa_user_sgpr_queue_ptr 0
		.amdhsa_user_sgpr_kernarg_segment_ptr 1
		.amdhsa_user_sgpr_dispatch_id 0
		.amdhsa_user_sgpr_flat_scratch_init 0
		.amdhsa_user_sgpr_kernarg_preload_length 0
		.amdhsa_user_sgpr_kernarg_preload_offset 0
		.amdhsa_user_sgpr_private_segment_size 0
		.amdhsa_uses_dynamic_stack 0
		.amdhsa_system_sgpr_private_segment_wavefront_offset 0
		.amdhsa_system_sgpr_workgroup_id_x 1
		.amdhsa_system_sgpr_workgroup_id_y 0
		.amdhsa_system_sgpr_workgroup_id_z 0
		.amdhsa_system_sgpr_workgroup_info 0
		.amdhsa_system_vgpr_workitem_id 1
		.amdhsa_next_free_vgpr 23
		.amdhsa_next_free_sgpr 28
		.amdhsa_accum_offset 24
		.amdhsa_reserve_vcc 1
		.amdhsa_reserve_flat_scratch 0
		.amdhsa_float_round_mode_32 0
		.amdhsa_float_round_mode_16_64 0
		.amdhsa_float_denorm_mode_32 3
		.amdhsa_float_denorm_mode_16_64 3
		.amdhsa_dx10_clamp 1
		.amdhsa_ieee_mode 1
		.amdhsa_fp16_overflow 0
		.amdhsa_tg_split 0
		.amdhsa_exception_fp_ieee_invalid_op 0
		.amdhsa_exception_fp_denorm_src 0
		.amdhsa_exception_fp_ieee_div_zero 0
		.amdhsa_exception_fp_ieee_overflow 0
		.amdhsa_exception_fp_ieee_underflow 0
		.amdhsa_exception_fp_ieee_inexact 0
		.amdhsa_exception_int_div_zero 0
	.end_amdhsa_kernel
	.section	.text._ZN12_GLOBAL__N_120softmax_warp_forwardIfffLi7ELb0ELb1ELi64EEEvPT0_PKT_iiiPKbib,"axG",@progbits,_ZN12_GLOBAL__N_120softmax_warp_forwardIfffLi7ELb0ELb1ELi64EEEvPT0_PKT_iiiPKbib,comdat
.Lfunc_end710:
	.size	_ZN12_GLOBAL__N_120softmax_warp_forwardIfffLi7ELb0ELb1ELi64EEEvPT0_PKT_iiiPKbib, .Lfunc_end710-_ZN12_GLOBAL__N_120softmax_warp_forwardIfffLi7ELb0ELb1ELi64EEEvPT0_PKT_iiiPKbib
                                        ; -- End function
	.section	.AMDGPU.csdata,"",@progbits
; Kernel info:
; codeLenInByte = 2904
; NumSgprs: 32
; NumVgprs: 23
; NumAgprs: 0
; TotalNumVgprs: 23
; ScratchSize: 0
; MemoryBound: 0
; FloatMode: 240
; IeeeMode: 1
; LDSByteSize: 0 bytes/workgroup (compile time only)
; SGPRBlocks: 3
; VGPRBlocks: 2
; NumSGPRsForWavesPerEU: 32
; NumVGPRsForWavesPerEU: 23
; AccumOffset: 24
; Occupancy: 8
; WaveLimiterHint : 0
; COMPUTE_PGM_RSRC2:SCRATCH_EN: 0
; COMPUTE_PGM_RSRC2:USER_SGPR: 6
; COMPUTE_PGM_RSRC2:TRAP_HANDLER: 0
; COMPUTE_PGM_RSRC2:TGID_X_EN: 1
; COMPUTE_PGM_RSRC2:TGID_Y_EN: 0
; COMPUTE_PGM_RSRC2:TGID_Z_EN: 0
; COMPUTE_PGM_RSRC2:TIDIG_COMP_CNT: 1
; COMPUTE_PGM_RSRC3_GFX90A:ACCUM_OFFSET: 5
; COMPUTE_PGM_RSRC3_GFX90A:TG_SPLIT: 0
	.section	.text._ZN12_GLOBAL__N_120softmax_warp_forwardIfffLi7ELb0ELb1ELi32EEEvPT0_PKT_iiiPKbib,"axG",@progbits,_ZN12_GLOBAL__N_120softmax_warp_forwardIfffLi7ELb0ELb1ELi32EEEvPT0_PKT_iiiPKbib,comdat
	.globl	_ZN12_GLOBAL__N_120softmax_warp_forwardIfffLi7ELb0ELb1ELi32EEEvPT0_PKT_iiiPKbib ; -- Begin function _ZN12_GLOBAL__N_120softmax_warp_forwardIfffLi7ELb0ELb1ELi32EEEvPT0_PKT_iiiPKbib
	.p2align	8
	.type	_ZN12_GLOBAL__N_120softmax_warp_forwardIfffLi7ELb0ELb1ELi32EEEvPT0_PKT_iiiPKbib,@function
_ZN12_GLOBAL__N_120softmax_warp_forwardIfffLi7ELb0ELb1ELi32EEEvPT0_PKT_iiiPKbib: ; @_ZN12_GLOBAL__N_120softmax_warp_forwardIfffLi7ELb0ELb1ELi32EEEvPT0_PKT_iiiPKbib
; %bb.0:
	s_load_dwordx2 s[0:1], s[4:5], 0x28
	s_load_dword s2, s[4:5], 0x3c
	s_load_dwordx4 s[12:15], s[4:5], 0x10
	v_bfe_u32 v1, v0, 10, 10
	v_and_b32_e32 v4, 0x3ff, v0
	s_waitcnt lgkmcnt(0)
	s_bitcmp1_b32 s1, 0
	s_cselect_b64 s[34:35], -1, 0
	s_lshr_b32 s2, s2, 16
	s_mul_i32 s6, s6, s2
	v_add_lshl_u32 v5, s6, v1, 1
	v_mul_lo_u32 v6, v5, s13
	v_add_u32_e32 v0, v6, v4
	v_ashrrev_i32_e32 v1, 31, v0
	s_bitcmp0_b32 s1, 0
	v_pk_mov_b32 v[2:3], v[0:1], v[0:1] op_sel:[0,1]
	s_cbranch_scc1 .LBB711_2
; %bb.1:
	s_abs_i32 s1, s0
	v_cvt_f32_u32_e32 v2, s1
	v_xor_b32_e32 v3, s0, v6
	v_sub_u32_e32 v7, 0, v6
	s_sub_i32 s0, 0, s1
	v_rcp_iflag_f32_e32 v2, v2
	v_max_i32_e32 v6, v6, v7
	v_ashrrev_i32_e32 v3, 31, v3
	v_mul_f32_e32 v2, 0x4f7ffffe, v2
	v_cvt_u32_f32_e32 v2, v2
	v_mul_lo_u32 v7, s0, v2
	v_mul_hi_u32 v7, v2, v7
	v_add_u32_e32 v2, v2, v7
	v_mul_hi_u32 v2, v6, v2
	v_mul_lo_u32 v7, v2, s1
	v_sub_u32_e32 v6, v6, v7
	v_add_u32_e32 v8, 1, v2
	v_cmp_le_u32_e32 vcc, s1, v6
	v_subrev_u32_e32 v7, s1, v6
	v_cndmask_b32_e32 v2, v2, v8, vcc
	v_cndmask_b32_e32 v6, v6, v7, vcc
	v_add_u32_e32 v7, 1, v2
	v_cmp_le_u32_e32 vcc, s1, v6
	v_cndmask_b32_e32 v2, v2, v7, vcc
	v_xor_b32_e32 v2, v2, v3
	v_sub_u32_e32 v2, v2, v3
	v_mad_u64_u32 v[2:3], s[0:1], v2, s13, v[4:5]
	v_ashrrev_i32_e32 v3, 31, v2
.LBB711_2:
	s_load_dwordx4 s[16:19], s[4:5], 0x0
	v_lshlrev_b64 v[0:1], 2, v[0:1]
	v_sub_u32_e32 v7, s12, v5
	v_cmp_gt_i32_e64 s[6:7], s14, v4
	v_mov_b32_e32 v15, 0xff800000
	s_waitcnt lgkmcnt(0)
	v_mov_b32_e32 v5, s19
	v_add_co_u32_e32 v8, vcc, s18, v0
	v_addc_co_u32_e32 v9, vcc, v5, v1, vcc
	v_cmp_lt_i32_e32 vcc, 0, v7
	s_and_b64 s[30:31], vcc, s[6:7]
	v_mov_b32_e32 v6, 0xff800000
	s_and_saveexec_b64 s[0:1], s[30:31]
	s_cbranch_execz .LBB711_4
; %bb.3:
	global_load_dword v6, v[8:9], off
.LBB711_4:
	s_or_b64 exec, exec, s[0:1]
	v_add_u32_e32 v5, 32, v4
	v_cmp_gt_i32_e64 s[8:9], s14, v5
	s_and_b64 s[28:29], vcc, s[8:9]
	s_and_saveexec_b64 s[0:1], s[28:29]
	s_cbranch_execz .LBB711_6
; %bb.5:
	global_load_dword v15, v[8:9], off offset:128
.LBB711_6:
	s_or_b64 exec, exec, s[0:1]
	v_add_u32_e32 v5, 64, v4
	v_cmp_gt_i32_e64 s[2:3], s14, v5
	s_and_b64 s[26:27], vcc, s[2:3]
	v_mov_b32_e32 v13, 0xff800000
	v_mov_b32_e32 v14, 0xff800000
	s_and_saveexec_b64 s[0:1], s[26:27]
	s_cbranch_execz .LBB711_8
; %bb.7:
	global_load_dword v14, v[8:9], off offset:256
.LBB711_8:
	s_or_b64 exec, exec, s[0:1]
	v_add_u32_e32 v4, 0x60, v4
	v_cmp_gt_i32_e64 s[0:1], s14, v4
	s_and_b64 s[24:25], vcc, s[0:1]
	s_and_saveexec_b64 s[10:11], s[24:25]
	s_cbranch_execz .LBB711_10
; %bb.9:
	global_load_dword v13, v[8:9], off offset:384
.LBB711_10:
	s_or_b64 exec, exec, s[10:11]
	v_cmp_lt_i32_e64 s[10:11], 1, v7
	s_and_b64 s[22:23], s[10:11], s[6:7]
	v_mov_b32_e32 v12, 0xff800000
	v_mov_b32_e32 v5, 0xff800000
	s_and_saveexec_b64 s[18:19], s[22:23]
	s_cbranch_execz .LBB711_12
; %bb.11:
	s_mov_b32 s15, 0
	s_lshl_b64 s[12:13], s[14:15], 2
	v_mov_b32_e32 v5, s13
	v_add_co_u32_e64 v4, s[12:13], s12, v8
	v_addc_co_u32_e64 v5, s[12:13], v9, v5, s[12:13]
	global_load_dword v5, v[4:5], off
.LBB711_12:
	s_or_b64 exec, exec, s[18:19]
	s_and_b64 s[20:21], s[10:11], s[8:9]
	s_and_saveexec_b64 s[18:19], s[20:21]
	s_cbranch_execz .LBB711_14
; %bb.13:
	s_mov_b32 s15, 0
	s_lshl_b64 s[12:13], s[14:15], 2
	v_mov_b32_e32 v4, s13
	v_add_co_u32_e64 v10, s[12:13], s12, v8
	v_addc_co_u32_e64 v11, s[12:13], v9, v4, s[12:13]
	global_load_dword v12, v[10:11], off offset:128
.LBB711_14:
	s_or_b64 exec, exec, s[18:19]
	s_and_b64 s[18:19], s[10:11], s[2:3]
	v_mov_b32_e32 v10, 0xff800000
	v_mov_b32_e32 v11, 0xff800000
	s_and_saveexec_b64 s[36:37], s[18:19]
	s_cbranch_execz .LBB711_16
; %bb.15:
	s_mov_b32 s15, 0
	s_lshl_b64 s[12:13], s[14:15], 2
	v_mov_b32_e32 v4, s13
	v_add_co_u32_e64 v16, s[12:13], s12, v8
	v_addc_co_u32_e64 v17, s[12:13], v9, v4, s[12:13]
	global_load_dword v11, v[16:17], off offset:256
.LBB711_16:
	s_or_b64 exec, exec, s[36:37]
	s_and_b64 s[12:13], s[10:11], s[0:1]
	s_and_saveexec_b64 s[36:37], s[12:13]
	s_cbranch_execz .LBB711_18
; %bb.17:
	s_mov_b32 s15, 0
	s_lshl_b64 s[10:11], s[14:15], 2
	v_mov_b32_e32 v4, s11
	v_add_co_u32_e64 v8, s[10:11], s10, v8
	v_addc_co_u32_e64 v9, s[10:11], v9, v4, s[10:11]
	global_load_dword v10, v[8:9], off offset:384
.LBB711_18:
	s_or_b64 exec, exec, s[36:37]
	s_load_dwordx2 s[4:5], s[4:5], 0x20
	s_mov_b64 s[10:11], 0
	s_waitcnt vmcnt(0)
	v_pk_mov_b32 v[8:9], v[6:7], v[6:7] op_sel:[0,1]
	s_waitcnt lgkmcnt(0)
	v_mov_b32_e32 v4, s5
	v_add_co_u32_e64 v2, s[4:5], s4, v2
	v_addc_co_u32_e64 v3, s[4:5], v4, v3, s[4:5]
	s_and_saveexec_b64 s[36:37], s[30:31]
	s_cbranch_execnz .LBB711_22
; %bb.19:
	s_or_b64 exec, exec, s[36:37]
	s_and_saveexec_b64 s[36:37], s[28:29]
	s_cbranch_execnz .LBB711_23
.LBB711_20:
	s_or_b64 exec, exec, s[36:37]
	s_and_saveexec_b64 s[36:37], s[26:27]
	s_cbranch_execnz .LBB711_26
.LBB711_21:
	s_or_b64 exec, exec, s[36:37]
	s_and_saveexec_b64 s[36:37], s[24:25]
	s_cbranch_execnz .LBB711_29
	s_branch .LBB711_32
.LBB711_22:
	global_load_ubyte v4, v[2:3], off
	v_pk_mov_b32 v[8:9], v[6:7], v[6:7] op_sel:[0,1]
	s_waitcnt vmcnt(0)
	v_and_b32_e32 v4, 1, v4
	v_cmp_eq_u32_e64 s[4:5], 1, v4
	s_xor_b64 s[4:5], s[4:5], -1
	s_and_b64 s[10:11], s[4:5], exec
	s_or_b64 exec, exec, s[36:37]
	s_and_saveexec_b64 s[36:37], s[28:29]
	s_cbranch_execz .LBB711_20
.LBB711_23:
	global_load_ubyte v4, v[2:3], off offset:32
	s_waitcnt vmcnt(0)
	v_and_b32_e32 v4, 1, v4
	v_cmp_eq_u32_e64 s[4:5], 1, v4
	s_xor_b64 s[40:41], s[4:5], -1
	s_mov_b64 s[4:5], s[10:11]
	s_and_saveexec_b64 s[38:39], s[40:41]
; %bb.24:
	v_cmp_gt_f32_e64 s[4:5], v8, v15
	s_and_b64 s[4:5], s[10:11], s[4:5]
	v_cndmask_b32_e64 v8, v15, v8, s[4:5]
	s_or_b64 s[4:5], s[10:11], exec
; %bb.25:
	s_or_b64 exec, exec, s[38:39]
	s_andn2_b64 s[10:11], s[10:11], exec
	s_and_b64 s[4:5], s[4:5], exec
	s_or_b64 s[10:11], s[10:11], s[4:5]
	s_or_b64 exec, exec, s[36:37]
	s_and_saveexec_b64 s[36:37], s[26:27]
	s_cbranch_execz .LBB711_21
.LBB711_26:
	global_load_ubyte v4, v[2:3], off offset:64
	s_waitcnt vmcnt(0)
	v_and_b32_e32 v4, 1, v4
	v_cmp_eq_u32_e64 s[4:5], 1, v4
	s_xor_b64 s[40:41], s[4:5], -1
	s_mov_b64 s[4:5], s[10:11]
	s_and_saveexec_b64 s[38:39], s[40:41]
; %bb.27:
	v_cmp_gt_f32_e64 s[4:5], v8, v14
	s_and_b64 s[4:5], s[10:11], s[4:5]
	v_cndmask_b32_e64 v8, v14, v8, s[4:5]
	s_or_b64 s[4:5], s[10:11], exec
; %bb.28:
	s_or_b64 exec, exec, s[38:39]
	s_andn2_b64 s[10:11], s[10:11], exec
	s_and_b64 s[4:5], s[4:5], exec
	s_or_b64 s[10:11], s[10:11], s[4:5]
	s_or_b64 exec, exec, s[36:37]
	s_and_saveexec_b64 s[36:37], s[24:25]
	s_cbranch_execz .LBB711_32
.LBB711_29:
	global_load_ubyte v4, v[2:3], off offset:96
	s_waitcnt vmcnt(0)
	v_and_b32_e32 v4, 1, v4
	v_cmp_eq_u32_e64 s[4:5], 1, v4
	s_xor_b64 s[40:41], s[4:5], -1
	s_mov_b64 s[4:5], s[10:11]
	s_and_saveexec_b64 s[38:39], s[40:41]
; %bb.30:
	v_cmp_gt_f32_e64 s[4:5], v8, v13
	s_and_b64 s[4:5], s[10:11], s[4:5]
	v_cndmask_b32_e64 v8, v13, v8, s[4:5]
	s_or_b64 s[4:5], s[10:11], exec
; %bb.31:
	s_or_b64 exec, exec, s[38:39]
	s_andn2_b64 s[10:11], s[10:11], exec
	s_and_b64 s[4:5], s[4:5], exec
	s_or_b64 s[10:11], s[10:11], s[4:5]
.LBB711_32:
	s_or_b64 exec, exec, s[36:37]
	v_mov_b32_e32 v4, 0xff800000
	v_cndmask_b32_e64 v4, v4, v8, s[10:11]
	s_and_b64 s[4:5], s[34:35], exec
	s_cselect_b32 s15, 0, s14
	s_mov_b64 s[10:11], 0
	v_pk_mov_b32 v[8:9], v[4:5], v[4:5] op_sel:[0,1]
	s_and_saveexec_b64 s[34:35], s[22:23]
	s_cbranch_execnz .LBB711_36
; %bb.33:
	s_or_b64 exec, exec, s[34:35]
	s_and_saveexec_b64 s[34:35], s[20:21]
	s_cbranch_execnz .LBB711_37
.LBB711_34:
	s_or_b64 exec, exec, s[34:35]
	s_and_saveexec_b64 s[34:35], s[18:19]
	s_cbranch_execnz .LBB711_40
.LBB711_35:
	s_or_b64 exec, exec, s[34:35]
	s_and_saveexec_b64 s[34:35], s[12:13]
	s_cbranch_execnz .LBB711_43
	s_branch .LBB711_46
.LBB711_36:
	s_ashr_i32 s4, s15, 31
	v_mov_b32_e32 v9, s4
	v_add_co_u32_e64 v8, s[4:5], s15, v2
	v_addc_co_u32_e64 v9, s[4:5], v3, v9, s[4:5]
	global_load_ubyte v8, v[8:9], off
	s_waitcnt vmcnt(0)
	v_and_b32_e32 v8, 1, v8
	v_cmp_eq_u32_e64 s[4:5], 1, v8
	s_xor_b64 s[4:5], s[4:5], -1
	s_and_b64 s[10:11], s[4:5], exec
	v_pk_mov_b32 v[8:9], v[4:5], v[4:5] op_sel:[0,1]
	s_or_b64 exec, exec, s[34:35]
	s_and_saveexec_b64 s[34:35], s[20:21]
	s_cbranch_execz .LBB711_34
.LBB711_37:
	s_ashr_i32 s4, s15, 31
	v_mov_b32_e32 v4, s4
	v_add_co_u32_e64 v16, s[4:5], s15, v2
	v_addc_co_u32_e64 v17, s[4:5], v3, v4, s[4:5]
	global_load_ubyte v4, v[16:17], off offset:32
	s_waitcnt vmcnt(0)
	v_and_b32_e32 v4, 1, v4
	v_cmp_eq_u32_e64 s[4:5], 1, v4
	s_xor_b64 s[38:39], s[4:5], -1
	s_mov_b64 s[4:5], s[10:11]
	s_and_saveexec_b64 s[36:37], s[38:39]
; %bb.38:
	v_cmp_gt_f32_e64 s[4:5], v9, v12
	s_and_b64 s[4:5], s[10:11], s[4:5]
	v_cndmask_b32_e64 v9, v12, v9, s[4:5]
	s_or_b64 s[4:5], s[10:11], exec
; %bb.39:
	s_or_b64 exec, exec, s[36:37]
	s_andn2_b64 s[10:11], s[10:11], exec
	s_and_b64 s[4:5], s[4:5], exec
	s_or_b64 s[10:11], s[10:11], s[4:5]
	s_or_b64 exec, exec, s[34:35]
	s_and_saveexec_b64 s[34:35], s[18:19]
	s_cbranch_execz .LBB711_35
.LBB711_40:
	s_ashr_i32 s4, s15, 31
	v_mov_b32_e32 v4, s4
	v_add_co_u32_e64 v16, s[4:5], s15, v2
	v_addc_co_u32_e64 v17, s[4:5], v3, v4, s[4:5]
	global_load_ubyte v4, v[16:17], off offset:64
	s_waitcnt vmcnt(0)
	v_and_b32_e32 v4, 1, v4
	v_cmp_eq_u32_e64 s[4:5], 1, v4
	s_xor_b64 s[38:39], s[4:5], -1
	s_mov_b64 s[4:5], s[10:11]
	s_and_saveexec_b64 s[36:37], s[38:39]
; %bb.41:
	v_cmp_gt_f32_e64 s[4:5], v9, v11
	s_and_b64 s[4:5], s[10:11], s[4:5]
	v_cndmask_b32_e64 v9, v11, v9, s[4:5]
	s_or_b64 s[4:5], s[10:11], exec
; %bb.42:
	s_or_b64 exec, exec, s[36:37]
	s_andn2_b64 s[10:11], s[10:11], exec
	s_and_b64 s[4:5], s[4:5], exec
	s_or_b64 s[10:11], s[10:11], s[4:5]
	s_or_b64 exec, exec, s[34:35]
	s_and_saveexec_b64 s[34:35], s[12:13]
	s_cbranch_execz .LBB711_46
.LBB711_43:
	s_ashr_i32 s4, s15, 31
	v_mov_b32_e32 v4, s4
	v_add_co_u32_e64 v16, s[4:5], s15, v2
	v_addc_co_u32_e64 v17, s[4:5], v3, v4, s[4:5]
	global_load_ubyte v4, v[16:17], off offset:96
	s_waitcnt vmcnt(0)
	v_and_b32_e32 v4, 1, v4
	v_cmp_eq_u32_e64 s[4:5], 1, v4
	s_xor_b64 s[38:39], s[4:5], -1
	s_mov_b64 s[4:5], s[10:11]
	s_and_saveexec_b64 s[36:37], s[38:39]
; %bb.44:
	v_cmp_gt_f32_e64 s[4:5], v9, v10
	s_and_b64 s[4:5], s[10:11], s[4:5]
	v_cndmask_b32_e64 v9, v10, v9, s[4:5]
	s_or_b64 s[4:5], s[10:11], exec
; %bb.45:
	s_or_b64 exec, exec, s[36:37]
	s_andn2_b64 s[10:11], s[10:11], exec
	s_and_b64 s[4:5], s[4:5], exec
	s_or_b64 s[10:11], s[10:11], s[4:5]
.LBB711_46:
	s_or_b64 exec, exec, s[34:35]
	v_mbcnt_lo_u32_b32 v4, -1, 0
	v_mbcnt_hi_u32_b32 v16, -1, v4
	v_and_b32_e32 v4, 0x60, v16
	v_add_u32_e32 v20, 32, v4
	v_xor_b32_e32 v4, 16, v16
	v_cmp_lt_i32_e64 s[4:5], v4, v20
	v_cndmask_b32_e64 v4, v16, v4, s[4:5]
	v_cndmask_b32_e64 v8, v8, v8, s[10:11]
	v_lshlrev_b32_e32 v4, 2, v4
	ds_bpermute_b32 v17, v4, v8
	v_mov_b32_e32 v18, 0xff800000
	v_cndmask_b32_e64 v9, v18, v9, s[10:11]
	ds_bpermute_b32 v18, v4, v9
	s_mov_b32 s34, 0
	s_waitcnt lgkmcnt(1)
	v_cmp_lt_f32_e64 s[4:5], v8, v17
	v_cndmask_b32_e64 v8, v8, v17, s[4:5]
	v_xor_b32_e32 v17, 8, v16
	v_cmp_lt_i32_e64 s[4:5], v17, v20
	v_cndmask_b32_e64 v17, v16, v17, s[4:5]
	v_lshlrev_b32_e32 v17, 2, v17
	ds_bpermute_b32 v19, v17, v8
	s_waitcnt lgkmcnt(1)
	v_cmp_lt_f32_e64 s[4:5], v9, v18
	v_cndmask_b32_e64 v9, v9, v18, s[4:5]
	v_xor_b32_e32 v18, 4, v16
	s_mov_b32 s35, s34
	s_waitcnt lgkmcnt(0)
	v_cmp_lt_f32_e64 s[4:5], v8, v19
	v_cndmask_b32_e64 v8, v8, v19, s[4:5]
	v_cmp_lt_i32_e64 s[4:5], v18, v20
	v_cndmask_b32_e64 v18, v16, v18, s[4:5]
	ds_bpermute_b32 v19, v17, v9
	v_lshlrev_b32_e32 v18, 2, v18
	ds_bpermute_b32 v21, v18, v8
	s_waitcnt lgkmcnt(1)
	v_cmp_lt_f32_e64 s[4:5], v9, v19
	v_cndmask_b32_e64 v9, v9, v19, s[4:5]
	s_waitcnt lgkmcnt(0)
	v_cmp_lt_f32_e64 s[4:5], v8, v21
	v_xor_b32_e32 v19, 2, v16
	v_cndmask_b32_e64 v8, v8, v21, s[4:5]
	v_cmp_lt_i32_e64 s[4:5], v19, v20
	ds_bpermute_b32 v21, v18, v9
	v_cndmask_b32_e64 v19, v16, v19, s[4:5]
	v_lshlrev_b32_e32 v19, 2, v19
	ds_bpermute_b32 v22, v19, v8
	s_waitcnt lgkmcnt(1)
	v_cmp_lt_f32_e64 s[4:5], v9, v21
	v_cndmask_b32_e64 v9, v9, v21, s[4:5]
	ds_bpermute_b32 v21, v19, v9
	s_waitcnt lgkmcnt(1)
	v_cmp_lt_f32_e64 s[4:5], v8, v22
	v_cndmask_b32_e64 v8, v8, v22, s[4:5]
	v_xor_b32_e32 v22, 1, v16
	v_cmp_lt_i32_e64 s[4:5], v22, v20
	v_cndmask_b32_e64 v16, v16, v22, s[4:5]
	v_lshlrev_b32_e32 v20, 2, v16
	ds_bpermute_b32 v24, v20, v8
	s_waitcnt lgkmcnt(1)
	v_cmp_lt_f32_e64 s[4:5], v9, v21
	v_cndmask_b32_e64 v22, v9, v21, s[4:5]
	ds_bpermute_b32 v23, v20, v22
	v_mov_b32_e32 v16, 0
	s_waitcnt lgkmcnt(1)
	v_cmp_lt_f32_e64 s[4:5], v8, v24
	v_cndmask_b32_e64 v24, v8, v24, s[4:5]
	v_pk_mov_b32 v[8:9], s[34:35], s[34:35] op_sel:[0,1]
	v_mov_b32_e32 v21, 0
	s_and_saveexec_b64 s[10:11], s[30:31]
	s_cbranch_execnz .LBB711_49
; %bb.47:
	s_or_b64 exec, exec, s[10:11]
	v_mov_b32_e32 v6, 0
	s_and_saveexec_b64 s[10:11], s[28:29]
	s_cbranch_execnz .LBB711_52
.LBB711_48:
	s_or_b64 exec, exec, s[10:11]
	s_and_saveexec_b64 s[10:11], s[26:27]
	s_cbranch_execnz .LBB711_55
	s_branch .LBB711_58
.LBB711_49:
	global_load_ubyte v21, v[2:3], off
	v_pk_mov_b32 v[8:9], s[34:35], s[34:35] op_sel:[0,1]
	s_waitcnt vmcnt(0)
	v_and_b32_e32 v21, 1, v21
	v_cmp_eq_u32_e64 s[4:5], 1, v21
	s_xor_b64 s[4:5], s[4:5], -1
	v_mov_b32_e32 v21, 0
	s_and_saveexec_b64 s[30:31], s[4:5]
	s_cbranch_execz .LBB711_51
; %bb.50:
	v_sub_f32_e32 v6, v6, v24
	s_mov_b32 s4, 0x3fb8aa3b
	v_mul_f32_e32 v8, 0x3fb8aa3b, v6
	v_fma_f32 v9, v6, s4, -v8
	v_rndne_f32_e32 v21, v8
	v_fmac_f32_e32 v9, 0x32a5705f, v6
	v_sub_f32_e32 v8, v8, v21
	v_add_f32_e32 v8, v8, v9
	v_exp_f32_e32 v8, v8
	v_cvt_i32_f32_e32 v9, v21
	s_mov_b32 s4, 0xc2ce8ed0
	v_cmp_ngt_f32_e64 s[4:5], s4, v6
	v_mov_b32_e32 v21, 0x7f800000
	v_ldexp_f32 v8, v8, v9
	v_cndmask_b32_e64 v8, 0, v8, s[4:5]
	s_mov_b32 s4, 0x42b17218
	v_cmp_nlt_f32_e64 s[4:5], s4, v6
	v_cndmask_b32_e64 v8, v21, v8, s[4:5]
	v_mov_b32_e32 v9, 0
	v_mov_b32_e32 v21, v8
.LBB711_51:
	s_or_b64 exec, exec, s[30:31]
	s_or_b64 exec, exec, s[10:11]
	v_mov_b32_e32 v6, 0
	s_and_saveexec_b64 s[10:11], s[28:29]
	s_cbranch_execz .LBB711_48
.LBB711_52:
	global_load_ubyte v6, v[2:3], off offset:32
	s_waitcnt vmcnt(0)
	v_and_b32_e32 v6, 1, v6
	v_cmp_eq_u32_e64 s[4:5], 1, v6
	s_xor_b64 s[4:5], s[4:5], -1
	v_mov_b32_e32 v6, 0
	s_and_saveexec_b64 s[28:29], s[4:5]
	s_cbranch_execz .LBB711_54
; %bb.53:
	v_sub_f32_e32 v6, v15, v24
	s_mov_b32 s4, 0x3fb8aa3b
	v_mul_f32_e32 v15, 0x3fb8aa3b, v6
	v_fma_f32 v25, v6, s4, -v15
	v_rndne_f32_e32 v26, v15
	v_fmac_f32_e32 v25, 0x32a5705f, v6
	v_sub_f32_e32 v15, v15, v26
	v_add_f32_e32 v15, v15, v25
	v_exp_f32_e32 v15, v15
	v_cvt_i32_f32_e32 v25, v26
	s_mov_b32 s4, 0xc2ce8ed0
	v_cmp_ngt_f32_e64 s[4:5], s4, v6
	v_ldexp_f32 v15, v15, v25
	v_cndmask_b32_e64 v15, 0, v15, s[4:5]
	s_mov_b32 s4, 0x42b17218
	v_mov_b32_e32 v25, 0x7f800000
	v_cmp_nlt_f32_e64 s[4:5], s4, v6
	v_cndmask_b32_e64 v6, v25, v15, s[4:5]
	v_add_f32_e32 v8, v8, v6
.LBB711_54:
	s_or_b64 exec, exec, s[28:29]
	s_or_b64 exec, exec, s[10:11]
	s_and_saveexec_b64 s[10:11], s[26:27]
	s_cbranch_execz .LBB711_58
.LBB711_55:
	global_load_ubyte v15, v[2:3], off offset:64
	v_mov_b32_e32 v16, 0
	s_waitcnt vmcnt(0)
	v_and_b32_e32 v15, 1, v15
	v_cmp_eq_u32_e64 s[4:5], 1, v15
	s_xor_b64 s[4:5], s[4:5], -1
	s_and_saveexec_b64 s[26:27], s[4:5]
	s_cbranch_execz .LBB711_57
; %bb.56:
	v_sub_f32_e32 v14, v14, v24
	s_mov_b32 s4, 0x3fb8aa3b
	v_mul_f32_e32 v15, 0x3fb8aa3b, v14
	v_fma_f32 v16, v14, s4, -v15
	v_rndne_f32_e32 v25, v15
	v_fmac_f32_e32 v16, 0x32a5705f, v14
	v_sub_f32_e32 v15, v15, v25
	v_add_f32_e32 v15, v15, v16
	v_exp_f32_e32 v15, v15
	v_cvt_i32_f32_e32 v16, v25
	s_mov_b32 s4, 0xc2ce8ed0
	v_cmp_ngt_f32_e64 s[4:5], s4, v14
	v_ldexp_f32 v15, v15, v16
	v_cndmask_b32_e64 v15, 0, v15, s[4:5]
	s_mov_b32 s4, 0x42b17218
	v_mov_b32_e32 v16, 0x7f800000
	v_cmp_nlt_f32_e64 s[4:5], s4, v14
	v_cndmask_b32_e64 v16, v16, v15, s[4:5]
	v_add_f32_e32 v8, v8, v16
.LBB711_57:
	s_or_b64 exec, exec, s[26:27]
.LBB711_58:
	s_or_b64 exec, exec, s[10:11]
	v_mov_b32_e32 v14, 0
	v_mov_b32_e32 v15, 0
	s_and_saveexec_b64 s[10:11], s[24:25]
	s_cbranch_execz .LBB711_62
; %bb.59:
	global_load_ubyte v15, v[2:3], off offset:96
	s_waitcnt vmcnt(0)
	v_and_b32_e32 v15, 1, v15
	v_cmp_eq_u32_e64 s[4:5], 1, v15
	s_xor_b64 s[4:5], s[4:5], -1
	v_mov_b32_e32 v15, 0
	s_and_saveexec_b64 s[24:25], s[4:5]
	s_cbranch_execz .LBB711_61
; %bb.60:
	v_sub_f32_e32 v13, v13, v24
	s_mov_b32 s4, 0x3fb8aa3b
	v_mul_f32_e32 v15, 0x3fb8aa3b, v13
	v_fma_f32 v24, v13, s4, -v15
	v_rndne_f32_e32 v25, v15
	v_fmac_f32_e32 v24, 0x32a5705f, v13
	v_sub_f32_e32 v15, v15, v25
	v_add_f32_e32 v15, v15, v24
	v_exp_f32_e32 v15, v15
	v_cvt_i32_f32_e32 v24, v25
	s_mov_b32 s4, 0xc2ce8ed0
	v_cmp_ngt_f32_e64 s[4:5], s4, v13
	v_ldexp_f32 v15, v15, v24
	v_cndmask_b32_e64 v15, 0, v15, s[4:5]
	s_mov_b32 s4, 0x42b17218
	v_mov_b32_e32 v24, 0x7f800000
	v_cmp_nlt_f32_e64 s[4:5], s4, v13
	v_cndmask_b32_e64 v15, v24, v15, s[4:5]
	v_add_f32_e32 v8, v8, v15
.LBB711_61:
	s_or_b64 exec, exec, s[24:25]
.LBB711_62:
	s_or_b64 exec, exec, s[10:11]
	s_waitcnt lgkmcnt(0)
	v_cmp_lt_f32_e64 s[4:5], v22, v23
	v_cndmask_b32_e64 v23, v22, v23, s[4:5]
	s_and_saveexec_b64 s[10:11], s[22:23]
	s_cbranch_execz .LBB711_66
; %bb.63:
	s_ashr_i32 s4, s15, 31
	v_mov_b32_e32 v13, s4
	v_add_co_u32_e64 v24, s[4:5], s15, v2
	v_addc_co_u32_e64 v25, s[4:5], v3, v13, s[4:5]
	global_load_ubyte v13, v[24:25], off
	v_mov_b32_e32 v14, 0
	s_waitcnt vmcnt(0)
	v_and_b32_e32 v13, 1, v13
	v_cmp_eq_u32_e64 s[4:5], 1, v13
	s_xor_b64 s[4:5], s[4:5], -1
	s_and_saveexec_b64 s[22:23], s[4:5]
	s_cbranch_execz .LBB711_65
; %bb.64:
	v_sub_f32_e32 v5, v5, v23
	s_mov_b32 s4, 0x3fb8aa3b
	v_mul_f32_e32 v13, 0x3fb8aa3b, v5
	v_fma_f32 v14, v5, s4, -v13
	v_rndne_f32_e32 v22, v13
	v_fmac_f32_e32 v14, 0x32a5705f, v5
	v_sub_f32_e32 v13, v13, v22
	v_add_f32_e32 v13, v13, v14
	v_exp_f32_e32 v13, v13
	v_cvt_i32_f32_e32 v14, v22
	s_mov_b32 s4, 0xc2ce8ed0
	v_cmp_ngt_f32_e64 s[4:5], s4, v5
	v_ldexp_f32 v13, v13, v14
	v_cndmask_b32_e64 v13, 0, v13, s[4:5]
	s_mov_b32 s4, 0x42b17218
	v_mov_b32_e32 v14, 0x7f800000
	v_cmp_nlt_f32_e64 s[4:5], s4, v5
	v_cndmask_b32_e64 v14, v14, v13, s[4:5]
	v_add_f32_e32 v9, v9, v14
.LBB711_65:
	s_or_b64 exec, exec, s[22:23]
.LBB711_66:
	s_or_b64 exec, exec, s[10:11]
	v_mov_b32_e32 v13, 0
	v_mov_b32_e32 v22, 0
	s_and_saveexec_b64 s[10:11], s[20:21]
	s_cbranch_execnz .LBB711_69
; %bb.67:
	s_or_b64 exec, exec, s[10:11]
	s_and_saveexec_b64 s[10:11], s[18:19]
	s_cbranch_execnz .LBB711_72
.LBB711_68:
	s_or_b64 exec, exec, s[10:11]
	v_mov_b32_e32 v11, 0
	s_and_saveexec_b64 s[10:11], s[12:13]
	s_cbranch_execnz .LBB711_75
	s_branch .LBB711_78
.LBB711_69:
	s_ashr_i32 s4, s15, 31
	v_mov_b32_e32 v5, s4
	v_add_co_u32_e64 v24, s[4:5], s15, v2
	v_addc_co_u32_e64 v25, s[4:5], v3, v5, s[4:5]
	global_load_ubyte v5, v[24:25], off offset:32
	v_mov_b32_e32 v22, 0
	s_waitcnt vmcnt(0)
	v_and_b32_e32 v5, 1, v5
	v_cmp_eq_u32_e64 s[4:5], 1, v5
	s_xor_b64 s[4:5], s[4:5], -1
	s_and_saveexec_b64 s[20:21], s[4:5]
	s_cbranch_execz .LBB711_71
; %bb.70:
	v_sub_f32_e32 v5, v12, v23
	s_mov_b32 s4, 0x3fb8aa3b
	v_mul_f32_e32 v12, 0x3fb8aa3b, v5
	v_fma_f32 v22, v5, s4, -v12
	v_rndne_f32_e32 v24, v12
	v_fmac_f32_e32 v22, 0x32a5705f, v5
	v_sub_f32_e32 v12, v12, v24
	v_add_f32_e32 v12, v12, v22
	v_exp_f32_e32 v12, v12
	v_cvt_i32_f32_e32 v22, v24
	s_mov_b32 s4, 0xc2ce8ed0
	v_cmp_ngt_f32_e64 s[4:5], s4, v5
	v_ldexp_f32 v12, v12, v22
	v_cndmask_b32_e64 v12, 0, v12, s[4:5]
	s_mov_b32 s4, 0x42b17218
	v_mov_b32_e32 v22, 0x7f800000
	v_cmp_nlt_f32_e64 s[4:5], s4, v5
	v_cndmask_b32_e64 v22, v22, v12, s[4:5]
	v_add_f32_e32 v9, v9, v22
.LBB711_71:
	s_or_b64 exec, exec, s[20:21]
	s_or_b64 exec, exec, s[10:11]
	s_and_saveexec_b64 s[10:11], s[18:19]
	s_cbranch_execz .LBB711_68
.LBB711_72:
	s_ashr_i32 s4, s15, 31
	v_mov_b32_e32 v5, s4
	v_add_co_u32_e64 v12, s[4:5], s15, v2
	v_addc_co_u32_e64 v13, s[4:5], v3, v5, s[4:5]
	global_load_ubyte v5, v[12:13], off offset:64
	v_mov_b32_e32 v13, 0
	s_waitcnt vmcnt(0)
	v_and_b32_e32 v5, 1, v5
	v_cmp_eq_u32_e64 s[4:5], 1, v5
	s_xor_b64 s[4:5], s[4:5], -1
	s_and_saveexec_b64 s[18:19], s[4:5]
	s_cbranch_execz .LBB711_74
; %bb.73:
	v_sub_f32_e32 v5, v11, v23
	s_mov_b32 s4, 0x3fb8aa3b
	v_mul_f32_e32 v11, 0x3fb8aa3b, v5
	v_fma_f32 v12, v5, s4, -v11
	v_rndne_f32_e32 v13, v11
	v_fmac_f32_e32 v12, 0x32a5705f, v5
	v_sub_f32_e32 v11, v11, v13
	v_add_f32_e32 v11, v11, v12
	v_exp_f32_e32 v11, v11
	v_cvt_i32_f32_e32 v12, v13
	s_mov_b32 s4, 0xc2ce8ed0
	v_cmp_ngt_f32_e64 s[4:5], s4, v5
	v_ldexp_f32 v11, v11, v12
	v_cndmask_b32_e64 v11, 0, v11, s[4:5]
	s_mov_b32 s4, 0x42b17218
	v_mov_b32_e32 v12, 0x7f800000
	v_cmp_nlt_f32_e64 s[4:5], s4, v5
	v_cndmask_b32_e64 v13, v12, v11, s[4:5]
	v_add_f32_e32 v9, v9, v13
.LBB711_74:
	s_or_b64 exec, exec, s[18:19]
	s_or_b64 exec, exec, s[10:11]
	v_mov_b32_e32 v11, 0
	s_and_saveexec_b64 s[10:11], s[12:13]
	s_cbranch_execz .LBB711_78
.LBB711_75:
	s_ashr_i32 s4, s15, 31
	v_mov_b32_e32 v5, s4
	v_add_co_u32_e64 v2, s[4:5], s15, v2
	v_addc_co_u32_e64 v3, s[4:5], v3, v5, s[4:5]
	global_load_ubyte v2, v[2:3], off offset:96
	v_mov_b32_e32 v11, 0
	s_waitcnt vmcnt(0)
	v_and_b32_e32 v2, 1, v2
	v_cmp_eq_u32_e64 s[4:5], 1, v2
	s_xor_b64 s[4:5], s[4:5], -1
	s_and_saveexec_b64 s[12:13], s[4:5]
	s_cbranch_execz .LBB711_77
; %bb.76:
	v_sub_f32_e32 v2, v10, v23
	s_mov_b32 s4, 0x3fb8aa3b
	v_mul_f32_e32 v3, 0x3fb8aa3b, v2
	v_fma_f32 v5, v2, s4, -v3
	v_rndne_f32_e32 v10, v3
	v_fmac_f32_e32 v5, 0x32a5705f, v2
	v_sub_f32_e32 v3, v3, v10
	v_add_f32_e32 v3, v3, v5
	v_exp_f32_e32 v3, v3
	v_cvt_i32_f32_e32 v5, v10
	s_mov_b32 s4, 0xc2ce8ed0
	v_cmp_ngt_f32_e64 s[4:5], s4, v2
	v_ldexp_f32 v3, v3, v5
	v_cndmask_b32_e64 v3, 0, v3, s[4:5]
	s_mov_b32 s4, 0x42b17218
	v_mov_b32_e32 v5, 0x7f800000
	v_cmp_nlt_f32_e64 s[4:5], s4, v2
	v_cndmask_b32_e64 v11, v5, v3, s[4:5]
	v_add_f32_e32 v9, v9, v11
.LBB711_77:
	s_or_b64 exec, exec, s[12:13]
.LBB711_78:
	s_or_b64 exec, exec, s[10:11]
	ds_bpermute_b32 v2, v4, v8
	ds_bpermute_b32 v3, v4, v9
	s_waitcnt lgkmcnt(0)
	v_pk_add_f32 v[2:3], v[8:9], v[2:3]
	ds_bpermute_b32 v4, v17, v2
	ds_bpermute_b32 v5, v17, v3
	s_waitcnt lgkmcnt(0)
	v_pk_add_f32 v[2:3], v[2:3], v[4:5]
	;; [unrolled: 4-line block ×4, first 2 shown]
	ds_bpermute_b32 v4, v20, v2
	ds_bpermute_b32 v5, v20, v3
	s_and_saveexec_b64 s[4:5], vcc
	s_cbranch_execz .LBB711_90
; %bb.79:
	s_waitcnt lgkmcnt(0)
	v_pk_add_f32 v[2:3], v[2:3], v[4:5]
	v_mov_b32_e32 v4, s17
	v_add_co_u32_e32 v0, vcc, s16, v0
	v_addc_co_u32_e32 v1, vcc, v4, v1, vcc
	s_and_saveexec_b64 s[10:11], s[6:7]
	s_cbranch_execz .LBB711_84
; %bb.80:
	v_div_scale_f32 v4, s[4:5], v2, v2, v21
	v_rcp_f32_e32 v5, v4
	v_div_scale_f32 v8, vcc, v21, v2, v21
	v_cmp_eq_f32_e64 s[4:5], 0, v2
	v_fma_f32 v9, -v4, v5, 1.0
	v_fmac_f32_e32 v5, v9, v5
	v_mul_f32_e32 v9, v8, v5
	v_fma_f32 v10, -v4, v9, v8
	v_fmac_f32_e32 v9, v10, v5
	v_fma_f32 v4, -v4, v9, v8
	v_div_fmas_f32 v4, v4, v5, v9
	v_div_fixup_f32 v5, v4, v2, v21
	v_mov_b32_e32 v4, 0x7fc00000
	v_cndmask_b32_e64 v5, v5, v4, s[4:5]
	global_store_dword v[0:1], v5, off
	s_and_b64 exec, exec, s[8:9]
	s_cbranch_execz .LBB711_84
; %bb.81:
	v_div_scale_f32 v5, s[12:13], v2, v2, v6
	v_rcp_f32_e32 v8, v5
	v_div_scale_f32 v9, vcc, v6, v2, v6
	v_fma_f32 v10, -v5, v8, 1.0
	v_fmac_f32_e32 v8, v10, v8
	v_mul_f32_e32 v10, v9, v8
	v_fma_f32 v12, -v5, v10, v9
	v_fmac_f32_e32 v10, v12, v8
	v_fma_f32 v5, -v5, v10, v9
	v_div_fmas_f32 v5, v5, v8, v10
	v_div_fixup_f32 v5, v5, v2, v6
	v_cndmask_b32_e64 v4, v5, v4, s[4:5]
	global_store_dword v[0:1], v4, off offset:128
	s_and_b64 exec, exec, s[2:3]
	s_cbranch_execz .LBB711_84
; %bb.82:
	v_div_scale_f32 v4, s[12:13], v2, v2, v16
	v_rcp_f32_e32 v5, v4
	v_div_scale_f32 v6, vcc, v16, v2, v16
	v_fma_f32 v8, -v4, v5, 1.0
	v_fmac_f32_e32 v5, v8, v5
	v_mul_f32_e32 v8, v6, v5
	v_fma_f32 v9, -v4, v8, v6
	v_fmac_f32_e32 v8, v9, v5
	v_fma_f32 v4, -v4, v8, v6
	v_div_fmas_f32 v4, v4, v5, v8
	v_div_fixup_f32 v5, v4, v2, v16
	v_mov_b32_e32 v4, 0x7fc00000
	v_cndmask_b32_e64 v5, v5, v4, s[4:5]
	global_store_dword v[0:1], v5, off offset:256
	s_and_b64 exec, exec, s[0:1]
	s_cbranch_execz .LBB711_84
; %bb.83:
	v_div_scale_f32 v5, s[12:13], v2, v2, v15
	v_rcp_f32_e32 v6, v5
	v_div_scale_f32 v8, vcc, v15, v2, v15
	v_fma_f32 v9, -v5, v6, 1.0
	v_fmac_f32_e32 v6, v9, v6
	v_mul_f32_e32 v9, v8, v6
	v_fma_f32 v10, -v5, v9, v8
	v_fmac_f32_e32 v9, v10, v6
	v_fma_f32 v5, -v5, v9, v8
	v_div_fmas_f32 v5, v5, v6, v9
	v_div_fixup_f32 v2, v5, v2, v15
	v_cndmask_b32_e64 v2, v2, v4, s[4:5]
	global_store_dword v[0:1], v2, off offset:384
.LBB711_84:
	s_or_b64 exec, exec, s[10:11]
	v_cmp_ne_u32_e32 vcc, 1, v7
	s_and_b64 exec, exec, vcc
	s_cbranch_execz .LBB711_90
; %bb.85:
	s_and_b64 exec, exec, s[6:7]
	s_cbranch_execz .LBB711_90
; %bb.86:
	v_div_scale_f32 v2, s[4:5], v3, v3, v14
	v_rcp_f32_e32 v4, v2
	v_div_scale_f32 v5, vcc, v14, v3, v14
	s_ashr_i32 s15, s14, 31
	v_fma_f32 v6, -v2, v4, 1.0
	v_fmac_f32_e32 v4, v6, v4
	v_mul_f32_e32 v6, v5, v4
	v_fma_f32 v7, -v2, v6, v5
	v_fmac_f32_e32 v6, v7, v4
	v_fma_f32 v2, -v2, v6, v5
	v_div_fmas_f32 v2, v2, v4, v6
	s_lshl_b64 s[4:5], s[14:15], 2
	v_div_fixup_f32 v4, v2, v3, v14
	v_mov_b32_e32 v2, s5
	v_add_co_u32_e32 v0, vcc, s4, v0
	v_addc_co_u32_e32 v1, vcc, v1, v2, vcc
	v_mov_b32_e32 v2, 0x7fc00000
	v_cmp_eq_f32_e64 s[4:5], 0, v3
	v_cndmask_b32_e64 v4, v4, v2, s[4:5]
	global_store_dword v[0:1], v4, off
	s_and_b64 exec, exec, s[8:9]
	s_cbranch_execz .LBB711_90
; %bb.87:
	v_div_scale_f32 v4, s[6:7], v3, v3, v22
	v_rcp_f32_e32 v5, v4
	v_div_scale_f32 v6, vcc, v22, v3, v22
	v_fma_f32 v7, -v4, v5, 1.0
	v_fmac_f32_e32 v5, v7, v5
	v_mul_f32_e32 v7, v6, v5
	v_fma_f32 v8, -v4, v7, v6
	v_fmac_f32_e32 v7, v8, v5
	v_fma_f32 v4, -v4, v7, v6
	v_div_fmas_f32 v4, v4, v5, v7
	v_div_fixup_f32 v4, v4, v3, v22
	v_cndmask_b32_e64 v2, v4, v2, s[4:5]
	global_store_dword v[0:1], v2, off offset:128
	s_and_b64 exec, exec, s[2:3]
	s_cbranch_execz .LBB711_90
; %bb.88:
	v_div_scale_f32 v2, s[2:3], v3, v3, v13
	v_rcp_f32_e32 v4, v2
	v_div_scale_f32 v5, vcc, v13, v3, v13
	v_fma_f32 v6, -v2, v4, 1.0
	v_fmac_f32_e32 v4, v6, v4
	v_mul_f32_e32 v6, v5, v4
	v_fma_f32 v7, -v2, v6, v5
	v_fmac_f32_e32 v6, v7, v4
	v_fma_f32 v2, -v2, v6, v5
	v_div_fmas_f32 v2, v2, v4, v6
	v_div_fixup_f32 v4, v2, v3, v13
	v_mov_b32_e32 v2, 0x7fc00000
	v_cndmask_b32_e64 v4, v4, v2, s[4:5]
	global_store_dword v[0:1], v4, off offset:256
	s_and_b64 exec, exec, s[0:1]
	s_cbranch_execz .LBB711_90
; %bb.89:
	v_div_scale_f32 v4, s[0:1], v3, v3, v11
	v_rcp_f32_e32 v5, v4
	v_div_scale_f32 v6, vcc, v11, v3, v11
	v_fma_f32 v7, -v4, v5, 1.0
	v_fmac_f32_e32 v5, v7, v5
	v_mul_f32_e32 v7, v6, v5
	v_fma_f32 v8, -v4, v7, v6
	v_fmac_f32_e32 v7, v8, v5
	v_fma_f32 v4, -v4, v7, v6
	v_div_fmas_f32 v4, v4, v5, v7
	v_div_fixup_f32 v3, v4, v3, v11
	v_cndmask_b32_e64 v2, v3, v2, s[4:5]
	global_store_dword v[0:1], v2, off offset:384
.LBB711_90:
	s_endpgm
	.section	.rodata,"a",@progbits
	.p2align	6, 0x0
	.amdhsa_kernel _ZN12_GLOBAL__N_120softmax_warp_forwardIfffLi7ELb0ELb1ELi32EEEvPT0_PKT_iiiPKbib
		.amdhsa_group_segment_fixed_size 0
		.amdhsa_private_segment_fixed_size 0
		.amdhsa_kernarg_size 304
		.amdhsa_user_sgpr_count 6
		.amdhsa_user_sgpr_private_segment_buffer 1
		.amdhsa_user_sgpr_dispatch_ptr 0
		.amdhsa_user_sgpr_queue_ptr 0
		.amdhsa_user_sgpr_kernarg_segment_ptr 1
		.amdhsa_user_sgpr_dispatch_id 0
		.amdhsa_user_sgpr_flat_scratch_init 0
		.amdhsa_user_sgpr_kernarg_preload_length 0
		.amdhsa_user_sgpr_kernarg_preload_offset 0
		.amdhsa_user_sgpr_private_segment_size 0
		.amdhsa_uses_dynamic_stack 0
		.amdhsa_system_sgpr_private_segment_wavefront_offset 0
		.amdhsa_system_sgpr_workgroup_id_x 1
		.amdhsa_system_sgpr_workgroup_id_y 0
		.amdhsa_system_sgpr_workgroup_id_z 0
		.amdhsa_system_sgpr_workgroup_info 0
		.amdhsa_system_vgpr_workitem_id 1
		.amdhsa_next_free_vgpr 27
		.amdhsa_next_free_sgpr 42
		.amdhsa_accum_offset 28
		.amdhsa_reserve_vcc 1
		.amdhsa_reserve_flat_scratch 0
		.amdhsa_float_round_mode_32 0
		.amdhsa_float_round_mode_16_64 0
		.amdhsa_float_denorm_mode_32 3
		.amdhsa_float_denorm_mode_16_64 3
		.amdhsa_dx10_clamp 1
		.amdhsa_ieee_mode 1
		.amdhsa_fp16_overflow 0
		.amdhsa_tg_split 0
		.amdhsa_exception_fp_ieee_invalid_op 0
		.amdhsa_exception_fp_denorm_src 0
		.amdhsa_exception_fp_ieee_div_zero 0
		.amdhsa_exception_fp_ieee_overflow 0
		.amdhsa_exception_fp_ieee_underflow 0
		.amdhsa_exception_fp_ieee_inexact 0
		.amdhsa_exception_int_div_zero 0
	.end_amdhsa_kernel
	.section	.text._ZN12_GLOBAL__N_120softmax_warp_forwardIfffLi7ELb0ELb1ELi32EEEvPT0_PKT_iiiPKbib,"axG",@progbits,_ZN12_GLOBAL__N_120softmax_warp_forwardIfffLi7ELb0ELb1ELi32EEEvPT0_PKT_iiiPKbib,comdat
.Lfunc_end711:
	.size	_ZN12_GLOBAL__N_120softmax_warp_forwardIfffLi7ELb0ELb1ELi32EEEvPT0_PKT_iiiPKbib, .Lfunc_end711-_ZN12_GLOBAL__N_120softmax_warp_forwardIfffLi7ELb0ELb1ELi32EEEvPT0_PKT_iiiPKbib
                                        ; -- End function
	.section	.AMDGPU.csdata,"",@progbits
; Kernel info:
; codeLenInByte = 4720
; NumSgprs: 46
; NumVgprs: 27
; NumAgprs: 0
; TotalNumVgprs: 27
; ScratchSize: 0
; MemoryBound: 0
; FloatMode: 240
; IeeeMode: 1
; LDSByteSize: 0 bytes/workgroup (compile time only)
; SGPRBlocks: 5
; VGPRBlocks: 3
; NumSGPRsForWavesPerEU: 46
; NumVGPRsForWavesPerEU: 27
; AccumOffset: 28
; Occupancy: 8
; WaveLimiterHint : 0
; COMPUTE_PGM_RSRC2:SCRATCH_EN: 0
; COMPUTE_PGM_RSRC2:USER_SGPR: 6
; COMPUTE_PGM_RSRC2:TRAP_HANDLER: 0
; COMPUTE_PGM_RSRC2:TGID_X_EN: 1
; COMPUTE_PGM_RSRC2:TGID_Y_EN: 0
; COMPUTE_PGM_RSRC2:TGID_Z_EN: 0
; COMPUTE_PGM_RSRC2:TIDIG_COMP_CNT: 1
; COMPUTE_PGM_RSRC3_GFX90A:ACCUM_OFFSET: 6
; COMPUTE_PGM_RSRC3_GFX90A:TG_SPLIT: 0
	.section	.text._ZN12_GLOBAL__N_120softmax_warp_forwardIfffLi8ELb0ELb1ELi64EEEvPT0_PKT_iiiPKbib,"axG",@progbits,_ZN12_GLOBAL__N_120softmax_warp_forwardIfffLi8ELb0ELb1ELi64EEEvPT0_PKT_iiiPKbib,comdat
	.globl	_ZN12_GLOBAL__N_120softmax_warp_forwardIfffLi8ELb0ELb1ELi64EEEvPT0_PKT_iiiPKbib ; -- Begin function _ZN12_GLOBAL__N_120softmax_warp_forwardIfffLi8ELb0ELb1ELi64EEEvPT0_PKT_iiiPKbib
	.p2align	8
	.type	_ZN12_GLOBAL__N_120softmax_warp_forwardIfffLi8ELb0ELb1ELi64EEEvPT0_PKT_iiiPKbib,@function
_ZN12_GLOBAL__N_120softmax_warp_forwardIfffLi8ELb0ELb1ELi64EEEvPT0_PKT_iiiPKbib: ; @_ZN12_GLOBAL__N_120softmax_warp_forwardIfffLi8ELb0ELb1ELi64EEEvPT0_PKT_iiiPKbib
; %bb.0:
	s_load_dword s2, s[4:5], 0x3c
	s_load_dwordx4 s[8:11], s[4:5], 0x10
	s_load_dwordx2 s[0:1], s[4:5], 0x28
	v_bfe_u32 v1, v0, 10, 10
	v_and_b32_e32 v2, 0x3ff, v0
	s_waitcnt lgkmcnt(0)
	s_lshr_b32 s2, s2, 16
	s_mul_i32 s6, s6, s2
	v_add_u32_e32 v3, s6, v1
	v_mul_lo_u32 v6, v3, s9
	v_add_u32_e32 v0, v6, v2
	v_ashrrev_i32_e32 v1, 31, v0
	s_bitcmp0_b32 s1, 0
	v_pk_mov_b32 v[4:5], v[0:1], v[0:1] op_sel:[0,1]
	s_cbranch_scc1 .LBB712_2
; %bb.1:
	s_abs_i32 s1, s0
	v_cvt_f32_u32_e32 v4, s1
	v_xor_b32_e32 v5, s0, v6
	v_sub_u32_e32 v7, 0, v6
	s_sub_i32 s0, 0, s1
	v_rcp_iflag_f32_e32 v4, v4
	v_max_i32_e32 v6, v6, v7
	v_ashrrev_i32_e32 v5, 31, v5
	v_mul_f32_e32 v4, 0x4f7ffffe, v4
	v_cvt_u32_f32_e32 v4, v4
	v_mul_lo_u32 v7, s0, v4
	v_mul_hi_u32 v7, v4, v7
	v_add_u32_e32 v4, v4, v7
	v_mul_hi_u32 v4, v6, v4
	v_mul_lo_u32 v7, v4, s1
	v_sub_u32_e32 v6, v6, v7
	v_add_u32_e32 v8, 1, v4
	v_cmp_le_u32_e32 vcc, s1, v6
	v_subrev_u32_e32 v7, s1, v6
	v_cndmask_b32_e32 v4, v4, v8, vcc
	v_cndmask_b32_e32 v6, v6, v7, vcc
	v_add_u32_e32 v7, 1, v4
	v_cmp_le_u32_e32 vcc, s1, v6
	v_cndmask_b32_e32 v4, v4, v7, vcc
	v_xor_b32_e32 v4, v4, v5
	v_sub_u32_e32 v4, v4, v5
	v_mad_u64_u32 v[4:5], s[0:1], v4, s9, v[2:3]
	v_ashrrev_i32_e32 v5, 31, v4
.LBB712_2:
	s_load_dwordx4 s[12:15], s[4:5], 0x0
	v_lshlrev_b64 v[0:1], 2, v[0:1]
	v_sub_u32_e32 v8, s8, v3
	v_cmp_lt_i32_e64 s[8:9], 0, v8
	v_mov_b32_e32 v11, 0xff800000
	s_waitcnt lgkmcnt(0)
	v_mov_b32_e32 v3, s15
	v_add_co_u32_e32 v6, vcc, s14, v0
	v_addc_co_u32_e32 v7, vcc, v3, v1, vcc
	v_cmp_gt_i32_e32 vcc, s10, v2
	s_and_b64 s[18:19], s[8:9], vcc
	v_mov_b32_e32 v12, 0xff800000
	s_and_saveexec_b64 s[0:1], s[18:19]
	s_cbranch_execz .LBB712_4
; %bb.3:
	global_load_dword v12, v[6:7], off
.LBB712_4:
	s_or_b64 exec, exec, s[0:1]
	v_add_u32_e32 v3, 64, v2
	v_cmp_gt_i32_e64 s[6:7], s10, v3
	s_and_b64 s[16:17], s[8:9], s[6:7]
	s_and_saveexec_b64 s[0:1], s[16:17]
	s_cbranch_execz .LBB712_6
; %bb.5:
	global_load_dword v11, v[6:7], off offset:256
.LBB712_6:
	s_or_b64 exec, exec, s[0:1]
	v_add_u32_e32 v3, 0x80, v2
	v_cmp_gt_i32_e64 s[2:3], s10, v3
	s_and_b64 s[14:15], s[8:9], s[2:3]
	v_mov_b32_e32 v9, 0xff800000
	v_mov_b32_e32 v10, 0xff800000
	s_and_saveexec_b64 s[0:1], s[14:15]
	s_cbranch_execz .LBB712_8
; %bb.7:
	global_load_dword v10, v[6:7], off offset:512
.LBB712_8:
	s_or_b64 exec, exec, s[0:1]
	v_add_u32_e32 v2, 0xc0, v2
	v_cmp_gt_i32_e64 s[0:1], s10, v2
	s_and_b64 s[8:9], s[8:9], s[0:1]
	s_and_saveexec_b64 s[10:11], s[8:9]
	s_cbranch_execz .LBB712_10
; %bb.9:
	global_load_dword v9, v[6:7], off offset:768
.LBB712_10:
	s_or_b64 exec, exec, s[10:11]
	s_load_dwordx2 s[4:5], s[4:5], 0x20
	s_mov_b64 s[10:11], 0
	s_waitcnt lgkmcnt(0)
	v_mov_b32_e32 v3, s5
	v_add_co_u32_e64 v2, s[4:5], s4, v4
	v_addc_co_u32_e64 v3, s[4:5], v3, v5, s[4:5]
	s_and_saveexec_b64 s[20:21], s[18:19]
	s_cbranch_execnz .LBB712_14
; %bb.11:
	s_or_b64 exec, exec, s[20:21]
	s_waitcnt vmcnt(0)
	v_mov_b32_e32 v4, v12
	s_and_saveexec_b64 s[20:21], s[16:17]
	s_cbranch_execnz .LBB712_15
.LBB712_12:
	s_or_b64 exec, exec, s[20:21]
	s_and_saveexec_b64 s[20:21], s[14:15]
	s_cbranch_execnz .LBB712_18
.LBB712_13:
	s_or_b64 exec, exec, s[20:21]
	s_and_saveexec_b64 s[20:21], s[8:9]
	s_cbranch_execnz .LBB712_21
	s_branch .LBB712_24
.LBB712_14:
	global_load_ubyte v4, v[2:3], off
	s_waitcnt vmcnt(0)
	v_and_b32_e32 v4, 1, v4
	v_cmp_eq_u32_e64 s[4:5], 1, v4
	s_xor_b64 s[4:5], s[4:5], -1
	s_and_b64 s[10:11], s[4:5], exec
	s_or_b64 exec, exec, s[20:21]
	v_mov_b32_e32 v4, v12
	s_and_saveexec_b64 s[20:21], s[16:17]
	s_cbranch_execz .LBB712_12
.LBB712_15:
	global_load_ubyte v4, v[2:3], off offset:64
	s_mov_b64 s[22:23], s[10:11]
	s_waitcnt vmcnt(0)
	v_and_b32_e32 v4, 1, v4
	v_cmp_eq_u32_e64 s[4:5], 1, v4
	s_xor_b64 s[4:5], s[4:5], -1
	v_mov_b32_e32 v4, v12
	s_and_saveexec_b64 s[24:25], s[4:5]
; %bb.16:
	v_cmp_gt_f32_e64 s[4:5], v12, v11
	s_and_b64 s[4:5], s[10:11], s[4:5]
	v_cndmask_b32_e64 v4, v11, v12, s[4:5]
	s_or_b64 s[22:23], s[10:11], exec
; %bb.17:
	s_or_b64 exec, exec, s[24:25]
	s_andn2_b64 s[4:5], s[10:11], exec
	s_and_b64 s[10:11], s[22:23], exec
	s_or_b64 s[10:11], s[4:5], s[10:11]
	s_or_b64 exec, exec, s[20:21]
	s_and_saveexec_b64 s[20:21], s[14:15]
	s_cbranch_execz .LBB712_13
.LBB712_18:
	global_load_ubyte v5, v[2:3], off offset:128
	s_waitcnt vmcnt(0)
	v_and_b32_e32 v5, 1, v5
	v_cmp_eq_u32_e64 s[4:5], 1, v5
	s_xor_b64 s[24:25], s[4:5], -1
	s_mov_b64 s[4:5], s[10:11]
	s_and_saveexec_b64 s[22:23], s[24:25]
; %bb.19:
	v_cmp_gt_f32_e64 s[4:5], v4, v10
	s_and_b64 s[4:5], s[10:11], s[4:5]
	v_cndmask_b32_e64 v4, v10, v4, s[4:5]
	s_or_b64 s[4:5], s[10:11], exec
; %bb.20:
	s_or_b64 exec, exec, s[22:23]
	s_andn2_b64 s[10:11], s[10:11], exec
	s_and_b64 s[4:5], s[4:5], exec
	s_or_b64 s[10:11], s[10:11], s[4:5]
	s_or_b64 exec, exec, s[20:21]
	s_and_saveexec_b64 s[20:21], s[8:9]
	s_cbranch_execz .LBB712_24
.LBB712_21:
	global_load_ubyte v5, v[2:3], off offset:192
	s_waitcnt vmcnt(0)
	v_and_b32_e32 v5, 1, v5
	v_cmp_eq_u32_e64 s[4:5], 1, v5
	s_xor_b64 s[24:25], s[4:5], -1
	s_mov_b64 s[4:5], s[10:11]
	s_and_saveexec_b64 s[22:23], s[24:25]
; %bb.22:
	v_cmp_gt_f32_e64 s[4:5], v4, v9
	s_and_b64 s[4:5], s[10:11], s[4:5]
	v_cndmask_b32_e64 v4, v9, v4, s[4:5]
	s_or_b64 s[4:5], s[10:11], exec
; %bb.23:
	s_or_b64 exec, exec, s[22:23]
	s_andn2_b64 s[10:11], s[10:11], exec
	s_and_b64 s[4:5], s[4:5], exec
	s_or_b64 s[10:11], s[10:11], s[4:5]
.LBB712_24:
	s_or_b64 exec, exec, s[20:21]
	v_mov_b32_e32 v5, 0xff800000
	v_cndmask_b32_e64 v4, v5, v4, s[10:11]
	v_mbcnt_lo_u32_b32 v5, -1, 0
	v_mbcnt_hi_u32_b32 v14, -1, v5
	v_and_b32_e32 v5, 64, v14
	v_add_u32_e32 v16, 64, v5
	v_xor_b32_e32 v5, 32, v14
	v_cmp_lt_i32_e64 s[4:5], v5, v16
	v_cndmask_b32_e64 v5, v14, v5, s[4:5]
	v_lshlrev_b32_e32 v5, 2, v5
	ds_bpermute_b32 v6, v5, v4
	s_waitcnt lgkmcnt(0)
	v_cmp_lt_f32_e64 s[4:5], v4, v6
	v_cndmask_b32_e64 v4, v4, v6, s[4:5]
	v_xor_b32_e32 v6, 16, v14
	v_cmp_lt_i32_e64 s[4:5], v6, v16
	v_cndmask_b32_e64 v6, v14, v6, s[4:5]
	v_lshlrev_b32_e32 v6, 2, v6
	ds_bpermute_b32 v7, v6, v4
	s_waitcnt lgkmcnt(0)
	v_cmp_lt_f32_e64 s[4:5], v4, v7
	v_cndmask_b32_e64 v4, v4, v7, s[4:5]
	;; [unrolled: 8-line block ×6, first 2 shown]
	v_mov_b32_e32 v4, 0
	v_mov_b32_e32 v14, 0
	s_and_saveexec_b64 s[10:11], s[18:19]
	s_cbranch_execz .LBB712_28
; %bb.25:
	global_load_ubyte v14, v[2:3], off
	s_waitcnt vmcnt(0)
	v_and_b32_e32 v14, 1, v14
	v_cmp_eq_u32_e64 s[4:5], 1, v14
	s_xor_b64 s[4:5], s[4:5], -1
	v_mov_b32_e32 v14, 0
	s_and_saveexec_b64 s[18:19], s[4:5]
	s_cbranch_execz .LBB712_27
; %bb.26:
	v_sub_f32_e32 v12, v12, v17
	s_mov_b32 s4, 0x3fb8aa3b
	v_mul_f32_e32 v14, 0x3fb8aa3b, v12
	v_fma_f32 v18, v12, s4, -v14
	v_rndne_f32_e32 v19, v14
	v_fmac_f32_e32 v18, 0x32a5705f, v12
	v_sub_f32_e32 v14, v14, v19
	v_add_f32_e32 v14, v14, v18
	v_exp_f32_e32 v14, v14
	v_cvt_i32_f32_e32 v18, v19
	s_mov_b32 s4, 0xc2ce8ed0
	v_cmp_ngt_f32_e64 s[4:5], s4, v12
	v_ldexp_f32 v14, v14, v18
	v_cndmask_b32_e64 v14, 0, v14, s[4:5]
	s_mov_b32 s4, 0x42b17218
	v_mov_b32_e32 v18, 0x7f800000
	v_cmp_nlt_f32_e64 s[4:5], s4, v12
	v_cndmask_b32_e64 v14, v18, v14, s[4:5]
.LBB712_27:
	s_or_b64 exec, exec, s[18:19]
.LBB712_28:
	s_or_b64 exec, exec, s[10:11]
	v_mov_b32_e32 v18, v14
	s_and_saveexec_b64 s[10:11], s[16:17]
	s_cbranch_execz .LBB712_32
; %bb.29:
	global_load_ubyte v12, v[2:3], off offset:64
	v_mov_b32_e32 v4, 0
	v_mov_b32_e32 v18, v14
	s_waitcnt vmcnt(0)
	v_and_b32_e32 v12, 1, v12
	v_cmp_eq_u32_e64 s[4:5], 1, v12
	s_xor_b64 s[4:5], s[4:5], -1
	s_and_saveexec_b64 s[16:17], s[4:5]
	s_cbranch_execz .LBB712_31
; %bb.30:
	v_sub_f32_e32 v4, v11, v17
	s_mov_b32 s4, 0x3fb8aa3b
	v_mul_f32_e32 v11, 0x3fb8aa3b, v4
	v_fma_f32 v12, v4, s4, -v11
	v_rndne_f32_e32 v18, v11
	v_fmac_f32_e32 v12, 0x32a5705f, v4
	v_sub_f32_e32 v11, v11, v18
	v_add_f32_e32 v11, v11, v12
	v_exp_f32_e32 v11, v11
	v_cvt_i32_f32_e32 v12, v18
	s_mov_b32 s4, 0xc2ce8ed0
	v_cmp_ngt_f32_e64 s[4:5], s4, v4
	v_ldexp_f32 v11, v11, v12
	v_cndmask_b32_e64 v11, 0, v11, s[4:5]
	s_mov_b32 s4, 0x42b17218
	v_mov_b32_e32 v12, 0x7f800000
	v_cmp_nlt_f32_e64 s[4:5], s4, v4
	v_cndmask_b32_e64 v4, v12, v11, s[4:5]
	v_add_f32_e32 v18, v14, v4
.LBB712_31:
	s_or_b64 exec, exec, s[16:17]
.LBB712_32:
	s_or_b64 exec, exec, s[10:11]
	v_mov_b32_e32 v11, 0
	v_mov_b32_e32 v12, 0
	s_and_saveexec_b64 s[10:11], s[14:15]
	s_cbranch_execz .LBB712_36
; %bb.33:
	global_load_ubyte v12, v[2:3], off offset:128
	s_waitcnt vmcnt(0)
	v_and_b32_e32 v12, 1, v12
	v_cmp_eq_u32_e64 s[4:5], 1, v12
	s_xor_b64 s[4:5], s[4:5], -1
	v_mov_b32_e32 v12, 0
	s_and_saveexec_b64 s[14:15], s[4:5]
	s_cbranch_execz .LBB712_35
; %bb.34:
	v_sub_f32_e32 v10, v10, v17
	s_mov_b32 s4, 0x3fb8aa3b
	v_mul_f32_e32 v12, 0x3fb8aa3b, v10
	v_fma_f32 v19, v10, s4, -v12
	v_rndne_f32_e32 v20, v12
	v_fmac_f32_e32 v19, 0x32a5705f, v10
	v_sub_f32_e32 v12, v12, v20
	v_add_f32_e32 v12, v12, v19
	v_exp_f32_e32 v12, v12
	v_cvt_i32_f32_e32 v19, v20
	s_mov_b32 s4, 0xc2ce8ed0
	v_cmp_ngt_f32_e64 s[4:5], s4, v10
	v_ldexp_f32 v12, v12, v19
	v_cndmask_b32_e64 v12, 0, v12, s[4:5]
	s_mov_b32 s4, 0x42b17218
	v_mov_b32_e32 v19, 0x7f800000
	v_cmp_nlt_f32_e64 s[4:5], s4, v10
	v_cndmask_b32_e64 v12, v19, v12, s[4:5]
	v_add_f32_e32 v18, v18, v12
.LBB712_35:
	s_or_b64 exec, exec, s[14:15]
.LBB712_36:
	s_or_b64 exec, exec, s[10:11]
	s_and_saveexec_b64 s[10:11], s[8:9]
	s_cbranch_execz .LBB712_40
; %bb.37:
	global_load_ubyte v2, v[2:3], off offset:192
	v_mov_b32_e32 v11, 0
	s_waitcnt vmcnt(0)
	v_and_b32_e32 v2, 1, v2
	v_cmp_eq_u32_e64 s[4:5], 1, v2
	s_xor_b64 s[4:5], s[4:5], -1
	s_and_saveexec_b64 s[8:9], s[4:5]
	s_cbranch_execz .LBB712_39
; %bb.38:
	v_sub_f32_e32 v2, v9, v17
	s_mov_b32 s4, 0x3fb8aa3b
	v_mul_f32_e32 v3, 0x3fb8aa3b, v2
	v_fma_f32 v9, v2, s4, -v3
	v_rndne_f32_e32 v10, v3
	v_fmac_f32_e32 v9, 0x32a5705f, v2
	v_sub_f32_e32 v3, v3, v10
	v_add_f32_e32 v3, v3, v9
	v_exp_f32_e32 v3, v3
	v_cvt_i32_f32_e32 v9, v10
	s_mov_b32 s4, 0xc2ce8ed0
	v_cmp_ngt_f32_e64 s[4:5], s4, v2
	v_ldexp_f32 v3, v3, v9
	v_cndmask_b32_e64 v3, 0, v3, s[4:5]
	s_mov_b32 s4, 0x42b17218
	v_mov_b32_e32 v9, 0x7f800000
	v_cmp_nlt_f32_e64 s[4:5], s4, v2
	v_cndmask_b32_e64 v11, v9, v3, s[4:5]
	v_add_f32_e32 v18, v18, v11
.LBB712_39:
	s_or_b64 exec, exec, s[8:9]
.LBB712_40:
	s_or_b64 exec, exec, s[10:11]
	ds_bpermute_b32 v2, v5, v18
	v_cmp_lt_i32_e64 s[4:5], 0, v8
	s_waitcnt lgkmcnt(0)
	v_add_f32_e32 v2, v18, v2
	ds_bpermute_b32 v3, v6, v2
	s_waitcnt lgkmcnt(0)
	v_add_f32_e32 v2, v2, v3
	ds_bpermute_b32 v3, v7, v2
	;; [unrolled: 3-line block ×5, first 2 shown]
	s_and_saveexec_b64 s[8:9], s[4:5]
	s_cbranch_execz .LBB712_46
; %bb.41:
	s_and_b64 exec, exec, vcc
	s_cbranch_execz .LBB712_46
; %bb.42:
	s_waitcnt lgkmcnt(0)
	v_add_f32_e32 v2, v2, v3
	v_div_scale_f32 v5, s[4:5], v2, v2, v14
	v_rcp_f32_e32 v6, v5
	v_mov_b32_e32 v3, s13
	v_add_co_u32_e32 v0, vcc, s12, v0
	v_addc_co_u32_e32 v1, vcc, v3, v1, vcc
	v_fma_f32 v3, -v5, v6, 1.0
	v_fmac_f32_e32 v6, v3, v6
	v_div_scale_f32 v3, vcc, v14, v2, v14
	v_mul_f32_e32 v7, v3, v6
	v_fma_f32 v8, -v5, v7, v3
	v_fmac_f32_e32 v7, v8, v6
	v_fma_f32 v3, -v5, v7, v3
	v_div_fmas_f32 v3, v3, v6, v7
	v_div_fixup_f32 v5, v3, v2, v14
	v_mov_b32_e32 v3, 0x7fc00000
	v_cmp_eq_f32_e64 s[4:5], 0, v2
	v_cndmask_b32_e64 v5, v5, v3, s[4:5]
	global_store_dword v[0:1], v5, off
	s_and_b64 exec, exec, s[6:7]
	s_cbranch_execz .LBB712_46
; %bb.43:
	v_div_scale_f32 v5, s[6:7], v2, v2, v4
	v_rcp_f32_e32 v6, v5
	v_div_scale_f32 v7, vcc, v4, v2, v4
	v_fma_f32 v8, -v5, v6, 1.0
	v_fmac_f32_e32 v6, v8, v6
	v_mul_f32_e32 v8, v7, v6
	v_fma_f32 v9, -v5, v8, v7
	v_fmac_f32_e32 v8, v9, v6
	v_fma_f32 v5, -v5, v8, v7
	v_div_fmas_f32 v5, v5, v6, v8
	v_div_fixup_f32 v4, v5, v2, v4
	v_cndmask_b32_e64 v3, v4, v3, s[4:5]
	global_store_dword v[0:1], v3, off offset:256
	s_and_b64 exec, exec, s[2:3]
	s_cbranch_execz .LBB712_46
; %bb.44:
	v_div_scale_f32 v3, s[2:3], v2, v2, v12
	v_rcp_f32_e32 v4, v3
	v_div_scale_f32 v5, vcc, v12, v2, v12
	v_fma_f32 v6, -v3, v4, 1.0
	v_fmac_f32_e32 v4, v6, v4
	v_mul_f32_e32 v6, v5, v4
	v_fma_f32 v7, -v3, v6, v5
	v_fmac_f32_e32 v6, v7, v4
	v_fma_f32 v3, -v3, v6, v5
	v_div_fmas_f32 v3, v3, v4, v6
	v_div_fixup_f32 v4, v3, v2, v12
	v_mov_b32_e32 v3, 0x7fc00000
	v_cndmask_b32_e64 v4, v4, v3, s[4:5]
	global_store_dword v[0:1], v4, off offset:512
	s_and_b64 exec, exec, s[0:1]
	s_cbranch_execz .LBB712_46
; %bb.45:
	v_div_scale_f32 v4, s[0:1], v2, v2, v11
	v_rcp_f32_e32 v5, v4
	v_div_scale_f32 v6, vcc, v11, v2, v11
	v_fma_f32 v7, -v4, v5, 1.0
	v_fmac_f32_e32 v5, v7, v5
	v_mul_f32_e32 v7, v6, v5
	v_fma_f32 v8, -v4, v7, v6
	v_fmac_f32_e32 v7, v8, v5
	v_fma_f32 v4, -v4, v7, v6
	v_div_fmas_f32 v4, v4, v5, v7
	v_div_fixup_f32 v2, v4, v2, v11
	v_cndmask_b32_e64 v2, v2, v3, s[4:5]
	global_store_dword v[0:1], v2, off offset:768
.LBB712_46:
	s_endpgm
	.section	.rodata,"a",@progbits
	.p2align	6, 0x0
	.amdhsa_kernel _ZN12_GLOBAL__N_120softmax_warp_forwardIfffLi8ELb0ELb1ELi64EEEvPT0_PKT_iiiPKbib
		.amdhsa_group_segment_fixed_size 0
		.amdhsa_private_segment_fixed_size 0
		.amdhsa_kernarg_size 304
		.amdhsa_user_sgpr_count 6
		.amdhsa_user_sgpr_private_segment_buffer 1
		.amdhsa_user_sgpr_dispatch_ptr 0
		.amdhsa_user_sgpr_queue_ptr 0
		.amdhsa_user_sgpr_kernarg_segment_ptr 1
		.amdhsa_user_sgpr_dispatch_id 0
		.amdhsa_user_sgpr_flat_scratch_init 0
		.amdhsa_user_sgpr_kernarg_preload_length 0
		.amdhsa_user_sgpr_kernarg_preload_offset 0
		.amdhsa_user_sgpr_private_segment_size 0
		.amdhsa_uses_dynamic_stack 0
		.amdhsa_system_sgpr_private_segment_wavefront_offset 0
		.amdhsa_system_sgpr_workgroup_id_x 1
		.amdhsa_system_sgpr_workgroup_id_y 0
		.amdhsa_system_sgpr_workgroup_id_z 0
		.amdhsa_system_sgpr_workgroup_info 0
		.amdhsa_system_vgpr_workitem_id 1
		.amdhsa_next_free_vgpr 21
		.amdhsa_next_free_sgpr 26
		.amdhsa_accum_offset 24
		.amdhsa_reserve_vcc 1
		.amdhsa_reserve_flat_scratch 0
		.amdhsa_float_round_mode_32 0
		.amdhsa_float_round_mode_16_64 0
		.amdhsa_float_denorm_mode_32 3
		.amdhsa_float_denorm_mode_16_64 3
		.amdhsa_dx10_clamp 1
		.amdhsa_ieee_mode 1
		.amdhsa_fp16_overflow 0
		.amdhsa_tg_split 0
		.amdhsa_exception_fp_ieee_invalid_op 0
		.amdhsa_exception_fp_denorm_src 0
		.amdhsa_exception_fp_ieee_div_zero 0
		.amdhsa_exception_fp_ieee_overflow 0
		.amdhsa_exception_fp_ieee_underflow 0
		.amdhsa_exception_fp_ieee_inexact 0
		.amdhsa_exception_int_div_zero 0
	.end_amdhsa_kernel
	.section	.text._ZN12_GLOBAL__N_120softmax_warp_forwardIfffLi8ELb0ELb1ELi64EEEvPT0_PKT_iiiPKbib,"axG",@progbits,_ZN12_GLOBAL__N_120softmax_warp_forwardIfffLi8ELb0ELb1ELi64EEEvPT0_PKT_iiiPKbib,comdat
.Lfunc_end712:
	.size	_ZN12_GLOBAL__N_120softmax_warp_forwardIfffLi8ELb0ELb1ELi64EEEvPT0_PKT_iiiPKbib, .Lfunc_end712-_ZN12_GLOBAL__N_120softmax_warp_forwardIfffLi8ELb0ELb1ELi64EEEvPT0_PKT_iiiPKbib
                                        ; -- End function
	.section	.AMDGPU.csdata,"",@progbits
; Kernel info:
; codeLenInByte = 2472
; NumSgprs: 30
; NumVgprs: 21
; NumAgprs: 0
; TotalNumVgprs: 21
; ScratchSize: 0
; MemoryBound: 0
; FloatMode: 240
; IeeeMode: 1
; LDSByteSize: 0 bytes/workgroup (compile time only)
; SGPRBlocks: 3
; VGPRBlocks: 2
; NumSGPRsForWavesPerEU: 30
; NumVGPRsForWavesPerEU: 21
; AccumOffset: 24
; Occupancy: 8
; WaveLimiterHint : 0
; COMPUTE_PGM_RSRC2:SCRATCH_EN: 0
; COMPUTE_PGM_RSRC2:USER_SGPR: 6
; COMPUTE_PGM_RSRC2:TRAP_HANDLER: 0
; COMPUTE_PGM_RSRC2:TGID_X_EN: 1
; COMPUTE_PGM_RSRC2:TGID_Y_EN: 0
; COMPUTE_PGM_RSRC2:TGID_Z_EN: 0
; COMPUTE_PGM_RSRC2:TIDIG_COMP_CNT: 1
; COMPUTE_PGM_RSRC3_GFX90A:ACCUM_OFFSET: 5
; COMPUTE_PGM_RSRC3_GFX90A:TG_SPLIT: 0
	.section	.text._ZN12_GLOBAL__N_120softmax_warp_forwardIfffLi8ELb0ELb1ELi32EEEvPT0_PKT_iiiPKbib,"axG",@progbits,_ZN12_GLOBAL__N_120softmax_warp_forwardIfffLi8ELb0ELb1ELi32EEEvPT0_PKT_iiiPKbib,comdat
	.globl	_ZN12_GLOBAL__N_120softmax_warp_forwardIfffLi8ELb0ELb1ELi32EEEvPT0_PKT_iiiPKbib ; -- Begin function _ZN12_GLOBAL__N_120softmax_warp_forwardIfffLi8ELb0ELb1ELi32EEEvPT0_PKT_iiiPKbib
	.p2align	8
	.type	_ZN12_GLOBAL__N_120softmax_warp_forwardIfffLi8ELb0ELb1ELi32EEEvPT0_PKT_iiiPKbib,@function
_ZN12_GLOBAL__N_120softmax_warp_forwardIfffLi8ELb0ELb1ELi32EEEvPT0_PKT_iiiPKbib: ; @_ZN12_GLOBAL__N_120softmax_warp_forwardIfffLi8ELb0ELb1ELi32EEEvPT0_PKT_iiiPKbib
; %bb.0:
	s_load_dword s2, s[4:5], 0x3c
	s_load_dwordx4 s[16:19], s[4:5], 0x10
	s_load_dwordx2 s[0:1], s[4:5], 0x28
	v_bfe_u32 v1, v0, 10, 10
	v_and_b32_e32 v2, 0x3ff, v0
	s_waitcnt lgkmcnt(0)
	s_lshr_b32 s2, s2, 16
	s_mul_i32 s6, s6, s2
	v_add_u32_e32 v3, s6, v1
	v_mul_lo_u32 v6, v3, s17
	v_add_u32_e32 v0, v6, v2
	v_ashrrev_i32_e32 v1, 31, v0
	s_bitcmp0_b32 s1, 0
	v_pk_mov_b32 v[4:5], v[0:1], v[0:1] op_sel:[0,1]
	s_cbranch_scc1 .LBB713_2
; %bb.1:
	s_abs_i32 s1, s0
	v_cvt_f32_u32_e32 v4, s1
	v_xor_b32_e32 v5, s0, v6
	v_sub_u32_e32 v7, 0, v6
	s_sub_i32 s0, 0, s1
	v_rcp_iflag_f32_e32 v4, v4
	v_max_i32_e32 v6, v6, v7
	v_ashrrev_i32_e32 v5, 31, v5
	v_mul_f32_e32 v4, 0x4f7ffffe, v4
	v_cvt_u32_f32_e32 v4, v4
	v_mul_lo_u32 v7, s0, v4
	v_mul_hi_u32 v7, v4, v7
	v_add_u32_e32 v4, v4, v7
	v_mul_hi_u32 v4, v6, v4
	v_mul_lo_u32 v7, v4, s1
	v_sub_u32_e32 v6, v6, v7
	v_add_u32_e32 v8, 1, v4
	v_cmp_le_u32_e32 vcc, s1, v6
	v_subrev_u32_e32 v7, s1, v6
	v_cndmask_b32_e32 v4, v4, v8, vcc
	v_cndmask_b32_e32 v6, v6, v7, vcc
	v_add_u32_e32 v7, 1, v4
	v_cmp_le_u32_e32 vcc, s1, v6
	v_cndmask_b32_e32 v4, v4, v7, vcc
	v_xor_b32_e32 v4, v4, v5
	v_sub_u32_e32 v4, v4, v5
	v_mad_u64_u32 v[4:5], s[0:1], v4, s17, v[2:3]
	v_ashrrev_i32_e32 v5, 31, v4
.LBB713_2:
	s_load_dwordx4 s[20:23], s[4:5], 0x0
	v_lshlrev_b64 v[0:1], 2, v[0:1]
	v_sub_u32_e32 v8, s16, v3
	v_cmp_lt_i32_e64 s[16:17], 0, v8
	v_mov_b32_e32 v15, 0xff800000
	s_waitcnt lgkmcnt(0)
	v_mov_b32_e32 v3, s23
	v_add_co_u32_e32 v6, vcc, s22, v0
	v_addc_co_u32_e32 v7, vcc, v3, v1, vcc
	v_cmp_gt_i32_e32 vcc, s18, v2
	s_and_b64 s[36:37], s[16:17], vcc
	v_mov_b32_e32 v16, 0xff800000
	s_and_saveexec_b64 s[0:1], s[36:37]
	s_cbranch_execz .LBB713_4
; %bb.3:
	global_load_dword v16, v[6:7], off
.LBB713_4:
	s_or_b64 exec, exec, s[0:1]
	v_add_u32_e32 v3, 32, v2
	v_cmp_gt_i32_e64 s[12:13], s18, v3
	s_and_b64 s[34:35], s[16:17], s[12:13]
	s_and_saveexec_b64 s[0:1], s[34:35]
	s_cbranch_execz .LBB713_6
; %bb.5:
	global_load_dword v15, v[6:7], off offset:128
.LBB713_6:
	s_or_b64 exec, exec, s[0:1]
	v_add_u32_e32 v3, 64, v2
	v_cmp_gt_i32_e64 s[10:11], s18, v3
	s_and_b64 s[30:31], s[16:17], s[10:11]
	v_mov_b32_e32 v13, 0xff800000
	v_mov_b32_e32 v14, 0xff800000
	s_and_saveexec_b64 s[0:1], s[30:31]
	s_cbranch_execz .LBB713_8
; %bb.7:
	global_load_dword v14, v[6:7], off offset:256
.LBB713_8:
	s_or_b64 exec, exec, s[0:1]
	v_add_u32_e32 v3, 0x60, v2
	v_cmp_gt_i32_e64 s[8:9], s18, v3
	s_and_b64 s[28:29], s[16:17], s[8:9]
	s_and_saveexec_b64 s[0:1], s[28:29]
	s_cbranch_execz .LBB713_10
; %bb.9:
	global_load_dword v13, v[6:7], off offset:384
.LBB713_10:
	s_or_b64 exec, exec, s[0:1]
	v_add_u32_e32 v3, 0x80, v2
	v_cmp_gt_i32_e64 s[6:7], s18, v3
	s_and_b64 s[26:27], s[16:17], s[6:7]
	v_mov_b32_e32 v11, 0xff800000
	v_mov_b32_e32 v12, 0xff800000
	s_and_saveexec_b64 s[0:1], s[26:27]
	s_cbranch_execz .LBB713_12
; %bb.11:
	global_load_dword v12, v[6:7], off offset:512
.LBB713_12:
	;; [unrolled: 20-line block ×3, first 2 shown]
	s_or_b64 exec, exec, s[0:1]
	v_add_u32_e32 v2, 0xe0, v2
	v_cmp_gt_i32_e64 s[0:1], s18, v2
	s_and_b64 s[16:17], s[16:17], s[0:1]
	s_and_saveexec_b64 s[18:19], s[16:17]
	s_cbranch_execz .LBB713_18
; %bb.17:
	global_load_dword v9, v[6:7], off offset:896
.LBB713_18:
	s_or_b64 exec, exec, s[18:19]
	s_load_dwordx2 s[4:5], s[4:5], 0x20
	s_mov_b64 s[18:19], 0
	s_waitcnt lgkmcnt(0)
	v_mov_b32_e32 v3, s5
	v_add_co_u32_e64 v2, s[4:5], s4, v4
	v_addc_co_u32_e64 v3, s[4:5], v3, v5, s[4:5]
	s_and_saveexec_b64 s[38:39], s[36:37]
	s_cbranch_execnz .LBB713_26
; %bb.19:
	s_or_b64 exec, exec, s[38:39]
	s_waitcnt vmcnt(0)
	v_mov_b32_e32 v4, v16
	s_and_saveexec_b64 s[38:39], s[34:35]
	s_cbranch_execnz .LBB713_27
.LBB713_20:
	s_or_b64 exec, exec, s[38:39]
	s_and_saveexec_b64 s[38:39], s[30:31]
	s_cbranch_execnz .LBB713_30
.LBB713_21:
	s_or_b64 exec, exec, s[38:39]
	s_and_saveexec_b64 s[38:39], s[28:29]
	s_cbranch_execnz .LBB713_33
.LBB713_22:
	s_or_b64 exec, exec, s[38:39]
	s_and_saveexec_b64 s[38:39], s[26:27]
	s_cbranch_execnz .LBB713_36
.LBB713_23:
	s_or_b64 exec, exec, s[38:39]
	s_and_saveexec_b64 s[38:39], s[24:25]
	s_cbranch_execnz .LBB713_39
.LBB713_24:
	s_or_b64 exec, exec, s[38:39]
	s_and_saveexec_b64 s[38:39], s[22:23]
	s_cbranch_execnz .LBB713_42
.LBB713_25:
	s_or_b64 exec, exec, s[38:39]
	s_and_saveexec_b64 s[38:39], s[16:17]
	s_cbranch_execnz .LBB713_45
	s_branch .LBB713_48
.LBB713_26:
	global_load_ubyte v4, v[2:3], off
	s_waitcnt vmcnt(0)
	v_and_b32_e32 v4, 1, v4
	v_cmp_eq_u32_e64 s[4:5], 1, v4
	s_xor_b64 s[4:5], s[4:5], -1
	s_and_b64 s[18:19], s[4:5], exec
	s_or_b64 exec, exec, s[38:39]
	v_mov_b32_e32 v4, v16
	s_and_saveexec_b64 s[38:39], s[34:35]
	s_cbranch_execz .LBB713_20
.LBB713_27:
	global_load_ubyte v4, v[2:3], off offset:32
	s_mov_b64 s[40:41], s[18:19]
	s_waitcnt vmcnt(0)
	v_and_b32_e32 v4, 1, v4
	v_cmp_eq_u32_e64 s[4:5], 1, v4
	s_xor_b64 s[4:5], s[4:5], -1
	v_mov_b32_e32 v4, v16
	s_and_saveexec_b64 s[42:43], s[4:5]
; %bb.28:
	v_cmp_gt_f32_e64 s[4:5], v16, v15
	s_and_b64 s[4:5], s[18:19], s[4:5]
	v_cndmask_b32_e64 v4, v15, v16, s[4:5]
	s_or_b64 s[40:41], s[18:19], exec
; %bb.29:
	s_or_b64 exec, exec, s[42:43]
	s_andn2_b64 s[4:5], s[18:19], exec
	s_and_b64 s[18:19], s[40:41], exec
	s_or_b64 s[18:19], s[4:5], s[18:19]
	s_or_b64 exec, exec, s[38:39]
	s_and_saveexec_b64 s[38:39], s[30:31]
	s_cbranch_execz .LBB713_21
.LBB713_30:
	global_load_ubyte v5, v[2:3], off offset:64
	s_waitcnt vmcnt(0)
	v_and_b32_e32 v5, 1, v5
	v_cmp_eq_u32_e64 s[4:5], 1, v5
	s_xor_b64 s[42:43], s[4:5], -1
	s_mov_b64 s[4:5], s[18:19]
	s_and_saveexec_b64 s[40:41], s[42:43]
; %bb.31:
	v_cmp_gt_f32_e64 s[4:5], v4, v14
	s_and_b64 s[4:5], s[18:19], s[4:5]
	v_cndmask_b32_e64 v4, v14, v4, s[4:5]
	s_or_b64 s[4:5], s[18:19], exec
; %bb.32:
	s_or_b64 exec, exec, s[40:41]
	s_andn2_b64 s[18:19], s[18:19], exec
	s_and_b64 s[4:5], s[4:5], exec
	s_or_b64 s[18:19], s[18:19], s[4:5]
	s_or_b64 exec, exec, s[38:39]
	s_and_saveexec_b64 s[38:39], s[28:29]
	s_cbranch_execz .LBB713_22
.LBB713_33:
	global_load_ubyte v5, v[2:3], off offset:96
	s_waitcnt vmcnt(0)
	v_and_b32_e32 v5, 1, v5
	v_cmp_eq_u32_e64 s[4:5], 1, v5
	s_xor_b64 s[42:43], s[4:5], -1
	s_mov_b64 s[4:5], s[18:19]
	s_and_saveexec_b64 s[40:41], s[42:43]
; %bb.34:
	v_cmp_gt_f32_e64 s[4:5], v4, v13
	s_and_b64 s[4:5], s[18:19], s[4:5]
	v_cndmask_b32_e64 v4, v13, v4, s[4:5]
	s_or_b64 s[4:5], s[18:19], exec
; %bb.35:
	s_or_b64 exec, exec, s[40:41]
	s_andn2_b64 s[18:19], s[18:19], exec
	s_and_b64 s[4:5], s[4:5], exec
	s_or_b64 s[18:19], s[18:19], s[4:5]
	s_or_b64 exec, exec, s[38:39]
	s_and_saveexec_b64 s[38:39], s[26:27]
	s_cbranch_execz .LBB713_23
.LBB713_36:
	global_load_ubyte v5, v[2:3], off offset:128
	s_waitcnt vmcnt(0)
	v_and_b32_e32 v5, 1, v5
	v_cmp_eq_u32_e64 s[4:5], 1, v5
	s_xor_b64 s[42:43], s[4:5], -1
	s_mov_b64 s[4:5], s[18:19]
	s_and_saveexec_b64 s[40:41], s[42:43]
; %bb.37:
	v_cmp_gt_f32_e64 s[4:5], v4, v12
	s_and_b64 s[4:5], s[18:19], s[4:5]
	v_cndmask_b32_e64 v4, v12, v4, s[4:5]
	s_or_b64 s[4:5], s[18:19], exec
; %bb.38:
	s_or_b64 exec, exec, s[40:41]
	s_andn2_b64 s[18:19], s[18:19], exec
	s_and_b64 s[4:5], s[4:5], exec
	s_or_b64 s[18:19], s[18:19], s[4:5]
	s_or_b64 exec, exec, s[38:39]
	s_and_saveexec_b64 s[38:39], s[24:25]
	s_cbranch_execz .LBB713_24
.LBB713_39:
	global_load_ubyte v5, v[2:3], off offset:160
	s_waitcnt vmcnt(0)
	v_and_b32_e32 v5, 1, v5
	v_cmp_eq_u32_e64 s[4:5], 1, v5
	s_xor_b64 s[42:43], s[4:5], -1
	s_mov_b64 s[4:5], s[18:19]
	s_and_saveexec_b64 s[40:41], s[42:43]
; %bb.40:
	v_cmp_gt_f32_e64 s[4:5], v4, v11
	s_and_b64 s[4:5], s[18:19], s[4:5]
	v_cndmask_b32_e64 v4, v11, v4, s[4:5]
	s_or_b64 s[4:5], s[18:19], exec
; %bb.41:
	s_or_b64 exec, exec, s[40:41]
	s_andn2_b64 s[18:19], s[18:19], exec
	s_and_b64 s[4:5], s[4:5], exec
	s_or_b64 s[18:19], s[18:19], s[4:5]
	s_or_b64 exec, exec, s[38:39]
	s_and_saveexec_b64 s[38:39], s[22:23]
	s_cbranch_execz .LBB713_25
.LBB713_42:
	global_load_ubyte v5, v[2:3], off offset:192
	s_waitcnt vmcnt(0)
	v_and_b32_e32 v5, 1, v5
	v_cmp_eq_u32_e64 s[4:5], 1, v5
	s_xor_b64 s[42:43], s[4:5], -1
	s_mov_b64 s[4:5], s[18:19]
	s_and_saveexec_b64 s[40:41], s[42:43]
; %bb.43:
	v_cmp_gt_f32_e64 s[4:5], v4, v10
	s_and_b64 s[4:5], s[18:19], s[4:5]
	v_cndmask_b32_e64 v4, v10, v4, s[4:5]
	s_or_b64 s[4:5], s[18:19], exec
; %bb.44:
	s_or_b64 exec, exec, s[40:41]
	s_andn2_b64 s[18:19], s[18:19], exec
	s_and_b64 s[4:5], s[4:5], exec
	s_or_b64 s[18:19], s[18:19], s[4:5]
	s_or_b64 exec, exec, s[38:39]
	s_and_saveexec_b64 s[38:39], s[16:17]
	s_cbranch_execz .LBB713_48
.LBB713_45:
	global_load_ubyte v5, v[2:3], off offset:224
	s_waitcnt vmcnt(0)
	v_and_b32_e32 v5, 1, v5
	v_cmp_eq_u32_e64 s[4:5], 1, v5
	s_xor_b64 s[42:43], s[4:5], -1
	s_mov_b64 s[4:5], s[18:19]
	s_and_saveexec_b64 s[40:41], s[42:43]
; %bb.46:
	v_cmp_gt_f32_e64 s[4:5], v4, v9
	s_and_b64 s[4:5], s[18:19], s[4:5]
	v_cndmask_b32_e64 v4, v9, v4, s[4:5]
	s_or_b64 s[4:5], s[18:19], exec
; %bb.47:
	s_or_b64 exec, exec, s[40:41]
	s_andn2_b64 s[18:19], s[18:19], exec
	s_and_b64 s[4:5], s[4:5], exec
	s_or_b64 s[18:19], s[18:19], s[4:5]
.LBB713_48:
	s_or_b64 exec, exec, s[38:39]
	v_mov_b32_e32 v5, 0xff800000
	v_cndmask_b32_e64 v4, v5, v4, s[18:19]
	v_mbcnt_lo_u32_b32 v5, -1, 0
	v_mbcnt_hi_u32_b32 v17, -1, v5
	v_and_b32_e32 v5, 0x60, v17
	v_add_u32_e32 v19, 32, v5
	v_xor_b32_e32 v5, 16, v17
	v_cmp_lt_i32_e64 s[4:5], v5, v19
	v_cndmask_b32_e64 v5, v17, v5, s[4:5]
	v_lshlrev_b32_e32 v5, 2, v5
	ds_bpermute_b32 v6, v5, v4
	s_waitcnt lgkmcnt(0)
	v_cmp_lt_f32_e64 s[4:5], v4, v6
	v_cndmask_b32_e64 v4, v4, v6, s[4:5]
	v_xor_b32_e32 v6, 8, v17
	v_cmp_lt_i32_e64 s[4:5], v6, v19
	v_cndmask_b32_e64 v6, v17, v6, s[4:5]
	v_lshlrev_b32_e32 v6, 2, v6
	ds_bpermute_b32 v7, v6, v4
	s_waitcnt lgkmcnt(0)
	v_cmp_lt_f32_e64 s[4:5], v4, v7
	v_cndmask_b32_e64 v4, v4, v7, s[4:5]
	;; [unrolled: 8-line block ×5, first 2 shown]
	v_mov_b32_e32 v4, 0
	v_mov_b32_e32 v17, 0
	s_and_saveexec_b64 s[18:19], s[36:37]
	s_cbranch_execz .LBB713_52
; %bb.49:
	global_load_ubyte v17, v[2:3], off
	s_waitcnt vmcnt(0)
	v_and_b32_e32 v17, 1, v17
	v_cmp_eq_u32_e64 s[4:5], 1, v17
	s_xor_b64 s[4:5], s[4:5], -1
	v_mov_b32_e32 v17, 0
	s_and_saveexec_b64 s[36:37], s[4:5]
	s_cbranch_execz .LBB713_51
; %bb.50:
	v_sub_f32_e32 v16, v16, v20
	s_mov_b32 s4, 0x3fb8aa3b
	v_mul_f32_e32 v17, 0x3fb8aa3b, v16
	v_fma_f32 v21, v16, s4, -v17
	v_rndne_f32_e32 v22, v17
	v_fmac_f32_e32 v21, 0x32a5705f, v16
	v_sub_f32_e32 v17, v17, v22
	v_add_f32_e32 v17, v17, v21
	v_exp_f32_e32 v17, v17
	v_cvt_i32_f32_e32 v21, v22
	s_mov_b32 s4, 0xc2ce8ed0
	v_cmp_ngt_f32_e64 s[4:5], s4, v16
	v_ldexp_f32 v17, v17, v21
	v_cndmask_b32_e64 v17, 0, v17, s[4:5]
	s_mov_b32 s4, 0x42b17218
	v_mov_b32_e32 v21, 0x7f800000
	v_cmp_nlt_f32_e64 s[4:5], s4, v16
	v_cndmask_b32_e64 v17, v21, v17, s[4:5]
.LBB713_51:
	s_or_b64 exec, exec, s[36:37]
.LBB713_52:
	s_or_b64 exec, exec, s[18:19]
	v_mov_b32_e32 v21, v17
	s_and_saveexec_b64 s[18:19], s[34:35]
	s_cbranch_execz .LBB713_56
; %bb.53:
	global_load_ubyte v16, v[2:3], off offset:32
	v_mov_b32_e32 v4, 0
	v_mov_b32_e32 v21, v17
	s_waitcnt vmcnt(0)
	v_and_b32_e32 v16, 1, v16
	v_cmp_eq_u32_e64 s[4:5], 1, v16
	s_xor_b64 s[4:5], s[4:5], -1
	s_and_saveexec_b64 s[34:35], s[4:5]
	s_cbranch_execz .LBB713_55
; %bb.54:
	v_sub_f32_e32 v4, v15, v20
	s_mov_b32 s4, 0x3fb8aa3b
	v_mul_f32_e32 v15, 0x3fb8aa3b, v4
	v_fma_f32 v16, v4, s4, -v15
	v_rndne_f32_e32 v21, v15
	v_fmac_f32_e32 v16, 0x32a5705f, v4
	v_sub_f32_e32 v15, v15, v21
	v_add_f32_e32 v15, v15, v16
	v_exp_f32_e32 v15, v15
	v_cvt_i32_f32_e32 v16, v21
	s_mov_b32 s4, 0xc2ce8ed0
	v_cmp_ngt_f32_e64 s[4:5], s4, v4
	v_ldexp_f32 v15, v15, v16
	v_cndmask_b32_e64 v15, 0, v15, s[4:5]
	s_mov_b32 s4, 0x42b17218
	v_mov_b32_e32 v16, 0x7f800000
	v_cmp_nlt_f32_e64 s[4:5], s4, v4
	v_cndmask_b32_e64 v4, v16, v15, s[4:5]
	v_add_f32_e32 v21, v17, v4
.LBB713_55:
	s_or_b64 exec, exec, s[34:35]
.LBB713_56:
	s_or_b64 exec, exec, s[18:19]
	v_mov_b32_e32 v15, 0
	v_mov_b32_e32 v16, 0
	s_and_saveexec_b64 s[18:19], s[30:31]
	s_cbranch_execz .LBB713_60
; %bb.57:
	global_load_ubyte v16, v[2:3], off offset:64
	s_waitcnt vmcnt(0)
	v_and_b32_e32 v16, 1, v16
	v_cmp_eq_u32_e64 s[4:5], 1, v16
	s_xor_b64 s[4:5], s[4:5], -1
	v_mov_b32_e32 v16, 0
	s_and_saveexec_b64 s[30:31], s[4:5]
	s_cbranch_execz .LBB713_59
; %bb.58:
	v_sub_f32_e32 v14, v14, v20
	s_mov_b32 s4, 0x3fb8aa3b
	v_mul_f32_e32 v16, 0x3fb8aa3b, v14
	v_fma_f32 v22, v14, s4, -v16
	v_rndne_f32_e32 v23, v16
	v_fmac_f32_e32 v22, 0x32a5705f, v14
	v_sub_f32_e32 v16, v16, v23
	v_add_f32_e32 v16, v16, v22
	v_exp_f32_e32 v16, v16
	v_cvt_i32_f32_e32 v22, v23
	s_mov_b32 s4, 0xc2ce8ed0
	v_cmp_ngt_f32_e64 s[4:5], s4, v14
	v_ldexp_f32 v16, v16, v22
	v_cndmask_b32_e64 v16, 0, v16, s[4:5]
	s_mov_b32 s4, 0x42b17218
	v_mov_b32_e32 v22, 0x7f800000
	v_cmp_nlt_f32_e64 s[4:5], s4, v14
	v_cndmask_b32_e64 v16, v22, v16, s[4:5]
	v_add_f32_e32 v21, v21, v16
.LBB713_59:
	s_or_b64 exec, exec, s[30:31]
.LBB713_60:
	s_or_b64 exec, exec, s[18:19]
	s_and_saveexec_b64 s[18:19], s[28:29]
	s_cbranch_execz .LBB713_64
; %bb.61:
	global_load_ubyte v14, v[2:3], off offset:96
	v_mov_b32_e32 v15, 0
	s_waitcnt vmcnt(0)
	v_and_b32_e32 v14, 1, v14
	v_cmp_eq_u32_e64 s[4:5], 1, v14
	s_xor_b64 s[4:5], s[4:5], -1
	s_and_saveexec_b64 s[28:29], s[4:5]
	s_cbranch_execz .LBB713_63
; %bb.62:
	v_sub_f32_e32 v13, v13, v20
	s_mov_b32 s4, 0x3fb8aa3b
	v_mul_f32_e32 v14, 0x3fb8aa3b, v13
	v_fma_f32 v15, v13, s4, -v14
	v_rndne_f32_e32 v22, v14
	v_fmac_f32_e32 v15, 0x32a5705f, v13
	v_sub_f32_e32 v14, v14, v22
	v_add_f32_e32 v14, v14, v15
	v_exp_f32_e32 v14, v14
	v_cvt_i32_f32_e32 v15, v22
	s_mov_b32 s4, 0xc2ce8ed0
	v_cmp_ngt_f32_e64 s[4:5], s4, v13
	v_ldexp_f32 v14, v14, v15
	v_cndmask_b32_e64 v14, 0, v14, s[4:5]
	s_mov_b32 s4, 0x42b17218
	v_mov_b32_e32 v15, 0x7f800000
	v_cmp_nlt_f32_e64 s[4:5], s4, v13
	v_cndmask_b32_e64 v15, v15, v14, s[4:5]
	v_add_f32_e32 v21, v21, v15
.LBB713_63:
	s_or_b64 exec, exec, s[28:29]
.LBB713_64:
	s_or_b64 exec, exec, s[18:19]
	v_mov_b32_e32 v13, 0
	v_mov_b32_e32 v14, 0
	s_and_saveexec_b64 s[18:19], s[26:27]
	s_cbranch_execz .LBB713_68
; %bb.65:
	global_load_ubyte v14, v[2:3], off offset:128
	s_waitcnt vmcnt(0)
	v_and_b32_e32 v14, 1, v14
	v_cmp_eq_u32_e64 s[4:5], 1, v14
	s_xor_b64 s[4:5], s[4:5], -1
	v_mov_b32_e32 v14, 0
	s_and_saveexec_b64 s[26:27], s[4:5]
	s_cbranch_execz .LBB713_67
; %bb.66:
	v_sub_f32_e32 v12, v12, v20
	s_mov_b32 s4, 0x3fb8aa3b
	v_mul_f32_e32 v14, 0x3fb8aa3b, v12
	v_fma_f32 v22, v12, s4, -v14
	v_rndne_f32_e32 v23, v14
	v_fmac_f32_e32 v22, 0x32a5705f, v12
	v_sub_f32_e32 v14, v14, v23
	v_add_f32_e32 v14, v14, v22
	v_exp_f32_e32 v14, v14
	v_cvt_i32_f32_e32 v22, v23
	s_mov_b32 s4, 0xc2ce8ed0
	v_cmp_ngt_f32_e64 s[4:5], s4, v12
	v_ldexp_f32 v14, v14, v22
	v_cndmask_b32_e64 v14, 0, v14, s[4:5]
	s_mov_b32 s4, 0x42b17218
	v_mov_b32_e32 v22, 0x7f800000
	v_cmp_nlt_f32_e64 s[4:5], s4, v12
	v_cndmask_b32_e64 v14, v22, v14, s[4:5]
	v_add_f32_e32 v21, v21, v14
.LBB713_67:
	s_or_b64 exec, exec, s[26:27]
.LBB713_68:
	s_or_b64 exec, exec, s[18:19]
	s_and_saveexec_b64 s[18:19], s[24:25]
	s_cbranch_execz .LBB713_72
; %bb.69:
	global_load_ubyte v12, v[2:3], off offset:160
	v_mov_b32_e32 v13, 0
	s_waitcnt vmcnt(0)
	v_and_b32_e32 v12, 1, v12
	v_cmp_eq_u32_e64 s[4:5], 1, v12
	s_xor_b64 s[4:5], s[4:5], -1
	s_and_saveexec_b64 s[24:25], s[4:5]
	s_cbranch_execz .LBB713_71
; %bb.70:
	v_sub_f32_e32 v11, v11, v20
	s_mov_b32 s4, 0x3fb8aa3b
	v_mul_f32_e32 v12, 0x3fb8aa3b, v11
	v_fma_f32 v13, v11, s4, -v12
	v_rndne_f32_e32 v22, v12
	v_fmac_f32_e32 v13, 0x32a5705f, v11
	v_sub_f32_e32 v12, v12, v22
	v_add_f32_e32 v12, v12, v13
	v_exp_f32_e32 v12, v12
	v_cvt_i32_f32_e32 v13, v22
	s_mov_b32 s4, 0xc2ce8ed0
	v_cmp_ngt_f32_e64 s[4:5], s4, v11
	v_ldexp_f32 v12, v12, v13
	v_cndmask_b32_e64 v12, 0, v12, s[4:5]
	s_mov_b32 s4, 0x42b17218
	v_mov_b32_e32 v13, 0x7f800000
	v_cmp_nlt_f32_e64 s[4:5], s4, v11
	v_cndmask_b32_e64 v13, v13, v12, s[4:5]
	v_add_f32_e32 v21, v21, v13
.LBB713_71:
	s_or_b64 exec, exec, s[24:25]
.LBB713_72:
	s_or_b64 exec, exec, s[18:19]
	v_mov_b32_e32 v11, 0
	v_mov_b32_e32 v12, 0
	s_and_saveexec_b64 s[18:19], s[22:23]
	s_cbranch_execz .LBB713_76
; %bb.73:
	global_load_ubyte v12, v[2:3], off offset:192
	s_waitcnt vmcnt(0)
	v_and_b32_e32 v12, 1, v12
	v_cmp_eq_u32_e64 s[4:5], 1, v12
	s_xor_b64 s[4:5], s[4:5], -1
	v_mov_b32_e32 v12, 0
	s_and_saveexec_b64 s[22:23], s[4:5]
	s_cbranch_execz .LBB713_75
; %bb.74:
	v_sub_f32_e32 v10, v10, v20
	s_mov_b32 s4, 0x3fb8aa3b
	v_mul_f32_e32 v12, 0x3fb8aa3b, v10
	v_fma_f32 v22, v10, s4, -v12
	v_rndne_f32_e32 v23, v12
	v_fmac_f32_e32 v22, 0x32a5705f, v10
	v_sub_f32_e32 v12, v12, v23
	v_add_f32_e32 v12, v12, v22
	v_exp_f32_e32 v12, v12
	v_cvt_i32_f32_e32 v22, v23
	s_mov_b32 s4, 0xc2ce8ed0
	v_cmp_ngt_f32_e64 s[4:5], s4, v10
	v_ldexp_f32 v12, v12, v22
	v_cndmask_b32_e64 v12, 0, v12, s[4:5]
	s_mov_b32 s4, 0x42b17218
	v_mov_b32_e32 v22, 0x7f800000
	v_cmp_nlt_f32_e64 s[4:5], s4, v10
	v_cndmask_b32_e64 v12, v22, v12, s[4:5]
	v_add_f32_e32 v21, v21, v12
.LBB713_75:
	s_or_b64 exec, exec, s[22:23]
.LBB713_76:
	s_or_b64 exec, exec, s[18:19]
	s_and_saveexec_b64 s[18:19], s[16:17]
	s_cbranch_execz .LBB713_80
; %bb.77:
	global_load_ubyte v2, v[2:3], off offset:224
	v_mov_b32_e32 v11, 0
	s_waitcnt vmcnt(0)
	v_and_b32_e32 v2, 1, v2
	v_cmp_eq_u32_e64 s[4:5], 1, v2
	s_xor_b64 s[4:5], s[4:5], -1
	s_and_saveexec_b64 s[16:17], s[4:5]
	s_cbranch_execz .LBB713_79
; %bb.78:
	v_sub_f32_e32 v2, v9, v20
	s_mov_b32 s4, 0x3fb8aa3b
	v_mul_f32_e32 v3, 0x3fb8aa3b, v2
	v_fma_f32 v9, v2, s4, -v3
	v_rndne_f32_e32 v10, v3
	v_fmac_f32_e32 v9, 0x32a5705f, v2
	v_sub_f32_e32 v3, v3, v10
	v_add_f32_e32 v3, v3, v9
	v_exp_f32_e32 v3, v3
	v_cvt_i32_f32_e32 v9, v10
	s_mov_b32 s4, 0xc2ce8ed0
	v_cmp_ngt_f32_e64 s[4:5], s4, v2
	v_ldexp_f32 v3, v3, v9
	v_cndmask_b32_e64 v3, 0, v3, s[4:5]
	s_mov_b32 s4, 0x42b17218
	v_mov_b32_e32 v9, 0x7f800000
	v_cmp_nlt_f32_e64 s[4:5], s4, v2
	v_cndmask_b32_e64 v11, v9, v3, s[4:5]
	v_add_f32_e32 v21, v21, v11
.LBB713_79:
	s_or_b64 exec, exec, s[16:17]
.LBB713_80:
	s_or_b64 exec, exec, s[18:19]
	ds_bpermute_b32 v2, v5, v21
	v_cmp_lt_i32_e64 s[4:5], 0, v8
	s_waitcnt lgkmcnt(0)
	v_add_f32_e32 v2, v21, v2
	ds_bpermute_b32 v3, v6, v2
	s_waitcnt lgkmcnt(0)
	v_add_f32_e32 v2, v2, v3
	ds_bpermute_b32 v3, v7, v2
	;; [unrolled: 3-line block ×4, first 2 shown]
	s_and_saveexec_b64 s[16:17], s[4:5]
	s_cbranch_execz .LBB713_90
; %bb.81:
	s_and_b64 exec, exec, vcc
	s_cbranch_execz .LBB713_90
; %bb.82:
	s_waitcnt lgkmcnt(0)
	v_add_f32_e32 v2, v2, v3
	v_div_scale_f32 v5, s[4:5], v2, v2, v17
	v_rcp_f32_e32 v6, v5
	v_mov_b32_e32 v3, s21
	v_add_co_u32_e32 v0, vcc, s20, v0
	v_addc_co_u32_e32 v1, vcc, v3, v1, vcc
	v_fma_f32 v3, -v5, v6, 1.0
	v_fmac_f32_e32 v6, v3, v6
	v_div_scale_f32 v3, vcc, v17, v2, v17
	v_mul_f32_e32 v7, v3, v6
	v_fma_f32 v8, -v5, v7, v3
	v_fmac_f32_e32 v7, v8, v6
	v_fma_f32 v3, -v5, v7, v3
	v_div_fmas_f32 v3, v3, v6, v7
	v_div_fixup_f32 v5, v3, v2, v17
	v_mov_b32_e32 v3, 0x7fc00000
	v_cmp_eq_f32_e64 s[4:5], 0, v2
	v_cndmask_b32_e64 v5, v5, v3, s[4:5]
	global_store_dword v[0:1], v5, off
	s_and_b64 exec, exec, s[12:13]
	s_cbranch_execz .LBB713_90
; %bb.83:
	v_div_scale_f32 v5, s[12:13], v2, v2, v4
	v_rcp_f32_e32 v6, v5
	v_div_scale_f32 v7, vcc, v4, v2, v4
	v_fma_f32 v8, -v5, v6, 1.0
	v_fmac_f32_e32 v6, v8, v6
	v_mul_f32_e32 v8, v7, v6
	v_fma_f32 v9, -v5, v8, v7
	v_fmac_f32_e32 v8, v9, v6
	v_fma_f32 v5, -v5, v8, v7
	v_div_fmas_f32 v5, v5, v6, v8
	v_div_fixup_f32 v4, v5, v2, v4
	v_cndmask_b32_e64 v3, v4, v3, s[4:5]
	global_store_dword v[0:1], v3, off offset:128
	s_and_b64 exec, exec, s[10:11]
	s_cbranch_execz .LBB713_90
; %bb.84:
	v_div_scale_f32 v3, s[10:11], v2, v2, v16
	v_rcp_f32_e32 v4, v3
	v_div_scale_f32 v5, vcc, v16, v2, v16
	v_fma_f32 v6, -v3, v4, 1.0
	v_fmac_f32_e32 v4, v6, v4
	v_mul_f32_e32 v6, v5, v4
	v_fma_f32 v7, -v3, v6, v5
	v_fmac_f32_e32 v6, v7, v4
	v_fma_f32 v3, -v3, v6, v5
	v_div_fmas_f32 v3, v3, v4, v6
	v_div_fixup_f32 v4, v3, v2, v16
	v_mov_b32_e32 v3, 0x7fc00000
	v_cndmask_b32_e64 v4, v4, v3, s[4:5]
	global_store_dword v[0:1], v4, off offset:256
	s_and_b64 exec, exec, s[8:9]
	s_cbranch_execz .LBB713_90
; %bb.85:
	v_div_scale_f32 v4, s[8:9], v2, v2, v15
	v_rcp_f32_e32 v5, v4
	v_div_scale_f32 v6, vcc, v15, v2, v15
	v_fma_f32 v7, -v4, v5, 1.0
	v_fmac_f32_e32 v5, v7, v5
	v_mul_f32_e32 v7, v6, v5
	v_fma_f32 v8, -v4, v7, v6
	v_fmac_f32_e32 v7, v8, v5
	v_fma_f32 v4, -v4, v7, v6
	v_div_fmas_f32 v4, v4, v5, v7
	v_div_fixup_f32 v4, v4, v2, v15
	v_cndmask_b32_e64 v3, v4, v3, s[4:5]
	global_store_dword v[0:1], v3, off offset:384
	s_and_b64 exec, exec, s[6:7]
	s_cbranch_execz .LBB713_90
; %bb.86:
	v_div_scale_f32 v3, s[6:7], v2, v2, v14
	v_rcp_f32_e32 v4, v3
	v_div_scale_f32 v5, vcc, v14, v2, v14
	v_fma_f32 v6, -v3, v4, 1.0
	v_fmac_f32_e32 v4, v6, v4
	v_mul_f32_e32 v6, v5, v4
	v_fma_f32 v7, -v3, v6, v5
	v_fmac_f32_e32 v6, v7, v4
	v_fma_f32 v3, -v3, v6, v5
	v_div_fmas_f32 v3, v3, v4, v6
	v_div_fixup_f32 v4, v3, v2, v14
	v_mov_b32_e32 v3, 0x7fc00000
	v_cndmask_b32_e64 v4, v4, v3, s[4:5]
	global_store_dword v[0:1], v4, off offset:512
	;; [unrolled: 33-line block ×3, first 2 shown]
	s_and_b64 exec, exec, s[0:1]
	s_cbranch_execz .LBB713_90
; %bb.89:
	v_div_scale_f32 v4, s[0:1], v2, v2, v11
	v_rcp_f32_e32 v5, v4
	v_div_scale_f32 v6, vcc, v11, v2, v11
	v_fma_f32 v7, -v4, v5, 1.0
	v_fmac_f32_e32 v5, v7, v5
	v_mul_f32_e32 v7, v6, v5
	v_fma_f32 v8, -v4, v7, v6
	v_fmac_f32_e32 v7, v8, v5
	v_fma_f32 v4, -v4, v7, v6
	v_div_fmas_f32 v4, v4, v5, v7
	v_div_fixup_f32 v2, v4, v2, v11
	v_cndmask_b32_e64 v2, v2, v3, s[4:5]
	global_store_dword v[0:1], v2, off offset:896
.LBB713_90:
	s_endpgm
	.section	.rodata,"a",@progbits
	.p2align	6, 0x0
	.amdhsa_kernel _ZN12_GLOBAL__N_120softmax_warp_forwardIfffLi8ELb0ELb1ELi32EEEvPT0_PKT_iiiPKbib
		.amdhsa_group_segment_fixed_size 0
		.amdhsa_private_segment_fixed_size 0
		.amdhsa_kernarg_size 304
		.amdhsa_user_sgpr_count 6
		.amdhsa_user_sgpr_private_segment_buffer 1
		.amdhsa_user_sgpr_dispatch_ptr 0
		.amdhsa_user_sgpr_queue_ptr 0
		.amdhsa_user_sgpr_kernarg_segment_ptr 1
		.amdhsa_user_sgpr_dispatch_id 0
		.amdhsa_user_sgpr_flat_scratch_init 0
		.amdhsa_user_sgpr_kernarg_preload_length 0
		.amdhsa_user_sgpr_kernarg_preload_offset 0
		.amdhsa_user_sgpr_private_segment_size 0
		.amdhsa_uses_dynamic_stack 0
		.amdhsa_system_sgpr_private_segment_wavefront_offset 0
		.amdhsa_system_sgpr_workgroup_id_x 1
		.amdhsa_system_sgpr_workgroup_id_y 0
		.amdhsa_system_sgpr_workgroup_id_z 0
		.amdhsa_system_sgpr_workgroup_info 0
		.amdhsa_system_vgpr_workitem_id 1
		.amdhsa_next_free_vgpr 24
		.amdhsa_next_free_sgpr 44
		.amdhsa_accum_offset 24
		.amdhsa_reserve_vcc 1
		.amdhsa_reserve_flat_scratch 0
		.amdhsa_float_round_mode_32 0
		.amdhsa_float_round_mode_16_64 0
		.amdhsa_float_denorm_mode_32 3
		.amdhsa_float_denorm_mode_16_64 3
		.amdhsa_dx10_clamp 1
		.amdhsa_ieee_mode 1
		.amdhsa_fp16_overflow 0
		.amdhsa_tg_split 0
		.amdhsa_exception_fp_ieee_invalid_op 0
		.amdhsa_exception_fp_denorm_src 0
		.amdhsa_exception_fp_ieee_div_zero 0
		.amdhsa_exception_fp_ieee_overflow 0
		.amdhsa_exception_fp_ieee_underflow 0
		.amdhsa_exception_fp_ieee_inexact 0
		.amdhsa_exception_int_div_zero 0
	.end_amdhsa_kernel
	.section	.text._ZN12_GLOBAL__N_120softmax_warp_forwardIfffLi8ELb0ELb1ELi32EEEvPT0_PKT_iiiPKbib,"axG",@progbits,_ZN12_GLOBAL__N_120softmax_warp_forwardIfffLi8ELb0ELb1ELi32EEEvPT0_PKT_iiiPKbib,comdat
.Lfunc_end713:
	.size	_ZN12_GLOBAL__N_120softmax_warp_forwardIfffLi8ELb0ELb1ELi32EEEvPT0_PKT_iiiPKbib, .Lfunc_end713-_ZN12_GLOBAL__N_120softmax_warp_forwardIfffLi8ELb0ELb1ELi32EEEvPT0_PKT_iiiPKbib
                                        ; -- End function
	.section	.AMDGPU.csdata,"",@progbits
; Kernel info:
; codeLenInByte = 4132
; NumSgprs: 48
; NumVgprs: 24
; NumAgprs: 0
; TotalNumVgprs: 24
; ScratchSize: 0
; MemoryBound: 0
; FloatMode: 240
; IeeeMode: 1
; LDSByteSize: 0 bytes/workgroup (compile time only)
; SGPRBlocks: 5
; VGPRBlocks: 2
; NumSGPRsForWavesPerEU: 48
; NumVGPRsForWavesPerEU: 24
; AccumOffset: 24
; Occupancy: 8
; WaveLimiterHint : 0
; COMPUTE_PGM_RSRC2:SCRATCH_EN: 0
; COMPUTE_PGM_RSRC2:USER_SGPR: 6
; COMPUTE_PGM_RSRC2:TRAP_HANDLER: 0
; COMPUTE_PGM_RSRC2:TGID_X_EN: 1
; COMPUTE_PGM_RSRC2:TGID_Y_EN: 0
; COMPUTE_PGM_RSRC2:TGID_Z_EN: 0
; COMPUTE_PGM_RSRC2:TIDIG_COMP_CNT: 1
; COMPUTE_PGM_RSRC3_GFX90A:ACCUM_OFFSET: 5
; COMPUTE_PGM_RSRC3_GFX90A:TG_SPLIT: 0
	.section	.text._ZN12_GLOBAL__N_120softmax_warp_forwardIfffLi9ELb0ELb1ELi64EEEvPT0_PKT_iiiPKbib,"axG",@progbits,_ZN12_GLOBAL__N_120softmax_warp_forwardIfffLi9ELb0ELb1ELi64EEEvPT0_PKT_iiiPKbib,comdat
	.globl	_ZN12_GLOBAL__N_120softmax_warp_forwardIfffLi9ELb0ELb1ELi64EEEvPT0_PKT_iiiPKbib ; -- Begin function _ZN12_GLOBAL__N_120softmax_warp_forwardIfffLi9ELb0ELb1ELi64EEEvPT0_PKT_iiiPKbib
	.p2align	8
	.type	_ZN12_GLOBAL__N_120softmax_warp_forwardIfffLi9ELb0ELb1ELi64EEEvPT0_PKT_iiiPKbib,@function
_ZN12_GLOBAL__N_120softmax_warp_forwardIfffLi9ELb0ELb1ELi64EEEvPT0_PKT_iiiPKbib: ; @_ZN12_GLOBAL__N_120softmax_warp_forwardIfffLi9ELb0ELb1ELi64EEEvPT0_PKT_iiiPKbib
; %bb.0:
	s_load_dword s2, s[4:5], 0x3c
	s_load_dwordx4 s[16:19], s[4:5], 0x10
	s_load_dwordx2 s[0:1], s[4:5], 0x28
	v_bfe_u32 v1, v0, 10, 10
	v_and_b32_e32 v2, 0x3ff, v0
	s_waitcnt lgkmcnt(0)
	s_lshr_b32 s2, s2, 16
	s_mul_i32 s6, s6, s2
	v_add_u32_e32 v3, s6, v1
	v_mul_lo_u32 v6, v3, s17
	v_add_u32_e32 v0, v6, v2
	v_ashrrev_i32_e32 v1, 31, v0
	s_bitcmp0_b32 s1, 0
	v_pk_mov_b32 v[4:5], v[0:1], v[0:1] op_sel:[0,1]
	s_cbranch_scc1 .LBB714_2
; %bb.1:
	s_abs_i32 s1, s0
	v_cvt_f32_u32_e32 v4, s1
	v_xor_b32_e32 v5, s0, v6
	v_sub_u32_e32 v7, 0, v6
	s_sub_i32 s0, 0, s1
	v_rcp_iflag_f32_e32 v4, v4
	v_max_i32_e32 v6, v6, v7
	v_ashrrev_i32_e32 v5, 31, v5
	v_mul_f32_e32 v4, 0x4f7ffffe, v4
	v_cvt_u32_f32_e32 v4, v4
	v_mul_lo_u32 v7, s0, v4
	v_mul_hi_u32 v7, v4, v7
	v_add_u32_e32 v4, v4, v7
	v_mul_hi_u32 v4, v6, v4
	v_mul_lo_u32 v7, v4, s1
	v_sub_u32_e32 v6, v6, v7
	v_add_u32_e32 v8, 1, v4
	v_cmp_le_u32_e32 vcc, s1, v6
	v_subrev_u32_e32 v7, s1, v6
	v_cndmask_b32_e32 v4, v4, v8, vcc
	v_cndmask_b32_e32 v6, v6, v7, vcc
	v_add_u32_e32 v7, 1, v4
	v_cmp_le_u32_e32 vcc, s1, v6
	v_cndmask_b32_e32 v4, v4, v7, vcc
	v_xor_b32_e32 v4, v4, v5
	v_sub_u32_e32 v4, v4, v5
	v_mad_u64_u32 v[4:5], s[0:1], v4, s17, v[2:3]
	v_ashrrev_i32_e32 v5, 31, v4
.LBB714_2:
	s_load_dwordx4 s[20:23], s[4:5], 0x0
	v_lshlrev_b64 v[0:1], 2, v[0:1]
	v_sub_u32_e32 v8, s16, v3
	v_cmp_lt_i32_e64 s[16:17], 0, v8
	v_mov_b32_e32 v15, 0xff800000
	s_waitcnt lgkmcnt(0)
	v_mov_b32_e32 v3, s23
	v_add_co_u32_e32 v6, vcc, s22, v0
	v_addc_co_u32_e32 v7, vcc, v3, v1, vcc
	v_cmp_gt_i32_e32 vcc, s18, v2
	s_and_b64 s[36:37], s[16:17], vcc
	v_mov_b32_e32 v16, 0xff800000
	s_and_saveexec_b64 s[0:1], s[36:37]
	s_cbranch_execz .LBB714_4
; %bb.3:
	global_load_dword v16, v[6:7], off
.LBB714_4:
	s_or_b64 exec, exec, s[0:1]
	v_add_u32_e32 v3, 64, v2
	v_cmp_gt_i32_e64 s[12:13], s18, v3
	s_and_b64 s[34:35], s[16:17], s[12:13]
	s_and_saveexec_b64 s[0:1], s[34:35]
	s_cbranch_execz .LBB714_6
; %bb.5:
	global_load_dword v15, v[6:7], off offset:256
.LBB714_6:
	s_or_b64 exec, exec, s[0:1]
	v_add_u32_e32 v3, 0x80, v2
	v_cmp_gt_i32_e64 s[10:11], s18, v3
	s_and_b64 s[30:31], s[16:17], s[10:11]
	v_mov_b32_e32 v13, 0xff800000
	v_mov_b32_e32 v14, 0xff800000
	s_and_saveexec_b64 s[0:1], s[30:31]
	s_cbranch_execz .LBB714_8
; %bb.7:
	global_load_dword v14, v[6:7], off offset:512
.LBB714_8:
	s_or_b64 exec, exec, s[0:1]
	v_add_u32_e32 v3, 0xc0, v2
	v_cmp_gt_i32_e64 s[8:9], s18, v3
	s_and_b64 s[28:29], s[16:17], s[8:9]
	s_and_saveexec_b64 s[0:1], s[28:29]
	s_cbranch_execz .LBB714_10
; %bb.9:
	global_load_dword v13, v[6:7], off offset:768
.LBB714_10:
	s_or_b64 exec, exec, s[0:1]
	v_add_u32_e32 v3, 0x100, v2
	v_cmp_gt_i32_e64 s[6:7], s18, v3
	s_and_b64 s[26:27], s[16:17], s[6:7]
	v_mov_b32_e32 v11, 0xff800000
	v_mov_b32_e32 v12, 0xff800000
	s_and_saveexec_b64 s[0:1], s[26:27]
	s_cbranch_execz .LBB714_12
; %bb.11:
	global_load_dword v12, v[6:7], off offset:1024
.LBB714_12:
	;; [unrolled: 20-line block ×3, first 2 shown]
	s_or_b64 exec, exec, s[0:1]
	v_add_u32_e32 v2, 0x1c0, v2
	v_cmp_gt_i32_e64 s[0:1], s18, v2
	s_and_b64 s[16:17], s[16:17], s[0:1]
	s_and_saveexec_b64 s[18:19], s[16:17]
	s_cbranch_execz .LBB714_18
; %bb.17:
	global_load_dword v9, v[6:7], off offset:1792
.LBB714_18:
	s_or_b64 exec, exec, s[18:19]
	s_load_dwordx2 s[4:5], s[4:5], 0x20
	s_mov_b64 s[18:19], 0
	s_waitcnt lgkmcnt(0)
	v_mov_b32_e32 v3, s5
	v_add_co_u32_e64 v2, s[4:5], s4, v4
	v_addc_co_u32_e64 v3, s[4:5], v3, v5, s[4:5]
	s_and_saveexec_b64 s[38:39], s[36:37]
	s_cbranch_execnz .LBB714_26
; %bb.19:
	s_or_b64 exec, exec, s[38:39]
	s_waitcnt vmcnt(0)
	v_mov_b32_e32 v4, v16
	s_and_saveexec_b64 s[38:39], s[34:35]
	s_cbranch_execnz .LBB714_27
.LBB714_20:
	s_or_b64 exec, exec, s[38:39]
	s_and_saveexec_b64 s[38:39], s[30:31]
	s_cbranch_execnz .LBB714_30
.LBB714_21:
	s_or_b64 exec, exec, s[38:39]
	s_and_saveexec_b64 s[38:39], s[28:29]
	s_cbranch_execnz .LBB714_33
.LBB714_22:
	s_or_b64 exec, exec, s[38:39]
	s_and_saveexec_b64 s[38:39], s[26:27]
	s_cbranch_execnz .LBB714_36
.LBB714_23:
	s_or_b64 exec, exec, s[38:39]
	s_and_saveexec_b64 s[38:39], s[24:25]
	s_cbranch_execnz .LBB714_39
.LBB714_24:
	s_or_b64 exec, exec, s[38:39]
	s_and_saveexec_b64 s[38:39], s[22:23]
	s_cbranch_execnz .LBB714_42
.LBB714_25:
	s_or_b64 exec, exec, s[38:39]
	s_and_saveexec_b64 s[38:39], s[16:17]
	s_cbranch_execnz .LBB714_45
	s_branch .LBB714_48
.LBB714_26:
	global_load_ubyte v4, v[2:3], off
	s_waitcnt vmcnt(0)
	v_and_b32_e32 v4, 1, v4
	v_cmp_eq_u32_e64 s[4:5], 1, v4
	s_xor_b64 s[4:5], s[4:5], -1
	s_and_b64 s[18:19], s[4:5], exec
	s_or_b64 exec, exec, s[38:39]
	v_mov_b32_e32 v4, v16
	s_and_saveexec_b64 s[38:39], s[34:35]
	s_cbranch_execz .LBB714_20
.LBB714_27:
	global_load_ubyte v4, v[2:3], off offset:64
	s_mov_b64 s[40:41], s[18:19]
	s_waitcnt vmcnt(0)
	v_and_b32_e32 v4, 1, v4
	v_cmp_eq_u32_e64 s[4:5], 1, v4
	s_xor_b64 s[4:5], s[4:5], -1
	v_mov_b32_e32 v4, v16
	s_and_saveexec_b64 s[42:43], s[4:5]
; %bb.28:
	v_cmp_gt_f32_e64 s[4:5], v16, v15
	s_and_b64 s[4:5], s[18:19], s[4:5]
	v_cndmask_b32_e64 v4, v15, v16, s[4:5]
	s_or_b64 s[40:41], s[18:19], exec
; %bb.29:
	s_or_b64 exec, exec, s[42:43]
	s_andn2_b64 s[4:5], s[18:19], exec
	s_and_b64 s[18:19], s[40:41], exec
	s_or_b64 s[18:19], s[4:5], s[18:19]
	s_or_b64 exec, exec, s[38:39]
	s_and_saveexec_b64 s[38:39], s[30:31]
	s_cbranch_execz .LBB714_21
.LBB714_30:
	global_load_ubyte v5, v[2:3], off offset:128
	s_waitcnt vmcnt(0)
	v_and_b32_e32 v5, 1, v5
	v_cmp_eq_u32_e64 s[4:5], 1, v5
	s_xor_b64 s[42:43], s[4:5], -1
	s_mov_b64 s[4:5], s[18:19]
	s_and_saveexec_b64 s[40:41], s[42:43]
; %bb.31:
	v_cmp_gt_f32_e64 s[4:5], v4, v14
	s_and_b64 s[4:5], s[18:19], s[4:5]
	v_cndmask_b32_e64 v4, v14, v4, s[4:5]
	s_or_b64 s[4:5], s[18:19], exec
; %bb.32:
	s_or_b64 exec, exec, s[40:41]
	s_andn2_b64 s[18:19], s[18:19], exec
	s_and_b64 s[4:5], s[4:5], exec
	s_or_b64 s[18:19], s[18:19], s[4:5]
	s_or_b64 exec, exec, s[38:39]
	s_and_saveexec_b64 s[38:39], s[28:29]
	s_cbranch_execz .LBB714_22
.LBB714_33:
	global_load_ubyte v5, v[2:3], off offset:192
	s_waitcnt vmcnt(0)
	v_and_b32_e32 v5, 1, v5
	v_cmp_eq_u32_e64 s[4:5], 1, v5
	s_xor_b64 s[42:43], s[4:5], -1
	s_mov_b64 s[4:5], s[18:19]
	s_and_saveexec_b64 s[40:41], s[42:43]
; %bb.34:
	v_cmp_gt_f32_e64 s[4:5], v4, v13
	s_and_b64 s[4:5], s[18:19], s[4:5]
	v_cndmask_b32_e64 v4, v13, v4, s[4:5]
	s_or_b64 s[4:5], s[18:19], exec
; %bb.35:
	s_or_b64 exec, exec, s[40:41]
	s_andn2_b64 s[18:19], s[18:19], exec
	s_and_b64 s[4:5], s[4:5], exec
	s_or_b64 s[18:19], s[18:19], s[4:5]
	s_or_b64 exec, exec, s[38:39]
	s_and_saveexec_b64 s[38:39], s[26:27]
	s_cbranch_execz .LBB714_23
.LBB714_36:
	global_load_ubyte v5, v[2:3], off offset:256
	s_waitcnt vmcnt(0)
	v_and_b32_e32 v5, 1, v5
	v_cmp_eq_u32_e64 s[4:5], 1, v5
	s_xor_b64 s[42:43], s[4:5], -1
	s_mov_b64 s[4:5], s[18:19]
	s_and_saveexec_b64 s[40:41], s[42:43]
; %bb.37:
	v_cmp_gt_f32_e64 s[4:5], v4, v12
	s_and_b64 s[4:5], s[18:19], s[4:5]
	v_cndmask_b32_e64 v4, v12, v4, s[4:5]
	s_or_b64 s[4:5], s[18:19], exec
; %bb.38:
	s_or_b64 exec, exec, s[40:41]
	s_andn2_b64 s[18:19], s[18:19], exec
	s_and_b64 s[4:5], s[4:5], exec
	s_or_b64 s[18:19], s[18:19], s[4:5]
	s_or_b64 exec, exec, s[38:39]
	s_and_saveexec_b64 s[38:39], s[24:25]
	s_cbranch_execz .LBB714_24
.LBB714_39:
	global_load_ubyte v5, v[2:3], off offset:320
	s_waitcnt vmcnt(0)
	v_and_b32_e32 v5, 1, v5
	v_cmp_eq_u32_e64 s[4:5], 1, v5
	s_xor_b64 s[42:43], s[4:5], -1
	s_mov_b64 s[4:5], s[18:19]
	s_and_saveexec_b64 s[40:41], s[42:43]
; %bb.40:
	v_cmp_gt_f32_e64 s[4:5], v4, v11
	s_and_b64 s[4:5], s[18:19], s[4:5]
	v_cndmask_b32_e64 v4, v11, v4, s[4:5]
	s_or_b64 s[4:5], s[18:19], exec
; %bb.41:
	s_or_b64 exec, exec, s[40:41]
	s_andn2_b64 s[18:19], s[18:19], exec
	s_and_b64 s[4:5], s[4:5], exec
	s_or_b64 s[18:19], s[18:19], s[4:5]
	s_or_b64 exec, exec, s[38:39]
	s_and_saveexec_b64 s[38:39], s[22:23]
	s_cbranch_execz .LBB714_25
.LBB714_42:
	global_load_ubyte v5, v[2:3], off offset:384
	s_waitcnt vmcnt(0)
	v_and_b32_e32 v5, 1, v5
	v_cmp_eq_u32_e64 s[4:5], 1, v5
	s_xor_b64 s[42:43], s[4:5], -1
	s_mov_b64 s[4:5], s[18:19]
	s_and_saveexec_b64 s[40:41], s[42:43]
; %bb.43:
	v_cmp_gt_f32_e64 s[4:5], v4, v10
	s_and_b64 s[4:5], s[18:19], s[4:5]
	v_cndmask_b32_e64 v4, v10, v4, s[4:5]
	s_or_b64 s[4:5], s[18:19], exec
; %bb.44:
	s_or_b64 exec, exec, s[40:41]
	s_andn2_b64 s[18:19], s[18:19], exec
	s_and_b64 s[4:5], s[4:5], exec
	s_or_b64 s[18:19], s[18:19], s[4:5]
	s_or_b64 exec, exec, s[38:39]
	s_and_saveexec_b64 s[38:39], s[16:17]
	s_cbranch_execz .LBB714_48
.LBB714_45:
	global_load_ubyte v5, v[2:3], off offset:448
	s_waitcnt vmcnt(0)
	v_and_b32_e32 v5, 1, v5
	v_cmp_eq_u32_e64 s[4:5], 1, v5
	s_xor_b64 s[42:43], s[4:5], -1
	s_mov_b64 s[4:5], s[18:19]
	s_and_saveexec_b64 s[40:41], s[42:43]
; %bb.46:
	v_cmp_gt_f32_e64 s[4:5], v4, v9
	s_and_b64 s[4:5], s[18:19], s[4:5]
	v_cndmask_b32_e64 v4, v9, v4, s[4:5]
	s_or_b64 s[4:5], s[18:19], exec
; %bb.47:
	s_or_b64 exec, exec, s[40:41]
	s_andn2_b64 s[18:19], s[18:19], exec
	s_and_b64 s[4:5], s[4:5], exec
	s_or_b64 s[18:19], s[18:19], s[4:5]
.LBB714_48:
	s_or_b64 exec, exec, s[38:39]
	v_mov_b32_e32 v5, 0xff800000
	v_cndmask_b32_e64 v4, v5, v4, s[18:19]
	v_mbcnt_lo_u32_b32 v5, -1, 0
	v_mbcnt_hi_u32_b32 v18, -1, v5
	v_and_b32_e32 v5, 64, v18
	v_add_u32_e32 v20, 64, v5
	v_xor_b32_e32 v5, 32, v18
	v_cmp_lt_i32_e64 s[4:5], v5, v20
	v_cndmask_b32_e64 v5, v18, v5, s[4:5]
	v_lshlrev_b32_e32 v5, 2, v5
	ds_bpermute_b32 v6, v5, v4
	s_waitcnt lgkmcnt(0)
	v_cmp_lt_f32_e64 s[4:5], v4, v6
	v_cndmask_b32_e64 v4, v4, v6, s[4:5]
	v_xor_b32_e32 v6, 16, v18
	v_cmp_lt_i32_e64 s[4:5], v6, v20
	v_cndmask_b32_e64 v6, v18, v6, s[4:5]
	v_lshlrev_b32_e32 v6, 2, v6
	ds_bpermute_b32 v7, v6, v4
	s_waitcnt lgkmcnt(0)
	v_cmp_lt_f32_e64 s[4:5], v4, v7
	v_cndmask_b32_e64 v4, v4, v7, s[4:5]
	;; [unrolled: 8-line block ×6, first 2 shown]
	v_mov_b32_e32 v4, 0
	v_mov_b32_e32 v18, 0
	s_and_saveexec_b64 s[18:19], s[36:37]
	s_cbranch_execz .LBB714_52
; %bb.49:
	global_load_ubyte v18, v[2:3], off
	s_waitcnt vmcnt(0)
	v_and_b32_e32 v18, 1, v18
	v_cmp_eq_u32_e64 s[4:5], 1, v18
	s_xor_b64 s[4:5], s[4:5], -1
	v_mov_b32_e32 v18, 0
	s_and_saveexec_b64 s[36:37], s[4:5]
	s_cbranch_execz .LBB714_51
; %bb.50:
	v_sub_f32_e32 v16, v16, v21
	s_mov_b32 s4, 0x3fb8aa3b
	v_mul_f32_e32 v18, 0x3fb8aa3b, v16
	v_fma_f32 v22, v16, s4, -v18
	v_rndne_f32_e32 v23, v18
	v_fmac_f32_e32 v22, 0x32a5705f, v16
	v_sub_f32_e32 v18, v18, v23
	v_add_f32_e32 v18, v18, v22
	v_exp_f32_e32 v18, v18
	v_cvt_i32_f32_e32 v22, v23
	s_mov_b32 s4, 0xc2ce8ed0
	v_cmp_ngt_f32_e64 s[4:5], s4, v16
	v_ldexp_f32 v18, v18, v22
	v_cndmask_b32_e64 v18, 0, v18, s[4:5]
	s_mov_b32 s4, 0x42b17218
	v_mov_b32_e32 v22, 0x7f800000
	v_cmp_nlt_f32_e64 s[4:5], s4, v16
	v_cndmask_b32_e64 v18, v22, v18, s[4:5]
.LBB714_51:
	s_or_b64 exec, exec, s[36:37]
.LBB714_52:
	s_or_b64 exec, exec, s[18:19]
	v_mov_b32_e32 v22, v18
	s_and_saveexec_b64 s[18:19], s[34:35]
	s_cbranch_execz .LBB714_56
; %bb.53:
	global_load_ubyte v16, v[2:3], off offset:64
	v_mov_b32_e32 v4, 0
	v_mov_b32_e32 v22, v18
	s_waitcnt vmcnt(0)
	v_and_b32_e32 v16, 1, v16
	v_cmp_eq_u32_e64 s[4:5], 1, v16
	s_xor_b64 s[4:5], s[4:5], -1
	s_and_saveexec_b64 s[34:35], s[4:5]
	s_cbranch_execz .LBB714_55
; %bb.54:
	v_sub_f32_e32 v4, v15, v21
	s_mov_b32 s4, 0x3fb8aa3b
	v_mul_f32_e32 v15, 0x3fb8aa3b, v4
	v_fma_f32 v16, v4, s4, -v15
	v_rndne_f32_e32 v22, v15
	v_fmac_f32_e32 v16, 0x32a5705f, v4
	v_sub_f32_e32 v15, v15, v22
	v_add_f32_e32 v15, v15, v16
	v_exp_f32_e32 v15, v15
	v_cvt_i32_f32_e32 v16, v22
	s_mov_b32 s4, 0xc2ce8ed0
	v_cmp_ngt_f32_e64 s[4:5], s4, v4
	v_ldexp_f32 v15, v15, v16
	v_cndmask_b32_e64 v15, 0, v15, s[4:5]
	s_mov_b32 s4, 0x42b17218
	v_mov_b32_e32 v16, 0x7f800000
	v_cmp_nlt_f32_e64 s[4:5], s4, v4
	v_cndmask_b32_e64 v4, v16, v15, s[4:5]
	v_add_f32_e32 v22, v18, v4
.LBB714_55:
	s_or_b64 exec, exec, s[34:35]
.LBB714_56:
	s_or_b64 exec, exec, s[18:19]
	v_mov_b32_e32 v15, 0
	v_mov_b32_e32 v16, 0
	s_and_saveexec_b64 s[18:19], s[30:31]
	s_cbranch_execz .LBB714_60
; %bb.57:
	global_load_ubyte v16, v[2:3], off offset:128
	s_waitcnt vmcnt(0)
	v_and_b32_e32 v16, 1, v16
	v_cmp_eq_u32_e64 s[4:5], 1, v16
	s_xor_b64 s[4:5], s[4:5], -1
	v_mov_b32_e32 v16, 0
	s_and_saveexec_b64 s[30:31], s[4:5]
	s_cbranch_execz .LBB714_59
; %bb.58:
	v_sub_f32_e32 v14, v14, v21
	s_mov_b32 s4, 0x3fb8aa3b
	v_mul_f32_e32 v16, 0x3fb8aa3b, v14
	v_fma_f32 v23, v14, s4, -v16
	v_rndne_f32_e32 v24, v16
	v_fmac_f32_e32 v23, 0x32a5705f, v14
	v_sub_f32_e32 v16, v16, v24
	v_add_f32_e32 v16, v16, v23
	v_exp_f32_e32 v16, v16
	v_cvt_i32_f32_e32 v23, v24
	s_mov_b32 s4, 0xc2ce8ed0
	v_cmp_ngt_f32_e64 s[4:5], s4, v14
	v_ldexp_f32 v16, v16, v23
	v_cndmask_b32_e64 v16, 0, v16, s[4:5]
	s_mov_b32 s4, 0x42b17218
	v_mov_b32_e32 v23, 0x7f800000
	v_cmp_nlt_f32_e64 s[4:5], s4, v14
	v_cndmask_b32_e64 v16, v23, v16, s[4:5]
	v_add_f32_e32 v22, v22, v16
.LBB714_59:
	s_or_b64 exec, exec, s[30:31]
.LBB714_60:
	s_or_b64 exec, exec, s[18:19]
	s_and_saveexec_b64 s[18:19], s[28:29]
	s_cbranch_execz .LBB714_64
; %bb.61:
	global_load_ubyte v14, v[2:3], off offset:192
	v_mov_b32_e32 v15, 0
	s_waitcnt vmcnt(0)
	v_and_b32_e32 v14, 1, v14
	v_cmp_eq_u32_e64 s[4:5], 1, v14
	s_xor_b64 s[4:5], s[4:5], -1
	s_and_saveexec_b64 s[28:29], s[4:5]
	s_cbranch_execz .LBB714_63
; %bb.62:
	v_sub_f32_e32 v13, v13, v21
	s_mov_b32 s4, 0x3fb8aa3b
	v_mul_f32_e32 v14, 0x3fb8aa3b, v13
	v_fma_f32 v15, v13, s4, -v14
	v_rndne_f32_e32 v23, v14
	v_fmac_f32_e32 v15, 0x32a5705f, v13
	v_sub_f32_e32 v14, v14, v23
	v_add_f32_e32 v14, v14, v15
	v_exp_f32_e32 v14, v14
	v_cvt_i32_f32_e32 v15, v23
	s_mov_b32 s4, 0xc2ce8ed0
	v_cmp_ngt_f32_e64 s[4:5], s4, v13
	v_ldexp_f32 v14, v14, v15
	v_cndmask_b32_e64 v14, 0, v14, s[4:5]
	s_mov_b32 s4, 0x42b17218
	v_mov_b32_e32 v15, 0x7f800000
	v_cmp_nlt_f32_e64 s[4:5], s4, v13
	v_cndmask_b32_e64 v15, v15, v14, s[4:5]
	v_add_f32_e32 v22, v22, v15
.LBB714_63:
	s_or_b64 exec, exec, s[28:29]
.LBB714_64:
	s_or_b64 exec, exec, s[18:19]
	v_mov_b32_e32 v13, 0
	v_mov_b32_e32 v14, 0
	s_and_saveexec_b64 s[18:19], s[26:27]
	s_cbranch_execz .LBB714_68
; %bb.65:
	global_load_ubyte v14, v[2:3], off offset:256
	s_waitcnt vmcnt(0)
	v_and_b32_e32 v14, 1, v14
	v_cmp_eq_u32_e64 s[4:5], 1, v14
	s_xor_b64 s[4:5], s[4:5], -1
	v_mov_b32_e32 v14, 0
	s_and_saveexec_b64 s[26:27], s[4:5]
	s_cbranch_execz .LBB714_67
; %bb.66:
	v_sub_f32_e32 v12, v12, v21
	s_mov_b32 s4, 0x3fb8aa3b
	v_mul_f32_e32 v14, 0x3fb8aa3b, v12
	v_fma_f32 v23, v12, s4, -v14
	v_rndne_f32_e32 v24, v14
	v_fmac_f32_e32 v23, 0x32a5705f, v12
	v_sub_f32_e32 v14, v14, v24
	v_add_f32_e32 v14, v14, v23
	v_exp_f32_e32 v14, v14
	v_cvt_i32_f32_e32 v23, v24
	s_mov_b32 s4, 0xc2ce8ed0
	v_cmp_ngt_f32_e64 s[4:5], s4, v12
	v_ldexp_f32 v14, v14, v23
	v_cndmask_b32_e64 v14, 0, v14, s[4:5]
	s_mov_b32 s4, 0x42b17218
	v_mov_b32_e32 v23, 0x7f800000
	v_cmp_nlt_f32_e64 s[4:5], s4, v12
	v_cndmask_b32_e64 v14, v23, v14, s[4:5]
	v_add_f32_e32 v22, v22, v14
.LBB714_67:
	s_or_b64 exec, exec, s[26:27]
.LBB714_68:
	s_or_b64 exec, exec, s[18:19]
	s_and_saveexec_b64 s[18:19], s[24:25]
	s_cbranch_execz .LBB714_72
; %bb.69:
	global_load_ubyte v12, v[2:3], off offset:320
	v_mov_b32_e32 v13, 0
	s_waitcnt vmcnt(0)
	v_and_b32_e32 v12, 1, v12
	v_cmp_eq_u32_e64 s[4:5], 1, v12
	s_xor_b64 s[4:5], s[4:5], -1
	s_and_saveexec_b64 s[24:25], s[4:5]
	s_cbranch_execz .LBB714_71
; %bb.70:
	v_sub_f32_e32 v11, v11, v21
	s_mov_b32 s4, 0x3fb8aa3b
	v_mul_f32_e32 v12, 0x3fb8aa3b, v11
	v_fma_f32 v13, v11, s4, -v12
	v_rndne_f32_e32 v23, v12
	v_fmac_f32_e32 v13, 0x32a5705f, v11
	v_sub_f32_e32 v12, v12, v23
	v_add_f32_e32 v12, v12, v13
	v_exp_f32_e32 v12, v12
	v_cvt_i32_f32_e32 v13, v23
	s_mov_b32 s4, 0xc2ce8ed0
	v_cmp_ngt_f32_e64 s[4:5], s4, v11
	v_ldexp_f32 v12, v12, v13
	v_cndmask_b32_e64 v12, 0, v12, s[4:5]
	s_mov_b32 s4, 0x42b17218
	v_mov_b32_e32 v13, 0x7f800000
	v_cmp_nlt_f32_e64 s[4:5], s4, v11
	v_cndmask_b32_e64 v13, v13, v12, s[4:5]
	v_add_f32_e32 v22, v22, v13
.LBB714_71:
	s_or_b64 exec, exec, s[24:25]
.LBB714_72:
	s_or_b64 exec, exec, s[18:19]
	v_mov_b32_e32 v11, 0
	v_mov_b32_e32 v12, 0
	s_and_saveexec_b64 s[18:19], s[22:23]
	s_cbranch_execz .LBB714_76
; %bb.73:
	global_load_ubyte v12, v[2:3], off offset:384
	s_waitcnt vmcnt(0)
	v_and_b32_e32 v12, 1, v12
	v_cmp_eq_u32_e64 s[4:5], 1, v12
	s_xor_b64 s[4:5], s[4:5], -1
	v_mov_b32_e32 v12, 0
	s_and_saveexec_b64 s[22:23], s[4:5]
	s_cbranch_execz .LBB714_75
; %bb.74:
	v_sub_f32_e32 v10, v10, v21
	s_mov_b32 s4, 0x3fb8aa3b
	v_mul_f32_e32 v12, 0x3fb8aa3b, v10
	v_fma_f32 v23, v10, s4, -v12
	v_rndne_f32_e32 v24, v12
	v_fmac_f32_e32 v23, 0x32a5705f, v10
	v_sub_f32_e32 v12, v12, v24
	v_add_f32_e32 v12, v12, v23
	v_exp_f32_e32 v12, v12
	v_cvt_i32_f32_e32 v23, v24
	s_mov_b32 s4, 0xc2ce8ed0
	v_cmp_ngt_f32_e64 s[4:5], s4, v10
	v_ldexp_f32 v12, v12, v23
	v_cndmask_b32_e64 v12, 0, v12, s[4:5]
	s_mov_b32 s4, 0x42b17218
	v_mov_b32_e32 v23, 0x7f800000
	v_cmp_nlt_f32_e64 s[4:5], s4, v10
	v_cndmask_b32_e64 v12, v23, v12, s[4:5]
	v_add_f32_e32 v22, v22, v12
.LBB714_75:
	s_or_b64 exec, exec, s[22:23]
.LBB714_76:
	s_or_b64 exec, exec, s[18:19]
	s_and_saveexec_b64 s[18:19], s[16:17]
	s_cbranch_execz .LBB714_80
; %bb.77:
	global_load_ubyte v2, v[2:3], off offset:448
	v_mov_b32_e32 v11, 0
	s_waitcnt vmcnt(0)
	v_and_b32_e32 v2, 1, v2
	v_cmp_eq_u32_e64 s[4:5], 1, v2
	s_xor_b64 s[4:5], s[4:5], -1
	s_and_saveexec_b64 s[16:17], s[4:5]
	s_cbranch_execz .LBB714_79
; %bb.78:
	v_sub_f32_e32 v2, v9, v21
	s_mov_b32 s4, 0x3fb8aa3b
	v_mul_f32_e32 v3, 0x3fb8aa3b, v2
	v_fma_f32 v9, v2, s4, -v3
	v_rndne_f32_e32 v10, v3
	v_fmac_f32_e32 v9, 0x32a5705f, v2
	v_sub_f32_e32 v3, v3, v10
	v_add_f32_e32 v3, v3, v9
	v_exp_f32_e32 v3, v3
	v_cvt_i32_f32_e32 v9, v10
	s_mov_b32 s4, 0xc2ce8ed0
	v_cmp_ngt_f32_e64 s[4:5], s4, v2
	v_ldexp_f32 v3, v3, v9
	v_cndmask_b32_e64 v3, 0, v3, s[4:5]
	s_mov_b32 s4, 0x42b17218
	v_mov_b32_e32 v9, 0x7f800000
	v_cmp_nlt_f32_e64 s[4:5], s4, v2
	v_cndmask_b32_e64 v11, v9, v3, s[4:5]
	v_add_f32_e32 v22, v22, v11
.LBB714_79:
	s_or_b64 exec, exec, s[16:17]
.LBB714_80:
	s_or_b64 exec, exec, s[18:19]
	ds_bpermute_b32 v2, v5, v22
	v_cmp_lt_i32_e64 s[4:5], 0, v8
	s_waitcnt lgkmcnt(0)
	v_add_f32_e32 v2, v22, v2
	ds_bpermute_b32 v3, v6, v2
	s_waitcnt lgkmcnt(0)
	v_add_f32_e32 v2, v2, v3
	ds_bpermute_b32 v3, v7, v2
	s_waitcnt lgkmcnt(0)
	v_add_f32_e32 v2, v2, v3
	ds_bpermute_b32 v3, v17, v2
	s_waitcnt lgkmcnt(0)
	v_add_f32_e32 v2, v2, v3
	ds_bpermute_b32 v3, v19, v2
	s_waitcnt lgkmcnt(0)
	v_add_f32_e32 v2, v2, v3
	ds_bpermute_b32 v3, v20, v2
	s_and_saveexec_b64 s[16:17], s[4:5]
	s_cbranch_execz .LBB714_90
; %bb.81:
	s_and_b64 exec, exec, vcc
	s_cbranch_execz .LBB714_90
; %bb.82:
	s_waitcnt lgkmcnt(0)
	v_add_f32_e32 v2, v2, v3
	v_div_scale_f32 v5, s[4:5], v2, v2, v18
	v_rcp_f32_e32 v6, v5
	v_mov_b32_e32 v3, s21
	v_add_co_u32_e32 v0, vcc, s20, v0
	v_addc_co_u32_e32 v1, vcc, v3, v1, vcc
	v_fma_f32 v3, -v5, v6, 1.0
	v_fmac_f32_e32 v6, v3, v6
	v_div_scale_f32 v3, vcc, v18, v2, v18
	v_mul_f32_e32 v7, v3, v6
	v_fma_f32 v8, -v5, v7, v3
	v_fmac_f32_e32 v7, v8, v6
	v_fma_f32 v3, -v5, v7, v3
	v_div_fmas_f32 v3, v3, v6, v7
	v_div_fixup_f32 v5, v3, v2, v18
	v_mov_b32_e32 v3, 0x7fc00000
	v_cmp_eq_f32_e64 s[4:5], 0, v2
	v_cndmask_b32_e64 v5, v5, v3, s[4:5]
	global_store_dword v[0:1], v5, off
	s_and_b64 exec, exec, s[12:13]
	s_cbranch_execz .LBB714_90
; %bb.83:
	v_div_scale_f32 v5, s[12:13], v2, v2, v4
	v_rcp_f32_e32 v6, v5
	v_div_scale_f32 v7, vcc, v4, v2, v4
	v_fma_f32 v8, -v5, v6, 1.0
	v_fmac_f32_e32 v6, v8, v6
	v_mul_f32_e32 v8, v7, v6
	v_fma_f32 v9, -v5, v8, v7
	v_fmac_f32_e32 v8, v9, v6
	v_fma_f32 v5, -v5, v8, v7
	v_div_fmas_f32 v5, v5, v6, v8
	v_div_fixup_f32 v4, v5, v2, v4
	v_cndmask_b32_e64 v3, v4, v3, s[4:5]
	global_store_dword v[0:1], v3, off offset:256
	s_and_b64 exec, exec, s[10:11]
	s_cbranch_execz .LBB714_90
; %bb.84:
	v_div_scale_f32 v3, s[10:11], v2, v2, v16
	v_rcp_f32_e32 v4, v3
	v_div_scale_f32 v5, vcc, v16, v2, v16
	v_fma_f32 v6, -v3, v4, 1.0
	v_fmac_f32_e32 v4, v6, v4
	v_mul_f32_e32 v6, v5, v4
	v_fma_f32 v7, -v3, v6, v5
	v_fmac_f32_e32 v6, v7, v4
	v_fma_f32 v3, -v3, v6, v5
	v_div_fmas_f32 v3, v3, v4, v6
	v_div_fixup_f32 v4, v3, v2, v16
	v_mov_b32_e32 v3, 0x7fc00000
	v_cndmask_b32_e64 v4, v4, v3, s[4:5]
	global_store_dword v[0:1], v4, off offset:512
	s_and_b64 exec, exec, s[8:9]
	s_cbranch_execz .LBB714_90
; %bb.85:
	v_div_scale_f32 v4, s[8:9], v2, v2, v15
	v_rcp_f32_e32 v5, v4
	v_div_scale_f32 v6, vcc, v15, v2, v15
	v_fma_f32 v7, -v4, v5, 1.0
	v_fmac_f32_e32 v5, v7, v5
	v_mul_f32_e32 v7, v6, v5
	v_fma_f32 v8, -v4, v7, v6
	v_fmac_f32_e32 v7, v8, v5
	v_fma_f32 v4, -v4, v7, v6
	v_div_fmas_f32 v4, v4, v5, v7
	v_div_fixup_f32 v4, v4, v2, v15
	v_cndmask_b32_e64 v3, v4, v3, s[4:5]
	global_store_dword v[0:1], v3, off offset:768
	s_and_b64 exec, exec, s[6:7]
	s_cbranch_execz .LBB714_90
; %bb.86:
	v_div_scale_f32 v3, s[6:7], v2, v2, v14
	v_rcp_f32_e32 v4, v3
	v_div_scale_f32 v5, vcc, v14, v2, v14
	v_fma_f32 v6, -v3, v4, 1.0
	v_fmac_f32_e32 v4, v6, v4
	v_mul_f32_e32 v6, v5, v4
	v_fma_f32 v7, -v3, v6, v5
	v_fmac_f32_e32 v6, v7, v4
	v_fma_f32 v3, -v3, v6, v5
	v_div_fmas_f32 v3, v3, v4, v6
	v_div_fixup_f32 v4, v3, v2, v14
	v_mov_b32_e32 v3, 0x7fc00000
	v_cndmask_b32_e64 v4, v4, v3, s[4:5]
	global_store_dword v[0:1], v4, off offset:1024
	;; [unrolled: 33-line block ×3, first 2 shown]
	s_and_b64 exec, exec, s[0:1]
	s_cbranch_execz .LBB714_90
; %bb.89:
	v_div_scale_f32 v4, s[0:1], v2, v2, v11
	v_rcp_f32_e32 v5, v4
	v_div_scale_f32 v6, vcc, v11, v2, v11
	v_fma_f32 v7, -v4, v5, 1.0
	v_fmac_f32_e32 v5, v7, v5
	v_mul_f32_e32 v7, v6, v5
	v_fma_f32 v8, -v4, v7, v6
	v_fmac_f32_e32 v7, v8, v5
	v_fma_f32 v4, -v4, v7, v6
	v_div_fmas_f32 v4, v4, v5, v7
	v_div_fixup_f32 v2, v4, v2, v11
	v_cndmask_b32_e64 v2, v2, v3, s[4:5]
	global_store_dword v[0:1], v2, off offset:1792
.LBB714_90:
	s_endpgm
	.section	.rodata,"a",@progbits
	.p2align	6, 0x0
	.amdhsa_kernel _ZN12_GLOBAL__N_120softmax_warp_forwardIfffLi9ELb0ELb1ELi64EEEvPT0_PKT_iiiPKbib
		.amdhsa_group_segment_fixed_size 0
		.amdhsa_private_segment_fixed_size 0
		.amdhsa_kernarg_size 304
		.amdhsa_user_sgpr_count 6
		.amdhsa_user_sgpr_private_segment_buffer 1
		.amdhsa_user_sgpr_dispatch_ptr 0
		.amdhsa_user_sgpr_queue_ptr 0
		.amdhsa_user_sgpr_kernarg_segment_ptr 1
		.amdhsa_user_sgpr_dispatch_id 0
		.amdhsa_user_sgpr_flat_scratch_init 0
		.amdhsa_user_sgpr_kernarg_preload_length 0
		.amdhsa_user_sgpr_kernarg_preload_offset 0
		.amdhsa_user_sgpr_private_segment_size 0
		.amdhsa_uses_dynamic_stack 0
		.amdhsa_system_sgpr_private_segment_wavefront_offset 0
		.amdhsa_system_sgpr_workgroup_id_x 1
		.amdhsa_system_sgpr_workgroup_id_y 0
		.amdhsa_system_sgpr_workgroup_id_z 0
		.amdhsa_system_sgpr_workgroup_info 0
		.amdhsa_system_vgpr_workitem_id 1
		.amdhsa_next_free_vgpr 25
		.amdhsa_next_free_sgpr 44
		.amdhsa_accum_offset 28
		.amdhsa_reserve_vcc 1
		.amdhsa_reserve_flat_scratch 0
		.amdhsa_float_round_mode_32 0
		.amdhsa_float_round_mode_16_64 0
		.amdhsa_float_denorm_mode_32 3
		.amdhsa_float_denorm_mode_16_64 3
		.amdhsa_dx10_clamp 1
		.amdhsa_ieee_mode 1
		.amdhsa_fp16_overflow 0
		.amdhsa_tg_split 0
		.amdhsa_exception_fp_ieee_invalid_op 0
		.amdhsa_exception_fp_denorm_src 0
		.amdhsa_exception_fp_ieee_div_zero 0
		.amdhsa_exception_fp_ieee_overflow 0
		.amdhsa_exception_fp_ieee_underflow 0
		.amdhsa_exception_fp_ieee_inexact 0
		.amdhsa_exception_int_div_zero 0
	.end_amdhsa_kernel
	.section	.text._ZN12_GLOBAL__N_120softmax_warp_forwardIfffLi9ELb0ELb1ELi64EEEvPT0_PKT_iiiPKbib,"axG",@progbits,_ZN12_GLOBAL__N_120softmax_warp_forwardIfffLi9ELb0ELb1ELi64EEEvPT0_PKT_iiiPKbib,comdat
.Lfunc_end714:
	.size	_ZN12_GLOBAL__N_120softmax_warp_forwardIfffLi9ELb0ELb1ELi64EEEvPT0_PKT_iiiPKbib, .Lfunc_end714-_ZN12_GLOBAL__N_120softmax_warp_forwardIfffLi9ELb0ELb1ELi64EEEvPT0_PKT_iiiPKbib
                                        ; -- End function
	.section	.AMDGPU.csdata,"",@progbits
; Kernel info:
; codeLenInByte = 4200
; NumSgprs: 48
; NumVgprs: 25
; NumAgprs: 0
; TotalNumVgprs: 25
; ScratchSize: 0
; MemoryBound: 0
; FloatMode: 240
; IeeeMode: 1
; LDSByteSize: 0 bytes/workgroup (compile time only)
; SGPRBlocks: 5
; VGPRBlocks: 3
; NumSGPRsForWavesPerEU: 48
; NumVGPRsForWavesPerEU: 25
; AccumOffset: 28
; Occupancy: 8
; WaveLimiterHint : 0
; COMPUTE_PGM_RSRC2:SCRATCH_EN: 0
; COMPUTE_PGM_RSRC2:USER_SGPR: 6
; COMPUTE_PGM_RSRC2:TRAP_HANDLER: 0
; COMPUTE_PGM_RSRC2:TGID_X_EN: 1
; COMPUTE_PGM_RSRC2:TGID_Y_EN: 0
; COMPUTE_PGM_RSRC2:TGID_Z_EN: 0
; COMPUTE_PGM_RSRC2:TIDIG_COMP_CNT: 1
; COMPUTE_PGM_RSRC3_GFX90A:ACCUM_OFFSET: 6
; COMPUTE_PGM_RSRC3_GFX90A:TG_SPLIT: 0
	.section	.text._ZN12_GLOBAL__N_120softmax_warp_forwardIfffLi9ELb0ELb1ELi32EEEvPT0_PKT_iiiPKbib,"axG",@progbits,_ZN12_GLOBAL__N_120softmax_warp_forwardIfffLi9ELb0ELb1ELi32EEEvPT0_PKT_iiiPKbib,comdat
	.globl	_ZN12_GLOBAL__N_120softmax_warp_forwardIfffLi9ELb0ELb1ELi32EEEvPT0_PKT_iiiPKbib ; -- Begin function _ZN12_GLOBAL__N_120softmax_warp_forwardIfffLi9ELb0ELb1ELi32EEEvPT0_PKT_iiiPKbib
	.p2align	8
	.type	_ZN12_GLOBAL__N_120softmax_warp_forwardIfffLi9ELb0ELb1ELi32EEEvPT0_PKT_iiiPKbib,@function
_ZN12_GLOBAL__N_120softmax_warp_forwardIfffLi9ELb0ELb1ELi32EEEvPT0_PKT_iiiPKbib: ; @_ZN12_GLOBAL__N_120softmax_warp_forwardIfffLi9ELb0ELb1ELi32EEEvPT0_PKT_iiiPKbib
; %bb.0:
	s_load_dword s2, s[4:5], 0x3c
	s_load_dwordx4 s[40:43], s[4:5], 0x10
	s_load_dwordx2 s[0:1], s[4:5], 0x28
	v_bfe_u32 v1, v0, 10, 10
	v_and_b32_e32 v2, 0x3ff, v0
	s_waitcnt lgkmcnt(0)
	s_lshr_b32 s2, s2, 16
	s_mul_i32 s6, s6, s2
	v_add_u32_e32 v3, s6, v1
	v_mul_lo_u32 v6, v3, s41
	v_add_u32_e32 v0, v6, v2
	v_ashrrev_i32_e32 v1, 31, v0
	s_bitcmp0_b32 s1, 0
	v_pk_mov_b32 v[4:5], v[0:1], v[0:1] op_sel:[0,1]
	s_cbranch_scc1 .LBB715_2
; %bb.1:
	s_abs_i32 s1, s0
	v_cvt_f32_u32_e32 v4, s1
	v_xor_b32_e32 v5, s0, v6
	v_sub_u32_e32 v7, 0, v6
	s_sub_i32 s0, 0, s1
	v_rcp_iflag_f32_e32 v4, v4
	v_max_i32_e32 v6, v6, v7
	v_ashrrev_i32_e32 v5, 31, v5
	v_mul_f32_e32 v4, 0x4f7ffffe, v4
	v_cvt_u32_f32_e32 v4, v4
	v_mul_lo_u32 v7, s0, v4
	v_mul_hi_u32 v7, v4, v7
	v_add_u32_e32 v4, v4, v7
	v_mul_hi_u32 v4, v6, v4
	v_mul_lo_u32 v7, v4, s1
	v_sub_u32_e32 v6, v6, v7
	v_add_u32_e32 v8, 1, v4
	v_cmp_le_u32_e32 vcc, s1, v6
	v_subrev_u32_e32 v7, s1, v6
	v_cndmask_b32_e32 v4, v4, v8, vcc
	v_cndmask_b32_e32 v6, v6, v7, vcc
	v_add_u32_e32 v7, 1, v4
	v_cmp_le_u32_e32 vcc, s1, v6
	v_cndmask_b32_e32 v4, v4, v7, vcc
	v_xor_b32_e32 v4, v4, v5
	v_sub_u32_e32 v4, v4, v5
	v_mad_u64_u32 v[4:5], s[0:1], v4, s41, v[2:3]
	v_ashrrev_i32_e32 v5, 31, v4
.LBB715_2:
	s_load_dwordx4 s[36:39], s[4:5], 0x0
	v_lshlrev_b64 v[0:1], 2, v[0:1]
	v_sub_u32_e32 v8, s40, v3
	v_cmp_lt_i32_e64 s[30:31], 0, v8
	v_mov_b32_e32 v23, 0xff800000
	s_waitcnt lgkmcnt(0)
	v_mov_b32_e32 v3, s39
	v_add_co_u32_e32 v6, vcc, s38, v0
	v_addc_co_u32_e32 v7, vcc, v3, v1, vcc
	v_cmp_gt_i32_e32 vcc, s42, v2
	s_and_b64 s[68:69], s[30:31], vcc
	v_mov_b32_e32 v24, 0xff800000
	s_and_saveexec_b64 s[0:1], s[68:69]
	s_cbranch_execz .LBB715_4
; %bb.3:
	global_load_dword v24, v[6:7], off
.LBB715_4:
	s_or_b64 exec, exec, s[0:1]
	v_add_u32_e32 v3, 32, v2
	v_cmp_gt_i32_e64 s[28:29], s42, v3
	s_and_b64 s[66:67], s[30:31], s[28:29]
	s_and_saveexec_b64 s[0:1], s[66:67]
	s_cbranch_execz .LBB715_6
; %bb.5:
	global_load_dword v23, v[6:7], off offset:128
.LBB715_6:
	s_or_b64 exec, exec, s[0:1]
	v_add_u32_e32 v3, 64, v2
	v_cmp_gt_i32_e64 s[26:27], s42, v3
	s_and_b64 s[64:65], s[30:31], s[26:27]
	v_mov_b32_e32 v21, 0xff800000
	v_mov_b32_e32 v22, 0xff800000
	s_and_saveexec_b64 s[0:1], s[64:65]
	s_cbranch_execz .LBB715_8
; %bb.7:
	global_load_dword v22, v[6:7], off offset:256
.LBB715_8:
	s_or_b64 exec, exec, s[0:1]
	v_add_u32_e32 v3, 0x60, v2
	v_cmp_gt_i32_e64 s[24:25], s42, v3
	s_and_b64 s[62:63], s[30:31], s[24:25]
	s_and_saveexec_b64 s[0:1], s[62:63]
	s_cbranch_execz .LBB715_10
; %bb.9:
	global_load_dword v21, v[6:7], off offset:384
.LBB715_10:
	s_or_b64 exec, exec, s[0:1]
	v_add_u32_e32 v3, 0x80, v2
	v_cmp_gt_i32_e64 s[22:23], s42, v3
	s_and_b64 s[60:61], s[30:31], s[22:23]
	v_mov_b32_e32 v19, 0xff800000
	v_mov_b32_e32 v20, 0xff800000
	s_and_saveexec_b64 s[0:1], s[60:61]
	s_cbranch_execz .LBB715_12
; %bb.11:
	global_load_dword v20, v[6:7], off offset:512
.LBB715_12:
	;; [unrolled: 20-line block ×7, first 2 shown]
	s_or_b64 exec, exec, s[0:1]
	v_add_u32_e32 v2, 0x1e0, v2
	v_cmp_gt_i32_e64 s[0:1], s42, v2
	s_and_b64 s[30:31], s[30:31], s[0:1]
	s_and_saveexec_b64 s[42:43], s[30:31]
	s_cbranch_execz .LBB715_34
; %bb.33:
	global_load_dword v9, v[6:7], off offset:1920
.LBB715_34:
	s_or_b64 exec, exec, s[42:43]
	s_load_dwordx2 s[4:5], s[4:5], 0x20
	s_mov_b64 s[42:43], 0
	s_waitcnt lgkmcnt(0)
	v_mov_b32_e32 v3, s5
	v_add_co_u32_e64 v2, s[4:5], s4, v4
	v_addc_co_u32_e64 v3, s[4:5], v3, v5, s[4:5]
	s_and_saveexec_b64 s[70:71], s[68:69]
	s_cbranch_execnz .LBB715_50
; %bb.35:
	s_or_b64 exec, exec, s[70:71]
	s_waitcnt vmcnt(0)
	v_mov_b32_e32 v4, v24
	s_and_saveexec_b64 s[70:71], s[66:67]
	s_cbranch_execnz .LBB715_51
.LBB715_36:
	s_or_b64 exec, exec, s[70:71]
	s_and_saveexec_b64 s[70:71], s[64:65]
	s_cbranch_execnz .LBB715_54
.LBB715_37:
	s_or_b64 exec, exec, s[70:71]
	s_and_saveexec_b64 s[70:71], s[62:63]
	s_cbranch_execnz .LBB715_57
.LBB715_38:
	s_or_b64 exec, exec, s[70:71]
	s_and_saveexec_b64 s[70:71], s[60:61]
	s_cbranch_execnz .LBB715_60
.LBB715_39:
	s_or_b64 exec, exec, s[70:71]
	s_and_saveexec_b64 s[70:71], s[58:59]
	s_cbranch_execnz .LBB715_63
.LBB715_40:
	s_or_b64 exec, exec, s[70:71]
	s_and_saveexec_b64 s[70:71], s[56:57]
	s_cbranch_execnz .LBB715_66
.LBB715_41:
	s_or_b64 exec, exec, s[70:71]
	s_and_saveexec_b64 s[70:71], s[54:55]
	s_cbranch_execnz .LBB715_69
.LBB715_42:
	s_or_b64 exec, exec, s[70:71]
	s_and_saveexec_b64 s[70:71], s[52:53]
	s_cbranch_execnz .LBB715_72
.LBB715_43:
	s_or_b64 exec, exec, s[70:71]
	s_and_saveexec_b64 s[70:71], s[50:51]
	s_cbranch_execnz .LBB715_75
.LBB715_44:
	s_or_b64 exec, exec, s[70:71]
	s_and_saveexec_b64 s[70:71], s[48:49]
	s_cbranch_execnz .LBB715_78
.LBB715_45:
	s_or_b64 exec, exec, s[70:71]
	s_and_saveexec_b64 s[70:71], s[46:47]
	s_cbranch_execnz .LBB715_81
.LBB715_46:
	s_or_b64 exec, exec, s[70:71]
	s_and_saveexec_b64 s[70:71], s[44:45]
	s_cbranch_execnz .LBB715_84
.LBB715_47:
	s_or_b64 exec, exec, s[70:71]
	s_and_saveexec_b64 s[70:71], s[40:41]
	s_cbranch_execnz .LBB715_87
.LBB715_48:
	s_or_b64 exec, exec, s[70:71]
	s_and_saveexec_b64 s[70:71], s[38:39]
	s_cbranch_execnz .LBB715_90
.LBB715_49:
	s_or_b64 exec, exec, s[70:71]
	s_and_saveexec_b64 s[70:71], s[30:31]
	s_cbranch_execnz .LBB715_93
	s_branch .LBB715_96
.LBB715_50:
	global_load_ubyte v4, v[2:3], off
	s_waitcnt vmcnt(0)
	v_and_b32_e32 v4, 1, v4
	v_cmp_eq_u32_e64 s[4:5], 1, v4
	s_xor_b64 s[4:5], s[4:5], -1
	s_and_b64 s[42:43], s[4:5], exec
	s_or_b64 exec, exec, s[70:71]
	v_mov_b32_e32 v4, v24
	s_and_saveexec_b64 s[70:71], s[66:67]
	s_cbranch_execz .LBB715_36
.LBB715_51:
	global_load_ubyte v4, v[2:3], off offset:32
	s_mov_b64 s[72:73], s[42:43]
	s_waitcnt vmcnt(0)
	v_and_b32_e32 v4, 1, v4
	v_cmp_eq_u32_e64 s[4:5], 1, v4
	s_xor_b64 s[4:5], s[4:5], -1
	v_mov_b32_e32 v4, v24
	s_and_saveexec_b64 s[74:75], s[4:5]
; %bb.52:
	v_cmp_gt_f32_e64 s[4:5], v24, v23
	s_and_b64 s[4:5], s[42:43], s[4:5]
	v_cndmask_b32_e64 v4, v23, v24, s[4:5]
	s_or_b64 s[72:73], s[42:43], exec
; %bb.53:
	s_or_b64 exec, exec, s[74:75]
	s_andn2_b64 s[4:5], s[42:43], exec
	s_and_b64 s[42:43], s[72:73], exec
	s_or_b64 s[42:43], s[4:5], s[42:43]
	s_or_b64 exec, exec, s[70:71]
	s_and_saveexec_b64 s[70:71], s[64:65]
	s_cbranch_execz .LBB715_37
.LBB715_54:
	global_load_ubyte v5, v[2:3], off offset:64
	s_waitcnt vmcnt(0)
	v_and_b32_e32 v5, 1, v5
	v_cmp_eq_u32_e64 s[4:5], 1, v5
	s_xor_b64 s[74:75], s[4:5], -1
	s_mov_b64 s[4:5], s[42:43]
	s_and_saveexec_b64 s[72:73], s[74:75]
; %bb.55:
	v_cmp_gt_f32_e64 s[4:5], v4, v22
	s_and_b64 s[4:5], s[42:43], s[4:5]
	v_cndmask_b32_e64 v4, v22, v4, s[4:5]
	s_or_b64 s[4:5], s[42:43], exec
; %bb.56:
	s_or_b64 exec, exec, s[72:73]
	s_andn2_b64 s[42:43], s[42:43], exec
	s_and_b64 s[4:5], s[4:5], exec
	s_or_b64 s[42:43], s[42:43], s[4:5]
	s_or_b64 exec, exec, s[70:71]
	s_and_saveexec_b64 s[70:71], s[62:63]
	s_cbranch_execz .LBB715_38
.LBB715_57:
	global_load_ubyte v5, v[2:3], off offset:96
	s_waitcnt vmcnt(0)
	v_and_b32_e32 v5, 1, v5
	v_cmp_eq_u32_e64 s[4:5], 1, v5
	s_xor_b64 s[74:75], s[4:5], -1
	s_mov_b64 s[4:5], s[42:43]
	s_and_saveexec_b64 s[72:73], s[74:75]
; %bb.58:
	v_cmp_gt_f32_e64 s[4:5], v4, v21
	s_and_b64 s[4:5], s[42:43], s[4:5]
	v_cndmask_b32_e64 v4, v21, v4, s[4:5]
	s_or_b64 s[4:5], s[42:43], exec
; %bb.59:
	s_or_b64 exec, exec, s[72:73]
	s_andn2_b64 s[42:43], s[42:43], exec
	s_and_b64 s[4:5], s[4:5], exec
	s_or_b64 s[42:43], s[42:43], s[4:5]
	s_or_b64 exec, exec, s[70:71]
	s_and_saveexec_b64 s[70:71], s[60:61]
	s_cbranch_execz .LBB715_39
.LBB715_60:
	global_load_ubyte v5, v[2:3], off offset:128
	s_waitcnt vmcnt(0)
	v_and_b32_e32 v5, 1, v5
	v_cmp_eq_u32_e64 s[4:5], 1, v5
	s_xor_b64 s[74:75], s[4:5], -1
	s_mov_b64 s[4:5], s[42:43]
	s_and_saveexec_b64 s[72:73], s[74:75]
; %bb.61:
	v_cmp_gt_f32_e64 s[4:5], v4, v20
	s_and_b64 s[4:5], s[42:43], s[4:5]
	v_cndmask_b32_e64 v4, v20, v4, s[4:5]
	s_or_b64 s[4:5], s[42:43], exec
; %bb.62:
	s_or_b64 exec, exec, s[72:73]
	s_andn2_b64 s[42:43], s[42:43], exec
	s_and_b64 s[4:5], s[4:5], exec
	s_or_b64 s[42:43], s[42:43], s[4:5]
	s_or_b64 exec, exec, s[70:71]
	s_and_saveexec_b64 s[70:71], s[58:59]
	s_cbranch_execz .LBB715_40
.LBB715_63:
	global_load_ubyte v5, v[2:3], off offset:160
	s_waitcnt vmcnt(0)
	v_and_b32_e32 v5, 1, v5
	v_cmp_eq_u32_e64 s[4:5], 1, v5
	s_xor_b64 s[74:75], s[4:5], -1
	s_mov_b64 s[4:5], s[42:43]
	s_and_saveexec_b64 s[72:73], s[74:75]
; %bb.64:
	v_cmp_gt_f32_e64 s[4:5], v4, v19
	s_and_b64 s[4:5], s[42:43], s[4:5]
	v_cndmask_b32_e64 v4, v19, v4, s[4:5]
	s_or_b64 s[4:5], s[42:43], exec
; %bb.65:
	s_or_b64 exec, exec, s[72:73]
	s_andn2_b64 s[42:43], s[42:43], exec
	s_and_b64 s[4:5], s[4:5], exec
	s_or_b64 s[42:43], s[42:43], s[4:5]
	s_or_b64 exec, exec, s[70:71]
	s_and_saveexec_b64 s[70:71], s[56:57]
	s_cbranch_execz .LBB715_41
.LBB715_66:
	global_load_ubyte v5, v[2:3], off offset:192
	s_waitcnt vmcnt(0)
	v_and_b32_e32 v5, 1, v5
	v_cmp_eq_u32_e64 s[4:5], 1, v5
	s_xor_b64 s[74:75], s[4:5], -1
	s_mov_b64 s[4:5], s[42:43]
	s_and_saveexec_b64 s[72:73], s[74:75]
; %bb.67:
	v_cmp_gt_f32_e64 s[4:5], v4, v18
	s_and_b64 s[4:5], s[42:43], s[4:5]
	v_cndmask_b32_e64 v4, v18, v4, s[4:5]
	s_or_b64 s[4:5], s[42:43], exec
; %bb.68:
	s_or_b64 exec, exec, s[72:73]
	s_andn2_b64 s[42:43], s[42:43], exec
	s_and_b64 s[4:5], s[4:5], exec
	s_or_b64 s[42:43], s[42:43], s[4:5]
	s_or_b64 exec, exec, s[70:71]
	s_and_saveexec_b64 s[70:71], s[54:55]
	s_cbranch_execz .LBB715_42
.LBB715_69:
	global_load_ubyte v5, v[2:3], off offset:224
	s_waitcnt vmcnt(0)
	v_and_b32_e32 v5, 1, v5
	v_cmp_eq_u32_e64 s[4:5], 1, v5
	s_xor_b64 s[74:75], s[4:5], -1
	s_mov_b64 s[4:5], s[42:43]
	s_and_saveexec_b64 s[72:73], s[74:75]
; %bb.70:
	v_cmp_gt_f32_e64 s[4:5], v4, v17
	s_and_b64 s[4:5], s[42:43], s[4:5]
	v_cndmask_b32_e64 v4, v17, v4, s[4:5]
	s_or_b64 s[4:5], s[42:43], exec
; %bb.71:
	s_or_b64 exec, exec, s[72:73]
	s_andn2_b64 s[42:43], s[42:43], exec
	s_and_b64 s[4:5], s[4:5], exec
	s_or_b64 s[42:43], s[42:43], s[4:5]
	s_or_b64 exec, exec, s[70:71]
	s_and_saveexec_b64 s[70:71], s[52:53]
	s_cbranch_execz .LBB715_43
.LBB715_72:
	global_load_ubyte v5, v[2:3], off offset:256
	s_waitcnt vmcnt(0)
	v_and_b32_e32 v5, 1, v5
	v_cmp_eq_u32_e64 s[4:5], 1, v5
	s_xor_b64 s[74:75], s[4:5], -1
	s_mov_b64 s[4:5], s[42:43]
	s_and_saveexec_b64 s[72:73], s[74:75]
; %bb.73:
	v_cmp_gt_f32_e64 s[4:5], v4, v16
	s_and_b64 s[4:5], s[42:43], s[4:5]
	v_cndmask_b32_e64 v4, v16, v4, s[4:5]
	s_or_b64 s[4:5], s[42:43], exec
; %bb.74:
	s_or_b64 exec, exec, s[72:73]
	s_andn2_b64 s[42:43], s[42:43], exec
	s_and_b64 s[4:5], s[4:5], exec
	s_or_b64 s[42:43], s[42:43], s[4:5]
	s_or_b64 exec, exec, s[70:71]
	s_and_saveexec_b64 s[70:71], s[50:51]
	s_cbranch_execz .LBB715_44
.LBB715_75:
	global_load_ubyte v5, v[2:3], off offset:288
	s_waitcnt vmcnt(0)
	v_and_b32_e32 v5, 1, v5
	v_cmp_eq_u32_e64 s[4:5], 1, v5
	s_xor_b64 s[74:75], s[4:5], -1
	s_mov_b64 s[4:5], s[42:43]
	s_and_saveexec_b64 s[72:73], s[74:75]
; %bb.76:
	v_cmp_gt_f32_e64 s[4:5], v4, v15
	s_and_b64 s[4:5], s[42:43], s[4:5]
	v_cndmask_b32_e64 v4, v15, v4, s[4:5]
	s_or_b64 s[4:5], s[42:43], exec
; %bb.77:
	s_or_b64 exec, exec, s[72:73]
	s_andn2_b64 s[42:43], s[42:43], exec
	s_and_b64 s[4:5], s[4:5], exec
	s_or_b64 s[42:43], s[42:43], s[4:5]
	s_or_b64 exec, exec, s[70:71]
	s_and_saveexec_b64 s[70:71], s[48:49]
	s_cbranch_execz .LBB715_45
.LBB715_78:
	global_load_ubyte v5, v[2:3], off offset:320
	s_waitcnt vmcnt(0)
	v_and_b32_e32 v5, 1, v5
	v_cmp_eq_u32_e64 s[4:5], 1, v5
	s_xor_b64 s[74:75], s[4:5], -1
	s_mov_b64 s[4:5], s[42:43]
	s_and_saveexec_b64 s[72:73], s[74:75]
; %bb.79:
	v_cmp_gt_f32_e64 s[4:5], v4, v14
	s_and_b64 s[4:5], s[42:43], s[4:5]
	v_cndmask_b32_e64 v4, v14, v4, s[4:5]
	s_or_b64 s[4:5], s[42:43], exec
; %bb.80:
	s_or_b64 exec, exec, s[72:73]
	s_andn2_b64 s[42:43], s[42:43], exec
	s_and_b64 s[4:5], s[4:5], exec
	s_or_b64 s[42:43], s[42:43], s[4:5]
	s_or_b64 exec, exec, s[70:71]
	s_and_saveexec_b64 s[70:71], s[46:47]
	s_cbranch_execz .LBB715_46
.LBB715_81:
	global_load_ubyte v5, v[2:3], off offset:352
	s_waitcnt vmcnt(0)
	v_and_b32_e32 v5, 1, v5
	v_cmp_eq_u32_e64 s[4:5], 1, v5
	s_xor_b64 s[74:75], s[4:5], -1
	s_mov_b64 s[4:5], s[42:43]
	s_and_saveexec_b64 s[72:73], s[74:75]
; %bb.82:
	v_cmp_gt_f32_e64 s[4:5], v4, v13
	s_and_b64 s[4:5], s[42:43], s[4:5]
	v_cndmask_b32_e64 v4, v13, v4, s[4:5]
	s_or_b64 s[4:5], s[42:43], exec
; %bb.83:
	s_or_b64 exec, exec, s[72:73]
	s_andn2_b64 s[42:43], s[42:43], exec
	s_and_b64 s[4:5], s[4:5], exec
	s_or_b64 s[42:43], s[42:43], s[4:5]
	s_or_b64 exec, exec, s[70:71]
	s_and_saveexec_b64 s[70:71], s[44:45]
	s_cbranch_execz .LBB715_47
.LBB715_84:
	global_load_ubyte v5, v[2:3], off offset:384
	s_waitcnt vmcnt(0)
	v_and_b32_e32 v5, 1, v5
	v_cmp_eq_u32_e64 s[4:5], 1, v5
	s_xor_b64 s[74:75], s[4:5], -1
	s_mov_b64 s[4:5], s[42:43]
	s_and_saveexec_b64 s[72:73], s[74:75]
; %bb.85:
	v_cmp_gt_f32_e64 s[4:5], v4, v12
	s_and_b64 s[4:5], s[42:43], s[4:5]
	v_cndmask_b32_e64 v4, v12, v4, s[4:5]
	s_or_b64 s[4:5], s[42:43], exec
; %bb.86:
	s_or_b64 exec, exec, s[72:73]
	s_andn2_b64 s[42:43], s[42:43], exec
	s_and_b64 s[4:5], s[4:5], exec
	s_or_b64 s[42:43], s[42:43], s[4:5]
	s_or_b64 exec, exec, s[70:71]
	s_and_saveexec_b64 s[70:71], s[40:41]
	s_cbranch_execz .LBB715_48
.LBB715_87:
	global_load_ubyte v5, v[2:3], off offset:416
	s_waitcnt vmcnt(0)
	v_and_b32_e32 v5, 1, v5
	v_cmp_eq_u32_e64 s[4:5], 1, v5
	s_xor_b64 s[74:75], s[4:5], -1
	s_mov_b64 s[4:5], s[42:43]
	s_and_saveexec_b64 s[72:73], s[74:75]
; %bb.88:
	v_cmp_gt_f32_e64 s[4:5], v4, v11
	s_and_b64 s[4:5], s[42:43], s[4:5]
	v_cndmask_b32_e64 v4, v11, v4, s[4:5]
	s_or_b64 s[4:5], s[42:43], exec
; %bb.89:
	s_or_b64 exec, exec, s[72:73]
	s_andn2_b64 s[42:43], s[42:43], exec
	s_and_b64 s[4:5], s[4:5], exec
	s_or_b64 s[42:43], s[42:43], s[4:5]
	s_or_b64 exec, exec, s[70:71]
	s_and_saveexec_b64 s[70:71], s[38:39]
	s_cbranch_execz .LBB715_49
.LBB715_90:
	global_load_ubyte v5, v[2:3], off offset:448
	s_waitcnt vmcnt(0)
	v_and_b32_e32 v5, 1, v5
	v_cmp_eq_u32_e64 s[4:5], 1, v5
	s_xor_b64 s[74:75], s[4:5], -1
	s_mov_b64 s[4:5], s[42:43]
	s_and_saveexec_b64 s[72:73], s[74:75]
; %bb.91:
	v_cmp_gt_f32_e64 s[4:5], v4, v10
	s_and_b64 s[4:5], s[42:43], s[4:5]
	v_cndmask_b32_e64 v4, v10, v4, s[4:5]
	s_or_b64 s[4:5], s[42:43], exec
; %bb.92:
	s_or_b64 exec, exec, s[72:73]
	s_andn2_b64 s[42:43], s[42:43], exec
	s_and_b64 s[4:5], s[4:5], exec
	s_or_b64 s[42:43], s[42:43], s[4:5]
	s_or_b64 exec, exec, s[70:71]
	s_and_saveexec_b64 s[70:71], s[30:31]
	s_cbranch_execz .LBB715_96
.LBB715_93:
	global_load_ubyte v5, v[2:3], off offset:480
	s_waitcnt vmcnt(0)
	v_and_b32_e32 v5, 1, v5
	v_cmp_eq_u32_e64 s[4:5], 1, v5
	s_xor_b64 s[74:75], s[4:5], -1
	s_mov_b64 s[4:5], s[42:43]
	s_and_saveexec_b64 s[72:73], s[74:75]
; %bb.94:
	v_cmp_gt_f32_e64 s[4:5], v4, v9
	s_and_b64 s[4:5], s[42:43], s[4:5]
	v_cndmask_b32_e64 v4, v9, v4, s[4:5]
	s_or_b64 s[4:5], s[42:43], exec
; %bb.95:
	s_or_b64 exec, exec, s[72:73]
	s_andn2_b64 s[42:43], s[42:43], exec
	s_and_b64 s[4:5], s[4:5], exec
	s_or_b64 s[42:43], s[42:43], s[4:5]
.LBB715_96:
	s_or_b64 exec, exec, s[70:71]
	v_mov_b32_e32 v5, 0xff800000
	v_cndmask_b32_e64 v4, v5, v4, s[42:43]
	v_mbcnt_lo_u32_b32 v5, -1, 0
	v_mbcnt_hi_u32_b32 v25, -1, v5
	v_and_b32_e32 v5, 0x60, v25
	v_add_u32_e32 v27, 32, v5
	v_xor_b32_e32 v5, 16, v25
	v_cmp_lt_i32_e64 s[4:5], v5, v27
	v_cndmask_b32_e64 v5, v25, v5, s[4:5]
	v_lshlrev_b32_e32 v5, 2, v5
	ds_bpermute_b32 v6, v5, v4
	s_waitcnt lgkmcnt(0)
	v_cmp_lt_f32_e64 s[4:5], v4, v6
	v_cndmask_b32_e64 v4, v4, v6, s[4:5]
	v_xor_b32_e32 v6, 8, v25
	v_cmp_lt_i32_e64 s[4:5], v6, v27
	v_cndmask_b32_e64 v6, v25, v6, s[4:5]
	v_lshlrev_b32_e32 v6, 2, v6
	ds_bpermute_b32 v7, v6, v4
	s_waitcnt lgkmcnt(0)
	v_cmp_lt_f32_e64 s[4:5], v4, v7
	v_cndmask_b32_e64 v4, v4, v7, s[4:5]
	;; [unrolled: 8-line block ×5, first 2 shown]
	v_mov_b32_e32 v4, 0
	v_mov_b32_e32 v25, 0
	s_and_saveexec_b64 s[42:43], s[68:69]
	s_cbranch_execz .LBB715_100
; %bb.97:
	global_load_ubyte v25, v[2:3], off
	s_waitcnt vmcnt(0)
	v_and_b32_e32 v25, 1, v25
	v_cmp_eq_u32_e64 s[4:5], 1, v25
	s_xor_b64 s[4:5], s[4:5], -1
	v_mov_b32_e32 v25, 0
	s_and_saveexec_b64 s[68:69], s[4:5]
	s_cbranch_execz .LBB715_99
; %bb.98:
	v_sub_f32_e32 v24, v24, v28
	s_mov_b32 s4, 0x3fb8aa3b
	v_mul_f32_e32 v25, 0x3fb8aa3b, v24
	v_fma_f32 v29, v24, s4, -v25
	v_rndne_f32_e32 v30, v25
	v_fmac_f32_e32 v29, 0x32a5705f, v24
	v_sub_f32_e32 v25, v25, v30
	v_add_f32_e32 v25, v25, v29
	v_exp_f32_e32 v25, v25
	v_cvt_i32_f32_e32 v29, v30
	s_mov_b32 s4, 0xc2ce8ed0
	v_cmp_ngt_f32_e64 s[4:5], s4, v24
	v_ldexp_f32 v25, v25, v29
	v_cndmask_b32_e64 v25, 0, v25, s[4:5]
	s_mov_b32 s4, 0x42b17218
	v_mov_b32_e32 v29, 0x7f800000
	v_cmp_nlt_f32_e64 s[4:5], s4, v24
	v_cndmask_b32_e64 v25, v29, v25, s[4:5]
.LBB715_99:
	s_or_b64 exec, exec, s[68:69]
.LBB715_100:
	s_or_b64 exec, exec, s[42:43]
	v_mov_b32_e32 v29, v25
	s_and_saveexec_b64 s[42:43], s[66:67]
	s_cbranch_execz .LBB715_104
; %bb.101:
	global_load_ubyte v24, v[2:3], off offset:32
	v_mov_b32_e32 v4, 0
	v_mov_b32_e32 v29, v25
	s_waitcnt vmcnt(0)
	v_and_b32_e32 v24, 1, v24
	v_cmp_eq_u32_e64 s[4:5], 1, v24
	s_xor_b64 s[4:5], s[4:5], -1
	s_and_saveexec_b64 s[66:67], s[4:5]
	s_cbranch_execz .LBB715_103
; %bb.102:
	v_sub_f32_e32 v4, v23, v28
	s_mov_b32 s4, 0x3fb8aa3b
	v_mul_f32_e32 v23, 0x3fb8aa3b, v4
	v_fma_f32 v24, v4, s4, -v23
	v_rndne_f32_e32 v29, v23
	v_fmac_f32_e32 v24, 0x32a5705f, v4
	v_sub_f32_e32 v23, v23, v29
	v_add_f32_e32 v23, v23, v24
	v_exp_f32_e32 v23, v23
	v_cvt_i32_f32_e32 v24, v29
	s_mov_b32 s4, 0xc2ce8ed0
	v_cmp_ngt_f32_e64 s[4:5], s4, v4
	v_ldexp_f32 v23, v23, v24
	v_cndmask_b32_e64 v23, 0, v23, s[4:5]
	s_mov_b32 s4, 0x42b17218
	v_mov_b32_e32 v24, 0x7f800000
	v_cmp_nlt_f32_e64 s[4:5], s4, v4
	v_cndmask_b32_e64 v4, v24, v23, s[4:5]
	v_add_f32_e32 v29, v25, v4
.LBB715_103:
	s_or_b64 exec, exec, s[66:67]
.LBB715_104:
	s_or_b64 exec, exec, s[42:43]
	v_mov_b32_e32 v23, 0
	v_mov_b32_e32 v24, 0
	s_and_saveexec_b64 s[42:43], s[64:65]
	s_cbranch_execz .LBB715_108
; %bb.105:
	global_load_ubyte v24, v[2:3], off offset:64
	s_waitcnt vmcnt(0)
	v_and_b32_e32 v24, 1, v24
	v_cmp_eq_u32_e64 s[4:5], 1, v24
	s_xor_b64 s[4:5], s[4:5], -1
	v_mov_b32_e32 v24, 0
	s_and_saveexec_b64 s[64:65], s[4:5]
	s_cbranch_execz .LBB715_107
; %bb.106:
	v_sub_f32_e32 v22, v22, v28
	s_mov_b32 s4, 0x3fb8aa3b
	v_mul_f32_e32 v24, 0x3fb8aa3b, v22
	v_fma_f32 v30, v22, s4, -v24
	v_rndne_f32_e32 v31, v24
	v_fmac_f32_e32 v30, 0x32a5705f, v22
	v_sub_f32_e32 v24, v24, v31
	v_add_f32_e32 v24, v24, v30
	v_exp_f32_e32 v24, v24
	v_cvt_i32_f32_e32 v30, v31
	s_mov_b32 s4, 0xc2ce8ed0
	v_cmp_ngt_f32_e64 s[4:5], s4, v22
	v_ldexp_f32 v24, v24, v30
	v_cndmask_b32_e64 v24, 0, v24, s[4:5]
	s_mov_b32 s4, 0x42b17218
	v_mov_b32_e32 v30, 0x7f800000
	v_cmp_nlt_f32_e64 s[4:5], s4, v22
	v_cndmask_b32_e64 v24, v30, v24, s[4:5]
	v_add_f32_e32 v29, v29, v24
.LBB715_107:
	s_or_b64 exec, exec, s[64:65]
.LBB715_108:
	s_or_b64 exec, exec, s[42:43]
	s_and_saveexec_b64 s[42:43], s[62:63]
	s_cbranch_execz .LBB715_112
; %bb.109:
	global_load_ubyte v22, v[2:3], off offset:96
	v_mov_b32_e32 v23, 0
	s_waitcnt vmcnt(0)
	v_and_b32_e32 v22, 1, v22
	v_cmp_eq_u32_e64 s[4:5], 1, v22
	s_xor_b64 s[4:5], s[4:5], -1
	s_and_saveexec_b64 s[62:63], s[4:5]
	s_cbranch_execz .LBB715_111
; %bb.110:
	v_sub_f32_e32 v21, v21, v28
	s_mov_b32 s4, 0x3fb8aa3b
	v_mul_f32_e32 v22, 0x3fb8aa3b, v21
	v_fma_f32 v23, v21, s4, -v22
	v_rndne_f32_e32 v30, v22
	v_fmac_f32_e32 v23, 0x32a5705f, v21
	v_sub_f32_e32 v22, v22, v30
	v_add_f32_e32 v22, v22, v23
	v_exp_f32_e32 v22, v22
	v_cvt_i32_f32_e32 v23, v30
	s_mov_b32 s4, 0xc2ce8ed0
	v_cmp_ngt_f32_e64 s[4:5], s4, v21
	v_ldexp_f32 v22, v22, v23
	v_cndmask_b32_e64 v22, 0, v22, s[4:5]
	s_mov_b32 s4, 0x42b17218
	v_mov_b32_e32 v23, 0x7f800000
	v_cmp_nlt_f32_e64 s[4:5], s4, v21
	v_cndmask_b32_e64 v23, v23, v22, s[4:5]
	v_add_f32_e32 v29, v29, v23
.LBB715_111:
	s_or_b64 exec, exec, s[62:63]
.LBB715_112:
	s_or_b64 exec, exec, s[42:43]
	v_mov_b32_e32 v21, 0
	v_mov_b32_e32 v22, 0
	s_and_saveexec_b64 s[42:43], s[60:61]
	s_cbranch_execz .LBB715_116
; %bb.113:
	global_load_ubyte v22, v[2:3], off offset:128
	s_waitcnt vmcnt(0)
	v_and_b32_e32 v22, 1, v22
	v_cmp_eq_u32_e64 s[4:5], 1, v22
	s_xor_b64 s[4:5], s[4:5], -1
	v_mov_b32_e32 v22, 0
	s_and_saveexec_b64 s[60:61], s[4:5]
	s_cbranch_execz .LBB715_115
; %bb.114:
	v_sub_f32_e32 v20, v20, v28
	s_mov_b32 s4, 0x3fb8aa3b
	v_mul_f32_e32 v22, 0x3fb8aa3b, v20
	v_fma_f32 v30, v20, s4, -v22
	v_rndne_f32_e32 v31, v22
	v_fmac_f32_e32 v30, 0x32a5705f, v20
	v_sub_f32_e32 v22, v22, v31
	v_add_f32_e32 v22, v22, v30
	v_exp_f32_e32 v22, v22
	v_cvt_i32_f32_e32 v30, v31
	s_mov_b32 s4, 0xc2ce8ed0
	v_cmp_ngt_f32_e64 s[4:5], s4, v20
	v_ldexp_f32 v22, v22, v30
	v_cndmask_b32_e64 v22, 0, v22, s[4:5]
	s_mov_b32 s4, 0x42b17218
	v_mov_b32_e32 v30, 0x7f800000
	v_cmp_nlt_f32_e64 s[4:5], s4, v20
	v_cndmask_b32_e64 v22, v30, v22, s[4:5]
	v_add_f32_e32 v29, v29, v22
.LBB715_115:
	s_or_b64 exec, exec, s[60:61]
.LBB715_116:
	s_or_b64 exec, exec, s[42:43]
	s_and_saveexec_b64 s[42:43], s[58:59]
	s_cbranch_execz .LBB715_120
; %bb.117:
	global_load_ubyte v20, v[2:3], off offset:160
	v_mov_b32_e32 v21, 0
	s_waitcnt vmcnt(0)
	v_and_b32_e32 v20, 1, v20
	v_cmp_eq_u32_e64 s[4:5], 1, v20
	s_xor_b64 s[4:5], s[4:5], -1
	s_and_saveexec_b64 s[58:59], s[4:5]
	s_cbranch_execz .LBB715_119
; %bb.118:
	v_sub_f32_e32 v19, v19, v28
	s_mov_b32 s4, 0x3fb8aa3b
	v_mul_f32_e32 v20, 0x3fb8aa3b, v19
	v_fma_f32 v21, v19, s4, -v20
	v_rndne_f32_e32 v30, v20
	v_fmac_f32_e32 v21, 0x32a5705f, v19
	v_sub_f32_e32 v20, v20, v30
	v_add_f32_e32 v20, v20, v21
	v_exp_f32_e32 v20, v20
	v_cvt_i32_f32_e32 v21, v30
	s_mov_b32 s4, 0xc2ce8ed0
	v_cmp_ngt_f32_e64 s[4:5], s4, v19
	v_ldexp_f32 v20, v20, v21
	v_cndmask_b32_e64 v20, 0, v20, s[4:5]
	s_mov_b32 s4, 0x42b17218
	v_mov_b32_e32 v21, 0x7f800000
	v_cmp_nlt_f32_e64 s[4:5], s4, v19
	v_cndmask_b32_e64 v21, v21, v20, s[4:5]
	v_add_f32_e32 v29, v29, v21
.LBB715_119:
	s_or_b64 exec, exec, s[58:59]
.LBB715_120:
	s_or_b64 exec, exec, s[42:43]
	v_mov_b32_e32 v19, 0
	v_mov_b32_e32 v20, 0
	s_and_saveexec_b64 s[42:43], s[56:57]
	s_cbranch_execz .LBB715_124
; %bb.121:
	global_load_ubyte v20, v[2:3], off offset:192
	s_waitcnt vmcnt(0)
	v_and_b32_e32 v20, 1, v20
	v_cmp_eq_u32_e64 s[4:5], 1, v20
	s_xor_b64 s[4:5], s[4:5], -1
	v_mov_b32_e32 v20, 0
	s_and_saveexec_b64 s[56:57], s[4:5]
	s_cbranch_execz .LBB715_123
; %bb.122:
	v_sub_f32_e32 v18, v18, v28
	s_mov_b32 s4, 0x3fb8aa3b
	v_mul_f32_e32 v20, 0x3fb8aa3b, v18
	v_fma_f32 v30, v18, s4, -v20
	v_rndne_f32_e32 v31, v20
	v_fmac_f32_e32 v30, 0x32a5705f, v18
	v_sub_f32_e32 v20, v20, v31
	v_add_f32_e32 v20, v20, v30
	v_exp_f32_e32 v20, v20
	v_cvt_i32_f32_e32 v30, v31
	s_mov_b32 s4, 0xc2ce8ed0
	v_cmp_ngt_f32_e64 s[4:5], s4, v18
	v_ldexp_f32 v20, v20, v30
	v_cndmask_b32_e64 v20, 0, v20, s[4:5]
	s_mov_b32 s4, 0x42b17218
	v_mov_b32_e32 v30, 0x7f800000
	v_cmp_nlt_f32_e64 s[4:5], s4, v18
	v_cndmask_b32_e64 v20, v30, v20, s[4:5]
	v_add_f32_e32 v29, v29, v20
.LBB715_123:
	s_or_b64 exec, exec, s[56:57]
.LBB715_124:
	s_or_b64 exec, exec, s[42:43]
	s_and_saveexec_b64 s[42:43], s[54:55]
	s_cbranch_execz .LBB715_128
; %bb.125:
	global_load_ubyte v18, v[2:3], off offset:224
	v_mov_b32_e32 v19, 0
	s_waitcnt vmcnt(0)
	v_and_b32_e32 v18, 1, v18
	v_cmp_eq_u32_e64 s[4:5], 1, v18
	s_xor_b64 s[4:5], s[4:5], -1
	s_and_saveexec_b64 s[54:55], s[4:5]
	s_cbranch_execz .LBB715_127
; %bb.126:
	v_sub_f32_e32 v17, v17, v28
	s_mov_b32 s4, 0x3fb8aa3b
	v_mul_f32_e32 v18, 0x3fb8aa3b, v17
	v_fma_f32 v19, v17, s4, -v18
	v_rndne_f32_e32 v30, v18
	v_fmac_f32_e32 v19, 0x32a5705f, v17
	v_sub_f32_e32 v18, v18, v30
	v_add_f32_e32 v18, v18, v19
	v_exp_f32_e32 v18, v18
	v_cvt_i32_f32_e32 v19, v30
	s_mov_b32 s4, 0xc2ce8ed0
	v_cmp_ngt_f32_e64 s[4:5], s4, v17
	v_ldexp_f32 v18, v18, v19
	v_cndmask_b32_e64 v18, 0, v18, s[4:5]
	s_mov_b32 s4, 0x42b17218
	v_mov_b32_e32 v19, 0x7f800000
	v_cmp_nlt_f32_e64 s[4:5], s4, v17
	v_cndmask_b32_e64 v19, v19, v18, s[4:5]
	v_add_f32_e32 v29, v29, v19
.LBB715_127:
	s_or_b64 exec, exec, s[54:55]
.LBB715_128:
	s_or_b64 exec, exec, s[42:43]
	v_mov_b32_e32 v17, 0
	v_mov_b32_e32 v18, 0
	s_and_saveexec_b64 s[42:43], s[52:53]
	s_cbranch_execz .LBB715_132
; %bb.129:
	global_load_ubyte v18, v[2:3], off offset:256
	s_waitcnt vmcnt(0)
	v_and_b32_e32 v18, 1, v18
	v_cmp_eq_u32_e64 s[4:5], 1, v18
	s_xor_b64 s[4:5], s[4:5], -1
	v_mov_b32_e32 v18, 0
	s_and_saveexec_b64 s[52:53], s[4:5]
	s_cbranch_execz .LBB715_131
; %bb.130:
	v_sub_f32_e32 v16, v16, v28
	s_mov_b32 s4, 0x3fb8aa3b
	v_mul_f32_e32 v18, 0x3fb8aa3b, v16
	v_fma_f32 v30, v16, s4, -v18
	v_rndne_f32_e32 v31, v18
	v_fmac_f32_e32 v30, 0x32a5705f, v16
	v_sub_f32_e32 v18, v18, v31
	v_add_f32_e32 v18, v18, v30
	v_exp_f32_e32 v18, v18
	v_cvt_i32_f32_e32 v30, v31
	s_mov_b32 s4, 0xc2ce8ed0
	v_cmp_ngt_f32_e64 s[4:5], s4, v16
	v_ldexp_f32 v18, v18, v30
	v_cndmask_b32_e64 v18, 0, v18, s[4:5]
	s_mov_b32 s4, 0x42b17218
	v_mov_b32_e32 v30, 0x7f800000
	v_cmp_nlt_f32_e64 s[4:5], s4, v16
	v_cndmask_b32_e64 v18, v30, v18, s[4:5]
	v_add_f32_e32 v29, v29, v18
.LBB715_131:
	s_or_b64 exec, exec, s[52:53]
.LBB715_132:
	s_or_b64 exec, exec, s[42:43]
	s_and_saveexec_b64 s[42:43], s[50:51]
	s_cbranch_execz .LBB715_136
; %bb.133:
	global_load_ubyte v16, v[2:3], off offset:288
	v_mov_b32_e32 v17, 0
	s_waitcnt vmcnt(0)
	v_and_b32_e32 v16, 1, v16
	v_cmp_eq_u32_e64 s[4:5], 1, v16
	s_xor_b64 s[4:5], s[4:5], -1
	s_and_saveexec_b64 s[50:51], s[4:5]
	s_cbranch_execz .LBB715_135
; %bb.134:
	v_sub_f32_e32 v15, v15, v28
	s_mov_b32 s4, 0x3fb8aa3b
	v_mul_f32_e32 v16, 0x3fb8aa3b, v15
	v_fma_f32 v17, v15, s4, -v16
	v_rndne_f32_e32 v30, v16
	v_fmac_f32_e32 v17, 0x32a5705f, v15
	v_sub_f32_e32 v16, v16, v30
	v_add_f32_e32 v16, v16, v17
	v_exp_f32_e32 v16, v16
	v_cvt_i32_f32_e32 v17, v30
	s_mov_b32 s4, 0xc2ce8ed0
	v_cmp_ngt_f32_e64 s[4:5], s4, v15
	v_ldexp_f32 v16, v16, v17
	v_cndmask_b32_e64 v16, 0, v16, s[4:5]
	s_mov_b32 s4, 0x42b17218
	v_mov_b32_e32 v17, 0x7f800000
	v_cmp_nlt_f32_e64 s[4:5], s4, v15
	v_cndmask_b32_e64 v17, v17, v16, s[4:5]
	v_add_f32_e32 v29, v29, v17
.LBB715_135:
	s_or_b64 exec, exec, s[50:51]
.LBB715_136:
	s_or_b64 exec, exec, s[42:43]
	v_mov_b32_e32 v15, 0
	v_mov_b32_e32 v16, 0
	s_and_saveexec_b64 s[42:43], s[48:49]
	s_cbranch_execz .LBB715_140
; %bb.137:
	global_load_ubyte v16, v[2:3], off offset:320
	s_waitcnt vmcnt(0)
	v_and_b32_e32 v16, 1, v16
	v_cmp_eq_u32_e64 s[4:5], 1, v16
	s_xor_b64 s[4:5], s[4:5], -1
	v_mov_b32_e32 v16, 0
	s_and_saveexec_b64 s[48:49], s[4:5]
	s_cbranch_execz .LBB715_139
; %bb.138:
	v_sub_f32_e32 v14, v14, v28
	s_mov_b32 s4, 0x3fb8aa3b
	v_mul_f32_e32 v16, 0x3fb8aa3b, v14
	v_fma_f32 v30, v14, s4, -v16
	v_rndne_f32_e32 v31, v16
	v_fmac_f32_e32 v30, 0x32a5705f, v14
	v_sub_f32_e32 v16, v16, v31
	v_add_f32_e32 v16, v16, v30
	v_exp_f32_e32 v16, v16
	v_cvt_i32_f32_e32 v30, v31
	s_mov_b32 s4, 0xc2ce8ed0
	v_cmp_ngt_f32_e64 s[4:5], s4, v14
	v_ldexp_f32 v16, v16, v30
	v_cndmask_b32_e64 v16, 0, v16, s[4:5]
	s_mov_b32 s4, 0x42b17218
	v_mov_b32_e32 v30, 0x7f800000
	v_cmp_nlt_f32_e64 s[4:5], s4, v14
	v_cndmask_b32_e64 v16, v30, v16, s[4:5]
	v_add_f32_e32 v29, v29, v16
.LBB715_139:
	s_or_b64 exec, exec, s[48:49]
.LBB715_140:
	s_or_b64 exec, exec, s[42:43]
	s_and_saveexec_b64 s[42:43], s[46:47]
	s_cbranch_execz .LBB715_144
; %bb.141:
	global_load_ubyte v14, v[2:3], off offset:352
	v_mov_b32_e32 v15, 0
	s_waitcnt vmcnt(0)
	v_and_b32_e32 v14, 1, v14
	v_cmp_eq_u32_e64 s[4:5], 1, v14
	s_xor_b64 s[4:5], s[4:5], -1
	s_and_saveexec_b64 s[46:47], s[4:5]
	s_cbranch_execz .LBB715_143
; %bb.142:
	v_sub_f32_e32 v13, v13, v28
	s_mov_b32 s4, 0x3fb8aa3b
	v_mul_f32_e32 v14, 0x3fb8aa3b, v13
	v_fma_f32 v15, v13, s4, -v14
	v_rndne_f32_e32 v30, v14
	v_fmac_f32_e32 v15, 0x32a5705f, v13
	v_sub_f32_e32 v14, v14, v30
	v_add_f32_e32 v14, v14, v15
	v_exp_f32_e32 v14, v14
	v_cvt_i32_f32_e32 v15, v30
	s_mov_b32 s4, 0xc2ce8ed0
	v_cmp_ngt_f32_e64 s[4:5], s4, v13
	v_ldexp_f32 v14, v14, v15
	v_cndmask_b32_e64 v14, 0, v14, s[4:5]
	s_mov_b32 s4, 0x42b17218
	v_mov_b32_e32 v15, 0x7f800000
	v_cmp_nlt_f32_e64 s[4:5], s4, v13
	v_cndmask_b32_e64 v15, v15, v14, s[4:5]
	v_add_f32_e32 v29, v29, v15
.LBB715_143:
	s_or_b64 exec, exec, s[46:47]
.LBB715_144:
	s_or_b64 exec, exec, s[42:43]
	v_mov_b32_e32 v13, 0
	v_mov_b32_e32 v14, 0
	s_and_saveexec_b64 s[42:43], s[44:45]
	s_cbranch_execz .LBB715_148
; %bb.145:
	global_load_ubyte v14, v[2:3], off offset:384
	s_waitcnt vmcnt(0)
	v_and_b32_e32 v14, 1, v14
	v_cmp_eq_u32_e64 s[4:5], 1, v14
	s_xor_b64 s[4:5], s[4:5], -1
	v_mov_b32_e32 v14, 0
	s_and_saveexec_b64 s[44:45], s[4:5]
	s_cbranch_execz .LBB715_147
; %bb.146:
	v_sub_f32_e32 v12, v12, v28
	s_mov_b32 s4, 0x3fb8aa3b
	v_mul_f32_e32 v14, 0x3fb8aa3b, v12
	v_fma_f32 v30, v12, s4, -v14
	v_rndne_f32_e32 v31, v14
	v_fmac_f32_e32 v30, 0x32a5705f, v12
	v_sub_f32_e32 v14, v14, v31
	v_add_f32_e32 v14, v14, v30
	v_exp_f32_e32 v14, v14
	v_cvt_i32_f32_e32 v30, v31
	s_mov_b32 s4, 0xc2ce8ed0
	v_cmp_ngt_f32_e64 s[4:5], s4, v12
	v_ldexp_f32 v14, v14, v30
	v_cndmask_b32_e64 v14, 0, v14, s[4:5]
	s_mov_b32 s4, 0x42b17218
	v_mov_b32_e32 v30, 0x7f800000
	v_cmp_nlt_f32_e64 s[4:5], s4, v12
	v_cndmask_b32_e64 v14, v30, v14, s[4:5]
	v_add_f32_e32 v29, v29, v14
.LBB715_147:
	s_or_b64 exec, exec, s[44:45]
.LBB715_148:
	s_or_b64 exec, exec, s[42:43]
	s_and_saveexec_b64 s[42:43], s[40:41]
	s_cbranch_execz .LBB715_152
; %bb.149:
	global_load_ubyte v12, v[2:3], off offset:416
	v_mov_b32_e32 v13, 0
	s_waitcnt vmcnt(0)
	v_and_b32_e32 v12, 1, v12
	v_cmp_eq_u32_e64 s[4:5], 1, v12
	s_xor_b64 s[4:5], s[4:5], -1
	s_and_saveexec_b64 s[40:41], s[4:5]
	s_cbranch_execz .LBB715_151
; %bb.150:
	v_sub_f32_e32 v11, v11, v28
	s_mov_b32 s4, 0x3fb8aa3b
	v_mul_f32_e32 v12, 0x3fb8aa3b, v11
	v_fma_f32 v13, v11, s4, -v12
	v_rndne_f32_e32 v30, v12
	v_fmac_f32_e32 v13, 0x32a5705f, v11
	v_sub_f32_e32 v12, v12, v30
	v_add_f32_e32 v12, v12, v13
	v_exp_f32_e32 v12, v12
	v_cvt_i32_f32_e32 v13, v30
	s_mov_b32 s4, 0xc2ce8ed0
	v_cmp_ngt_f32_e64 s[4:5], s4, v11
	v_ldexp_f32 v12, v12, v13
	v_cndmask_b32_e64 v12, 0, v12, s[4:5]
	s_mov_b32 s4, 0x42b17218
	v_mov_b32_e32 v13, 0x7f800000
	v_cmp_nlt_f32_e64 s[4:5], s4, v11
	v_cndmask_b32_e64 v13, v13, v12, s[4:5]
	v_add_f32_e32 v29, v29, v13
.LBB715_151:
	s_or_b64 exec, exec, s[40:41]
.LBB715_152:
	s_or_b64 exec, exec, s[42:43]
	v_mov_b32_e32 v11, 0
	v_mov_b32_e32 v12, 0
	s_and_saveexec_b64 s[40:41], s[38:39]
	s_cbranch_execz .LBB715_156
; %bb.153:
	global_load_ubyte v12, v[2:3], off offset:448
	s_waitcnt vmcnt(0)
	v_and_b32_e32 v12, 1, v12
	v_cmp_eq_u32_e64 s[4:5], 1, v12
	s_xor_b64 s[4:5], s[4:5], -1
	v_mov_b32_e32 v12, 0
	s_and_saveexec_b64 s[38:39], s[4:5]
	s_cbranch_execz .LBB715_155
; %bb.154:
	v_sub_f32_e32 v10, v10, v28
	s_mov_b32 s4, 0x3fb8aa3b
	v_mul_f32_e32 v12, 0x3fb8aa3b, v10
	v_fma_f32 v30, v10, s4, -v12
	v_rndne_f32_e32 v31, v12
	v_fmac_f32_e32 v30, 0x32a5705f, v10
	v_sub_f32_e32 v12, v12, v31
	v_add_f32_e32 v12, v12, v30
	v_exp_f32_e32 v12, v12
	v_cvt_i32_f32_e32 v30, v31
	s_mov_b32 s4, 0xc2ce8ed0
	v_cmp_ngt_f32_e64 s[4:5], s4, v10
	v_ldexp_f32 v12, v12, v30
	v_cndmask_b32_e64 v12, 0, v12, s[4:5]
	s_mov_b32 s4, 0x42b17218
	v_mov_b32_e32 v30, 0x7f800000
	v_cmp_nlt_f32_e64 s[4:5], s4, v10
	v_cndmask_b32_e64 v12, v30, v12, s[4:5]
	v_add_f32_e32 v29, v29, v12
.LBB715_155:
	s_or_b64 exec, exec, s[38:39]
.LBB715_156:
	s_or_b64 exec, exec, s[40:41]
	s_and_saveexec_b64 s[38:39], s[30:31]
	s_cbranch_execz .LBB715_160
; %bb.157:
	global_load_ubyte v2, v[2:3], off offset:480
	v_mov_b32_e32 v11, 0
	s_waitcnt vmcnt(0)
	v_and_b32_e32 v2, 1, v2
	v_cmp_eq_u32_e64 s[4:5], 1, v2
	s_xor_b64 s[4:5], s[4:5], -1
	s_and_saveexec_b64 s[30:31], s[4:5]
	s_cbranch_execz .LBB715_159
; %bb.158:
	v_sub_f32_e32 v2, v9, v28
	s_mov_b32 s4, 0x3fb8aa3b
	v_mul_f32_e32 v3, 0x3fb8aa3b, v2
	v_fma_f32 v9, v2, s4, -v3
	v_rndne_f32_e32 v10, v3
	v_fmac_f32_e32 v9, 0x32a5705f, v2
	v_sub_f32_e32 v3, v3, v10
	v_add_f32_e32 v3, v3, v9
	v_exp_f32_e32 v3, v3
	v_cvt_i32_f32_e32 v9, v10
	s_mov_b32 s4, 0xc2ce8ed0
	v_cmp_ngt_f32_e64 s[4:5], s4, v2
	v_ldexp_f32 v3, v3, v9
	v_cndmask_b32_e64 v3, 0, v3, s[4:5]
	s_mov_b32 s4, 0x42b17218
	v_mov_b32_e32 v9, 0x7f800000
	v_cmp_nlt_f32_e64 s[4:5], s4, v2
	v_cndmask_b32_e64 v11, v9, v3, s[4:5]
	v_add_f32_e32 v29, v29, v11
.LBB715_159:
	s_or_b64 exec, exec, s[30:31]
.LBB715_160:
	s_or_b64 exec, exec, s[38:39]
	ds_bpermute_b32 v2, v5, v29
	v_cmp_lt_i32_e64 s[4:5], 0, v8
	s_waitcnt lgkmcnt(0)
	v_add_f32_e32 v2, v29, v2
	ds_bpermute_b32 v3, v6, v2
	s_waitcnt lgkmcnt(0)
	v_add_f32_e32 v2, v2, v3
	ds_bpermute_b32 v3, v7, v2
	s_waitcnt lgkmcnt(0)
	v_add_f32_e32 v2, v2, v3
	ds_bpermute_b32 v3, v26, v2
	s_waitcnt lgkmcnt(0)
	v_add_f32_e32 v2, v2, v3
	ds_bpermute_b32 v3, v27, v2
	s_and_saveexec_b64 s[30:31], s[4:5]
	s_cbranch_execz .LBB715_178
; %bb.161:
	s_and_b64 exec, exec, vcc
	s_cbranch_execz .LBB715_178
; %bb.162:
	s_waitcnt lgkmcnt(0)
	v_add_f32_e32 v2, v2, v3
	v_div_scale_f32 v5, s[4:5], v2, v2, v25
	v_rcp_f32_e32 v6, v5
	v_mov_b32_e32 v3, s37
	v_add_co_u32_e32 v0, vcc, s36, v0
	v_addc_co_u32_e32 v1, vcc, v3, v1, vcc
	v_fma_f32 v3, -v5, v6, 1.0
	v_fmac_f32_e32 v6, v3, v6
	v_div_scale_f32 v3, vcc, v25, v2, v25
	v_mul_f32_e32 v7, v3, v6
	v_fma_f32 v8, -v5, v7, v3
	v_fmac_f32_e32 v7, v8, v6
	v_fma_f32 v3, -v5, v7, v3
	v_div_fmas_f32 v3, v3, v6, v7
	v_div_fixup_f32 v5, v3, v2, v25
	v_mov_b32_e32 v3, 0x7fc00000
	v_cmp_eq_f32_e64 s[30:31], 0, v2
	v_cndmask_b32_e64 v5, v5, v3, s[30:31]
	global_store_dword v[0:1], v5, off
	s_and_b64 exec, exec, s[28:29]
	s_cbranch_execz .LBB715_178
; %bb.163:
	v_div_scale_f32 v5, s[4:5], v2, v2, v4
	v_rcp_f32_e32 v6, v5
	v_div_scale_f32 v7, vcc, v4, v2, v4
	v_fma_f32 v8, -v5, v6, 1.0
	v_fmac_f32_e32 v6, v8, v6
	v_mul_f32_e32 v8, v7, v6
	v_fma_f32 v9, -v5, v8, v7
	v_fmac_f32_e32 v8, v9, v6
	v_fma_f32 v5, -v5, v8, v7
	v_div_fmas_f32 v5, v5, v6, v8
	v_div_fixup_f32 v4, v5, v2, v4
	v_cndmask_b32_e64 v3, v4, v3, s[30:31]
	global_store_dword v[0:1], v3, off offset:128
	s_and_b64 exec, exec, s[26:27]
	s_cbranch_execz .LBB715_178
; %bb.164:
	v_div_scale_f32 v3, s[4:5], v2, v2, v24
	v_rcp_f32_e32 v4, v3
	v_div_scale_f32 v5, vcc, v24, v2, v24
	v_fma_f32 v6, -v3, v4, 1.0
	v_fmac_f32_e32 v4, v6, v4
	v_mul_f32_e32 v6, v5, v4
	v_fma_f32 v7, -v3, v6, v5
	v_fmac_f32_e32 v6, v7, v4
	v_fma_f32 v3, -v3, v6, v5
	v_div_fmas_f32 v3, v3, v4, v6
	v_div_fixup_f32 v4, v3, v2, v24
	v_mov_b32_e32 v3, 0x7fc00000
	v_cndmask_b32_e64 v4, v4, v3, s[30:31]
	global_store_dword v[0:1], v4, off offset:256
	s_and_b64 exec, exec, s[24:25]
	s_cbranch_execz .LBB715_178
; %bb.165:
	v_div_scale_f32 v4, s[4:5], v2, v2, v23
	v_rcp_f32_e32 v5, v4
	v_div_scale_f32 v6, vcc, v23, v2, v23
	v_fma_f32 v7, -v4, v5, 1.0
	v_fmac_f32_e32 v5, v7, v5
	v_mul_f32_e32 v7, v6, v5
	v_fma_f32 v8, -v4, v7, v6
	v_fmac_f32_e32 v7, v8, v5
	v_fma_f32 v4, -v4, v7, v6
	v_div_fmas_f32 v4, v4, v5, v7
	v_div_fixup_f32 v4, v4, v2, v23
	v_cndmask_b32_e64 v3, v4, v3, s[30:31]
	global_store_dword v[0:1], v3, off offset:384
	s_and_b64 exec, exec, s[22:23]
	s_cbranch_execz .LBB715_178
; %bb.166:
	v_div_scale_f32 v3, s[4:5], v2, v2, v22
	v_rcp_f32_e32 v4, v3
	v_div_scale_f32 v5, vcc, v22, v2, v22
	v_fma_f32 v6, -v3, v4, 1.0
	v_fmac_f32_e32 v4, v6, v4
	v_mul_f32_e32 v6, v5, v4
	v_fma_f32 v7, -v3, v6, v5
	v_fmac_f32_e32 v6, v7, v4
	v_fma_f32 v3, -v3, v6, v5
	v_div_fmas_f32 v3, v3, v4, v6
	v_div_fixup_f32 v4, v3, v2, v22
	v_mov_b32_e32 v3, 0x7fc00000
	v_cndmask_b32_e64 v4, v4, v3, s[30:31]
	global_store_dword v[0:1], v4, off offset:512
	;; [unrolled: 33-line block ×7, first 2 shown]
	s_and_b64 exec, exec, s[0:1]
	s_cbranch_execz .LBB715_178
; %bb.177:
	v_div_scale_f32 v4, s[0:1], v2, v2, v11
	v_rcp_f32_e32 v5, v4
	v_div_scale_f32 v6, vcc, v11, v2, v11
	v_fma_f32 v7, -v4, v5, 1.0
	v_fmac_f32_e32 v5, v7, v5
	v_mul_f32_e32 v7, v6, v5
	v_fma_f32 v8, -v4, v7, v6
	v_fmac_f32_e32 v7, v8, v5
	v_fma_f32 v4, -v4, v7, v6
	v_div_fmas_f32 v4, v4, v5, v7
	v_div_fixup_f32 v2, v4, v2, v11
	v_cndmask_b32_e64 v2, v2, v3, s[30:31]
	global_store_dword v[0:1], v2, off offset:1920
.LBB715_178:
	s_endpgm
	.section	.rodata,"a",@progbits
	.p2align	6, 0x0
	.amdhsa_kernel _ZN12_GLOBAL__N_120softmax_warp_forwardIfffLi9ELb0ELb1ELi32EEEvPT0_PKT_iiiPKbib
		.amdhsa_group_segment_fixed_size 0
		.amdhsa_private_segment_fixed_size 0
		.amdhsa_kernarg_size 304
		.amdhsa_user_sgpr_count 6
		.amdhsa_user_sgpr_private_segment_buffer 1
		.amdhsa_user_sgpr_dispatch_ptr 0
		.amdhsa_user_sgpr_queue_ptr 0
		.amdhsa_user_sgpr_kernarg_segment_ptr 1
		.amdhsa_user_sgpr_dispatch_id 0
		.amdhsa_user_sgpr_flat_scratch_init 0
		.amdhsa_user_sgpr_kernarg_preload_length 0
		.amdhsa_user_sgpr_kernarg_preload_offset 0
		.amdhsa_user_sgpr_private_segment_size 0
		.amdhsa_uses_dynamic_stack 0
		.amdhsa_system_sgpr_private_segment_wavefront_offset 0
		.amdhsa_system_sgpr_workgroup_id_x 1
		.amdhsa_system_sgpr_workgroup_id_y 0
		.amdhsa_system_sgpr_workgroup_id_z 0
		.amdhsa_system_sgpr_workgroup_info 0
		.amdhsa_system_vgpr_workitem_id 1
		.amdhsa_next_free_vgpr 32
		.amdhsa_next_free_sgpr 76
		.amdhsa_accum_offset 32
		.amdhsa_reserve_vcc 1
		.amdhsa_reserve_flat_scratch 0
		.amdhsa_float_round_mode_32 0
		.amdhsa_float_round_mode_16_64 0
		.amdhsa_float_denorm_mode_32 3
		.amdhsa_float_denorm_mode_16_64 3
		.amdhsa_dx10_clamp 1
		.amdhsa_ieee_mode 1
		.amdhsa_fp16_overflow 0
		.amdhsa_tg_split 0
		.amdhsa_exception_fp_ieee_invalid_op 0
		.amdhsa_exception_fp_denorm_src 0
		.amdhsa_exception_fp_ieee_div_zero 0
		.amdhsa_exception_fp_ieee_overflow 0
		.amdhsa_exception_fp_ieee_underflow 0
		.amdhsa_exception_fp_ieee_inexact 0
		.amdhsa_exception_int_div_zero 0
	.end_amdhsa_kernel
	.section	.text._ZN12_GLOBAL__N_120softmax_warp_forwardIfffLi9ELb0ELb1ELi32EEEvPT0_PKT_iiiPKbib,"axG",@progbits,_ZN12_GLOBAL__N_120softmax_warp_forwardIfffLi9ELb0ELb1ELi32EEEvPT0_PKT_iiiPKbib,comdat
.Lfunc_end715:
	.size	_ZN12_GLOBAL__N_120softmax_warp_forwardIfffLi9ELb0ELb1ELi32EEEvPT0_PKT_iiiPKbib, .Lfunc_end715-_ZN12_GLOBAL__N_120softmax_warp_forwardIfffLi9ELb0ELb1ELi32EEEvPT0_PKT_iiiPKbib
                                        ; -- End function
	.section	.AMDGPU.csdata,"",@progbits
; Kernel info:
; codeLenInByte = 7588
; NumSgprs: 80
; NumVgprs: 32
; NumAgprs: 0
; TotalNumVgprs: 32
; ScratchSize: 0
; MemoryBound: 0
; FloatMode: 240
; IeeeMode: 1
; LDSByteSize: 0 bytes/workgroup (compile time only)
; SGPRBlocks: 9
; VGPRBlocks: 3
; NumSGPRsForWavesPerEU: 80
; NumVGPRsForWavesPerEU: 32
; AccumOffset: 32
; Occupancy: 8
; WaveLimiterHint : 0
; COMPUTE_PGM_RSRC2:SCRATCH_EN: 0
; COMPUTE_PGM_RSRC2:USER_SGPR: 6
; COMPUTE_PGM_RSRC2:TRAP_HANDLER: 0
; COMPUTE_PGM_RSRC2:TGID_X_EN: 1
; COMPUTE_PGM_RSRC2:TGID_Y_EN: 0
; COMPUTE_PGM_RSRC2:TGID_Z_EN: 0
; COMPUTE_PGM_RSRC2:TIDIG_COMP_CNT: 1
; COMPUTE_PGM_RSRC3_GFX90A:ACCUM_OFFSET: 7
; COMPUTE_PGM_RSRC3_GFX90A:TG_SPLIT: 0
	.section	.text._ZN12_GLOBAL__N_120softmax_warp_forwardIfffLi10ELb0ELb1ELi64EEEvPT0_PKT_iiiPKbib,"axG",@progbits,_ZN12_GLOBAL__N_120softmax_warp_forwardIfffLi10ELb0ELb1ELi64EEEvPT0_PKT_iiiPKbib,comdat
	.globl	_ZN12_GLOBAL__N_120softmax_warp_forwardIfffLi10ELb0ELb1ELi64EEEvPT0_PKT_iiiPKbib ; -- Begin function _ZN12_GLOBAL__N_120softmax_warp_forwardIfffLi10ELb0ELb1ELi64EEEvPT0_PKT_iiiPKbib
	.p2align	8
	.type	_ZN12_GLOBAL__N_120softmax_warp_forwardIfffLi10ELb0ELb1ELi64EEEvPT0_PKT_iiiPKbib,@function
_ZN12_GLOBAL__N_120softmax_warp_forwardIfffLi10ELb0ELb1ELi64EEEvPT0_PKT_iiiPKbib: ; @_ZN12_GLOBAL__N_120softmax_warp_forwardIfffLi10ELb0ELb1ELi64EEEvPT0_PKT_iiiPKbib
; %bb.0:
	s_load_dword s2, s[4:5], 0x3c
	s_load_dwordx4 s[40:43], s[4:5], 0x10
	s_load_dwordx2 s[0:1], s[4:5], 0x28
	v_bfe_u32 v1, v0, 10, 10
	v_and_b32_e32 v2, 0x3ff, v0
	s_waitcnt lgkmcnt(0)
	s_lshr_b32 s2, s2, 16
	s_mul_i32 s6, s6, s2
	v_add_u32_e32 v3, s6, v1
	v_mul_lo_u32 v6, v3, s41
	v_add_u32_e32 v0, v6, v2
	v_ashrrev_i32_e32 v1, 31, v0
	s_bitcmp0_b32 s1, 0
	v_pk_mov_b32 v[4:5], v[0:1], v[0:1] op_sel:[0,1]
	s_cbranch_scc1 .LBB716_2
; %bb.1:
	s_abs_i32 s1, s0
	v_cvt_f32_u32_e32 v4, s1
	v_xor_b32_e32 v5, s0, v6
	v_sub_u32_e32 v7, 0, v6
	s_sub_i32 s0, 0, s1
	v_rcp_iflag_f32_e32 v4, v4
	v_max_i32_e32 v6, v6, v7
	v_ashrrev_i32_e32 v5, 31, v5
	v_mul_f32_e32 v4, 0x4f7ffffe, v4
	v_cvt_u32_f32_e32 v4, v4
	v_mul_lo_u32 v7, s0, v4
	v_mul_hi_u32 v7, v4, v7
	v_add_u32_e32 v4, v4, v7
	v_mul_hi_u32 v4, v6, v4
	v_mul_lo_u32 v7, v4, s1
	v_sub_u32_e32 v6, v6, v7
	v_add_u32_e32 v8, 1, v4
	v_cmp_le_u32_e32 vcc, s1, v6
	v_subrev_u32_e32 v7, s1, v6
	v_cndmask_b32_e32 v4, v4, v8, vcc
	v_cndmask_b32_e32 v6, v6, v7, vcc
	v_add_u32_e32 v7, 1, v4
	v_cmp_le_u32_e32 vcc, s1, v6
	v_cndmask_b32_e32 v4, v4, v7, vcc
	v_xor_b32_e32 v4, v4, v5
	v_sub_u32_e32 v4, v4, v5
	v_mad_u64_u32 v[4:5], s[0:1], v4, s41, v[2:3]
	v_ashrrev_i32_e32 v5, 31, v4
.LBB716_2:
	s_load_dwordx4 s[36:39], s[4:5], 0x0
	v_lshlrev_b64 v[0:1], 2, v[0:1]
	v_sub_u32_e32 v8, s40, v3
	v_cmp_lt_i32_e64 s[30:31], 0, v8
	v_mov_b32_e32 v23, 0xff800000
	s_waitcnt lgkmcnt(0)
	v_mov_b32_e32 v3, s39
	v_add_co_u32_e32 v6, vcc, s38, v0
	v_addc_co_u32_e32 v7, vcc, v3, v1, vcc
	v_cmp_gt_i32_e32 vcc, s42, v2
	s_and_b64 s[68:69], s[30:31], vcc
	v_mov_b32_e32 v24, 0xff800000
	s_and_saveexec_b64 s[0:1], s[68:69]
	s_cbranch_execz .LBB716_4
; %bb.3:
	global_load_dword v24, v[6:7], off
.LBB716_4:
	s_or_b64 exec, exec, s[0:1]
	v_add_u32_e32 v3, 64, v2
	v_cmp_gt_i32_e64 s[28:29], s42, v3
	s_and_b64 s[66:67], s[30:31], s[28:29]
	s_and_saveexec_b64 s[0:1], s[66:67]
	s_cbranch_execz .LBB716_6
; %bb.5:
	global_load_dword v23, v[6:7], off offset:256
.LBB716_6:
	s_or_b64 exec, exec, s[0:1]
	v_add_u32_e32 v3, 0x80, v2
	v_cmp_gt_i32_e64 s[26:27], s42, v3
	s_and_b64 s[64:65], s[30:31], s[26:27]
	v_mov_b32_e32 v21, 0xff800000
	v_mov_b32_e32 v22, 0xff800000
	s_and_saveexec_b64 s[0:1], s[64:65]
	s_cbranch_execz .LBB716_8
; %bb.7:
	global_load_dword v22, v[6:7], off offset:512
.LBB716_8:
	s_or_b64 exec, exec, s[0:1]
	v_add_u32_e32 v3, 0xc0, v2
	v_cmp_gt_i32_e64 s[24:25], s42, v3
	s_and_b64 s[62:63], s[30:31], s[24:25]
	s_and_saveexec_b64 s[0:1], s[62:63]
	s_cbranch_execz .LBB716_10
; %bb.9:
	global_load_dword v21, v[6:7], off offset:768
.LBB716_10:
	s_or_b64 exec, exec, s[0:1]
	v_add_u32_e32 v3, 0x100, v2
	v_cmp_gt_i32_e64 s[22:23], s42, v3
	s_and_b64 s[60:61], s[30:31], s[22:23]
	v_mov_b32_e32 v19, 0xff800000
	v_mov_b32_e32 v20, 0xff800000
	s_and_saveexec_b64 s[0:1], s[60:61]
	s_cbranch_execz .LBB716_12
; %bb.11:
	global_load_dword v20, v[6:7], off offset:1024
.LBB716_12:
	;; [unrolled: 20-line block ×7, first 2 shown]
	s_or_b64 exec, exec, s[0:1]
	v_add_u32_e32 v2, 0x3c0, v2
	v_cmp_gt_i32_e64 s[0:1], s42, v2
	s_and_b64 s[30:31], s[30:31], s[0:1]
	s_and_saveexec_b64 s[42:43], s[30:31]
	s_cbranch_execz .LBB716_34
; %bb.33:
	global_load_dword v9, v[6:7], off offset:3840
.LBB716_34:
	s_or_b64 exec, exec, s[42:43]
	s_load_dwordx2 s[4:5], s[4:5], 0x20
	s_mov_b64 s[42:43], 0
	s_waitcnt lgkmcnt(0)
	v_mov_b32_e32 v3, s5
	v_add_co_u32_e64 v2, s[4:5], s4, v4
	v_addc_co_u32_e64 v3, s[4:5], v3, v5, s[4:5]
	s_and_saveexec_b64 s[70:71], s[68:69]
	s_cbranch_execnz .LBB716_50
; %bb.35:
	s_or_b64 exec, exec, s[70:71]
	s_waitcnt vmcnt(0)
	v_mov_b32_e32 v4, v24
	s_and_saveexec_b64 s[70:71], s[66:67]
	s_cbranch_execnz .LBB716_51
.LBB716_36:
	s_or_b64 exec, exec, s[70:71]
	s_and_saveexec_b64 s[70:71], s[64:65]
	s_cbranch_execnz .LBB716_54
.LBB716_37:
	s_or_b64 exec, exec, s[70:71]
	s_and_saveexec_b64 s[70:71], s[62:63]
	s_cbranch_execnz .LBB716_57
.LBB716_38:
	s_or_b64 exec, exec, s[70:71]
	s_and_saveexec_b64 s[70:71], s[60:61]
	s_cbranch_execnz .LBB716_60
.LBB716_39:
	s_or_b64 exec, exec, s[70:71]
	s_and_saveexec_b64 s[70:71], s[58:59]
	s_cbranch_execnz .LBB716_63
.LBB716_40:
	s_or_b64 exec, exec, s[70:71]
	s_and_saveexec_b64 s[70:71], s[56:57]
	s_cbranch_execnz .LBB716_66
.LBB716_41:
	s_or_b64 exec, exec, s[70:71]
	s_and_saveexec_b64 s[70:71], s[54:55]
	s_cbranch_execnz .LBB716_69
.LBB716_42:
	s_or_b64 exec, exec, s[70:71]
	s_and_saveexec_b64 s[70:71], s[52:53]
	s_cbranch_execnz .LBB716_72
.LBB716_43:
	s_or_b64 exec, exec, s[70:71]
	s_and_saveexec_b64 s[70:71], s[50:51]
	s_cbranch_execnz .LBB716_75
.LBB716_44:
	s_or_b64 exec, exec, s[70:71]
	s_and_saveexec_b64 s[70:71], s[48:49]
	s_cbranch_execnz .LBB716_78
.LBB716_45:
	s_or_b64 exec, exec, s[70:71]
	s_and_saveexec_b64 s[70:71], s[46:47]
	s_cbranch_execnz .LBB716_81
.LBB716_46:
	s_or_b64 exec, exec, s[70:71]
	s_and_saveexec_b64 s[70:71], s[44:45]
	s_cbranch_execnz .LBB716_84
.LBB716_47:
	s_or_b64 exec, exec, s[70:71]
	s_and_saveexec_b64 s[70:71], s[40:41]
	s_cbranch_execnz .LBB716_87
.LBB716_48:
	s_or_b64 exec, exec, s[70:71]
	s_and_saveexec_b64 s[70:71], s[38:39]
	s_cbranch_execnz .LBB716_90
.LBB716_49:
	s_or_b64 exec, exec, s[70:71]
	s_and_saveexec_b64 s[70:71], s[30:31]
	s_cbranch_execnz .LBB716_93
	s_branch .LBB716_96
.LBB716_50:
	global_load_ubyte v4, v[2:3], off
	s_waitcnt vmcnt(0)
	v_and_b32_e32 v4, 1, v4
	v_cmp_eq_u32_e64 s[4:5], 1, v4
	s_xor_b64 s[4:5], s[4:5], -1
	s_and_b64 s[42:43], s[4:5], exec
	s_or_b64 exec, exec, s[70:71]
	v_mov_b32_e32 v4, v24
	s_and_saveexec_b64 s[70:71], s[66:67]
	s_cbranch_execz .LBB716_36
.LBB716_51:
	global_load_ubyte v4, v[2:3], off offset:64
	s_mov_b64 s[72:73], s[42:43]
	s_waitcnt vmcnt(0)
	v_and_b32_e32 v4, 1, v4
	v_cmp_eq_u32_e64 s[4:5], 1, v4
	s_xor_b64 s[4:5], s[4:5], -1
	v_mov_b32_e32 v4, v24
	s_and_saveexec_b64 s[74:75], s[4:5]
; %bb.52:
	v_cmp_gt_f32_e64 s[4:5], v24, v23
	s_and_b64 s[4:5], s[42:43], s[4:5]
	v_cndmask_b32_e64 v4, v23, v24, s[4:5]
	s_or_b64 s[72:73], s[42:43], exec
; %bb.53:
	s_or_b64 exec, exec, s[74:75]
	s_andn2_b64 s[4:5], s[42:43], exec
	s_and_b64 s[42:43], s[72:73], exec
	s_or_b64 s[42:43], s[4:5], s[42:43]
	s_or_b64 exec, exec, s[70:71]
	s_and_saveexec_b64 s[70:71], s[64:65]
	s_cbranch_execz .LBB716_37
.LBB716_54:
	global_load_ubyte v5, v[2:3], off offset:128
	s_waitcnt vmcnt(0)
	v_and_b32_e32 v5, 1, v5
	v_cmp_eq_u32_e64 s[4:5], 1, v5
	s_xor_b64 s[74:75], s[4:5], -1
	s_mov_b64 s[4:5], s[42:43]
	s_and_saveexec_b64 s[72:73], s[74:75]
; %bb.55:
	v_cmp_gt_f32_e64 s[4:5], v4, v22
	s_and_b64 s[4:5], s[42:43], s[4:5]
	v_cndmask_b32_e64 v4, v22, v4, s[4:5]
	s_or_b64 s[4:5], s[42:43], exec
; %bb.56:
	s_or_b64 exec, exec, s[72:73]
	s_andn2_b64 s[42:43], s[42:43], exec
	s_and_b64 s[4:5], s[4:5], exec
	s_or_b64 s[42:43], s[42:43], s[4:5]
	s_or_b64 exec, exec, s[70:71]
	s_and_saveexec_b64 s[70:71], s[62:63]
	s_cbranch_execz .LBB716_38
.LBB716_57:
	global_load_ubyte v5, v[2:3], off offset:192
	s_waitcnt vmcnt(0)
	v_and_b32_e32 v5, 1, v5
	v_cmp_eq_u32_e64 s[4:5], 1, v5
	s_xor_b64 s[74:75], s[4:5], -1
	s_mov_b64 s[4:5], s[42:43]
	s_and_saveexec_b64 s[72:73], s[74:75]
; %bb.58:
	v_cmp_gt_f32_e64 s[4:5], v4, v21
	s_and_b64 s[4:5], s[42:43], s[4:5]
	v_cndmask_b32_e64 v4, v21, v4, s[4:5]
	s_or_b64 s[4:5], s[42:43], exec
; %bb.59:
	s_or_b64 exec, exec, s[72:73]
	s_andn2_b64 s[42:43], s[42:43], exec
	s_and_b64 s[4:5], s[4:5], exec
	s_or_b64 s[42:43], s[42:43], s[4:5]
	s_or_b64 exec, exec, s[70:71]
	s_and_saveexec_b64 s[70:71], s[60:61]
	s_cbranch_execz .LBB716_39
.LBB716_60:
	global_load_ubyte v5, v[2:3], off offset:256
	s_waitcnt vmcnt(0)
	v_and_b32_e32 v5, 1, v5
	v_cmp_eq_u32_e64 s[4:5], 1, v5
	s_xor_b64 s[74:75], s[4:5], -1
	s_mov_b64 s[4:5], s[42:43]
	s_and_saveexec_b64 s[72:73], s[74:75]
; %bb.61:
	v_cmp_gt_f32_e64 s[4:5], v4, v20
	s_and_b64 s[4:5], s[42:43], s[4:5]
	v_cndmask_b32_e64 v4, v20, v4, s[4:5]
	s_or_b64 s[4:5], s[42:43], exec
; %bb.62:
	s_or_b64 exec, exec, s[72:73]
	s_andn2_b64 s[42:43], s[42:43], exec
	s_and_b64 s[4:5], s[4:5], exec
	s_or_b64 s[42:43], s[42:43], s[4:5]
	s_or_b64 exec, exec, s[70:71]
	s_and_saveexec_b64 s[70:71], s[58:59]
	s_cbranch_execz .LBB716_40
.LBB716_63:
	global_load_ubyte v5, v[2:3], off offset:320
	s_waitcnt vmcnt(0)
	v_and_b32_e32 v5, 1, v5
	v_cmp_eq_u32_e64 s[4:5], 1, v5
	s_xor_b64 s[74:75], s[4:5], -1
	s_mov_b64 s[4:5], s[42:43]
	s_and_saveexec_b64 s[72:73], s[74:75]
; %bb.64:
	v_cmp_gt_f32_e64 s[4:5], v4, v19
	s_and_b64 s[4:5], s[42:43], s[4:5]
	v_cndmask_b32_e64 v4, v19, v4, s[4:5]
	s_or_b64 s[4:5], s[42:43], exec
; %bb.65:
	s_or_b64 exec, exec, s[72:73]
	s_andn2_b64 s[42:43], s[42:43], exec
	s_and_b64 s[4:5], s[4:5], exec
	s_or_b64 s[42:43], s[42:43], s[4:5]
	s_or_b64 exec, exec, s[70:71]
	s_and_saveexec_b64 s[70:71], s[56:57]
	s_cbranch_execz .LBB716_41
.LBB716_66:
	global_load_ubyte v5, v[2:3], off offset:384
	s_waitcnt vmcnt(0)
	v_and_b32_e32 v5, 1, v5
	v_cmp_eq_u32_e64 s[4:5], 1, v5
	s_xor_b64 s[74:75], s[4:5], -1
	s_mov_b64 s[4:5], s[42:43]
	s_and_saveexec_b64 s[72:73], s[74:75]
; %bb.67:
	v_cmp_gt_f32_e64 s[4:5], v4, v18
	s_and_b64 s[4:5], s[42:43], s[4:5]
	v_cndmask_b32_e64 v4, v18, v4, s[4:5]
	s_or_b64 s[4:5], s[42:43], exec
; %bb.68:
	s_or_b64 exec, exec, s[72:73]
	s_andn2_b64 s[42:43], s[42:43], exec
	s_and_b64 s[4:5], s[4:5], exec
	s_or_b64 s[42:43], s[42:43], s[4:5]
	s_or_b64 exec, exec, s[70:71]
	s_and_saveexec_b64 s[70:71], s[54:55]
	s_cbranch_execz .LBB716_42
.LBB716_69:
	global_load_ubyte v5, v[2:3], off offset:448
	s_waitcnt vmcnt(0)
	v_and_b32_e32 v5, 1, v5
	v_cmp_eq_u32_e64 s[4:5], 1, v5
	s_xor_b64 s[74:75], s[4:5], -1
	s_mov_b64 s[4:5], s[42:43]
	s_and_saveexec_b64 s[72:73], s[74:75]
; %bb.70:
	v_cmp_gt_f32_e64 s[4:5], v4, v17
	s_and_b64 s[4:5], s[42:43], s[4:5]
	v_cndmask_b32_e64 v4, v17, v4, s[4:5]
	s_or_b64 s[4:5], s[42:43], exec
; %bb.71:
	s_or_b64 exec, exec, s[72:73]
	s_andn2_b64 s[42:43], s[42:43], exec
	s_and_b64 s[4:5], s[4:5], exec
	s_or_b64 s[42:43], s[42:43], s[4:5]
	s_or_b64 exec, exec, s[70:71]
	s_and_saveexec_b64 s[70:71], s[52:53]
	s_cbranch_execz .LBB716_43
.LBB716_72:
	global_load_ubyte v5, v[2:3], off offset:512
	s_waitcnt vmcnt(0)
	v_and_b32_e32 v5, 1, v5
	v_cmp_eq_u32_e64 s[4:5], 1, v5
	s_xor_b64 s[74:75], s[4:5], -1
	s_mov_b64 s[4:5], s[42:43]
	s_and_saveexec_b64 s[72:73], s[74:75]
; %bb.73:
	v_cmp_gt_f32_e64 s[4:5], v4, v16
	s_and_b64 s[4:5], s[42:43], s[4:5]
	v_cndmask_b32_e64 v4, v16, v4, s[4:5]
	s_or_b64 s[4:5], s[42:43], exec
; %bb.74:
	s_or_b64 exec, exec, s[72:73]
	s_andn2_b64 s[42:43], s[42:43], exec
	s_and_b64 s[4:5], s[4:5], exec
	s_or_b64 s[42:43], s[42:43], s[4:5]
	s_or_b64 exec, exec, s[70:71]
	s_and_saveexec_b64 s[70:71], s[50:51]
	s_cbranch_execz .LBB716_44
.LBB716_75:
	global_load_ubyte v5, v[2:3], off offset:576
	s_waitcnt vmcnt(0)
	v_and_b32_e32 v5, 1, v5
	v_cmp_eq_u32_e64 s[4:5], 1, v5
	s_xor_b64 s[74:75], s[4:5], -1
	s_mov_b64 s[4:5], s[42:43]
	s_and_saveexec_b64 s[72:73], s[74:75]
; %bb.76:
	v_cmp_gt_f32_e64 s[4:5], v4, v15
	s_and_b64 s[4:5], s[42:43], s[4:5]
	v_cndmask_b32_e64 v4, v15, v4, s[4:5]
	s_or_b64 s[4:5], s[42:43], exec
; %bb.77:
	s_or_b64 exec, exec, s[72:73]
	s_andn2_b64 s[42:43], s[42:43], exec
	s_and_b64 s[4:5], s[4:5], exec
	s_or_b64 s[42:43], s[42:43], s[4:5]
	s_or_b64 exec, exec, s[70:71]
	s_and_saveexec_b64 s[70:71], s[48:49]
	s_cbranch_execz .LBB716_45
.LBB716_78:
	global_load_ubyte v5, v[2:3], off offset:640
	s_waitcnt vmcnt(0)
	v_and_b32_e32 v5, 1, v5
	v_cmp_eq_u32_e64 s[4:5], 1, v5
	s_xor_b64 s[74:75], s[4:5], -1
	s_mov_b64 s[4:5], s[42:43]
	s_and_saveexec_b64 s[72:73], s[74:75]
; %bb.79:
	v_cmp_gt_f32_e64 s[4:5], v4, v14
	s_and_b64 s[4:5], s[42:43], s[4:5]
	v_cndmask_b32_e64 v4, v14, v4, s[4:5]
	s_or_b64 s[4:5], s[42:43], exec
; %bb.80:
	s_or_b64 exec, exec, s[72:73]
	s_andn2_b64 s[42:43], s[42:43], exec
	s_and_b64 s[4:5], s[4:5], exec
	s_or_b64 s[42:43], s[42:43], s[4:5]
	s_or_b64 exec, exec, s[70:71]
	s_and_saveexec_b64 s[70:71], s[46:47]
	s_cbranch_execz .LBB716_46
.LBB716_81:
	global_load_ubyte v5, v[2:3], off offset:704
	s_waitcnt vmcnt(0)
	v_and_b32_e32 v5, 1, v5
	v_cmp_eq_u32_e64 s[4:5], 1, v5
	s_xor_b64 s[74:75], s[4:5], -1
	s_mov_b64 s[4:5], s[42:43]
	s_and_saveexec_b64 s[72:73], s[74:75]
; %bb.82:
	v_cmp_gt_f32_e64 s[4:5], v4, v13
	s_and_b64 s[4:5], s[42:43], s[4:5]
	v_cndmask_b32_e64 v4, v13, v4, s[4:5]
	s_or_b64 s[4:5], s[42:43], exec
; %bb.83:
	s_or_b64 exec, exec, s[72:73]
	s_andn2_b64 s[42:43], s[42:43], exec
	s_and_b64 s[4:5], s[4:5], exec
	s_or_b64 s[42:43], s[42:43], s[4:5]
	s_or_b64 exec, exec, s[70:71]
	s_and_saveexec_b64 s[70:71], s[44:45]
	s_cbranch_execz .LBB716_47
.LBB716_84:
	global_load_ubyte v5, v[2:3], off offset:768
	s_waitcnt vmcnt(0)
	v_and_b32_e32 v5, 1, v5
	v_cmp_eq_u32_e64 s[4:5], 1, v5
	s_xor_b64 s[74:75], s[4:5], -1
	s_mov_b64 s[4:5], s[42:43]
	s_and_saveexec_b64 s[72:73], s[74:75]
; %bb.85:
	v_cmp_gt_f32_e64 s[4:5], v4, v12
	s_and_b64 s[4:5], s[42:43], s[4:5]
	v_cndmask_b32_e64 v4, v12, v4, s[4:5]
	s_or_b64 s[4:5], s[42:43], exec
; %bb.86:
	s_or_b64 exec, exec, s[72:73]
	s_andn2_b64 s[42:43], s[42:43], exec
	s_and_b64 s[4:5], s[4:5], exec
	s_or_b64 s[42:43], s[42:43], s[4:5]
	s_or_b64 exec, exec, s[70:71]
	s_and_saveexec_b64 s[70:71], s[40:41]
	s_cbranch_execz .LBB716_48
.LBB716_87:
	global_load_ubyte v5, v[2:3], off offset:832
	s_waitcnt vmcnt(0)
	v_and_b32_e32 v5, 1, v5
	v_cmp_eq_u32_e64 s[4:5], 1, v5
	s_xor_b64 s[74:75], s[4:5], -1
	s_mov_b64 s[4:5], s[42:43]
	s_and_saveexec_b64 s[72:73], s[74:75]
; %bb.88:
	v_cmp_gt_f32_e64 s[4:5], v4, v11
	s_and_b64 s[4:5], s[42:43], s[4:5]
	v_cndmask_b32_e64 v4, v11, v4, s[4:5]
	s_or_b64 s[4:5], s[42:43], exec
; %bb.89:
	s_or_b64 exec, exec, s[72:73]
	s_andn2_b64 s[42:43], s[42:43], exec
	s_and_b64 s[4:5], s[4:5], exec
	s_or_b64 s[42:43], s[42:43], s[4:5]
	s_or_b64 exec, exec, s[70:71]
	s_and_saveexec_b64 s[70:71], s[38:39]
	s_cbranch_execz .LBB716_49
.LBB716_90:
	global_load_ubyte v5, v[2:3], off offset:896
	s_waitcnt vmcnt(0)
	v_and_b32_e32 v5, 1, v5
	v_cmp_eq_u32_e64 s[4:5], 1, v5
	s_xor_b64 s[74:75], s[4:5], -1
	s_mov_b64 s[4:5], s[42:43]
	s_and_saveexec_b64 s[72:73], s[74:75]
; %bb.91:
	v_cmp_gt_f32_e64 s[4:5], v4, v10
	s_and_b64 s[4:5], s[42:43], s[4:5]
	v_cndmask_b32_e64 v4, v10, v4, s[4:5]
	s_or_b64 s[4:5], s[42:43], exec
; %bb.92:
	s_or_b64 exec, exec, s[72:73]
	s_andn2_b64 s[42:43], s[42:43], exec
	s_and_b64 s[4:5], s[4:5], exec
	s_or_b64 s[42:43], s[42:43], s[4:5]
	s_or_b64 exec, exec, s[70:71]
	s_and_saveexec_b64 s[70:71], s[30:31]
	s_cbranch_execz .LBB716_96
.LBB716_93:
	global_load_ubyte v5, v[2:3], off offset:960
	s_waitcnt vmcnt(0)
	v_and_b32_e32 v5, 1, v5
	v_cmp_eq_u32_e64 s[4:5], 1, v5
	s_xor_b64 s[74:75], s[4:5], -1
	s_mov_b64 s[4:5], s[42:43]
	s_and_saveexec_b64 s[72:73], s[74:75]
; %bb.94:
	v_cmp_gt_f32_e64 s[4:5], v4, v9
	s_and_b64 s[4:5], s[42:43], s[4:5]
	v_cndmask_b32_e64 v4, v9, v4, s[4:5]
	s_or_b64 s[4:5], s[42:43], exec
; %bb.95:
	s_or_b64 exec, exec, s[72:73]
	s_andn2_b64 s[42:43], s[42:43], exec
	s_and_b64 s[4:5], s[4:5], exec
	s_or_b64 s[42:43], s[42:43], s[4:5]
.LBB716_96:
	s_or_b64 exec, exec, s[70:71]
	v_mov_b32_e32 v5, 0xff800000
	v_cndmask_b32_e64 v4, v5, v4, s[42:43]
	v_mbcnt_lo_u32_b32 v5, -1, 0
	v_mbcnt_hi_u32_b32 v26, -1, v5
	v_and_b32_e32 v5, 64, v26
	v_add_u32_e32 v28, 64, v5
	v_xor_b32_e32 v5, 32, v26
	v_cmp_lt_i32_e64 s[4:5], v5, v28
	v_cndmask_b32_e64 v5, v26, v5, s[4:5]
	v_lshlrev_b32_e32 v5, 2, v5
	ds_bpermute_b32 v6, v5, v4
	s_waitcnt lgkmcnt(0)
	v_cmp_lt_f32_e64 s[4:5], v4, v6
	v_cndmask_b32_e64 v4, v4, v6, s[4:5]
	v_xor_b32_e32 v6, 16, v26
	v_cmp_lt_i32_e64 s[4:5], v6, v28
	v_cndmask_b32_e64 v6, v26, v6, s[4:5]
	v_lshlrev_b32_e32 v6, 2, v6
	ds_bpermute_b32 v7, v6, v4
	s_waitcnt lgkmcnt(0)
	v_cmp_lt_f32_e64 s[4:5], v4, v7
	v_cndmask_b32_e64 v4, v4, v7, s[4:5]
	;; [unrolled: 8-line block ×6, first 2 shown]
	v_mov_b32_e32 v4, 0
	v_mov_b32_e32 v26, 0
	s_and_saveexec_b64 s[42:43], s[68:69]
	s_cbranch_execz .LBB716_100
; %bb.97:
	global_load_ubyte v26, v[2:3], off
	s_waitcnt vmcnt(0)
	v_and_b32_e32 v26, 1, v26
	v_cmp_eq_u32_e64 s[4:5], 1, v26
	s_xor_b64 s[4:5], s[4:5], -1
	v_mov_b32_e32 v26, 0
	s_and_saveexec_b64 s[68:69], s[4:5]
	s_cbranch_execz .LBB716_99
; %bb.98:
	v_sub_f32_e32 v24, v24, v29
	s_mov_b32 s4, 0x3fb8aa3b
	v_mul_f32_e32 v26, 0x3fb8aa3b, v24
	v_fma_f32 v30, v24, s4, -v26
	v_rndne_f32_e32 v31, v26
	v_fmac_f32_e32 v30, 0x32a5705f, v24
	v_sub_f32_e32 v26, v26, v31
	v_add_f32_e32 v26, v26, v30
	v_exp_f32_e32 v26, v26
	v_cvt_i32_f32_e32 v30, v31
	s_mov_b32 s4, 0xc2ce8ed0
	v_cmp_ngt_f32_e64 s[4:5], s4, v24
	v_ldexp_f32 v26, v26, v30
	v_cndmask_b32_e64 v26, 0, v26, s[4:5]
	s_mov_b32 s4, 0x42b17218
	v_mov_b32_e32 v30, 0x7f800000
	v_cmp_nlt_f32_e64 s[4:5], s4, v24
	v_cndmask_b32_e64 v26, v30, v26, s[4:5]
.LBB716_99:
	s_or_b64 exec, exec, s[68:69]
.LBB716_100:
	s_or_b64 exec, exec, s[42:43]
	v_mov_b32_e32 v30, v26
	s_and_saveexec_b64 s[42:43], s[66:67]
	s_cbranch_execz .LBB716_104
; %bb.101:
	global_load_ubyte v24, v[2:3], off offset:64
	v_mov_b32_e32 v4, 0
	v_mov_b32_e32 v30, v26
	s_waitcnt vmcnt(0)
	v_and_b32_e32 v24, 1, v24
	v_cmp_eq_u32_e64 s[4:5], 1, v24
	s_xor_b64 s[4:5], s[4:5], -1
	s_and_saveexec_b64 s[66:67], s[4:5]
	s_cbranch_execz .LBB716_103
; %bb.102:
	v_sub_f32_e32 v4, v23, v29
	s_mov_b32 s4, 0x3fb8aa3b
	v_mul_f32_e32 v23, 0x3fb8aa3b, v4
	v_fma_f32 v24, v4, s4, -v23
	v_rndne_f32_e32 v30, v23
	v_fmac_f32_e32 v24, 0x32a5705f, v4
	v_sub_f32_e32 v23, v23, v30
	v_add_f32_e32 v23, v23, v24
	v_exp_f32_e32 v23, v23
	v_cvt_i32_f32_e32 v24, v30
	s_mov_b32 s4, 0xc2ce8ed0
	v_cmp_ngt_f32_e64 s[4:5], s4, v4
	v_ldexp_f32 v23, v23, v24
	v_cndmask_b32_e64 v23, 0, v23, s[4:5]
	s_mov_b32 s4, 0x42b17218
	v_mov_b32_e32 v24, 0x7f800000
	v_cmp_nlt_f32_e64 s[4:5], s4, v4
	v_cndmask_b32_e64 v4, v24, v23, s[4:5]
	v_add_f32_e32 v30, v26, v4
.LBB716_103:
	s_or_b64 exec, exec, s[66:67]
.LBB716_104:
	s_or_b64 exec, exec, s[42:43]
	v_mov_b32_e32 v23, 0
	v_mov_b32_e32 v24, 0
	s_and_saveexec_b64 s[42:43], s[64:65]
	s_cbranch_execz .LBB716_108
; %bb.105:
	global_load_ubyte v24, v[2:3], off offset:128
	s_waitcnt vmcnt(0)
	v_and_b32_e32 v24, 1, v24
	v_cmp_eq_u32_e64 s[4:5], 1, v24
	s_xor_b64 s[4:5], s[4:5], -1
	v_mov_b32_e32 v24, 0
	s_and_saveexec_b64 s[64:65], s[4:5]
	s_cbranch_execz .LBB716_107
; %bb.106:
	v_sub_f32_e32 v22, v22, v29
	s_mov_b32 s4, 0x3fb8aa3b
	v_mul_f32_e32 v24, 0x3fb8aa3b, v22
	v_fma_f32 v31, v22, s4, -v24
	v_rndne_f32_e32 v32, v24
	v_fmac_f32_e32 v31, 0x32a5705f, v22
	v_sub_f32_e32 v24, v24, v32
	v_add_f32_e32 v24, v24, v31
	v_exp_f32_e32 v24, v24
	v_cvt_i32_f32_e32 v31, v32
	s_mov_b32 s4, 0xc2ce8ed0
	v_cmp_ngt_f32_e64 s[4:5], s4, v22
	v_ldexp_f32 v24, v24, v31
	v_cndmask_b32_e64 v24, 0, v24, s[4:5]
	s_mov_b32 s4, 0x42b17218
	v_mov_b32_e32 v31, 0x7f800000
	v_cmp_nlt_f32_e64 s[4:5], s4, v22
	v_cndmask_b32_e64 v24, v31, v24, s[4:5]
	v_add_f32_e32 v30, v30, v24
.LBB716_107:
	s_or_b64 exec, exec, s[64:65]
.LBB716_108:
	s_or_b64 exec, exec, s[42:43]
	s_and_saveexec_b64 s[42:43], s[62:63]
	s_cbranch_execz .LBB716_112
; %bb.109:
	global_load_ubyte v22, v[2:3], off offset:192
	v_mov_b32_e32 v23, 0
	s_waitcnt vmcnt(0)
	v_and_b32_e32 v22, 1, v22
	v_cmp_eq_u32_e64 s[4:5], 1, v22
	s_xor_b64 s[4:5], s[4:5], -1
	s_and_saveexec_b64 s[62:63], s[4:5]
	s_cbranch_execz .LBB716_111
; %bb.110:
	v_sub_f32_e32 v21, v21, v29
	s_mov_b32 s4, 0x3fb8aa3b
	v_mul_f32_e32 v22, 0x3fb8aa3b, v21
	v_fma_f32 v23, v21, s4, -v22
	v_rndne_f32_e32 v31, v22
	v_fmac_f32_e32 v23, 0x32a5705f, v21
	v_sub_f32_e32 v22, v22, v31
	v_add_f32_e32 v22, v22, v23
	v_exp_f32_e32 v22, v22
	v_cvt_i32_f32_e32 v23, v31
	s_mov_b32 s4, 0xc2ce8ed0
	v_cmp_ngt_f32_e64 s[4:5], s4, v21
	v_ldexp_f32 v22, v22, v23
	v_cndmask_b32_e64 v22, 0, v22, s[4:5]
	s_mov_b32 s4, 0x42b17218
	v_mov_b32_e32 v23, 0x7f800000
	v_cmp_nlt_f32_e64 s[4:5], s4, v21
	v_cndmask_b32_e64 v23, v23, v22, s[4:5]
	v_add_f32_e32 v30, v30, v23
.LBB716_111:
	s_or_b64 exec, exec, s[62:63]
.LBB716_112:
	s_or_b64 exec, exec, s[42:43]
	v_mov_b32_e32 v21, 0
	v_mov_b32_e32 v22, 0
	s_and_saveexec_b64 s[42:43], s[60:61]
	s_cbranch_execz .LBB716_116
; %bb.113:
	global_load_ubyte v22, v[2:3], off offset:256
	s_waitcnt vmcnt(0)
	v_and_b32_e32 v22, 1, v22
	v_cmp_eq_u32_e64 s[4:5], 1, v22
	s_xor_b64 s[4:5], s[4:5], -1
	v_mov_b32_e32 v22, 0
	s_and_saveexec_b64 s[60:61], s[4:5]
	s_cbranch_execz .LBB716_115
; %bb.114:
	v_sub_f32_e32 v20, v20, v29
	s_mov_b32 s4, 0x3fb8aa3b
	v_mul_f32_e32 v22, 0x3fb8aa3b, v20
	v_fma_f32 v31, v20, s4, -v22
	v_rndne_f32_e32 v32, v22
	v_fmac_f32_e32 v31, 0x32a5705f, v20
	v_sub_f32_e32 v22, v22, v32
	v_add_f32_e32 v22, v22, v31
	v_exp_f32_e32 v22, v22
	v_cvt_i32_f32_e32 v31, v32
	s_mov_b32 s4, 0xc2ce8ed0
	v_cmp_ngt_f32_e64 s[4:5], s4, v20
	v_ldexp_f32 v22, v22, v31
	v_cndmask_b32_e64 v22, 0, v22, s[4:5]
	s_mov_b32 s4, 0x42b17218
	v_mov_b32_e32 v31, 0x7f800000
	v_cmp_nlt_f32_e64 s[4:5], s4, v20
	v_cndmask_b32_e64 v22, v31, v22, s[4:5]
	v_add_f32_e32 v30, v30, v22
.LBB716_115:
	s_or_b64 exec, exec, s[60:61]
.LBB716_116:
	s_or_b64 exec, exec, s[42:43]
	s_and_saveexec_b64 s[42:43], s[58:59]
	s_cbranch_execz .LBB716_120
; %bb.117:
	global_load_ubyte v20, v[2:3], off offset:320
	v_mov_b32_e32 v21, 0
	s_waitcnt vmcnt(0)
	v_and_b32_e32 v20, 1, v20
	v_cmp_eq_u32_e64 s[4:5], 1, v20
	s_xor_b64 s[4:5], s[4:5], -1
	s_and_saveexec_b64 s[58:59], s[4:5]
	s_cbranch_execz .LBB716_119
; %bb.118:
	v_sub_f32_e32 v19, v19, v29
	s_mov_b32 s4, 0x3fb8aa3b
	v_mul_f32_e32 v20, 0x3fb8aa3b, v19
	v_fma_f32 v21, v19, s4, -v20
	v_rndne_f32_e32 v31, v20
	v_fmac_f32_e32 v21, 0x32a5705f, v19
	v_sub_f32_e32 v20, v20, v31
	v_add_f32_e32 v20, v20, v21
	v_exp_f32_e32 v20, v20
	v_cvt_i32_f32_e32 v21, v31
	s_mov_b32 s4, 0xc2ce8ed0
	v_cmp_ngt_f32_e64 s[4:5], s4, v19
	v_ldexp_f32 v20, v20, v21
	v_cndmask_b32_e64 v20, 0, v20, s[4:5]
	s_mov_b32 s4, 0x42b17218
	v_mov_b32_e32 v21, 0x7f800000
	v_cmp_nlt_f32_e64 s[4:5], s4, v19
	v_cndmask_b32_e64 v21, v21, v20, s[4:5]
	v_add_f32_e32 v30, v30, v21
.LBB716_119:
	s_or_b64 exec, exec, s[58:59]
.LBB716_120:
	s_or_b64 exec, exec, s[42:43]
	v_mov_b32_e32 v19, 0
	v_mov_b32_e32 v20, 0
	s_and_saveexec_b64 s[42:43], s[56:57]
	s_cbranch_execz .LBB716_124
; %bb.121:
	global_load_ubyte v20, v[2:3], off offset:384
	s_waitcnt vmcnt(0)
	v_and_b32_e32 v20, 1, v20
	v_cmp_eq_u32_e64 s[4:5], 1, v20
	s_xor_b64 s[4:5], s[4:5], -1
	v_mov_b32_e32 v20, 0
	s_and_saveexec_b64 s[56:57], s[4:5]
	s_cbranch_execz .LBB716_123
; %bb.122:
	v_sub_f32_e32 v18, v18, v29
	s_mov_b32 s4, 0x3fb8aa3b
	v_mul_f32_e32 v20, 0x3fb8aa3b, v18
	v_fma_f32 v31, v18, s4, -v20
	v_rndne_f32_e32 v32, v20
	v_fmac_f32_e32 v31, 0x32a5705f, v18
	v_sub_f32_e32 v20, v20, v32
	v_add_f32_e32 v20, v20, v31
	v_exp_f32_e32 v20, v20
	v_cvt_i32_f32_e32 v31, v32
	s_mov_b32 s4, 0xc2ce8ed0
	v_cmp_ngt_f32_e64 s[4:5], s4, v18
	v_ldexp_f32 v20, v20, v31
	v_cndmask_b32_e64 v20, 0, v20, s[4:5]
	s_mov_b32 s4, 0x42b17218
	v_mov_b32_e32 v31, 0x7f800000
	v_cmp_nlt_f32_e64 s[4:5], s4, v18
	v_cndmask_b32_e64 v20, v31, v20, s[4:5]
	v_add_f32_e32 v30, v30, v20
.LBB716_123:
	s_or_b64 exec, exec, s[56:57]
.LBB716_124:
	s_or_b64 exec, exec, s[42:43]
	s_and_saveexec_b64 s[42:43], s[54:55]
	s_cbranch_execz .LBB716_128
; %bb.125:
	global_load_ubyte v18, v[2:3], off offset:448
	v_mov_b32_e32 v19, 0
	s_waitcnt vmcnt(0)
	v_and_b32_e32 v18, 1, v18
	v_cmp_eq_u32_e64 s[4:5], 1, v18
	s_xor_b64 s[4:5], s[4:5], -1
	s_and_saveexec_b64 s[54:55], s[4:5]
	s_cbranch_execz .LBB716_127
; %bb.126:
	v_sub_f32_e32 v17, v17, v29
	s_mov_b32 s4, 0x3fb8aa3b
	v_mul_f32_e32 v18, 0x3fb8aa3b, v17
	v_fma_f32 v19, v17, s4, -v18
	v_rndne_f32_e32 v31, v18
	v_fmac_f32_e32 v19, 0x32a5705f, v17
	v_sub_f32_e32 v18, v18, v31
	v_add_f32_e32 v18, v18, v19
	v_exp_f32_e32 v18, v18
	v_cvt_i32_f32_e32 v19, v31
	s_mov_b32 s4, 0xc2ce8ed0
	v_cmp_ngt_f32_e64 s[4:5], s4, v17
	v_ldexp_f32 v18, v18, v19
	v_cndmask_b32_e64 v18, 0, v18, s[4:5]
	s_mov_b32 s4, 0x42b17218
	v_mov_b32_e32 v19, 0x7f800000
	v_cmp_nlt_f32_e64 s[4:5], s4, v17
	v_cndmask_b32_e64 v19, v19, v18, s[4:5]
	v_add_f32_e32 v30, v30, v19
.LBB716_127:
	s_or_b64 exec, exec, s[54:55]
.LBB716_128:
	s_or_b64 exec, exec, s[42:43]
	v_mov_b32_e32 v17, 0
	v_mov_b32_e32 v18, 0
	s_and_saveexec_b64 s[42:43], s[52:53]
	s_cbranch_execz .LBB716_132
; %bb.129:
	global_load_ubyte v18, v[2:3], off offset:512
	s_waitcnt vmcnt(0)
	v_and_b32_e32 v18, 1, v18
	v_cmp_eq_u32_e64 s[4:5], 1, v18
	s_xor_b64 s[4:5], s[4:5], -1
	v_mov_b32_e32 v18, 0
	s_and_saveexec_b64 s[52:53], s[4:5]
	s_cbranch_execz .LBB716_131
; %bb.130:
	v_sub_f32_e32 v16, v16, v29
	s_mov_b32 s4, 0x3fb8aa3b
	v_mul_f32_e32 v18, 0x3fb8aa3b, v16
	v_fma_f32 v31, v16, s4, -v18
	v_rndne_f32_e32 v32, v18
	v_fmac_f32_e32 v31, 0x32a5705f, v16
	v_sub_f32_e32 v18, v18, v32
	v_add_f32_e32 v18, v18, v31
	v_exp_f32_e32 v18, v18
	v_cvt_i32_f32_e32 v31, v32
	s_mov_b32 s4, 0xc2ce8ed0
	v_cmp_ngt_f32_e64 s[4:5], s4, v16
	v_ldexp_f32 v18, v18, v31
	v_cndmask_b32_e64 v18, 0, v18, s[4:5]
	s_mov_b32 s4, 0x42b17218
	v_mov_b32_e32 v31, 0x7f800000
	v_cmp_nlt_f32_e64 s[4:5], s4, v16
	v_cndmask_b32_e64 v18, v31, v18, s[4:5]
	v_add_f32_e32 v30, v30, v18
.LBB716_131:
	s_or_b64 exec, exec, s[52:53]
.LBB716_132:
	s_or_b64 exec, exec, s[42:43]
	s_and_saveexec_b64 s[42:43], s[50:51]
	s_cbranch_execz .LBB716_136
; %bb.133:
	global_load_ubyte v16, v[2:3], off offset:576
	v_mov_b32_e32 v17, 0
	s_waitcnt vmcnt(0)
	v_and_b32_e32 v16, 1, v16
	v_cmp_eq_u32_e64 s[4:5], 1, v16
	s_xor_b64 s[4:5], s[4:5], -1
	s_and_saveexec_b64 s[50:51], s[4:5]
	s_cbranch_execz .LBB716_135
; %bb.134:
	v_sub_f32_e32 v15, v15, v29
	s_mov_b32 s4, 0x3fb8aa3b
	v_mul_f32_e32 v16, 0x3fb8aa3b, v15
	v_fma_f32 v17, v15, s4, -v16
	v_rndne_f32_e32 v31, v16
	v_fmac_f32_e32 v17, 0x32a5705f, v15
	v_sub_f32_e32 v16, v16, v31
	v_add_f32_e32 v16, v16, v17
	v_exp_f32_e32 v16, v16
	v_cvt_i32_f32_e32 v17, v31
	s_mov_b32 s4, 0xc2ce8ed0
	v_cmp_ngt_f32_e64 s[4:5], s4, v15
	v_ldexp_f32 v16, v16, v17
	v_cndmask_b32_e64 v16, 0, v16, s[4:5]
	s_mov_b32 s4, 0x42b17218
	v_mov_b32_e32 v17, 0x7f800000
	v_cmp_nlt_f32_e64 s[4:5], s4, v15
	v_cndmask_b32_e64 v17, v17, v16, s[4:5]
	v_add_f32_e32 v30, v30, v17
.LBB716_135:
	s_or_b64 exec, exec, s[50:51]
.LBB716_136:
	s_or_b64 exec, exec, s[42:43]
	v_mov_b32_e32 v15, 0
	v_mov_b32_e32 v16, 0
	s_and_saveexec_b64 s[42:43], s[48:49]
	s_cbranch_execz .LBB716_140
; %bb.137:
	global_load_ubyte v16, v[2:3], off offset:640
	s_waitcnt vmcnt(0)
	v_and_b32_e32 v16, 1, v16
	v_cmp_eq_u32_e64 s[4:5], 1, v16
	s_xor_b64 s[4:5], s[4:5], -1
	v_mov_b32_e32 v16, 0
	s_and_saveexec_b64 s[48:49], s[4:5]
	s_cbranch_execz .LBB716_139
; %bb.138:
	v_sub_f32_e32 v14, v14, v29
	s_mov_b32 s4, 0x3fb8aa3b
	v_mul_f32_e32 v16, 0x3fb8aa3b, v14
	v_fma_f32 v31, v14, s4, -v16
	v_rndne_f32_e32 v32, v16
	v_fmac_f32_e32 v31, 0x32a5705f, v14
	v_sub_f32_e32 v16, v16, v32
	v_add_f32_e32 v16, v16, v31
	v_exp_f32_e32 v16, v16
	v_cvt_i32_f32_e32 v31, v32
	s_mov_b32 s4, 0xc2ce8ed0
	v_cmp_ngt_f32_e64 s[4:5], s4, v14
	v_ldexp_f32 v16, v16, v31
	v_cndmask_b32_e64 v16, 0, v16, s[4:5]
	s_mov_b32 s4, 0x42b17218
	v_mov_b32_e32 v31, 0x7f800000
	v_cmp_nlt_f32_e64 s[4:5], s4, v14
	v_cndmask_b32_e64 v16, v31, v16, s[4:5]
	v_add_f32_e32 v30, v30, v16
.LBB716_139:
	s_or_b64 exec, exec, s[48:49]
.LBB716_140:
	s_or_b64 exec, exec, s[42:43]
	s_and_saveexec_b64 s[42:43], s[46:47]
	s_cbranch_execz .LBB716_144
; %bb.141:
	global_load_ubyte v14, v[2:3], off offset:704
	v_mov_b32_e32 v15, 0
	s_waitcnt vmcnt(0)
	v_and_b32_e32 v14, 1, v14
	v_cmp_eq_u32_e64 s[4:5], 1, v14
	s_xor_b64 s[4:5], s[4:5], -1
	s_and_saveexec_b64 s[46:47], s[4:5]
	s_cbranch_execz .LBB716_143
; %bb.142:
	v_sub_f32_e32 v13, v13, v29
	s_mov_b32 s4, 0x3fb8aa3b
	v_mul_f32_e32 v14, 0x3fb8aa3b, v13
	v_fma_f32 v15, v13, s4, -v14
	v_rndne_f32_e32 v31, v14
	v_fmac_f32_e32 v15, 0x32a5705f, v13
	v_sub_f32_e32 v14, v14, v31
	v_add_f32_e32 v14, v14, v15
	v_exp_f32_e32 v14, v14
	v_cvt_i32_f32_e32 v15, v31
	s_mov_b32 s4, 0xc2ce8ed0
	v_cmp_ngt_f32_e64 s[4:5], s4, v13
	v_ldexp_f32 v14, v14, v15
	v_cndmask_b32_e64 v14, 0, v14, s[4:5]
	s_mov_b32 s4, 0x42b17218
	v_mov_b32_e32 v15, 0x7f800000
	v_cmp_nlt_f32_e64 s[4:5], s4, v13
	v_cndmask_b32_e64 v15, v15, v14, s[4:5]
	v_add_f32_e32 v30, v30, v15
.LBB716_143:
	s_or_b64 exec, exec, s[46:47]
.LBB716_144:
	s_or_b64 exec, exec, s[42:43]
	v_mov_b32_e32 v13, 0
	v_mov_b32_e32 v14, 0
	s_and_saveexec_b64 s[42:43], s[44:45]
	s_cbranch_execz .LBB716_148
; %bb.145:
	global_load_ubyte v14, v[2:3], off offset:768
	s_waitcnt vmcnt(0)
	v_and_b32_e32 v14, 1, v14
	v_cmp_eq_u32_e64 s[4:5], 1, v14
	s_xor_b64 s[4:5], s[4:5], -1
	v_mov_b32_e32 v14, 0
	s_and_saveexec_b64 s[44:45], s[4:5]
	s_cbranch_execz .LBB716_147
; %bb.146:
	v_sub_f32_e32 v12, v12, v29
	s_mov_b32 s4, 0x3fb8aa3b
	v_mul_f32_e32 v14, 0x3fb8aa3b, v12
	v_fma_f32 v31, v12, s4, -v14
	v_rndne_f32_e32 v32, v14
	v_fmac_f32_e32 v31, 0x32a5705f, v12
	v_sub_f32_e32 v14, v14, v32
	v_add_f32_e32 v14, v14, v31
	v_exp_f32_e32 v14, v14
	v_cvt_i32_f32_e32 v31, v32
	s_mov_b32 s4, 0xc2ce8ed0
	v_cmp_ngt_f32_e64 s[4:5], s4, v12
	v_ldexp_f32 v14, v14, v31
	v_cndmask_b32_e64 v14, 0, v14, s[4:5]
	s_mov_b32 s4, 0x42b17218
	v_mov_b32_e32 v31, 0x7f800000
	v_cmp_nlt_f32_e64 s[4:5], s4, v12
	v_cndmask_b32_e64 v14, v31, v14, s[4:5]
	v_add_f32_e32 v30, v30, v14
.LBB716_147:
	s_or_b64 exec, exec, s[44:45]
.LBB716_148:
	s_or_b64 exec, exec, s[42:43]
	s_and_saveexec_b64 s[42:43], s[40:41]
	s_cbranch_execz .LBB716_152
; %bb.149:
	global_load_ubyte v12, v[2:3], off offset:832
	v_mov_b32_e32 v13, 0
	s_waitcnt vmcnt(0)
	v_and_b32_e32 v12, 1, v12
	v_cmp_eq_u32_e64 s[4:5], 1, v12
	s_xor_b64 s[4:5], s[4:5], -1
	s_and_saveexec_b64 s[40:41], s[4:5]
	s_cbranch_execz .LBB716_151
; %bb.150:
	v_sub_f32_e32 v11, v11, v29
	s_mov_b32 s4, 0x3fb8aa3b
	v_mul_f32_e32 v12, 0x3fb8aa3b, v11
	v_fma_f32 v13, v11, s4, -v12
	v_rndne_f32_e32 v31, v12
	v_fmac_f32_e32 v13, 0x32a5705f, v11
	v_sub_f32_e32 v12, v12, v31
	v_add_f32_e32 v12, v12, v13
	v_exp_f32_e32 v12, v12
	v_cvt_i32_f32_e32 v13, v31
	s_mov_b32 s4, 0xc2ce8ed0
	v_cmp_ngt_f32_e64 s[4:5], s4, v11
	v_ldexp_f32 v12, v12, v13
	v_cndmask_b32_e64 v12, 0, v12, s[4:5]
	s_mov_b32 s4, 0x42b17218
	v_mov_b32_e32 v13, 0x7f800000
	v_cmp_nlt_f32_e64 s[4:5], s4, v11
	v_cndmask_b32_e64 v13, v13, v12, s[4:5]
	v_add_f32_e32 v30, v30, v13
.LBB716_151:
	s_or_b64 exec, exec, s[40:41]
.LBB716_152:
	s_or_b64 exec, exec, s[42:43]
	v_mov_b32_e32 v11, 0
	v_mov_b32_e32 v12, 0
	s_and_saveexec_b64 s[40:41], s[38:39]
	s_cbranch_execz .LBB716_156
; %bb.153:
	global_load_ubyte v12, v[2:3], off offset:896
	s_waitcnt vmcnt(0)
	v_and_b32_e32 v12, 1, v12
	v_cmp_eq_u32_e64 s[4:5], 1, v12
	s_xor_b64 s[4:5], s[4:5], -1
	v_mov_b32_e32 v12, 0
	s_and_saveexec_b64 s[38:39], s[4:5]
	s_cbranch_execz .LBB716_155
; %bb.154:
	v_sub_f32_e32 v10, v10, v29
	s_mov_b32 s4, 0x3fb8aa3b
	v_mul_f32_e32 v12, 0x3fb8aa3b, v10
	v_fma_f32 v31, v10, s4, -v12
	v_rndne_f32_e32 v32, v12
	v_fmac_f32_e32 v31, 0x32a5705f, v10
	v_sub_f32_e32 v12, v12, v32
	v_add_f32_e32 v12, v12, v31
	v_exp_f32_e32 v12, v12
	v_cvt_i32_f32_e32 v31, v32
	s_mov_b32 s4, 0xc2ce8ed0
	v_cmp_ngt_f32_e64 s[4:5], s4, v10
	v_ldexp_f32 v12, v12, v31
	v_cndmask_b32_e64 v12, 0, v12, s[4:5]
	s_mov_b32 s4, 0x42b17218
	v_mov_b32_e32 v31, 0x7f800000
	v_cmp_nlt_f32_e64 s[4:5], s4, v10
	v_cndmask_b32_e64 v12, v31, v12, s[4:5]
	v_add_f32_e32 v30, v30, v12
.LBB716_155:
	s_or_b64 exec, exec, s[38:39]
.LBB716_156:
	s_or_b64 exec, exec, s[40:41]
	s_and_saveexec_b64 s[38:39], s[30:31]
	s_cbranch_execz .LBB716_160
; %bb.157:
	global_load_ubyte v2, v[2:3], off offset:960
	v_mov_b32_e32 v11, 0
	s_waitcnt vmcnt(0)
	v_and_b32_e32 v2, 1, v2
	v_cmp_eq_u32_e64 s[4:5], 1, v2
	s_xor_b64 s[4:5], s[4:5], -1
	s_and_saveexec_b64 s[30:31], s[4:5]
	s_cbranch_execz .LBB716_159
; %bb.158:
	v_sub_f32_e32 v2, v9, v29
	s_mov_b32 s4, 0x3fb8aa3b
	v_mul_f32_e32 v3, 0x3fb8aa3b, v2
	v_fma_f32 v9, v2, s4, -v3
	v_rndne_f32_e32 v10, v3
	v_fmac_f32_e32 v9, 0x32a5705f, v2
	v_sub_f32_e32 v3, v3, v10
	v_add_f32_e32 v3, v3, v9
	v_exp_f32_e32 v3, v3
	v_cvt_i32_f32_e32 v9, v10
	s_mov_b32 s4, 0xc2ce8ed0
	v_cmp_ngt_f32_e64 s[4:5], s4, v2
	v_ldexp_f32 v3, v3, v9
	v_cndmask_b32_e64 v3, 0, v3, s[4:5]
	s_mov_b32 s4, 0x42b17218
	v_mov_b32_e32 v9, 0x7f800000
	v_cmp_nlt_f32_e64 s[4:5], s4, v2
	v_cndmask_b32_e64 v11, v9, v3, s[4:5]
	v_add_f32_e32 v30, v30, v11
.LBB716_159:
	s_or_b64 exec, exec, s[30:31]
.LBB716_160:
	s_or_b64 exec, exec, s[38:39]
	ds_bpermute_b32 v2, v5, v30
	v_cmp_lt_i32_e64 s[4:5], 0, v8
	s_waitcnt lgkmcnt(0)
	v_add_f32_e32 v2, v30, v2
	ds_bpermute_b32 v3, v6, v2
	s_waitcnt lgkmcnt(0)
	v_add_f32_e32 v2, v2, v3
	ds_bpermute_b32 v3, v7, v2
	;; [unrolled: 3-line block ×5, first 2 shown]
	s_and_saveexec_b64 s[30:31], s[4:5]
	s_cbranch_execz .LBB716_178
; %bb.161:
	s_and_b64 exec, exec, vcc
	s_cbranch_execz .LBB716_178
; %bb.162:
	s_waitcnt lgkmcnt(0)
	v_add_f32_e32 v2, v2, v3
	v_div_scale_f32 v5, s[4:5], v2, v2, v26
	v_rcp_f32_e32 v6, v5
	v_mov_b32_e32 v3, s37
	v_add_co_u32_e32 v0, vcc, s36, v0
	v_addc_co_u32_e32 v1, vcc, v3, v1, vcc
	v_fma_f32 v3, -v5, v6, 1.0
	v_fmac_f32_e32 v6, v3, v6
	v_div_scale_f32 v3, vcc, v26, v2, v26
	v_mul_f32_e32 v7, v3, v6
	v_fma_f32 v8, -v5, v7, v3
	v_fmac_f32_e32 v7, v8, v6
	v_fma_f32 v3, -v5, v7, v3
	v_div_fmas_f32 v3, v3, v6, v7
	v_div_fixup_f32 v5, v3, v2, v26
	v_mov_b32_e32 v3, 0x7fc00000
	v_cmp_eq_f32_e64 s[30:31], 0, v2
	v_cndmask_b32_e64 v5, v5, v3, s[30:31]
	global_store_dword v[0:1], v5, off
	s_and_b64 exec, exec, s[28:29]
	s_cbranch_execz .LBB716_178
; %bb.163:
	v_div_scale_f32 v5, s[4:5], v2, v2, v4
	v_rcp_f32_e32 v6, v5
	v_div_scale_f32 v7, vcc, v4, v2, v4
	v_fma_f32 v8, -v5, v6, 1.0
	v_fmac_f32_e32 v6, v8, v6
	v_mul_f32_e32 v8, v7, v6
	v_fma_f32 v9, -v5, v8, v7
	v_fmac_f32_e32 v8, v9, v6
	v_fma_f32 v5, -v5, v8, v7
	v_div_fmas_f32 v5, v5, v6, v8
	v_div_fixup_f32 v4, v5, v2, v4
	v_cndmask_b32_e64 v3, v4, v3, s[30:31]
	global_store_dword v[0:1], v3, off offset:256
	s_and_b64 exec, exec, s[26:27]
	s_cbranch_execz .LBB716_178
; %bb.164:
	v_div_scale_f32 v3, s[4:5], v2, v2, v24
	v_rcp_f32_e32 v4, v3
	v_div_scale_f32 v5, vcc, v24, v2, v24
	v_fma_f32 v6, -v3, v4, 1.0
	v_fmac_f32_e32 v4, v6, v4
	v_mul_f32_e32 v6, v5, v4
	v_fma_f32 v7, -v3, v6, v5
	v_fmac_f32_e32 v6, v7, v4
	v_fma_f32 v3, -v3, v6, v5
	v_div_fmas_f32 v3, v3, v4, v6
	v_div_fixup_f32 v4, v3, v2, v24
	v_mov_b32_e32 v3, 0x7fc00000
	v_cndmask_b32_e64 v4, v4, v3, s[30:31]
	global_store_dword v[0:1], v4, off offset:512
	s_and_b64 exec, exec, s[24:25]
	s_cbranch_execz .LBB716_178
; %bb.165:
	v_div_scale_f32 v4, s[4:5], v2, v2, v23
	v_rcp_f32_e32 v5, v4
	v_div_scale_f32 v6, vcc, v23, v2, v23
	v_fma_f32 v7, -v4, v5, 1.0
	v_fmac_f32_e32 v5, v7, v5
	v_mul_f32_e32 v7, v6, v5
	v_fma_f32 v8, -v4, v7, v6
	v_fmac_f32_e32 v7, v8, v5
	v_fma_f32 v4, -v4, v7, v6
	v_div_fmas_f32 v4, v4, v5, v7
	v_div_fixup_f32 v4, v4, v2, v23
	v_cndmask_b32_e64 v3, v4, v3, s[30:31]
	global_store_dword v[0:1], v3, off offset:768
	s_and_b64 exec, exec, s[22:23]
	s_cbranch_execz .LBB716_178
; %bb.166:
	v_div_scale_f32 v3, s[4:5], v2, v2, v22
	v_rcp_f32_e32 v4, v3
	v_div_scale_f32 v5, vcc, v22, v2, v22
	v_fma_f32 v6, -v3, v4, 1.0
	v_fmac_f32_e32 v4, v6, v4
	v_mul_f32_e32 v6, v5, v4
	v_fma_f32 v7, -v3, v6, v5
	v_fmac_f32_e32 v6, v7, v4
	v_fma_f32 v3, -v3, v6, v5
	v_div_fmas_f32 v3, v3, v4, v6
	v_div_fixup_f32 v4, v3, v2, v22
	v_mov_b32_e32 v3, 0x7fc00000
	v_cndmask_b32_e64 v4, v4, v3, s[30:31]
	global_store_dword v[0:1], v4, off offset:1024
	;; [unrolled: 33-line block ×7, first 2 shown]
	s_and_b64 exec, exec, s[0:1]
	s_cbranch_execz .LBB716_178
; %bb.177:
	v_div_scale_f32 v4, s[0:1], v2, v2, v11
	v_rcp_f32_e32 v5, v4
	v_div_scale_f32 v6, vcc, v11, v2, v11
	v_fma_f32 v7, -v4, v5, 1.0
	v_fmac_f32_e32 v5, v7, v5
	v_mul_f32_e32 v7, v6, v5
	v_fma_f32 v8, -v4, v7, v6
	v_fmac_f32_e32 v7, v8, v5
	v_fma_f32 v4, -v4, v7, v6
	v_div_fmas_f32 v4, v4, v5, v7
	v_div_fixup_f32 v2, v4, v2, v11
	v_cndmask_b32_e64 v2, v2, v3, s[30:31]
	global_store_dword v[0:1], v2, off offset:3840
.LBB716_178:
	s_endpgm
	.section	.rodata,"a",@progbits
	.p2align	6, 0x0
	.amdhsa_kernel _ZN12_GLOBAL__N_120softmax_warp_forwardIfffLi10ELb0ELb1ELi64EEEvPT0_PKT_iiiPKbib
		.amdhsa_group_segment_fixed_size 0
		.amdhsa_private_segment_fixed_size 0
		.amdhsa_kernarg_size 304
		.amdhsa_user_sgpr_count 6
		.amdhsa_user_sgpr_private_segment_buffer 1
		.amdhsa_user_sgpr_dispatch_ptr 0
		.amdhsa_user_sgpr_queue_ptr 0
		.amdhsa_user_sgpr_kernarg_segment_ptr 1
		.amdhsa_user_sgpr_dispatch_id 0
		.amdhsa_user_sgpr_flat_scratch_init 0
		.amdhsa_user_sgpr_kernarg_preload_length 0
		.amdhsa_user_sgpr_kernarg_preload_offset 0
		.amdhsa_user_sgpr_private_segment_size 0
		.amdhsa_uses_dynamic_stack 0
		.amdhsa_system_sgpr_private_segment_wavefront_offset 0
		.amdhsa_system_sgpr_workgroup_id_x 1
		.amdhsa_system_sgpr_workgroup_id_y 0
		.amdhsa_system_sgpr_workgroup_id_z 0
		.amdhsa_system_sgpr_workgroup_info 0
		.amdhsa_system_vgpr_workitem_id 1
		.amdhsa_next_free_vgpr 33
		.amdhsa_next_free_sgpr 76
		.amdhsa_accum_offset 36
		.amdhsa_reserve_vcc 1
		.amdhsa_reserve_flat_scratch 0
		.amdhsa_float_round_mode_32 0
		.amdhsa_float_round_mode_16_64 0
		.amdhsa_float_denorm_mode_32 3
		.amdhsa_float_denorm_mode_16_64 3
		.amdhsa_dx10_clamp 1
		.amdhsa_ieee_mode 1
		.amdhsa_fp16_overflow 0
		.amdhsa_tg_split 0
		.amdhsa_exception_fp_ieee_invalid_op 0
		.amdhsa_exception_fp_denorm_src 0
		.amdhsa_exception_fp_ieee_div_zero 0
		.amdhsa_exception_fp_ieee_overflow 0
		.amdhsa_exception_fp_ieee_underflow 0
		.amdhsa_exception_fp_ieee_inexact 0
		.amdhsa_exception_int_div_zero 0
	.end_amdhsa_kernel
	.section	.text._ZN12_GLOBAL__N_120softmax_warp_forwardIfffLi10ELb0ELb1ELi64EEEvPT0_PKT_iiiPKbib,"axG",@progbits,_ZN12_GLOBAL__N_120softmax_warp_forwardIfffLi10ELb0ELb1ELi64EEEvPT0_PKT_iiiPKbib,comdat
.Lfunc_end716:
	.size	_ZN12_GLOBAL__N_120softmax_warp_forwardIfffLi10ELb0ELb1ELi64EEEvPT0_PKT_iiiPKbib, .Lfunc_end716-_ZN12_GLOBAL__N_120softmax_warp_forwardIfffLi10ELb0ELb1ELi64EEEvPT0_PKT_iiiPKbib
                                        ; -- End function
	.section	.AMDGPU.csdata,"",@progbits
; Kernel info:
; codeLenInByte = 7656
; NumSgprs: 80
; NumVgprs: 33
; NumAgprs: 0
; TotalNumVgprs: 33
; ScratchSize: 0
; MemoryBound: 0
; FloatMode: 240
; IeeeMode: 1
; LDSByteSize: 0 bytes/workgroup (compile time only)
; SGPRBlocks: 9
; VGPRBlocks: 4
; NumSGPRsForWavesPerEU: 80
; NumVGPRsForWavesPerEU: 33
; AccumOffset: 36
; Occupancy: 8
; WaveLimiterHint : 0
; COMPUTE_PGM_RSRC2:SCRATCH_EN: 0
; COMPUTE_PGM_RSRC2:USER_SGPR: 6
; COMPUTE_PGM_RSRC2:TRAP_HANDLER: 0
; COMPUTE_PGM_RSRC2:TGID_X_EN: 1
; COMPUTE_PGM_RSRC2:TGID_Y_EN: 0
; COMPUTE_PGM_RSRC2:TGID_Z_EN: 0
; COMPUTE_PGM_RSRC2:TIDIG_COMP_CNT: 1
; COMPUTE_PGM_RSRC3_GFX90A:ACCUM_OFFSET: 8
; COMPUTE_PGM_RSRC3_GFX90A:TG_SPLIT: 0
	.section	.text._ZN12_GLOBAL__N_120softmax_warp_forwardIfffLi10ELb0ELb1ELi32EEEvPT0_PKT_iiiPKbib,"axG",@progbits,_ZN12_GLOBAL__N_120softmax_warp_forwardIfffLi10ELb0ELb1ELi32EEEvPT0_PKT_iiiPKbib,comdat
	.globl	_ZN12_GLOBAL__N_120softmax_warp_forwardIfffLi10ELb0ELb1ELi32EEEvPT0_PKT_iiiPKbib ; -- Begin function _ZN12_GLOBAL__N_120softmax_warp_forwardIfffLi10ELb0ELb1ELi32EEEvPT0_PKT_iiiPKbib
	.p2align	8
	.type	_ZN12_GLOBAL__N_120softmax_warp_forwardIfffLi10ELb0ELb1ELi32EEEvPT0_PKT_iiiPKbib,@function
_ZN12_GLOBAL__N_120softmax_warp_forwardIfffLi10ELb0ELb1ELi32EEEvPT0_PKT_iiiPKbib: ; @_ZN12_GLOBAL__N_120softmax_warp_forwardIfffLi10ELb0ELb1ELi32EEEvPT0_PKT_iiiPKbib
; %bb.0:
	s_load_dword s2, s[4:5], 0x3c
	s_load_dwordx4 s[72:75], s[4:5], 0x10
	s_load_dwordx2 s[0:1], s[4:5], 0x28
	v_bfe_u32 v1, v0, 10, 10
	v_and_b32_e32 v2, 0x3ff, v0
	s_waitcnt lgkmcnt(0)
	s_lshr_b32 s2, s2, 16
	s_mul_i32 s6, s6, s2
	v_add_u32_e32 v3, s6, v1
	v_mul_lo_u32 v6, v3, s73
	v_add_u32_e32 v0, v6, v2
	v_ashrrev_i32_e32 v1, 31, v0
	s_bitcmp0_b32 s1, 0
	v_pk_mov_b32 v[4:5], v[0:1], v[0:1] op_sel:[0,1]
	s_cbranch_scc1 .LBB717_2
; %bb.1:
	s_abs_i32 s1, s0
	v_cvt_f32_u32_e32 v4, s1
	v_xor_b32_e32 v5, s0, v6
	v_sub_u32_e32 v7, 0, v6
	s_sub_i32 s0, 0, s1
	v_rcp_iflag_f32_e32 v4, v4
	v_max_i32_e32 v6, v6, v7
	v_ashrrev_i32_e32 v5, 31, v5
	v_mul_f32_e32 v4, 0x4f7ffffe, v4
	v_cvt_u32_f32_e32 v4, v4
	v_mul_lo_u32 v7, s0, v4
	v_mul_hi_u32 v7, v4, v7
	v_add_u32_e32 v4, v4, v7
	v_mul_hi_u32 v4, v6, v4
	v_mul_lo_u32 v7, v4, s1
	v_sub_u32_e32 v6, v6, v7
	v_add_u32_e32 v8, 1, v4
	v_cmp_le_u32_e32 vcc, s1, v6
	v_subrev_u32_e32 v7, s1, v6
	v_cndmask_b32_e32 v4, v4, v8, vcc
	v_cndmask_b32_e32 v6, v6, v7, vcc
	v_add_u32_e32 v7, 1, v4
	v_cmp_le_u32_e32 vcc, s1, v6
	v_cndmask_b32_e32 v4, v4, v7, vcc
	v_xor_b32_e32 v4, v4, v5
	v_sub_u32_e32 v4, v4, v5
	v_mad_u64_u32 v[4:5], s[0:1], v4, s73, v[2:3]
	v_ashrrev_i32_e32 v5, 31, v4
.LBB717_2:
	s_load_dwordx4 s[0:3], s[4:5], 0x0
	v_lshlrev_b64 v[0:1], 2, v[0:1]
                                        ; implicit-def: $vgpr48 : SGPR spill to VGPR lane
	v_sub_u32_e32 v8, s72, v3
	v_cmp_lt_i32_e64 s[64:65], 0, v8
	v_mov_b32_e32 v39, 0xff800000
	s_waitcnt lgkmcnt(0)
	v_mov_b32_e32 v3, s3
	v_writelane_b32 v48, s0, 0
	v_add_co_u32_e32 v6, vcc, s2, v0
	v_addc_co_u32_e32 v7, vcc, v3, v1, vcc
	v_writelane_b32 v48, s1, 1
	v_cmp_gt_i32_e32 vcc, s74, v2
	v_writelane_b32 v48, s2, 2
	s_and_b64 s[36:37], s[64:65], vcc
	v_mov_b32_e32 v40, 0xff800000
	v_writelane_b32 v48, s3, 3
	s_and_saveexec_b64 s[0:1], s[36:37]
	s_cbranch_execz .LBB717_4
; %bb.3:
	global_load_dword v40, v[6:7], off
.LBB717_4:
	s_or_b64 exec, exec, s[0:1]
	v_add_u32_e32 v3, 32, v2
	v_cmp_gt_i32_e64 s[62:63], s74, v3
	s_and_b64 s[34:35], s[64:65], s[62:63]
	s_and_saveexec_b64 s[0:1], s[34:35]
	s_cbranch_execz .LBB717_6
; %bb.5:
	global_load_dword v39, v[6:7], off offset:128
.LBB717_6:
	s_or_b64 exec, exec, s[0:1]
	v_add_u32_e32 v3, 64, v2
	v_cmp_gt_i32_e64 s[60:61], s74, v3
	s_and_b64 s[30:31], s[64:65], s[60:61]
	v_mov_b32_e32 v37, 0xff800000
	v_mov_b32_e32 v38, 0xff800000
	s_and_saveexec_b64 s[0:1], s[30:31]
	s_cbranch_execz .LBB717_8
; %bb.7:
	global_load_dword v38, v[6:7], off offset:256
.LBB717_8:
	s_or_b64 exec, exec, s[0:1]
	v_add_u32_e32 v3, 0x60, v2
	v_cmp_gt_i32_e64 s[58:59], s74, v3
	s_and_b64 s[28:29], s[64:65], s[58:59]
	s_and_saveexec_b64 s[0:1], s[28:29]
	s_cbranch_execz .LBB717_10
; %bb.9:
	global_load_dword v37, v[6:7], off offset:384
.LBB717_10:
	s_or_b64 exec, exec, s[0:1]
	v_add_u32_e32 v3, 0x80, v2
	v_cmp_gt_i32_e64 s[56:57], s74, v3
	s_and_b64 s[26:27], s[64:65], s[56:57]
	v_mov_b32_e32 v35, 0xff800000
	v_mov_b32_e32 v36, 0xff800000
	s_and_saveexec_b64 s[0:1], s[26:27]
	s_cbranch_execz .LBB717_12
; %bb.11:
	global_load_dword v36, v[6:7], off offset:512
.LBB717_12:
	s_or_b64 exec, exec, s[0:1]
	v_add_u32_e32 v3, 0xa0, v2
	v_cmp_gt_i32_e64 s[54:55], s74, v3
	s_and_b64 s[24:25], s[64:65], s[54:55]
	s_and_saveexec_b64 s[0:1], s[24:25]
	s_cbranch_execz .LBB717_14
; %bb.13:
	global_load_dword v35, v[6:7], off offset:640
.LBB717_14:
	s_or_b64 exec, exec, s[0:1]
	v_add_u32_e32 v3, 0xc0, v2
	v_cmp_gt_i32_e64 s[52:53], s74, v3
	s_and_b64 s[22:23], s[64:65], s[52:53]
	v_mov_b32_e32 v33, 0xff800000
	v_mov_b32_e32 v34, 0xff800000
	s_and_saveexec_b64 s[0:1], s[22:23]
	s_cbranch_execz .LBB717_16
; %bb.15:
	global_load_dword v34, v[6:7], off offset:768
.LBB717_16:
	s_or_b64 exec, exec, s[0:1]
	v_add_u32_e32 v3, 0xe0, v2
	v_cmp_gt_i32_e64 s[50:51], s74, v3
	s_and_b64 s[20:21], s[64:65], s[50:51]
	s_and_saveexec_b64 s[0:1], s[20:21]
	s_cbranch_execz .LBB717_18
; %bb.17:
	global_load_dword v33, v[6:7], off offset:896
.LBB717_18:
	s_or_b64 exec, exec, s[0:1]
	v_add_u32_e32 v3, 0x100, v2
	v_cmp_gt_i32_e64 s[48:49], s74, v3
	s_and_b64 s[18:19], s[64:65], s[48:49]
	v_mov_b32_e32 v31, 0xff800000
	v_mov_b32_e32 v32, 0xff800000
	s_and_saveexec_b64 s[0:1], s[18:19]
	s_cbranch_execz .LBB717_20
; %bb.19:
	global_load_dword v32, v[6:7], off offset:1024
.LBB717_20:
	s_or_b64 exec, exec, s[0:1]
	v_add_u32_e32 v3, 0x120, v2
	v_cmp_gt_i32_e64 s[46:47], s74, v3
	s_and_b64 s[16:17], s[64:65], s[46:47]
	s_and_saveexec_b64 s[0:1], s[16:17]
	s_cbranch_execz .LBB717_22
; %bb.21:
	global_load_dword v31, v[6:7], off offset:1152
.LBB717_22:
	s_or_b64 exec, exec, s[0:1]
	v_add_u32_e32 v3, 0x140, v2
	v_cmp_gt_i32_e64 s[44:45], s74, v3
	s_and_b64 s[14:15], s[64:65], s[44:45]
	v_mov_b32_e32 v29, 0xff800000
	v_mov_b32_e32 v30, 0xff800000
	s_and_saveexec_b64 s[0:1], s[14:15]
	s_cbranch_execz .LBB717_24
; %bb.23:
	global_load_dword v30, v[6:7], off offset:1280
.LBB717_24:
	s_or_b64 exec, exec, s[0:1]
	v_add_u32_e32 v3, 0x160, v2
	v_cmp_gt_i32_e64 s[0:1], s74, v3
	v_writelane_b32 v48, s0, 4
	s_and_b64 s[12:13], s[64:65], s[0:1]
	v_writelane_b32 v48, s1, 5
	s_and_saveexec_b64 s[0:1], s[12:13]
	s_cbranch_execz .LBB717_26
; %bb.25:
	global_load_dword v29, v[6:7], off offset:1408
.LBB717_26:
	s_or_b64 exec, exec, s[0:1]
	v_add_u32_e32 v3, 0x180, v2
	v_cmp_gt_i32_e64 s[0:1], s74, v3
	v_writelane_b32 v48, s0, 6
	s_and_b64 s[10:11], s[64:65], s[0:1]
	v_mov_b32_e32 v27, 0xff800000
	v_mov_b32_e32 v28, 0xff800000
	v_writelane_b32 v48, s1, 7
	s_and_saveexec_b64 s[0:1], s[10:11]
	s_cbranch_execz .LBB717_28
; %bb.27:
	global_load_dword v28, v[6:7], off offset:1536
.LBB717_28:
	s_or_b64 exec, exec, s[0:1]
	v_add_u32_e32 v3, 0x1a0, v2
	v_cmp_gt_i32_e64 s[0:1], s74, v3
	v_writelane_b32 v48, s0, 8
	s_and_b64 s[8:9], s[64:65], s[0:1]
	v_writelane_b32 v48, s1, 9
	s_and_saveexec_b64 s[0:1], s[8:9]
	s_cbranch_execz .LBB717_30
; %bb.29:
	global_load_dword v27, v[6:7], off offset:1664
.LBB717_30:
	s_or_b64 exec, exec, s[0:1]
	v_add_u32_e32 v3, 0x1c0, v2
	v_cmp_gt_i32_e64 s[0:1], s74, v3
	v_writelane_b32 v48, s0, 10
	s_and_b64 s[6:7], s[64:65], s[0:1]
	v_mov_b32_e32 v25, 0xff800000
	v_mov_b32_e32 v26, 0xff800000
	v_writelane_b32 v48, s1, 11
	s_and_saveexec_b64 s[0:1], s[6:7]
	s_cbranch_execz .LBB717_32
; %bb.31:
	global_load_dword v26, v[6:7], off offset:1792
.LBB717_32:
	;; [unrolled: 24-line block ×3, first 2 shown]
	s_or_b64 exec, exec, s[0:1]
	v_add_u32_e32 v3, 0x220, v2
	v_cmp_gt_i32_e64 s[0:1], s74, v3
	v_writelane_b32 v48, s0, 16
	v_writelane_b32 v48, s1, 17
	s_and_b64 s[0:1], s[64:65], s[0:1]
	s_and_saveexec_b64 s[38:39], s[0:1]
	s_cbranch_execz .LBB717_38
; %bb.37:
	global_load_dword v23, v[6:7], off offset:2176
.LBB717_38:
	s_or_b64 exec, exec, s[38:39]
	v_add_u32_e32 v3, 0x240, v2
	v_cmp_gt_i32_e64 s[38:39], s74, v3
	v_writelane_b32 v48, s38, 18
	s_and_b64 s[68:69], s[64:65], s[38:39]
	v_mov_b32_e32 v21, 0xff800000
	v_mov_b32_e32 v22, 0xff800000
	v_writelane_b32 v48, s39, 19
	s_and_saveexec_b64 s[38:39], s[68:69]
	s_cbranch_execz .LBB717_40
; %bb.39:
	global_load_dword v22, v[6:7], off offset:2304
.LBB717_40:
	s_or_b64 exec, exec, s[38:39]
	v_add_u32_e32 v3, 0x260, v2
	v_cmp_gt_i32_e64 s[38:39], s74, v3
	v_writelane_b32 v48, s38, 20
	s_and_b64 s[94:95], s[64:65], s[38:39]
	v_writelane_b32 v48, s39, 21
	s_and_saveexec_b64 s[38:39], s[94:95]
	s_cbranch_execz .LBB717_42
; %bb.41:
	global_load_dword v21, v[6:7], off offset:2432
.LBB717_42:
	s_or_b64 exec, exec, s[38:39]
	v_add_u32_e32 v3, 0x280, v2
	v_cmp_gt_i32_e64 s[38:39], s74, v3
	v_writelane_b32 v48, s38, 22
	s_and_b64 s[92:93], s[64:65], s[38:39]
	v_mov_b32_e32 v19, 0xff800000
	v_mov_b32_e32 v20, 0xff800000
	v_writelane_b32 v48, s39, 23
	s_and_saveexec_b64 s[38:39], s[92:93]
	s_cbranch_execz .LBB717_44
; %bb.43:
	global_load_dword v20, v[6:7], off offset:2560
.LBB717_44:
	s_or_b64 exec, exec, s[38:39]
	v_add_u32_e32 v3, 0x2a0, v2
	v_cmp_gt_i32_e64 s[38:39], s74, v3
	v_writelane_b32 v48, s38, 24
	s_and_b64 s[90:91], s[64:65], s[38:39]
	v_writelane_b32 v48, s39, 25
	;; [unrolled: 24-line block ×7, first 2 shown]
	s_and_saveexec_b64 s[38:39], s[64:65]
	s_cbranch_execz .LBB717_66
; %bb.65:
	global_load_dword v9, v[6:7], off offset:3968
.LBB717_66:
	s_or_b64 exec, exec, s[38:39]
	s_load_dwordx2 s[4:5], s[4:5], 0x20
	s_mov_b64 s[74:75], 0
	s_waitcnt lgkmcnt(0)
	v_mov_b32_e32 v3, s5
	v_add_co_u32_e64 v2, s[4:5], s4, v4
	v_addc_co_u32_e64 v3, s[4:5], v3, v5, s[4:5]
	s_and_saveexec_b64 s[38:39], s[36:37]
	s_cbranch_execnz .LBB717_98
; %bb.67:
	s_or_b64 exec, exec, s[38:39]
	s_waitcnt vmcnt(0)
	v_mov_b32_e32 v4, v40
	s_and_saveexec_b64 s[38:39], s[34:35]
	s_cbranch_execnz .LBB717_99
.LBB717_68:
	s_or_b64 exec, exec, s[38:39]
	s_and_saveexec_b64 s[38:39], s[30:31]
	s_cbranch_execnz .LBB717_102
.LBB717_69:
	s_or_b64 exec, exec, s[38:39]
	s_and_saveexec_b64 s[38:39], s[28:29]
	s_cbranch_execnz .LBB717_105
.LBB717_70:
	s_or_b64 exec, exec, s[38:39]
	s_and_saveexec_b64 s[38:39], s[26:27]
	s_cbranch_execnz .LBB717_108
.LBB717_71:
	s_or_b64 exec, exec, s[38:39]
	s_and_saveexec_b64 s[38:39], s[24:25]
	s_cbranch_execnz .LBB717_111
.LBB717_72:
	s_or_b64 exec, exec, s[38:39]
	s_and_saveexec_b64 s[38:39], s[22:23]
	s_cbranch_execnz .LBB717_114
.LBB717_73:
	s_or_b64 exec, exec, s[38:39]
	s_and_saveexec_b64 s[38:39], s[20:21]
	s_cbranch_execnz .LBB717_117
.LBB717_74:
	s_or_b64 exec, exec, s[38:39]
	s_and_saveexec_b64 s[38:39], s[18:19]
	s_cbranch_execnz .LBB717_120
.LBB717_75:
	s_or_b64 exec, exec, s[38:39]
	s_and_saveexec_b64 s[38:39], s[16:17]
	s_cbranch_execnz .LBB717_123
.LBB717_76:
	s_or_b64 exec, exec, s[38:39]
	s_and_saveexec_b64 s[38:39], s[14:15]
	s_cbranch_execnz .LBB717_126
.LBB717_77:
	s_or_b64 exec, exec, s[38:39]
	s_and_saveexec_b64 s[38:39], s[12:13]
	s_cbranch_execnz .LBB717_129
.LBB717_78:
	s_or_b64 exec, exec, s[38:39]
	s_and_saveexec_b64 s[38:39], s[10:11]
	s_cbranch_execnz .LBB717_132
.LBB717_79:
	s_or_b64 exec, exec, s[38:39]
	s_and_saveexec_b64 s[38:39], s[8:9]
	s_cbranch_execnz .LBB717_135
.LBB717_80:
	s_or_b64 exec, exec, s[38:39]
	s_and_saveexec_b64 s[38:39], s[6:7]
	s_cbranch_execnz .LBB717_138
.LBB717_81:
	s_or_b64 exec, exec, s[38:39]
	s_and_saveexec_b64 s[38:39], s[66:67]
	s_cbranch_execnz .LBB717_141
.LBB717_82:
	s_or_b64 exec, exec, s[38:39]
	s_and_saveexec_b64 s[38:39], s[2:3]
	s_cbranch_execnz .LBB717_144
.LBB717_83:
	s_or_b64 exec, exec, s[38:39]
	s_and_saveexec_b64 s[38:39], s[0:1]
	s_cbranch_execnz .LBB717_147
.LBB717_84:
	s_or_b64 exec, exec, s[38:39]
	s_and_saveexec_b64 s[38:39], s[68:69]
	s_cbranch_execnz .LBB717_150
.LBB717_85:
	s_or_b64 exec, exec, s[38:39]
	s_and_saveexec_b64 s[38:39], s[94:95]
	s_cbranch_execnz .LBB717_153
.LBB717_86:
	s_or_b64 exec, exec, s[38:39]
	s_and_saveexec_b64 s[38:39], s[92:93]
	s_cbranch_execnz .LBB717_156
.LBB717_87:
	s_or_b64 exec, exec, s[38:39]
	s_and_saveexec_b64 s[38:39], s[90:91]
	s_cbranch_execnz .LBB717_159
.LBB717_88:
	s_or_b64 exec, exec, s[38:39]
	s_and_saveexec_b64 s[38:39], s[88:89]
	s_cbranch_execnz .LBB717_162
.LBB717_89:
	s_or_b64 exec, exec, s[38:39]
	s_and_saveexec_b64 s[38:39], s[86:87]
	s_cbranch_execnz .LBB717_165
.LBB717_90:
	s_or_b64 exec, exec, s[38:39]
	s_and_saveexec_b64 s[38:39], s[84:85]
	s_cbranch_execnz .LBB717_168
.LBB717_91:
	s_or_b64 exec, exec, s[38:39]
	s_and_saveexec_b64 s[38:39], s[82:83]
	s_cbranch_execnz .LBB717_171
.LBB717_92:
	s_or_b64 exec, exec, s[38:39]
	s_and_saveexec_b64 s[38:39], s[80:81]
	s_cbranch_execnz .LBB717_174
.LBB717_93:
	s_or_b64 exec, exec, s[38:39]
	s_and_saveexec_b64 s[38:39], s[78:79]
	s_cbranch_execnz .LBB717_177
.LBB717_94:
	s_or_b64 exec, exec, s[38:39]
	s_and_saveexec_b64 s[38:39], s[76:77]
	s_cbranch_execnz .LBB717_180
.LBB717_95:
	s_or_b64 exec, exec, s[38:39]
	s_and_saveexec_b64 s[38:39], s[72:73]
	s_cbranch_execnz .LBB717_183
.LBB717_96:
	s_or_b64 exec, exec, s[38:39]
	s_and_saveexec_b64 s[38:39], s[70:71]
	s_cbranch_execnz .LBB717_186
.LBB717_97:
	s_or_b64 exec, exec, s[38:39]
	s_and_saveexec_b64 s[38:39], s[64:65]
	s_cbranch_execnz .LBB717_189
	s_branch .LBB717_192
.LBB717_98:
	global_load_ubyte v4, v[2:3], off
	s_waitcnt vmcnt(0)
	v_and_b32_e32 v4, 1, v4
	v_cmp_eq_u32_e64 s[4:5], 1, v4
	s_xor_b64 s[4:5], s[4:5], -1
	s_and_b64 s[74:75], s[4:5], exec
	s_or_b64 exec, exec, s[38:39]
	v_mov_b32_e32 v4, v40
	s_and_saveexec_b64 s[38:39], s[34:35]
	s_cbranch_execz .LBB717_68
.LBB717_99:
	global_load_ubyte v4, v[2:3], off offset:32
	s_mov_b64 s[40:41], s[74:75]
	s_waitcnt vmcnt(0)
	v_and_b32_e32 v4, 1, v4
	v_cmp_eq_u32_e64 s[4:5], 1, v4
	s_xor_b64 s[4:5], s[4:5], -1
	v_mov_b32_e32 v4, v40
	s_and_saveexec_b64 s[42:43], s[4:5]
; %bb.100:
	v_cmp_gt_f32_e64 s[4:5], v40, v39
	s_and_b64 s[4:5], s[74:75], s[4:5]
	v_cndmask_b32_e64 v4, v39, v40, s[4:5]
	s_or_b64 s[40:41], s[74:75], exec
; %bb.101:
	s_or_b64 exec, exec, s[42:43]
	s_andn2_b64 s[4:5], s[74:75], exec
	s_and_b64 s[40:41], s[40:41], exec
	s_or_b64 s[74:75], s[4:5], s[40:41]
	s_or_b64 exec, exec, s[38:39]
	s_and_saveexec_b64 s[38:39], s[30:31]
	s_cbranch_execz .LBB717_69
.LBB717_102:
	global_load_ubyte v5, v[2:3], off offset:64
	s_waitcnt vmcnt(0)
	v_and_b32_e32 v5, 1, v5
	v_cmp_eq_u32_e64 s[4:5], 1, v5
	s_xor_b64 s[42:43], s[4:5], -1
	s_mov_b64 s[4:5], s[74:75]
	s_and_saveexec_b64 s[40:41], s[42:43]
; %bb.103:
	v_cmp_gt_f32_e64 s[4:5], v4, v38
	s_and_b64 s[4:5], s[74:75], s[4:5]
	v_cndmask_b32_e64 v4, v38, v4, s[4:5]
	s_or_b64 s[4:5], s[74:75], exec
; %bb.104:
	s_or_b64 exec, exec, s[40:41]
	s_andn2_b64 s[40:41], s[74:75], exec
	s_and_b64 s[4:5], s[4:5], exec
	s_or_b64 s[74:75], s[40:41], s[4:5]
	s_or_b64 exec, exec, s[38:39]
	s_and_saveexec_b64 s[38:39], s[28:29]
	s_cbranch_execz .LBB717_70
.LBB717_105:
	global_load_ubyte v5, v[2:3], off offset:96
	s_waitcnt vmcnt(0)
	v_and_b32_e32 v5, 1, v5
	v_cmp_eq_u32_e64 s[4:5], 1, v5
	s_xor_b64 s[42:43], s[4:5], -1
	s_mov_b64 s[4:5], s[74:75]
	s_and_saveexec_b64 s[40:41], s[42:43]
; %bb.106:
	v_cmp_gt_f32_e64 s[4:5], v4, v37
	s_and_b64 s[4:5], s[74:75], s[4:5]
	v_cndmask_b32_e64 v4, v37, v4, s[4:5]
	s_or_b64 s[4:5], s[74:75], exec
; %bb.107:
	s_or_b64 exec, exec, s[40:41]
	s_andn2_b64 s[40:41], s[74:75], exec
	s_and_b64 s[4:5], s[4:5], exec
	s_or_b64 s[74:75], s[40:41], s[4:5]
	s_or_b64 exec, exec, s[38:39]
	s_and_saveexec_b64 s[38:39], s[26:27]
	s_cbranch_execz .LBB717_71
.LBB717_108:
	global_load_ubyte v5, v[2:3], off offset:128
	s_waitcnt vmcnt(0)
	v_and_b32_e32 v5, 1, v5
	v_cmp_eq_u32_e64 s[4:5], 1, v5
	s_xor_b64 s[42:43], s[4:5], -1
	s_mov_b64 s[4:5], s[74:75]
	s_and_saveexec_b64 s[40:41], s[42:43]
; %bb.109:
	v_cmp_gt_f32_e64 s[4:5], v4, v36
	s_and_b64 s[4:5], s[74:75], s[4:5]
	v_cndmask_b32_e64 v4, v36, v4, s[4:5]
	s_or_b64 s[4:5], s[74:75], exec
; %bb.110:
	s_or_b64 exec, exec, s[40:41]
	s_andn2_b64 s[40:41], s[74:75], exec
	s_and_b64 s[4:5], s[4:5], exec
	s_or_b64 s[74:75], s[40:41], s[4:5]
	s_or_b64 exec, exec, s[38:39]
	s_and_saveexec_b64 s[38:39], s[24:25]
	s_cbranch_execz .LBB717_72
.LBB717_111:
	global_load_ubyte v5, v[2:3], off offset:160
	s_waitcnt vmcnt(0)
	v_and_b32_e32 v5, 1, v5
	v_cmp_eq_u32_e64 s[4:5], 1, v5
	s_xor_b64 s[42:43], s[4:5], -1
	s_mov_b64 s[4:5], s[74:75]
	s_and_saveexec_b64 s[40:41], s[42:43]
; %bb.112:
	v_cmp_gt_f32_e64 s[4:5], v4, v35
	s_and_b64 s[4:5], s[74:75], s[4:5]
	v_cndmask_b32_e64 v4, v35, v4, s[4:5]
	s_or_b64 s[4:5], s[74:75], exec
; %bb.113:
	s_or_b64 exec, exec, s[40:41]
	s_andn2_b64 s[40:41], s[74:75], exec
	s_and_b64 s[4:5], s[4:5], exec
	s_or_b64 s[74:75], s[40:41], s[4:5]
	s_or_b64 exec, exec, s[38:39]
	s_and_saveexec_b64 s[38:39], s[22:23]
	s_cbranch_execz .LBB717_73
.LBB717_114:
	global_load_ubyte v5, v[2:3], off offset:192
	s_waitcnt vmcnt(0)
	v_and_b32_e32 v5, 1, v5
	v_cmp_eq_u32_e64 s[4:5], 1, v5
	s_xor_b64 s[42:43], s[4:5], -1
	s_mov_b64 s[4:5], s[74:75]
	s_and_saveexec_b64 s[40:41], s[42:43]
; %bb.115:
	v_cmp_gt_f32_e64 s[4:5], v4, v34
	s_and_b64 s[4:5], s[74:75], s[4:5]
	v_cndmask_b32_e64 v4, v34, v4, s[4:5]
	s_or_b64 s[4:5], s[74:75], exec
; %bb.116:
	s_or_b64 exec, exec, s[40:41]
	s_andn2_b64 s[40:41], s[74:75], exec
	s_and_b64 s[4:5], s[4:5], exec
	s_or_b64 s[74:75], s[40:41], s[4:5]
	s_or_b64 exec, exec, s[38:39]
	s_and_saveexec_b64 s[38:39], s[20:21]
	s_cbranch_execz .LBB717_74
.LBB717_117:
	global_load_ubyte v5, v[2:3], off offset:224
	s_waitcnt vmcnt(0)
	v_and_b32_e32 v5, 1, v5
	v_cmp_eq_u32_e64 s[4:5], 1, v5
	s_xor_b64 s[42:43], s[4:5], -1
	s_mov_b64 s[4:5], s[74:75]
	s_and_saveexec_b64 s[40:41], s[42:43]
; %bb.118:
	v_cmp_gt_f32_e64 s[4:5], v4, v33
	s_and_b64 s[4:5], s[74:75], s[4:5]
	v_cndmask_b32_e64 v4, v33, v4, s[4:5]
	s_or_b64 s[4:5], s[74:75], exec
; %bb.119:
	s_or_b64 exec, exec, s[40:41]
	s_andn2_b64 s[40:41], s[74:75], exec
	s_and_b64 s[4:5], s[4:5], exec
	s_or_b64 s[74:75], s[40:41], s[4:5]
	s_or_b64 exec, exec, s[38:39]
	s_and_saveexec_b64 s[38:39], s[18:19]
	s_cbranch_execz .LBB717_75
.LBB717_120:
	global_load_ubyte v5, v[2:3], off offset:256
	s_waitcnt vmcnt(0)
	v_and_b32_e32 v5, 1, v5
	v_cmp_eq_u32_e64 s[4:5], 1, v5
	s_xor_b64 s[42:43], s[4:5], -1
	s_mov_b64 s[4:5], s[74:75]
	s_and_saveexec_b64 s[40:41], s[42:43]
; %bb.121:
	v_cmp_gt_f32_e64 s[4:5], v4, v32
	s_and_b64 s[4:5], s[74:75], s[4:5]
	v_cndmask_b32_e64 v4, v32, v4, s[4:5]
	s_or_b64 s[4:5], s[74:75], exec
; %bb.122:
	s_or_b64 exec, exec, s[40:41]
	s_andn2_b64 s[40:41], s[74:75], exec
	s_and_b64 s[4:5], s[4:5], exec
	s_or_b64 s[74:75], s[40:41], s[4:5]
	s_or_b64 exec, exec, s[38:39]
	s_and_saveexec_b64 s[38:39], s[16:17]
	s_cbranch_execz .LBB717_76
.LBB717_123:
	global_load_ubyte v5, v[2:3], off offset:288
	s_waitcnt vmcnt(0)
	v_and_b32_e32 v5, 1, v5
	v_cmp_eq_u32_e64 s[4:5], 1, v5
	s_xor_b64 s[42:43], s[4:5], -1
	s_mov_b64 s[4:5], s[74:75]
	s_and_saveexec_b64 s[40:41], s[42:43]
; %bb.124:
	v_cmp_gt_f32_e64 s[4:5], v4, v31
	s_and_b64 s[4:5], s[74:75], s[4:5]
	v_cndmask_b32_e64 v4, v31, v4, s[4:5]
	s_or_b64 s[4:5], s[74:75], exec
; %bb.125:
	s_or_b64 exec, exec, s[40:41]
	s_andn2_b64 s[40:41], s[74:75], exec
	s_and_b64 s[4:5], s[4:5], exec
	s_or_b64 s[74:75], s[40:41], s[4:5]
	s_or_b64 exec, exec, s[38:39]
	s_and_saveexec_b64 s[38:39], s[14:15]
	s_cbranch_execz .LBB717_77
.LBB717_126:
	global_load_ubyte v5, v[2:3], off offset:320
	s_waitcnt vmcnt(0)
	v_and_b32_e32 v5, 1, v5
	v_cmp_eq_u32_e64 s[4:5], 1, v5
	s_xor_b64 s[42:43], s[4:5], -1
	s_mov_b64 s[4:5], s[74:75]
	s_and_saveexec_b64 s[40:41], s[42:43]
; %bb.127:
	v_cmp_gt_f32_e64 s[4:5], v4, v30
	s_and_b64 s[4:5], s[74:75], s[4:5]
	v_cndmask_b32_e64 v4, v30, v4, s[4:5]
	s_or_b64 s[4:5], s[74:75], exec
; %bb.128:
	s_or_b64 exec, exec, s[40:41]
	s_andn2_b64 s[40:41], s[74:75], exec
	s_and_b64 s[4:5], s[4:5], exec
	s_or_b64 s[74:75], s[40:41], s[4:5]
	s_or_b64 exec, exec, s[38:39]
	s_and_saveexec_b64 s[38:39], s[12:13]
	s_cbranch_execz .LBB717_78
.LBB717_129:
	global_load_ubyte v5, v[2:3], off offset:352
	s_waitcnt vmcnt(0)
	v_and_b32_e32 v5, 1, v5
	v_cmp_eq_u32_e64 s[4:5], 1, v5
	s_xor_b64 s[42:43], s[4:5], -1
	s_mov_b64 s[4:5], s[74:75]
	s_and_saveexec_b64 s[40:41], s[42:43]
; %bb.130:
	v_cmp_gt_f32_e64 s[4:5], v4, v29
	s_and_b64 s[4:5], s[74:75], s[4:5]
	v_cndmask_b32_e64 v4, v29, v4, s[4:5]
	s_or_b64 s[4:5], s[74:75], exec
; %bb.131:
	s_or_b64 exec, exec, s[40:41]
	s_andn2_b64 s[40:41], s[74:75], exec
	s_and_b64 s[4:5], s[4:5], exec
	s_or_b64 s[74:75], s[40:41], s[4:5]
	s_or_b64 exec, exec, s[38:39]
	s_and_saveexec_b64 s[38:39], s[10:11]
	s_cbranch_execz .LBB717_79
.LBB717_132:
	global_load_ubyte v5, v[2:3], off offset:384
	s_waitcnt vmcnt(0)
	v_and_b32_e32 v5, 1, v5
	v_cmp_eq_u32_e64 s[4:5], 1, v5
	s_xor_b64 s[42:43], s[4:5], -1
	s_mov_b64 s[4:5], s[74:75]
	s_and_saveexec_b64 s[40:41], s[42:43]
; %bb.133:
	v_cmp_gt_f32_e64 s[4:5], v4, v28
	s_and_b64 s[4:5], s[74:75], s[4:5]
	v_cndmask_b32_e64 v4, v28, v4, s[4:5]
	s_or_b64 s[4:5], s[74:75], exec
; %bb.134:
	s_or_b64 exec, exec, s[40:41]
	s_andn2_b64 s[40:41], s[74:75], exec
	s_and_b64 s[4:5], s[4:5], exec
	s_or_b64 s[74:75], s[40:41], s[4:5]
	s_or_b64 exec, exec, s[38:39]
	s_and_saveexec_b64 s[38:39], s[8:9]
	s_cbranch_execz .LBB717_80
.LBB717_135:
	global_load_ubyte v5, v[2:3], off offset:416
	s_waitcnt vmcnt(0)
	v_and_b32_e32 v5, 1, v5
	v_cmp_eq_u32_e64 s[4:5], 1, v5
	s_xor_b64 s[42:43], s[4:5], -1
	s_mov_b64 s[4:5], s[74:75]
	s_and_saveexec_b64 s[40:41], s[42:43]
; %bb.136:
	v_cmp_gt_f32_e64 s[4:5], v4, v27
	s_and_b64 s[4:5], s[74:75], s[4:5]
	v_cndmask_b32_e64 v4, v27, v4, s[4:5]
	s_or_b64 s[4:5], s[74:75], exec
; %bb.137:
	s_or_b64 exec, exec, s[40:41]
	s_andn2_b64 s[40:41], s[74:75], exec
	s_and_b64 s[4:5], s[4:5], exec
	s_or_b64 s[74:75], s[40:41], s[4:5]
	s_or_b64 exec, exec, s[38:39]
	s_and_saveexec_b64 s[38:39], s[6:7]
	s_cbranch_execz .LBB717_81
.LBB717_138:
	global_load_ubyte v5, v[2:3], off offset:448
	s_waitcnt vmcnt(0)
	v_and_b32_e32 v5, 1, v5
	v_cmp_eq_u32_e64 s[4:5], 1, v5
	s_xor_b64 s[42:43], s[4:5], -1
	s_mov_b64 s[4:5], s[74:75]
	s_and_saveexec_b64 s[40:41], s[42:43]
; %bb.139:
	v_cmp_gt_f32_e64 s[4:5], v4, v26
	s_and_b64 s[4:5], s[74:75], s[4:5]
	v_cndmask_b32_e64 v4, v26, v4, s[4:5]
	s_or_b64 s[4:5], s[74:75], exec
; %bb.140:
	s_or_b64 exec, exec, s[40:41]
	s_andn2_b64 s[40:41], s[74:75], exec
	s_and_b64 s[4:5], s[4:5], exec
	s_or_b64 s[74:75], s[40:41], s[4:5]
	s_or_b64 exec, exec, s[38:39]
	s_and_saveexec_b64 s[38:39], s[66:67]
	s_cbranch_execz .LBB717_82
.LBB717_141:
	global_load_ubyte v5, v[2:3], off offset:480
	s_waitcnt vmcnt(0)
	v_and_b32_e32 v5, 1, v5
	v_cmp_eq_u32_e64 s[4:5], 1, v5
	s_xor_b64 s[42:43], s[4:5], -1
	s_mov_b64 s[4:5], s[74:75]
	s_and_saveexec_b64 s[40:41], s[42:43]
; %bb.142:
	v_cmp_gt_f32_e64 s[4:5], v4, v25
	s_and_b64 s[4:5], s[74:75], s[4:5]
	v_cndmask_b32_e64 v4, v25, v4, s[4:5]
	s_or_b64 s[4:5], s[74:75], exec
; %bb.143:
	s_or_b64 exec, exec, s[40:41]
	s_andn2_b64 s[40:41], s[74:75], exec
	s_and_b64 s[4:5], s[4:5], exec
	s_or_b64 s[74:75], s[40:41], s[4:5]
	s_or_b64 exec, exec, s[38:39]
	s_and_saveexec_b64 s[38:39], s[2:3]
	s_cbranch_execz .LBB717_83
.LBB717_144:
	global_load_ubyte v5, v[2:3], off offset:512
	s_waitcnt vmcnt(0)
	v_and_b32_e32 v5, 1, v5
	v_cmp_eq_u32_e64 s[4:5], 1, v5
	s_xor_b64 s[42:43], s[4:5], -1
	s_mov_b64 s[4:5], s[74:75]
	s_and_saveexec_b64 s[40:41], s[42:43]
; %bb.145:
	v_cmp_gt_f32_e64 s[4:5], v4, v24
	s_and_b64 s[4:5], s[74:75], s[4:5]
	v_cndmask_b32_e64 v4, v24, v4, s[4:5]
	s_or_b64 s[4:5], s[74:75], exec
; %bb.146:
	s_or_b64 exec, exec, s[40:41]
	s_andn2_b64 s[40:41], s[74:75], exec
	s_and_b64 s[4:5], s[4:5], exec
	s_or_b64 s[74:75], s[40:41], s[4:5]
	s_or_b64 exec, exec, s[38:39]
	s_and_saveexec_b64 s[38:39], s[0:1]
	s_cbranch_execz .LBB717_84
.LBB717_147:
	global_load_ubyte v5, v[2:3], off offset:544
	s_waitcnt vmcnt(0)
	v_and_b32_e32 v5, 1, v5
	v_cmp_eq_u32_e64 s[4:5], 1, v5
	s_xor_b64 s[42:43], s[4:5], -1
	s_mov_b64 s[4:5], s[74:75]
	s_and_saveexec_b64 s[40:41], s[42:43]
; %bb.148:
	v_cmp_gt_f32_e64 s[4:5], v4, v23
	s_and_b64 s[4:5], s[74:75], s[4:5]
	v_cndmask_b32_e64 v4, v23, v4, s[4:5]
	s_or_b64 s[4:5], s[74:75], exec
; %bb.149:
	s_or_b64 exec, exec, s[40:41]
	s_andn2_b64 s[40:41], s[74:75], exec
	s_and_b64 s[4:5], s[4:5], exec
	s_or_b64 s[74:75], s[40:41], s[4:5]
	s_or_b64 exec, exec, s[38:39]
	s_and_saveexec_b64 s[38:39], s[68:69]
	s_cbranch_execz .LBB717_85
.LBB717_150:
	global_load_ubyte v5, v[2:3], off offset:576
	s_waitcnt vmcnt(0)
	v_and_b32_e32 v5, 1, v5
	v_cmp_eq_u32_e64 s[4:5], 1, v5
	s_xor_b64 s[42:43], s[4:5], -1
	s_mov_b64 s[4:5], s[74:75]
	s_and_saveexec_b64 s[40:41], s[42:43]
; %bb.151:
	v_cmp_gt_f32_e64 s[4:5], v4, v22
	s_and_b64 s[4:5], s[74:75], s[4:5]
	v_cndmask_b32_e64 v4, v22, v4, s[4:5]
	s_or_b64 s[4:5], s[74:75], exec
; %bb.152:
	s_or_b64 exec, exec, s[40:41]
	s_andn2_b64 s[40:41], s[74:75], exec
	s_and_b64 s[4:5], s[4:5], exec
	s_or_b64 s[74:75], s[40:41], s[4:5]
	s_or_b64 exec, exec, s[38:39]
	s_and_saveexec_b64 s[38:39], s[94:95]
	s_cbranch_execz .LBB717_86
.LBB717_153:
	global_load_ubyte v5, v[2:3], off offset:608
	s_waitcnt vmcnt(0)
	v_and_b32_e32 v5, 1, v5
	v_cmp_eq_u32_e64 s[4:5], 1, v5
	s_xor_b64 s[42:43], s[4:5], -1
	s_mov_b64 s[4:5], s[74:75]
	s_and_saveexec_b64 s[40:41], s[42:43]
; %bb.154:
	v_cmp_gt_f32_e64 s[4:5], v4, v21
	s_and_b64 s[4:5], s[74:75], s[4:5]
	v_cndmask_b32_e64 v4, v21, v4, s[4:5]
	s_or_b64 s[4:5], s[74:75], exec
; %bb.155:
	s_or_b64 exec, exec, s[40:41]
	s_andn2_b64 s[40:41], s[74:75], exec
	s_and_b64 s[4:5], s[4:5], exec
	s_or_b64 s[74:75], s[40:41], s[4:5]
	s_or_b64 exec, exec, s[38:39]
	s_and_saveexec_b64 s[38:39], s[92:93]
	s_cbranch_execz .LBB717_87
.LBB717_156:
	global_load_ubyte v5, v[2:3], off offset:640
	s_waitcnt vmcnt(0)
	v_and_b32_e32 v5, 1, v5
	v_cmp_eq_u32_e64 s[4:5], 1, v5
	s_xor_b64 s[42:43], s[4:5], -1
	s_mov_b64 s[4:5], s[74:75]
	s_and_saveexec_b64 s[40:41], s[42:43]
; %bb.157:
	v_cmp_gt_f32_e64 s[4:5], v4, v20
	s_and_b64 s[4:5], s[74:75], s[4:5]
	v_cndmask_b32_e64 v4, v20, v4, s[4:5]
	s_or_b64 s[4:5], s[74:75], exec
; %bb.158:
	s_or_b64 exec, exec, s[40:41]
	s_andn2_b64 s[40:41], s[74:75], exec
	s_and_b64 s[4:5], s[4:5], exec
	s_or_b64 s[74:75], s[40:41], s[4:5]
	s_or_b64 exec, exec, s[38:39]
	s_and_saveexec_b64 s[38:39], s[90:91]
	s_cbranch_execz .LBB717_88
.LBB717_159:
	global_load_ubyte v5, v[2:3], off offset:672
	s_waitcnt vmcnt(0)
	v_and_b32_e32 v5, 1, v5
	v_cmp_eq_u32_e64 s[4:5], 1, v5
	s_xor_b64 s[42:43], s[4:5], -1
	s_mov_b64 s[4:5], s[74:75]
	s_and_saveexec_b64 s[40:41], s[42:43]
; %bb.160:
	v_cmp_gt_f32_e64 s[4:5], v4, v19
	s_and_b64 s[4:5], s[74:75], s[4:5]
	v_cndmask_b32_e64 v4, v19, v4, s[4:5]
	s_or_b64 s[4:5], s[74:75], exec
; %bb.161:
	s_or_b64 exec, exec, s[40:41]
	s_andn2_b64 s[40:41], s[74:75], exec
	s_and_b64 s[4:5], s[4:5], exec
	s_or_b64 s[74:75], s[40:41], s[4:5]
	s_or_b64 exec, exec, s[38:39]
	s_and_saveexec_b64 s[38:39], s[88:89]
	s_cbranch_execz .LBB717_89
.LBB717_162:
	global_load_ubyte v5, v[2:3], off offset:704
	s_waitcnt vmcnt(0)
	v_and_b32_e32 v5, 1, v5
	v_cmp_eq_u32_e64 s[4:5], 1, v5
	s_xor_b64 s[42:43], s[4:5], -1
	s_mov_b64 s[4:5], s[74:75]
	s_and_saveexec_b64 s[40:41], s[42:43]
; %bb.163:
	v_cmp_gt_f32_e64 s[4:5], v4, v18
	s_and_b64 s[4:5], s[74:75], s[4:5]
	v_cndmask_b32_e64 v4, v18, v4, s[4:5]
	s_or_b64 s[4:5], s[74:75], exec
; %bb.164:
	s_or_b64 exec, exec, s[40:41]
	s_andn2_b64 s[40:41], s[74:75], exec
	s_and_b64 s[4:5], s[4:5], exec
	s_or_b64 s[74:75], s[40:41], s[4:5]
	s_or_b64 exec, exec, s[38:39]
	s_and_saveexec_b64 s[38:39], s[86:87]
	s_cbranch_execz .LBB717_90
.LBB717_165:
	global_load_ubyte v5, v[2:3], off offset:736
	s_waitcnt vmcnt(0)
	v_and_b32_e32 v5, 1, v5
	v_cmp_eq_u32_e64 s[4:5], 1, v5
	s_xor_b64 s[42:43], s[4:5], -1
	s_mov_b64 s[4:5], s[74:75]
	s_and_saveexec_b64 s[40:41], s[42:43]
; %bb.166:
	v_cmp_gt_f32_e64 s[4:5], v4, v17
	s_and_b64 s[4:5], s[74:75], s[4:5]
	v_cndmask_b32_e64 v4, v17, v4, s[4:5]
	s_or_b64 s[4:5], s[74:75], exec
; %bb.167:
	s_or_b64 exec, exec, s[40:41]
	s_andn2_b64 s[40:41], s[74:75], exec
	s_and_b64 s[4:5], s[4:5], exec
	s_or_b64 s[74:75], s[40:41], s[4:5]
	s_or_b64 exec, exec, s[38:39]
	s_and_saveexec_b64 s[38:39], s[84:85]
	s_cbranch_execz .LBB717_91
.LBB717_168:
	global_load_ubyte v5, v[2:3], off offset:768
	s_waitcnt vmcnt(0)
	v_and_b32_e32 v5, 1, v5
	v_cmp_eq_u32_e64 s[4:5], 1, v5
	s_xor_b64 s[42:43], s[4:5], -1
	s_mov_b64 s[4:5], s[74:75]
	s_and_saveexec_b64 s[40:41], s[42:43]
; %bb.169:
	v_cmp_gt_f32_e64 s[4:5], v4, v16
	s_and_b64 s[4:5], s[74:75], s[4:5]
	v_cndmask_b32_e64 v4, v16, v4, s[4:5]
	s_or_b64 s[4:5], s[74:75], exec
; %bb.170:
	s_or_b64 exec, exec, s[40:41]
	s_andn2_b64 s[40:41], s[74:75], exec
	s_and_b64 s[4:5], s[4:5], exec
	s_or_b64 s[74:75], s[40:41], s[4:5]
	s_or_b64 exec, exec, s[38:39]
	s_and_saveexec_b64 s[38:39], s[82:83]
	s_cbranch_execz .LBB717_92
.LBB717_171:
	global_load_ubyte v5, v[2:3], off offset:800
	s_waitcnt vmcnt(0)
	v_and_b32_e32 v5, 1, v5
	v_cmp_eq_u32_e64 s[4:5], 1, v5
	s_xor_b64 s[42:43], s[4:5], -1
	s_mov_b64 s[4:5], s[74:75]
	s_and_saveexec_b64 s[40:41], s[42:43]
; %bb.172:
	v_cmp_gt_f32_e64 s[4:5], v4, v15
	s_and_b64 s[4:5], s[74:75], s[4:5]
	v_cndmask_b32_e64 v4, v15, v4, s[4:5]
	s_or_b64 s[4:5], s[74:75], exec
; %bb.173:
	s_or_b64 exec, exec, s[40:41]
	s_andn2_b64 s[40:41], s[74:75], exec
	s_and_b64 s[4:5], s[4:5], exec
	s_or_b64 s[74:75], s[40:41], s[4:5]
	s_or_b64 exec, exec, s[38:39]
	s_and_saveexec_b64 s[38:39], s[80:81]
	s_cbranch_execz .LBB717_93
.LBB717_174:
	global_load_ubyte v5, v[2:3], off offset:832
	s_waitcnt vmcnt(0)
	v_and_b32_e32 v5, 1, v5
	v_cmp_eq_u32_e64 s[4:5], 1, v5
	s_xor_b64 s[42:43], s[4:5], -1
	s_mov_b64 s[4:5], s[74:75]
	s_and_saveexec_b64 s[40:41], s[42:43]
; %bb.175:
	v_cmp_gt_f32_e64 s[4:5], v4, v14
	s_and_b64 s[4:5], s[74:75], s[4:5]
	v_cndmask_b32_e64 v4, v14, v4, s[4:5]
	s_or_b64 s[4:5], s[74:75], exec
; %bb.176:
	s_or_b64 exec, exec, s[40:41]
	s_andn2_b64 s[40:41], s[74:75], exec
	s_and_b64 s[4:5], s[4:5], exec
	s_or_b64 s[74:75], s[40:41], s[4:5]
	s_or_b64 exec, exec, s[38:39]
	s_and_saveexec_b64 s[38:39], s[78:79]
	s_cbranch_execz .LBB717_94
.LBB717_177:
	global_load_ubyte v5, v[2:3], off offset:864
	s_waitcnt vmcnt(0)
	v_and_b32_e32 v5, 1, v5
	v_cmp_eq_u32_e64 s[4:5], 1, v5
	s_xor_b64 s[42:43], s[4:5], -1
	s_mov_b64 s[4:5], s[74:75]
	s_and_saveexec_b64 s[40:41], s[42:43]
; %bb.178:
	v_cmp_gt_f32_e64 s[4:5], v4, v13
	s_and_b64 s[4:5], s[74:75], s[4:5]
	v_cndmask_b32_e64 v4, v13, v4, s[4:5]
	s_or_b64 s[4:5], s[74:75], exec
; %bb.179:
	s_or_b64 exec, exec, s[40:41]
	s_andn2_b64 s[40:41], s[74:75], exec
	s_and_b64 s[4:5], s[4:5], exec
	s_or_b64 s[74:75], s[40:41], s[4:5]
	s_or_b64 exec, exec, s[38:39]
	s_and_saveexec_b64 s[38:39], s[76:77]
	s_cbranch_execz .LBB717_95
.LBB717_180:
	global_load_ubyte v5, v[2:3], off offset:896
	s_waitcnt vmcnt(0)
	v_and_b32_e32 v5, 1, v5
	v_cmp_eq_u32_e64 s[4:5], 1, v5
	s_xor_b64 s[42:43], s[4:5], -1
	s_mov_b64 s[4:5], s[74:75]
	s_and_saveexec_b64 s[40:41], s[42:43]
; %bb.181:
	v_cmp_gt_f32_e64 s[4:5], v4, v12
	s_and_b64 s[4:5], s[74:75], s[4:5]
	v_cndmask_b32_e64 v4, v12, v4, s[4:5]
	s_or_b64 s[4:5], s[74:75], exec
; %bb.182:
	s_or_b64 exec, exec, s[40:41]
	s_andn2_b64 s[40:41], s[74:75], exec
	s_and_b64 s[4:5], s[4:5], exec
	s_or_b64 s[74:75], s[40:41], s[4:5]
	s_or_b64 exec, exec, s[38:39]
	s_and_saveexec_b64 s[38:39], s[72:73]
	s_cbranch_execz .LBB717_96
.LBB717_183:
	global_load_ubyte v5, v[2:3], off offset:928
	s_waitcnt vmcnt(0)
	v_and_b32_e32 v5, 1, v5
	v_cmp_eq_u32_e64 s[4:5], 1, v5
	s_xor_b64 s[42:43], s[4:5], -1
	s_mov_b64 s[4:5], s[74:75]
	s_and_saveexec_b64 s[40:41], s[42:43]
; %bb.184:
	v_cmp_gt_f32_e64 s[4:5], v4, v11
	s_and_b64 s[4:5], s[74:75], s[4:5]
	v_cndmask_b32_e64 v4, v11, v4, s[4:5]
	s_or_b64 s[4:5], s[74:75], exec
; %bb.185:
	s_or_b64 exec, exec, s[40:41]
	s_andn2_b64 s[40:41], s[74:75], exec
	s_and_b64 s[4:5], s[4:5], exec
	s_or_b64 s[74:75], s[40:41], s[4:5]
	s_or_b64 exec, exec, s[38:39]
	s_and_saveexec_b64 s[38:39], s[70:71]
	s_cbranch_execz .LBB717_97
.LBB717_186:
	global_load_ubyte v5, v[2:3], off offset:960
	s_waitcnt vmcnt(0)
	v_and_b32_e32 v5, 1, v5
	v_cmp_eq_u32_e64 s[4:5], 1, v5
	s_xor_b64 s[42:43], s[4:5], -1
	s_mov_b64 s[4:5], s[74:75]
	s_and_saveexec_b64 s[40:41], s[42:43]
; %bb.187:
	v_cmp_gt_f32_e64 s[4:5], v4, v10
	s_and_b64 s[4:5], s[74:75], s[4:5]
	v_cndmask_b32_e64 v4, v10, v4, s[4:5]
	s_or_b64 s[4:5], s[74:75], exec
; %bb.188:
	s_or_b64 exec, exec, s[40:41]
	s_andn2_b64 s[40:41], s[74:75], exec
	s_and_b64 s[4:5], s[4:5], exec
	s_or_b64 s[74:75], s[40:41], s[4:5]
	s_or_b64 exec, exec, s[38:39]
	s_and_saveexec_b64 s[38:39], s[64:65]
	s_cbranch_execz .LBB717_192
.LBB717_189:
	global_load_ubyte v5, v[2:3], off offset:992
	s_waitcnt vmcnt(0)
	v_and_b32_e32 v5, 1, v5
	v_cmp_eq_u32_e64 s[4:5], 1, v5
	s_xor_b64 s[42:43], s[4:5], -1
	s_mov_b64 s[4:5], s[74:75]
	s_and_saveexec_b64 s[40:41], s[42:43]
; %bb.190:
	v_cmp_gt_f32_e64 s[4:5], v4, v9
	s_and_b64 s[4:5], s[74:75], s[4:5]
	v_cndmask_b32_e64 v4, v9, v4, s[4:5]
	s_or_b64 s[4:5], s[74:75], exec
; %bb.191:
	s_or_b64 exec, exec, s[40:41]
	s_andn2_b64 s[40:41], s[74:75], exec
	s_and_b64 s[4:5], s[4:5], exec
	s_or_b64 s[74:75], s[40:41], s[4:5]
.LBB717_192:
	s_or_b64 exec, exec, s[38:39]
	v_mov_b32_e32 v5, 0xff800000
	v_cndmask_b32_e64 v4, v5, v4, s[74:75]
	v_mbcnt_lo_u32_b32 v5, -1, 0
	v_mbcnt_hi_u32_b32 v41, -1, v5
	v_and_b32_e32 v5, 0x60, v41
	v_add_u32_e32 v43, 32, v5
	v_xor_b32_e32 v5, 16, v41
	v_cmp_lt_i32_e64 s[4:5], v5, v43
	v_cndmask_b32_e64 v5, v41, v5, s[4:5]
	v_lshlrev_b32_e32 v5, 2, v5
	ds_bpermute_b32 v6, v5, v4
	v_xor_b32_e32 v7, 8, v41
	v_xor_b32_e32 v42, 4, v41
	;; [unrolled: 1-line block ×4, first 2 shown]
	s_waitcnt lgkmcnt(0)
	v_cmp_lt_f32_e64 s[4:5], v4, v6
	v_cndmask_b32_e64 v4, v4, v6, s[4:5]
	v_cmp_lt_i32_e64 s[4:5], v7, v43
	v_cndmask_b32_e64 v6, v41, v7, s[4:5]
	v_lshlrev_b32_e32 v6, 2, v6
	ds_bpermute_b32 v7, v6, v4
	s_waitcnt lgkmcnt(0)
	v_cmp_lt_f32_e64 s[4:5], v4, v7
	v_cndmask_b32_e64 v4, v4, v7, s[4:5]
	v_cmp_lt_i32_e64 s[4:5], v42, v43
	v_cndmask_b32_e64 v7, v41, v42, s[4:5]
	v_lshlrev_b32_e32 v7, 2, v7
	ds_bpermute_b32 v42, v7, v4
	;; [unrolled: 7-line block ×4, first 2 shown]
	v_mov_b32_e32 v4, 0
	s_waitcnt lgkmcnt(0)
	v_cmp_lt_f32_e64 s[4:5], v44, v41
	v_cndmask_b32_e64 v44, v44, v41, s[4:5]
	v_mov_b32_e32 v41, 0
	s_and_saveexec_b64 s[74:75], s[36:37]
	s_cbranch_execz .LBB717_196
; %bb.193:
	global_load_ubyte v41, v[2:3], off
	s_waitcnt vmcnt(0)
	v_and_b32_e32 v41, 1, v41
	v_cmp_eq_u32_e64 s[4:5], 1, v41
	s_xor_b64 s[4:5], s[4:5], -1
	v_mov_b32_e32 v41, 0
	s_and_saveexec_b64 s[36:37], s[4:5]
	s_cbranch_execz .LBB717_195
; %bb.194:
	v_sub_f32_e32 v40, v40, v44
	s_mov_b32 s4, 0x3fb8aa3b
	v_mul_f32_e32 v41, 0x3fb8aa3b, v40
	v_fma_f32 v45, v40, s4, -v41
	v_rndne_f32_e32 v46, v41
	v_fmac_f32_e32 v45, 0x32a5705f, v40
	v_sub_f32_e32 v41, v41, v46
	v_add_f32_e32 v41, v41, v45
	v_exp_f32_e32 v41, v41
	v_cvt_i32_f32_e32 v45, v46
	s_mov_b32 s4, 0xc2ce8ed0
	v_cmp_ngt_f32_e64 s[4:5], s4, v40
	v_ldexp_f32 v41, v41, v45
	v_cndmask_b32_e64 v41, 0, v41, s[4:5]
	s_mov_b32 s4, 0x42b17218
	v_mov_b32_e32 v45, 0x7f800000
	v_cmp_nlt_f32_e64 s[4:5], s4, v40
	v_cndmask_b32_e64 v41, v45, v41, s[4:5]
.LBB717_195:
	s_or_b64 exec, exec, s[36:37]
.LBB717_196:
	s_or_b64 exec, exec, s[74:75]
	v_mov_b32_e32 v45, v41
	s_and_saveexec_b64 s[36:37], s[34:35]
	s_cbranch_execz .LBB717_200
; %bb.197:
	global_load_ubyte v40, v[2:3], off offset:32
	v_mov_b32_e32 v4, 0
	v_mov_b32_e32 v45, v41
	s_waitcnt vmcnt(0)
	v_and_b32_e32 v40, 1, v40
	v_cmp_eq_u32_e64 s[4:5], 1, v40
	s_xor_b64 s[4:5], s[4:5], -1
	s_and_saveexec_b64 s[34:35], s[4:5]
	s_cbranch_execz .LBB717_199
; %bb.198:
	v_sub_f32_e32 v4, v39, v44
	s_mov_b32 s4, 0x3fb8aa3b
	v_mul_f32_e32 v39, 0x3fb8aa3b, v4
	v_fma_f32 v40, v4, s4, -v39
	v_rndne_f32_e32 v45, v39
	v_fmac_f32_e32 v40, 0x32a5705f, v4
	v_sub_f32_e32 v39, v39, v45
	v_add_f32_e32 v39, v39, v40
	v_exp_f32_e32 v39, v39
	v_cvt_i32_f32_e32 v40, v45
	s_mov_b32 s4, 0xc2ce8ed0
	v_cmp_ngt_f32_e64 s[4:5], s4, v4
	v_ldexp_f32 v39, v39, v40
	v_cndmask_b32_e64 v39, 0, v39, s[4:5]
	s_mov_b32 s4, 0x42b17218
	v_mov_b32_e32 v40, 0x7f800000
	v_cmp_nlt_f32_e64 s[4:5], s4, v4
	v_cndmask_b32_e64 v4, v40, v39, s[4:5]
	v_add_f32_e32 v45, v41, v4
.LBB717_199:
	s_or_b64 exec, exec, s[34:35]
.LBB717_200:
	s_or_b64 exec, exec, s[36:37]
	v_mov_b32_e32 v39, 0
	v_mov_b32_e32 v40, 0
	s_and_saveexec_b64 s[34:35], s[30:31]
	s_cbranch_execz .LBB717_204
; %bb.201:
	global_load_ubyte v40, v[2:3], off offset:64
	s_waitcnt vmcnt(0)
	v_and_b32_e32 v40, 1, v40
	v_cmp_eq_u32_e64 s[4:5], 1, v40
	s_xor_b64 s[4:5], s[4:5], -1
	v_mov_b32_e32 v40, 0
	s_and_saveexec_b64 s[30:31], s[4:5]
	s_cbranch_execz .LBB717_203
; %bb.202:
	v_sub_f32_e32 v38, v38, v44
	s_mov_b32 s4, 0x3fb8aa3b
	v_mul_f32_e32 v40, 0x3fb8aa3b, v38
	v_fma_f32 v46, v38, s4, -v40
	v_rndne_f32_e32 v47, v40
	v_fmac_f32_e32 v46, 0x32a5705f, v38
	v_sub_f32_e32 v40, v40, v47
	v_add_f32_e32 v40, v40, v46
	v_exp_f32_e32 v40, v40
	v_cvt_i32_f32_e32 v46, v47
	s_mov_b32 s4, 0xc2ce8ed0
	v_cmp_ngt_f32_e64 s[4:5], s4, v38
	v_ldexp_f32 v40, v40, v46
	v_cndmask_b32_e64 v40, 0, v40, s[4:5]
	s_mov_b32 s4, 0x42b17218
	v_mov_b32_e32 v46, 0x7f800000
	v_cmp_nlt_f32_e64 s[4:5], s4, v38
	v_cndmask_b32_e64 v40, v46, v40, s[4:5]
	v_add_f32_e32 v45, v45, v40
.LBB717_203:
	s_or_b64 exec, exec, s[30:31]
.LBB717_204:
	s_or_b64 exec, exec, s[34:35]
	s_and_saveexec_b64 s[30:31], s[28:29]
	s_cbranch_execz .LBB717_208
; %bb.205:
	global_load_ubyte v38, v[2:3], off offset:96
	v_mov_b32_e32 v39, 0
	s_waitcnt vmcnt(0)
	v_and_b32_e32 v38, 1, v38
	v_cmp_eq_u32_e64 s[4:5], 1, v38
	s_xor_b64 s[4:5], s[4:5], -1
	s_and_saveexec_b64 s[28:29], s[4:5]
	s_cbranch_execz .LBB717_207
; %bb.206:
	v_sub_f32_e32 v37, v37, v44
	s_mov_b32 s4, 0x3fb8aa3b
	v_mul_f32_e32 v38, 0x3fb8aa3b, v37
	v_fma_f32 v39, v37, s4, -v38
	v_rndne_f32_e32 v46, v38
	v_fmac_f32_e32 v39, 0x32a5705f, v37
	v_sub_f32_e32 v38, v38, v46
	v_add_f32_e32 v38, v38, v39
	v_exp_f32_e32 v38, v38
	v_cvt_i32_f32_e32 v39, v46
	s_mov_b32 s4, 0xc2ce8ed0
	v_cmp_ngt_f32_e64 s[4:5], s4, v37
	v_ldexp_f32 v38, v38, v39
	v_cndmask_b32_e64 v38, 0, v38, s[4:5]
	s_mov_b32 s4, 0x42b17218
	v_mov_b32_e32 v39, 0x7f800000
	v_cmp_nlt_f32_e64 s[4:5], s4, v37
	v_cndmask_b32_e64 v39, v39, v38, s[4:5]
	v_add_f32_e32 v45, v45, v39
.LBB717_207:
	s_or_b64 exec, exec, s[28:29]
.LBB717_208:
	s_or_b64 exec, exec, s[30:31]
	v_mov_b32_e32 v37, 0
	v_mov_b32_e32 v38, 0
	s_and_saveexec_b64 s[28:29], s[26:27]
	s_cbranch_execz .LBB717_212
; %bb.209:
	global_load_ubyte v38, v[2:3], off offset:128
	s_waitcnt vmcnt(0)
	v_and_b32_e32 v38, 1, v38
	v_cmp_eq_u32_e64 s[4:5], 1, v38
	s_xor_b64 s[4:5], s[4:5], -1
	v_mov_b32_e32 v38, 0
	s_and_saveexec_b64 s[26:27], s[4:5]
	s_cbranch_execz .LBB717_211
; %bb.210:
	v_sub_f32_e32 v36, v36, v44
	s_mov_b32 s4, 0x3fb8aa3b
	v_mul_f32_e32 v38, 0x3fb8aa3b, v36
	v_fma_f32 v46, v36, s4, -v38
	v_rndne_f32_e32 v47, v38
	v_fmac_f32_e32 v46, 0x32a5705f, v36
	v_sub_f32_e32 v38, v38, v47
	v_add_f32_e32 v38, v38, v46
	v_exp_f32_e32 v38, v38
	v_cvt_i32_f32_e32 v46, v47
	s_mov_b32 s4, 0xc2ce8ed0
	v_cmp_ngt_f32_e64 s[4:5], s4, v36
	v_ldexp_f32 v38, v38, v46
	v_cndmask_b32_e64 v38, 0, v38, s[4:5]
	s_mov_b32 s4, 0x42b17218
	v_mov_b32_e32 v46, 0x7f800000
	v_cmp_nlt_f32_e64 s[4:5], s4, v36
	v_cndmask_b32_e64 v38, v46, v38, s[4:5]
	v_add_f32_e32 v45, v45, v38
.LBB717_211:
	s_or_b64 exec, exec, s[26:27]
.LBB717_212:
	s_or_b64 exec, exec, s[28:29]
	s_and_saveexec_b64 s[26:27], s[24:25]
	s_cbranch_execz .LBB717_216
; %bb.213:
	global_load_ubyte v36, v[2:3], off offset:160
	v_mov_b32_e32 v37, 0
	s_waitcnt vmcnt(0)
	v_and_b32_e32 v36, 1, v36
	v_cmp_eq_u32_e64 s[4:5], 1, v36
	s_xor_b64 s[4:5], s[4:5], -1
	s_and_saveexec_b64 s[24:25], s[4:5]
	s_cbranch_execz .LBB717_215
; %bb.214:
	v_sub_f32_e32 v35, v35, v44
	s_mov_b32 s4, 0x3fb8aa3b
	v_mul_f32_e32 v36, 0x3fb8aa3b, v35
	v_fma_f32 v37, v35, s4, -v36
	v_rndne_f32_e32 v46, v36
	v_fmac_f32_e32 v37, 0x32a5705f, v35
	v_sub_f32_e32 v36, v36, v46
	v_add_f32_e32 v36, v36, v37
	v_exp_f32_e32 v36, v36
	v_cvt_i32_f32_e32 v37, v46
	s_mov_b32 s4, 0xc2ce8ed0
	v_cmp_ngt_f32_e64 s[4:5], s4, v35
	v_ldexp_f32 v36, v36, v37
	v_cndmask_b32_e64 v36, 0, v36, s[4:5]
	s_mov_b32 s4, 0x42b17218
	v_mov_b32_e32 v37, 0x7f800000
	v_cmp_nlt_f32_e64 s[4:5], s4, v35
	v_cndmask_b32_e64 v37, v37, v36, s[4:5]
	v_add_f32_e32 v45, v45, v37
.LBB717_215:
	s_or_b64 exec, exec, s[24:25]
.LBB717_216:
	s_or_b64 exec, exec, s[26:27]
	v_mov_b32_e32 v35, 0
	v_mov_b32_e32 v36, 0
	s_and_saveexec_b64 s[24:25], s[22:23]
	s_cbranch_execz .LBB717_220
; %bb.217:
	global_load_ubyte v36, v[2:3], off offset:192
	s_waitcnt vmcnt(0)
	v_and_b32_e32 v36, 1, v36
	v_cmp_eq_u32_e64 s[4:5], 1, v36
	s_xor_b64 s[4:5], s[4:5], -1
	v_mov_b32_e32 v36, 0
	s_and_saveexec_b64 s[22:23], s[4:5]
	s_cbranch_execz .LBB717_219
; %bb.218:
	v_sub_f32_e32 v34, v34, v44
	s_mov_b32 s4, 0x3fb8aa3b
	v_mul_f32_e32 v36, 0x3fb8aa3b, v34
	v_fma_f32 v46, v34, s4, -v36
	v_rndne_f32_e32 v47, v36
	v_fmac_f32_e32 v46, 0x32a5705f, v34
	v_sub_f32_e32 v36, v36, v47
	v_add_f32_e32 v36, v36, v46
	v_exp_f32_e32 v36, v36
	v_cvt_i32_f32_e32 v46, v47
	s_mov_b32 s4, 0xc2ce8ed0
	v_cmp_ngt_f32_e64 s[4:5], s4, v34
	v_ldexp_f32 v36, v36, v46
	v_cndmask_b32_e64 v36, 0, v36, s[4:5]
	s_mov_b32 s4, 0x42b17218
	v_mov_b32_e32 v46, 0x7f800000
	v_cmp_nlt_f32_e64 s[4:5], s4, v34
	v_cndmask_b32_e64 v36, v46, v36, s[4:5]
	v_add_f32_e32 v45, v45, v36
.LBB717_219:
	s_or_b64 exec, exec, s[22:23]
.LBB717_220:
	s_or_b64 exec, exec, s[24:25]
	s_and_saveexec_b64 s[22:23], s[20:21]
	s_cbranch_execz .LBB717_224
; %bb.221:
	global_load_ubyte v34, v[2:3], off offset:224
	v_mov_b32_e32 v35, 0
	s_waitcnt vmcnt(0)
	v_and_b32_e32 v34, 1, v34
	v_cmp_eq_u32_e64 s[4:5], 1, v34
	s_xor_b64 s[4:5], s[4:5], -1
	s_and_saveexec_b64 s[20:21], s[4:5]
	s_cbranch_execz .LBB717_223
; %bb.222:
	v_sub_f32_e32 v33, v33, v44
	s_mov_b32 s4, 0x3fb8aa3b
	v_mul_f32_e32 v34, 0x3fb8aa3b, v33
	v_fma_f32 v35, v33, s4, -v34
	v_rndne_f32_e32 v46, v34
	v_fmac_f32_e32 v35, 0x32a5705f, v33
	v_sub_f32_e32 v34, v34, v46
	v_add_f32_e32 v34, v34, v35
	v_exp_f32_e32 v34, v34
	v_cvt_i32_f32_e32 v35, v46
	s_mov_b32 s4, 0xc2ce8ed0
	v_cmp_ngt_f32_e64 s[4:5], s4, v33
	v_ldexp_f32 v34, v34, v35
	v_cndmask_b32_e64 v34, 0, v34, s[4:5]
	s_mov_b32 s4, 0x42b17218
	v_mov_b32_e32 v35, 0x7f800000
	v_cmp_nlt_f32_e64 s[4:5], s4, v33
	v_cndmask_b32_e64 v35, v35, v34, s[4:5]
	v_add_f32_e32 v45, v45, v35
.LBB717_223:
	s_or_b64 exec, exec, s[20:21]
.LBB717_224:
	s_or_b64 exec, exec, s[22:23]
	v_mov_b32_e32 v33, 0
	v_mov_b32_e32 v34, 0
	s_and_saveexec_b64 s[20:21], s[18:19]
	s_cbranch_execz .LBB717_228
; %bb.225:
	global_load_ubyte v34, v[2:3], off offset:256
	s_waitcnt vmcnt(0)
	v_and_b32_e32 v34, 1, v34
	v_cmp_eq_u32_e64 s[4:5], 1, v34
	s_xor_b64 s[4:5], s[4:5], -1
	v_mov_b32_e32 v34, 0
	s_and_saveexec_b64 s[18:19], s[4:5]
	s_cbranch_execz .LBB717_227
; %bb.226:
	v_sub_f32_e32 v32, v32, v44
	s_mov_b32 s4, 0x3fb8aa3b
	v_mul_f32_e32 v34, 0x3fb8aa3b, v32
	v_fma_f32 v46, v32, s4, -v34
	v_rndne_f32_e32 v47, v34
	v_fmac_f32_e32 v46, 0x32a5705f, v32
	v_sub_f32_e32 v34, v34, v47
	v_add_f32_e32 v34, v34, v46
	v_exp_f32_e32 v34, v34
	v_cvt_i32_f32_e32 v46, v47
	s_mov_b32 s4, 0xc2ce8ed0
	v_cmp_ngt_f32_e64 s[4:5], s4, v32
	v_ldexp_f32 v34, v34, v46
	v_cndmask_b32_e64 v34, 0, v34, s[4:5]
	s_mov_b32 s4, 0x42b17218
	v_mov_b32_e32 v46, 0x7f800000
	v_cmp_nlt_f32_e64 s[4:5], s4, v32
	v_cndmask_b32_e64 v34, v46, v34, s[4:5]
	v_add_f32_e32 v45, v45, v34
.LBB717_227:
	s_or_b64 exec, exec, s[18:19]
.LBB717_228:
	s_or_b64 exec, exec, s[20:21]
	s_and_saveexec_b64 s[18:19], s[16:17]
	s_cbranch_execz .LBB717_232
; %bb.229:
	global_load_ubyte v32, v[2:3], off offset:288
	v_mov_b32_e32 v33, 0
	s_waitcnt vmcnt(0)
	v_and_b32_e32 v32, 1, v32
	v_cmp_eq_u32_e64 s[4:5], 1, v32
	s_xor_b64 s[4:5], s[4:5], -1
	s_and_saveexec_b64 s[16:17], s[4:5]
	s_cbranch_execz .LBB717_231
; %bb.230:
	v_sub_f32_e32 v31, v31, v44
	s_mov_b32 s4, 0x3fb8aa3b
	v_mul_f32_e32 v32, 0x3fb8aa3b, v31
	v_fma_f32 v33, v31, s4, -v32
	v_rndne_f32_e32 v46, v32
	v_fmac_f32_e32 v33, 0x32a5705f, v31
	v_sub_f32_e32 v32, v32, v46
	v_add_f32_e32 v32, v32, v33
	v_exp_f32_e32 v32, v32
	v_cvt_i32_f32_e32 v33, v46
	s_mov_b32 s4, 0xc2ce8ed0
	v_cmp_ngt_f32_e64 s[4:5], s4, v31
	v_ldexp_f32 v32, v32, v33
	v_cndmask_b32_e64 v32, 0, v32, s[4:5]
	s_mov_b32 s4, 0x42b17218
	v_mov_b32_e32 v33, 0x7f800000
	v_cmp_nlt_f32_e64 s[4:5], s4, v31
	v_cndmask_b32_e64 v33, v33, v32, s[4:5]
	v_add_f32_e32 v45, v45, v33
.LBB717_231:
	s_or_b64 exec, exec, s[16:17]
.LBB717_232:
	s_or_b64 exec, exec, s[18:19]
	v_mov_b32_e32 v31, 0
	v_mov_b32_e32 v32, 0
	s_and_saveexec_b64 s[16:17], s[14:15]
	s_cbranch_execz .LBB717_236
; %bb.233:
	global_load_ubyte v32, v[2:3], off offset:320
	s_waitcnt vmcnt(0)
	v_and_b32_e32 v32, 1, v32
	v_cmp_eq_u32_e64 s[4:5], 1, v32
	s_xor_b64 s[4:5], s[4:5], -1
	v_mov_b32_e32 v32, 0
	s_and_saveexec_b64 s[14:15], s[4:5]
	s_cbranch_execz .LBB717_235
; %bb.234:
	v_sub_f32_e32 v30, v30, v44
	s_mov_b32 s4, 0x3fb8aa3b
	v_mul_f32_e32 v32, 0x3fb8aa3b, v30
	v_fma_f32 v46, v30, s4, -v32
	v_rndne_f32_e32 v47, v32
	v_fmac_f32_e32 v46, 0x32a5705f, v30
	v_sub_f32_e32 v32, v32, v47
	v_add_f32_e32 v32, v32, v46
	v_exp_f32_e32 v32, v32
	v_cvt_i32_f32_e32 v46, v47
	s_mov_b32 s4, 0xc2ce8ed0
	v_cmp_ngt_f32_e64 s[4:5], s4, v30
	v_ldexp_f32 v32, v32, v46
	v_cndmask_b32_e64 v32, 0, v32, s[4:5]
	s_mov_b32 s4, 0x42b17218
	v_mov_b32_e32 v46, 0x7f800000
	v_cmp_nlt_f32_e64 s[4:5], s4, v30
	v_cndmask_b32_e64 v32, v46, v32, s[4:5]
	v_add_f32_e32 v45, v45, v32
.LBB717_235:
	s_or_b64 exec, exec, s[14:15]
.LBB717_236:
	s_or_b64 exec, exec, s[16:17]
	s_and_saveexec_b64 s[14:15], s[12:13]
	s_cbranch_execz .LBB717_240
; %bb.237:
	global_load_ubyte v30, v[2:3], off offset:352
	v_mov_b32_e32 v31, 0
	s_waitcnt vmcnt(0)
	v_and_b32_e32 v30, 1, v30
	v_cmp_eq_u32_e64 s[4:5], 1, v30
	s_xor_b64 s[4:5], s[4:5], -1
	s_and_saveexec_b64 s[12:13], s[4:5]
	s_cbranch_execz .LBB717_239
; %bb.238:
	v_sub_f32_e32 v29, v29, v44
	s_mov_b32 s4, 0x3fb8aa3b
	v_mul_f32_e32 v30, 0x3fb8aa3b, v29
	v_fma_f32 v31, v29, s4, -v30
	v_rndne_f32_e32 v46, v30
	v_fmac_f32_e32 v31, 0x32a5705f, v29
	v_sub_f32_e32 v30, v30, v46
	v_add_f32_e32 v30, v30, v31
	v_exp_f32_e32 v30, v30
	v_cvt_i32_f32_e32 v31, v46
	s_mov_b32 s4, 0xc2ce8ed0
	v_cmp_ngt_f32_e64 s[4:5], s4, v29
	v_ldexp_f32 v30, v30, v31
	v_cndmask_b32_e64 v30, 0, v30, s[4:5]
	s_mov_b32 s4, 0x42b17218
	v_mov_b32_e32 v31, 0x7f800000
	v_cmp_nlt_f32_e64 s[4:5], s4, v29
	v_cndmask_b32_e64 v31, v31, v30, s[4:5]
	v_add_f32_e32 v45, v45, v31
.LBB717_239:
	s_or_b64 exec, exec, s[12:13]
.LBB717_240:
	s_or_b64 exec, exec, s[14:15]
	v_mov_b32_e32 v29, 0
	v_mov_b32_e32 v30, 0
	s_and_saveexec_b64 s[12:13], s[10:11]
	s_cbranch_execz .LBB717_244
; %bb.241:
	global_load_ubyte v30, v[2:3], off offset:384
	s_waitcnt vmcnt(0)
	v_and_b32_e32 v30, 1, v30
	v_cmp_eq_u32_e64 s[4:5], 1, v30
	s_xor_b64 s[4:5], s[4:5], -1
	v_mov_b32_e32 v30, 0
	s_and_saveexec_b64 s[10:11], s[4:5]
	s_cbranch_execz .LBB717_243
; %bb.242:
	v_sub_f32_e32 v28, v28, v44
	s_mov_b32 s4, 0x3fb8aa3b
	v_mul_f32_e32 v30, 0x3fb8aa3b, v28
	v_fma_f32 v46, v28, s4, -v30
	v_rndne_f32_e32 v47, v30
	v_fmac_f32_e32 v46, 0x32a5705f, v28
	v_sub_f32_e32 v30, v30, v47
	v_add_f32_e32 v30, v30, v46
	v_exp_f32_e32 v30, v30
	v_cvt_i32_f32_e32 v46, v47
	s_mov_b32 s4, 0xc2ce8ed0
	v_cmp_ngt_f32_e64 s[4:5], s4, v28
	v_ldexp_f32 v30, v30, v46
	v_cndmask_b32_e64 v30, 0, v30, s[4:5]
	s_mov_b32 s4, 0x42b17218
	v_mov_b32_e32 v46, 0x7f800000
	v_cmp_nlt_f32_e64 s[4:5], s4, v28
	v_cndmask_b32_e64 v30, v46, v30, s[4:5]
	v_add_f32_e32 v45, v45, v30
.LBB717_243:
	s_or_b64 exec, exec, s[10:11]
.LBB717_244:
	s_or_b64 exec, exec, s[12:13]
	s_and_saveexec_b64 s[10:11], s[8:9]
	s_cbranch_execz .LBB717_248
; %bb.245:
	global_load_ubyte v28, v[2:3], off offset:416
	v_mov_b32_e32 v29, 0
	s_waitcnt vmcnt(0)
	v_and_b32_e32 v28, 1, v28
	v_cmp_eq_u32_e64 s[4:5], 1, v28
	s_xor_b64 s[4:5], s[4:5], -1
	s_and_saveexec_b64 s[8:9], s[4:5]
	s_cbranch_execz .LBB717_247
; %bb.246:
	v_sub_f32_e32 v27, v27, v44
	s_mov_b32 s4, 0x3fb8aa3b
	v_mul_f32_e32 v28, 0x3fb8aa3b, v27
	v_fma_f32 v29, v27, s4, -v28
	v_rndne_f32_e32 v46, v28
	v_fmac_f32_e32 v29, 0x32a5705f, v27
	v_sub_f32_e32 v28, v28, v46
	v_add_f32_e32 v28, v28, v29
	v_exp_f32_e32 v28, v28
	v_cvt_i32_f32_e32 v29, v46
	s_mov_b32 s4, 0xc2ce8ed0
	v_cmp_ngt_f32_e64 s[4:5], s4, v27
	v_ldexp_f32 v28, v28, v29
	v_cndmask_b32_e64 v28, 0, v28, s[4:5]
	s_mov_b32 s4, 0x42b17218
	v_mov_b32_e32 v29, 0x7f800000
	v_cmp_nlt_f32_e64 s[4:5], s4, v27
	v_cndmask_b32_e64 v29, v29, v28, s[4:5]
	v_add_f32_e32 v45, v45, v29
.LBB717_247:
	s_or_b64 exec, exec, s[8:9]
.LBB717_248:
	s_or_b64 exec, exec, s[10:11]
	v_mov_b32_e32 v27, 0
	v_mov_b32_e32 v28, 0
	s_and_saveexec_b64 s[8:9], s[6:7]
	s_cbranch_execz .LBB717_252
; %bb.249:
	global_load_ubyte v28, v[2:3], off offset:448
	s_waitcnt vmcnt(0)
	v_and_b32_e32 v28, 1, v28
	v_cmp_eq_u32_e64 s[4:5], 1, v28
	s_xor_b64 s[4:5], s[4:5], -1
	v_mov_b32_e32 v28, 0
	s_and_saveexec_b64 s[6:7], s[4:5]
	s_cbranch_execz .LBB717_251
; %bb.250:
	v_sub_f32_e32 v26, v26, v44
	s_mov_b32 s4, 0x3fb8aa3b
	v_mul_f32_e32 v28, 0x3fb8aa3b, v26
	v_fma_f32 v46, v26, s4, -v28
	v_rndne_f32_e32 v47, v28
	v_fmac_f32_e32 v46, 0x32a5705f, v26
	v_sub_f32_e32 v28, v28, v47
	v_add_f32_e32 v28, v28, v46
	v_exp_f32_e32 v28, v28
	v_cvt_i32_f32_e32 v46, v47
	s_mov_b32 s4, 0xc2ce8ed0
	v_cmp_ngt_f32_e64 s[4:5], s4, v26
	v_ldexp_f32 v28, v28, v46
	v_cndmask_b32_e64 v28, 0, v28, s[4:5]
	s_mov_b32 s4, 0x42b17218
	v_mov_b32_e32 v46, 0x7f800000
	v_cmp_nlt_f32_e64 s[4:5], s4, v26
	v_cndmask_b32_e64 v28, v46, v28, s[4:5]
	v_add_f32_e32 v45, v45, v28
.LBB717_251:
	s_or_b64 exec, exec, s[6:7]
.LBB717_252:
	s_or_b64 exec, exec, s[8:9]
	s_and_saveexec_b64 s[6:7], s[66:67]
	s_cbranch_execz .LBB717_256
; %bb.253:
	global_load_ubyte v26, v[2:3], off offset:480
	v_mov_b32_e32 v27, 0
	s_waitcnt vmcnt(0)
	v_and_b32_e32 v26, 1, v26
	v_cmp_eq_u32_e64 s[4:5], 1, v26
	s_xor_b64 s[4:5], s[4:5], -1
	s_and_saveexec_b64 s[8:9], s[4:5]
	s_cbranch_execz .LBB717_255
; %bb.254:
	v_sub_f32_e32 v25, v25, v44
	s_mov_b32 s4, 0x3fb8aa3b
	v_mul_f32_e32 v26, 0x3fb8aa3b, v25
	v_fma_f32 v27, v25, s4, -v26
	v_rndne_f32_e32 v46, v26
	v_fmac_f32_e32 v27, 0x32a5705f, v25
	v_sub_f32_e32 v26, v26, v46
	v_add_f32_e32 v26, v26, v27
	v_exp_f32_e32 v26, v26
	v_cvt_i32_f32_e32 v27, v46
	s_mov_b32 s4, 0xc2ce8ed0
	v_cmp_ngt_f32_e64 s[4:5], s4, v25
	v_ldexp_f32 v26, v26, v27
	v_cndmask_b32_e64 v26, 0, v26, s[4:5]
	s_mov_b32 s4, 0x42b17218
	v_mov_b32_e32 v27, 0x7f800000
	v_cmp_nlt_f32_e64 s[4:5], s4, v25
	v_cndmask_b32_e64 v27, v27, v26, s[4:5]
	v_add_f32_e32 v45, v45, v27
.LBB717_255:
	s_or_b64 exec, exec, s[8:9]
.LBB717_256:
	s_or_b64 exec, exec, s[6:7]
	v_mov_b32_e32 v25, 0
	v_mov_b32_e32 v26, 0
	s_and_saveexec_b64 s[6:7], s[2:3]
	s_cbranch_execz .LBB717_260
; %bb.257:
	global_load_ubyte v26, v[2:3], off offset:512
	s_waitcnt vmcnt(0)
	v_and_b32_e32 v26, 1, v26
	v_cmp_eq_u32_e64 s[4:5], 1, v26
	s_xor_b64 s[4:5], s[4:5], -1
	v_mov_b32_e32 v26, 0
	s_and_saveexec_b64 s[2:3], s[4:5]
	s_cbranch_execz .LBB717_259
; %bb.258:
	v_sub_f32_e32 v24, v24, v44
	s_mov_b32 s4, 0x3fb8aa3b
	v_mul_f32_e32 v26, 0x3fb8aa3b, v24
	v_fma_f32 v46, v24, s4, -v26
	v_rndne_f32_e32 v47, v26
	v_fmac_f32_e32 v46, 0x32a5705f, v24
	v_sub_f32_e32 v26, v26, v47
	v_add_f32_e32 v26, v26, v46
	v_exp_f32_e32 v26, v26
	v_cvt_i32_f32_e32 v46, v47
	s_mov_b32 s4, 0xc2ce8ed0
	v_cmp_ngt_f32_e64 s[4:5], s4, v24
	v_ldexp_f32 v26, v26, v46
	v_cndmask_b32_e64 v26, 0, v26, s[4:5]
	s_mov_b32 s4, 0x42b17218
	v_mov_b32_e32 v46, 0x7f800000
	v_cmp_nlt_f32_e64 s[4:5], s4, v24
	v_cndmask_b32_e64 v26, v46, v26, s[4:5]
	v_add_f32_e32 v45, v45, v26
.LBB717_259:
	s_or_b64 exec, exec, s[2:3]
.LBB717_260:
	s_or_b64 exec, exec, s[6:7]
	s_and_saveexec_b64 s[2:3], s[0:1]
	s_cbranch_execz .LBB717_264
; %bb.261:
	global_load_ubyte v24, v[2:3], off offset:544
	v_mov_b32_e32 v25, 0
	s_waitcnt vmcnt(0)
	v_and_b32_e32 v24, 1, v24
	v_cmp_eq_u32_e64 s[4:5], 1, v24
	s_xor_b64 s[4:5], s[4:5], -1
	s_and_saveexec_b64 s[0:1], s[4:5]
	s_cbranch_execz .LBB717_263
; %bb.262:
	v_sub_f32_e32 v23, v23, v44
	s_mov_b32 s4, 0x3fb8aa3b
	v_mul_f32_e32 v24, 0x3fb8aa3b, v23
	v_fma_f32 v25, v23, s4, -v24
	v_rndne_f32_e32 v46, v24
	v_fmac_f32_e32 v25, 0x32a5705f, v23
	v_sub_f32_e32 v24, v24, v46
	v_add_f32_e32 v24, v24, v25
	v_exp_f32_e32 v24, v24
	v_cvt_i32_f32_e32 v25, v46
	s_mov_b32 s4, 0xc2ce8ed0
	v_cmp_ngt_f32_e64 s[4:5], s4, v23
	v_ldexp_f32 v24, v24, v25
	v_cndmask_b32_e64 v24, 0, v24, s[4:5]
	s_mov_b32 s4, 0x42b17218
	v_mov_b32_e32 v25, 0x7f800000
	v_cmp_nlt_f32_e64 s[4:5], s4, v23
	v_cndmask_b32_e64 v25, v25, v24, s[4:5]
	v_add_f32_e32 v45, v45, v25
.LBB717_263:
	s_or_b64 exec, exec, s[0:1]
.LBB717_264:
	s_or_b64 exec, exec, s[2:3]
	v_mov_b32_e32 v23, 0
	v_mov_b32_e32 v24, 0
	s_and_saveexec_b64 s[0:1], s[68:69]
	s_cbranch_execz .LBB717_268
; %bb.265:
	global_load_ubyte v24, v[2:3], off offset:576
	s_waitcnt vmcnt(0)
	v_and_b32_e32 v24, 1, v24
	v_cmp_eq_u32_e64 s[4:5], 1, v24
	s_xor_b64 s[4:5], s[4:5], -1
	v_mov_b32_e32 v24, 0
	s_and_saveexec_b64 s[2:3], s[4:5]
	s_cbranch_execz .LBB717_267
; %bb.266:
	v_sub_f32_e32 v22, v22, v44
	s_mov_b32 s4, 0x3fb8aa3b
	v_mul_f32_e32 v24, 0x3fb8aa3b, v22
	v_fma_f32 v46, v22, s4, -v24
	v_rndne_f32_e32 v47, v24
	v_fmac_f32_e32 v46, 0x32a5705f, v22
	v_sub_f32_e32 v24, v24, v47
	v_add_f32_e32 v24, v24, v46
	v_exp_f32_e32 v24, v24
	v_cvt_i32_f32_e32 v46, v47
	s_mov_b32 s4, 0xc2ce8ed0
	v_cmp_ngt_f32_e64 s[4:5], s4, v22
	v_ldexp_f32 v24, v24, v46
	v_cndmask_b32_e64 v24, 0, v24, s[4:5]
	s_mov_b32 s4, 0x42b17218
	v_mov_b32_e32 v46, 0x7f800000
	v_cmp_nlt_f32_e64 s[4:5], s4, v22
	v_cndmask_b32_e64 v24, v46, v24, s[4:5]
	v_add_f32_e32 v45, v45, v24
.LBB717_267:
	s_or_b64 exec, exec, s[2:3]
.LBB717_268:
	s_or_b64 exec, exec, s[0:1]
	s_and_saveexec_b64 s[0:1], s[94:95]
	s_cbranch_execz .LBB717_272
; %bb.269:
	global_load_ubyte v22, v[2:3], off offset:608
	v_mov_b32_e32 v23, 0
	s_waitcnt vmcnt(0)
	v_and_b32_e32 v22, 1, v22
	v_cmp_eq_u32_e64 s[4:5], 1, v22
	s_xor_b64 s[4:5], s[4:5], -1
	s_and_saveexec_b64 s[2:3], s[4:5]
	s_cbranch_execz .LBB717_271
; %bb.270:
	v_sub_f32_e32 v21, v21, v44
	s_mov_b32 s4, 0x3fb8aa3b
	v_mul_f32_e32 v22, 0x3fb8aa3b, v21
	v_fma_f32 v23, v21, s4, -v22
	v_rndne_f32_e32 v46, v22
	v_fmac_f32_e32 v23, 0x32a5705f, v21
	v_sub_f32_e32 v22, v22, v46
	v_add_f32_e32 v22, v22, v23
	v_exp_f32_e32 v22, v22
	v_cvt_i32_f32_e32 v23, v46
	s_mov_b32 s4, 0xc2ce8ed0
	v_cmp_ngt_f32_e64 s[4:5], s4, v21
	v_ldexp_f32 v22, v22, v23
	v_cndmask_b32_e64 v22, 0, v22, s[4:5]
	s_mov_b32 s4, 0x42b17218
	v_mov_b32_e32 v23, 0x7f800000
	v_cmp_nlt_f32_e64 s[4:5], s4, v21
	v_cndmask_b32_e64 v23, v23, v22, s[4:5]
	v_add_f32_e32 v45, v45, v23
.LBB717_271:
	s_or_b64 exec, exec, s[2:3]
.LBB717_272:
	s_or_b64 exec, exec, s[0:1]
	v_mov_b32_e32 v21, 0
	v_mov_b32_e32 v22, 0
	s_and_saveexec_b64 s[0:1], s[92:93]
	s_cbranch_execz .LBB717_276
; %bb.273:
	global_load_ubyte v22, v[2:3], off offset:640
	s_waitcnt vmcnt(0)
	v_and_b32_e32 v22, 1, v22
	v_cmp_eq_u32_e64 s[4:5], 1, v22
	s_xor_b64 s[4:5], s[4:5], -1
	v_mov_b32_e32 v22, 0
	s_and_saveexec_b64 s[2:3], s[4:5]
	s_cbranch_execz .LBB717_275
; %bb.274:
	v_sub_f32_e32 v20, v20, v44
	s_mov_b32 s4, 0x3fb8aa3b
	v_mul_f32_e32 v22, 0x3fb8aa3b, v20
	v_fma_f32 v46, v20, s4, -v22
	v_rndne_f32_e32 v47, v22
	v_fmac_f32_e32 v46, 0x32a5705f, v20
	v_sub_f32_e32 v22, v22, v47
	v_add_f32_e32 v22, v22, v46
	v_exp_f32_e32 v22, v22
	v_cvt_i32_f32_e32 v46, v47
	s_mov_b32 s4, 0xc2ce8ed0
	v_cmp_ngt_f32_e64 s[4:5], s4, v20
	v_ldexp_f32 v22, v22, v46
	v_cndmask_b32_e64 v22, 0, v22, s[4:5]
	s_mov_b32 s4, 0x42b17218
	v_mov_b32_e32 v46, 0x7f800000
	v_cmp_nlt_f32_e64 s[4:5], s4, v20
	v_cndmask_b32_e64 v22, v46, v22, s[4:5]
	v_add_f32_e32 v45, v45, v22
.LBB717_275:
	s_or_b64 exec, exec, s[2:3]
.LBB717_276:
	s_or_b64 exec, exec, s[0:1]
	s_and_saveexec_b64 s[0:1], s[90:91]
	s_cbranch_execz .LBB717_280
; %bb.277:
	global_load_ubyte v20, v[2:3], off offset:672
	v_mov_b32_e32 v21, 0
	s_waitcnt vmcnt(0)
	v_and_b32_e32 v20, 1, v20
	v_cmp_eq_u32_e64 s[4:5], 1, v20
	s_xor_b64 s[4:5], s[4:5], -1
	s_and_saveexec_b64 s[2:3], s[4:5]
	s_cbranch_execz .LBB717_279
; %bb.278:
	v_sub_f32_e32 v19, v19, v44
	s_mov_b32 s4, 0x3fb8aa3b
	v_mul_f32_e32 v20, 0x3fb8aa3b, v19
	v_fma_f32 v21, v19, s4, -v20
	v_rndne_f32_e32 v46, v20
	v_fmac_f32_e32 v21, 0x32a5705f, v19
	v_sub_f32_e32 v20, v20, v46
	v_add_f32_e32 v20, v20, v21
	v_exp_f32_e32 v20, v20
	v_cvt_i32_f32_e32 v21, v46
	s_mov_b32 s4, 0xc2ce8ed0
	v_cmp_ngt_f32_e64 s[4:5], s4, v19
	v_ldexp_f32 v20, v20, v21
	v_cndmask_b32_e64 v20, 0, v20, s[4:5]
	s_mov_b32 s4, 0x42b17218
	v_mov_b32_e32 v21, 0x7f800000
	v_cmp_nlt_f32_e64 s[4:5], s4, v19
	v_cndmask_b32_e64 v21, v21, v20, s[4:5]
	v_add_f32_e32 v45, v45, v21
.LBB717_279:
	s_or_b64 exec, exec, s[2:3]
.LBB717_280:
	s_or_b64 exec, exec, s[0:1]
	v_mov_b32_e32 v19, 0
	v_mov_b32_e32 v20, 0
	s_and_saveexec_b64 s[0:1], s[88:89]
	s_cbranch_execz .LBB717_284
; %bb.281:
	global_load_ubyte v20, v[2:3], off offset:704
	s_waitcnt vmcnt(0)
	v_and_b32_e32 v20, 1, v20
	v_cmp_eq_u32_e64 s[4:5], 1, v20
	s_xor_b64 s[4:5], s[4:5], -1
	v_mov_b32_e32 v20, 0
	s_and_saveexec_b64 s[2:3], s[4:5]
	s_cbranch_execz .LBB717_283
; %bb.282:
	v_sub_f32_e32 v18, v18, v44
	s_mov_b32 s4, 0x3fb8aa3b
	v_mul_f32_e32 v20, 0x3fb8aa3b, v18
	v_fma_f32 v46, v18, s4, -v20
	v_rndne_f32_e32 v47, v20
	v_fmac_f32_e32 v46, 0x32a5705f, v18
	v_sub_f32_e32 v20, v20, v47
	v_add_f32_e32 v20, v20, v46
	v_exp_f32_e32 v20, v20
	v_cvt_i32_f32_e32 v46, v47
	s_mov_b32 s4, 0xc2ce8ed0
	v_cmp_ngt_f32_e64 s[4:5], s4, v18
	v_ldexp_f32 v20, v20, v46
	v_cndmask_b32_e64 v20, 0, v20, s[4:5]
	s_mov_b32 s4, 0x42b17218
	v_mov_b32_e32 v46, 0x7f800000
	v_cmp_nlt_f32_e64 s[4:5], s4, v18
	v_cndmask_b32_e64 v20, v46, v20, s[4:5]
	v_add_f32_e32 v45, v45, v20
.LBB717_283:
	s_or_b64 exec, exec, s[2:3]
.LBB717_284:
	s_or_b64 exec, exec, s[0:1]
	s_and_saveexec_b64 s[0:1], s[86:87]
	s_cbranch_execz .LBB717_288
; %bb.285:
	global_load_ubyte v18, v[2:3], off offset:736
	v_mov_b32_e32 v19, 0
	s_waitcnt vmcnt(0)
	v_and_b32_e32 v18, 1, v18
	v_cmp_eq_u32_e64 s[4:5], 1, v18
	s_xor_b64 s[4:5], s[4:5], -1
	s_and_saveexec_b64 s[2:3], s[4:5]
	s_cbranch_execz .LBB717_287
; %bb.286:
	v_sub_f32_e32 v17, v17, v44
	s_mov_b32 s4, 0x3fb8aa3b
	v_mul_f32_e32 v18, 0x3fb8aa3b, v17
	v_fma_f32 v19, v17, s4, -v18
	v_rndne_f32_e32 v46, v18
	v_fmac_f32_e32 v19, 0x32a5705f, v17
	v_sub_f32_e32 v18, v18, v46
	v_add_f32_e32 v18, v18, v19
	v_exp_f32_e32 v18, v18
	v_cvt_i32_f32_e32 v19, v46
	s_mov_b32 s4, 0xc2ce8ed0
	v_cmp_ngt_f32_e64 s[4:5], s4, v17
	v_ldexp_f32 v18, v18, v19
	v_cndmask_b32_e64 v18, 0, v18, s[4:5]
	s_mov_b32 s4, 0x42b17218
	v_mov_b32_e32 v19, 0x7f800000
	v_cmp_nlt_f32_e64 s[4:5], s4, v17
	v_cndmask_b32_e64 v19, v19, v18, s[4:5]
	v_add_f32_e32 v45, v45, v19
.LBB717_287:
	s_or_b64 exec, exec, s[2:3]
.LBB717_288:
	s_or_b64 exec, exec, s[0:1]
	v_mov_b32_e32 v17, 0
	v_mov_b32_e32 v18, 0
	s_and_saveexec_b64 s[0:1], s[84:85]
	s_cbranch_execz .LBB717_292
; %bb.289:
	global_load_ubyte v18, v[2:3], off offset:768
	s_waitcnt vmcnt(0)
	v_and_b32_e32 v18, 1, v18
	v_cmp_eq_u32_e64 s[4:5], 1, v18
	s_xor_b64 s[4:5], s[4:5], -1
	v_mov_b32_e32 v18, 0
	s_and_saveexec_b64 s[2:3], s[4:5]
	s_cbranch_execz .LBB717_291
; %bb.290:
	v_sub_f32_e32 v16, v16, v44
	s_mov_b32 s4, 0x3fb8aa3b
	v_mul_f32_e32 v18, 0x3fb8aa3b, v16
	v_fma_f32 v46, v16, s4, -v18
	v_rndne_f32_e32 v47, v18
	v_fmac_f32_e32 v46, 0x32a5705f, v16
	v_sub_f32_e32 v18, v18, v47
	v_add_f32_e32 v18, v18, v46
	v_exp_f32_e32 v18, v18
	v_cvt_i32_f32_e32 v46, v47
	s_mov_b32 s4, 0xc2ce8ed0
	v_cmp_ngt_f32_e64 s[4:5], s4, v16
	v_ldexp_f32 v18, v18, v46
	v_cndmask_b32_e64 v18, 0, v18, s[4:5]
	s_mov_b32 s4, 0x42b17218
	v_mov_b32_e32 v46, 0x7f800000
	v_cmp_nlt_f32_e64 s[4:5], s4, v16
	v_cndmask_b32_e64 v18, v46, v18, s[4:5]
	v_add_f32_e32 v45, v45, v18
.LBB717_291:
	s_or_b64 exec, exec, s[2:3]
.LBB717_292:
	s_or_b64 exec, exec, s[0:1]
	s_and_saveexec_b64 s[0:1], s[82:83]
	s_cbranch_execz .LBB717_296
; %bb.293:
	global_load_ubyte v16, v[2:3], off offset:800
	v_mov_b32_e32 v17, 0
	s_waitcnt vmcnt(0)
	v_and_b32_e32 v16, 1, v16
	v_cmp_eq_u32_e64 s[4:5], 1, v16
	s_xor_b64 s[4:5], s[4:5], -1
	s_and_saveexec_b64 s[2:3], s[4:5]
	s_cbranch_execz .LBB717_295
; %bb.294:
	v_sub_f32_e32 v15, v15, v44
	s_mov_b32 s4, 0x3fb8aa3b
	v_mul_f32_e32 v16, 0x3fb8aa3b, v15
	v_fma_f32 v17, v15, s4, -v16
	v_rndne_f32_e32 v46, v16
	v_fmac_f32_e32 v17, 0x32a5705f, v15
	v_sub_f32_e32 v16, v16, v46
	v_add_f32_e32 v16, v16, v17
	v_exp_f32_e32 v16, v16
	v_cvt_i32_f32_e32 v17, v46
	s_mov_b32 s4, 0xc2ce8ed0
	v_cmp_ngt_f32_e64 s[4:5], s4, v15
	v_ldexp_f32 v16, v16, v17
	v_cndmask_b32_e64 v16, 0, v16, s[4:5]
	s_mov_b32 s4, 0x42b17218
	v_mov_b32_e32 v17, 0x7f800000
	v_cmp_nlt_f32_e64 s[4:5], s4, v15
	v_cndmask_b32_e64 v17, v17, v16, s[4:5]
	v_add_f32_e32 v45, v45, v17
.LBB717_295:
	s_or_b64 exec, exec, s[2:3]
.LBB717_296:
	s_or_b64 exec, exec, s[0:1]
	v_mov_b32_e32 v15, 0
	v_mov_b32_e32 v16, 0
	s_and_saveexec_b64 s[0:1], s[80:81]
	s_cbranch_execz .LBB717_300
; %bb.297:
	global_load_ubyte v16, v[2:3], off offset:832
	s_waitcnt vmcnt(0)
	v_and_b32_e32 v16, 1, v16
	v_cmp_eq_u32_e64 s[4:5], 1, v16
	s_xor_b64 s[4:5], s[4:5], -1
	v_mov_b32_e32 v16, 0
	s_and_saveexec_b64 s[2:3], s[4:5]
	s_cbranch_execz .LBB717_299
; %bb.298:
	v_sub_f32_e32 v14, v14, v44
	s_mov_b32 s4, 0x3fb8aa3b
	v_mul_f32_e32 v16, 0x3fb8aa3b, v14
	v_fma_f32 v46, v14, s4, -v16
	v_rndne_f32_e32 v47, v16
	v_fmac_f32_e32 v46, 0x32a5705f, v14
	v_sub_f32_e32 v16, v16, v47
	v_add_f32_e32 v16, v16, v46
	v_exp_f32_e32 v16, v16
	v_cvt_i32_f32_e32 v46, v47
	s_mov_b32 s4, 0xc2ce8ed0
	v_cmp_ngt_f32_e64 s[4:5], s4, v14
	v_ldexp_f32 v16, v16, v46
	v_cndmask_b32_e64 v16, 0, v16, s[4:5]
	s_mov_b32 s4, 0x42b17218
	v_mov_b32_e32 v46, 0x7f800000
	v_cmp_nlt_f32_e64 s[4:5], s4, v14
	v_cndmask_b32_e64 v16, v46, v16, s[4:5]
	v_add_f32_e32 v45, v45, v16
.LBB717_299:
	s_or_b64 exec, exec, s[2:3]
.LBB717_300:
	s_or_b64 exec, exec, s[0:1]
	s_and_saveexec_b64 s[0:1], s[78:79]
	s_cbranch_execz .LBB717_304
; %bb.301:
	global_load_ubyte v14, v[2:3], off offset:864
	v_mov_b32_e32 v15, 0
	s_waitcnt vmcnt(0)
	v_and_b32_e32 v14, 1, v14
	v_cmp_eq_u32_e64 s[4:5], 1, v14
	s_xor_b64 s[4:5], s[4:5], -1
	s_and_saveexec_b64 s[2:3], s[4:5]
	s_cbranch_execz .LBB717_303
; %bb.302:
	v_sub_f32_e32 v13, v13, v44
	s_mov_b32 s4, 0x3fb8aa3b
	v_mul_f32_e32 v14, 0x3fb8aa3b, v13
	v_fma_f32 v15, v13, s4, -v14
	v_rndne_f32_e32 v46, v14
	v_fmac_f32_e32 v15, 0x32a5705f, v13
	v_sub_f32_e32 v14, v14, v46
	v_add_f32_e32 v14, v14, v15
	v_exp_f32_e32 v14, v14
	v_cvt_i32_f32_e32 v15, v46
	s_mov_b32 s4, 0xc2ce8ed0
	v_cmp_ngt_f32_e64 s[4:5], s4, v13
	v_ldexp_f32 v14, v14, v15
	v_cndmask_b32_e64 v14, 0, v14, s[4:5]
	s_mov_b32 s4, 0x42b17218
	v_mov_b32_e32 v15, 0x7f800000
	v_cmp_nlt_f32_e64 s[4:5], s4, v13
	v_cndmask_b32_e64 v15, v15, v14, s[4:5]
	v_add_f32_e32 v45, v45, v15
.LBB717_303:
	s_or_b64 exec, exec, s[2:3]
.LBB717_304:
	s_or_b64 exec, exec, s[0:1]
	v_mov_b32_e32 v13, 0
	v_mov_b32_e32 v14, 0
	s_and_saveexec_b64 s[0:1], s[76:77]
	s_cbranch_execz .LBB717_308
; %bb.305:
	global_load_ubyte v14, v[2:3], off offset:896
	s_waitcnt vmcnt(0)
	v_and_b32_e32 v14, 1, v14
	v_cmp_eq_u32_e64 s[4:5], 1, v14
	s_xor_b64 s[4:5], s[4:5], -1
	v_mov_b32_e32 v14, 0
	s_and_saveexec_b64 s[2:3], s[4:5]
	s_cbranch_execz .LBB717_307
; %bb.306:
	v_sub_f32_e32 v12, v12, v44
	s_mov_b32 s4, 0x3fb8aa3b
	v_mul_f32_e32 v14, 0x3fb8aa3b, v12
	v_fma_f32 v46, v12, s4, -v14
	v_rndne_f32_e32 v47, v14
	v_fmac_f32_e32 v46, 0x32a5705f, v12
	v_sub_f32_e32 v14, v14, v47
	v_add_f32_e32 v14, v14, v46
	v_exp_f32_e32 v14, v14
	v_cvt_i32_f32_e32 v46, v47
	s_mov_b32 s4, 0xc2ce8ed0
	v_cmp_ngt_f32_e64 s[4:5], s4, v12
	v_ldexp_f32 v14, v14, v46
	v_cndmask_b32_e64 v14, 0, v14, s[4:5]
	s_mov_b32 s4, 0x42b17218
	v_mov_b32_e32 v46, 0x7f800000
	v_cmp_nlt_f32_e64 s[4:5], s4, v12
	v_cndmask_b32_e64 v14, v46, v14, s[4:5]
	v_add_f32_e32 v45, v45, v14
.LBB717_307:
	s_or_b64 exec, exec, s[2:3]
.LBB717_308:
	s_or_b64 exec, exec, s[0:1]
	s_and_saveexec_b64 s[0:1], s[72:73]
	s_cbranch_execz .LBB717_312
; %bb.309:
	global_load_ubyte v12, v[2:3], off offset:928
	v_mov_b32_e32 v13, 0
	s_waitcnt vmcnt(0)
	v_and_b32_e32 v12, 1, v12
	v_cmp_eq_u32_e64 s[4:5], 1, v12
	s_xor_b64 s[4:5], s[4:5], -1
	s_and_saveexec_b64 s[2:3], s[4:5]
	s_cbranch_execz .LBB717_311
; %bb.310:
	v_sub_f32_e32 v11, v11, v44
	s_mov_b32 s4, 0x3fb8aa3b
	v_mul_f32_e32 v12, 0x3fb8aa3b, v11
	v_fma_f32 v13, v11, s4, -v12
	v_rndne_f32_e32 v46, v12
	v_fmac_f32_e32 v13, 0x32a5705f, v11
	v_sub_f32_e32 v12, v12, v46
	v_add_f32_e32 v12, v12, v13
	v_exp_f32_e32 v12, v12
	v_cvt_i32_f32_e32 v13, v46
	s_mov_b32 s4, 0xc2ce8ed0
	v_cmp_ngt_f32_e64 s[4:5], s4, v11
	v_ldexp_f32 v12, v12, v13
	v_cndmask_b32_e64 v12, 0, v12, s[4:5]
	s_mov_b32 s4, 0x42b17218
	v_mov_b32_e32 v13, 0x7f800000
	v_cmp_nlt_f32_e64 s[4:5], s4, v11
	v_cndmask_b32_e64 v13, v13, v12, s[4:5]
	v_add_f32_e32 v45, v45, v13
.LBB717_311:
	s_or_b64 exec, exec, s[2:3]
.LBB717_312:
	s_or_b64 exec, exec, s[0:1]
	v_mov_b32_e32 v11, 0
	v_mov_b32_e32 v12, 0
	s_and_saveexec_b64 s[0:1], s[70:71]
	s_cbranch_execz .LBB717_316
; %bb.313:
	global_load_ubyte v12, v[2:3], off offset:960
	s_waitcnt vmcnt(0)
	v_and_b32_e32 v12, 1, v12
	v_cmp_eq_u32_e64 s[4:5], 1, v12
	s_xor_b64 s[4:5], s[4:5], -1
	v_mov_b32_e32 v12, 0
	s_and_saveexec_b64 s[2:3], s[4:5]
	s_cbranch_execz .LBB717_315
; %bb.314:
	v_sub_f32_e32 v10, v10, v44
	s_mov_b32 s4, 0x3fb8aa3b
	v_mul_f32_e32 v12, 0x3fb8aa3b, v10
	v_fma_f32 v46, v10, s4, -v12
	v_rndne_f32_e32 v47, v12
	v_fmac_f32_e32 v46, 0x32a5705f, v10
	v_sub_f32_e32 v12, v12, v47
	v_add_f32_e32 v12, v12, v46
	v_exp_f32_e32 v12, v12
	v_cvt_i32_f32_e32 v46, v47
	s_mov_b32 s4, 0xc2ce8ed0
	v_cmp_ngt_f32_e64 s[4:5], s4, v10
	v_ldexp_f32 v12, v12, v46
	v_cndmask_b32_e64 v12, 0, v12, s[4:5]
	s_mov_b32 s4, 0x42b17218
	v_mov_b32_e32 v46, 0x7f800000
	v_cmp_nlt_f32_e64 s[4:5], s4, v10
	v_cndmask_b32_e64 v12, v46, v12, s[4:5]
	v_add_f32_e32 v45, v45, v12
.LBB717_315:
	s_or_b64 exec, exec, s[2:3]
.LBB717_316:
	s_or_b64 exec, exec, s[0:1]
	s_and_saveexec_b64 s[0:1], s[64:65]
	s_cbranch_execz .LBB717_320
; %bb.317:
	global_load_ubyte v2, v[2:3], off offset:992
	v_mov_b32_e32 v11, 0
	s_waitcnt vmcnt(0)
	v_and_b32_e32 v2, 1, v2
	v_cmp_eq_u32_e64 s[4:5], 1, v2
	s_xor_b64 s[4:5], s[4:5], -1
	s_and_saveexec_b64 s[2:3], s[4:5]
	s_cbranch_execz .LBB717_319
; %bb.318:
	v_sub_f32_e32 v2, v9, v44
	s_mov_b32 s4, 0x3fb8aa3b
	v_mul_f32_e32 v3, 0x3fb8aa3b, v2
	v_fma_f32 v9, v2, s4, -v3
	v_rndne_f32_e32 v10, v3
	v_fmac_f32_e32 v9, 0x32a5705f, v2
	v_sub_f32_e32 v3, v3, v10
	v_add_f32_e32 v3, v3, v9
	v_exp_f32_e32 v3, v3
	v_cvt_i32_f32_e32 v9, v10
	s_mov_b32 s4, 0xc2ce8ed0
	v_cmp_ngt_f32_e64 s[4:5], s4, v2
	v_ldexp_f32 v3, v3, v9
	v_cndmask_b32_e64 v3, 0, v3, s[4:5]
	s_mov_b32 s4, 0x42b17218
	v_mov_b32_e32 v9, 0x7f800000
	v_cmp_nlt_f32_e64 s[4:5], s4, v2
	v_cndmask_b32_e64 v11, v9, v3, s[4:5]
	v_add_f32_e32 v45, v45, v11
.LBB717_319:
	s_or_b64 exec, exec, s[2:3]
.LBB717_320:
	s_or_b64 exec, exec, s[0:1]
	ds_bpermute_b32 v2, v5, v45
	v_cmp_lt_i32_e64 s[4:5], 0, v8
	s_waitcnt lgkmcnt(0)
	v_add_f32_e32 v2, v45, v2
	ds_bpermute_b32 v3, v6, v2
	s_waitcnt lgkmcnt(0)
	v_add_f32_e32 v2, v2, v3
	ds_bpermute_b32 v3, v7, v2
	;; [unrolled: 3-line block ×4, first 2 shown]
	s_and_saveexec_b64 s[0:1], s[4:5]
	s_cbranch_execz .LBB717_354
; %bb.321:
	s_and_b64 exec, exec, vcc
	s_cbranch_execz .LBB717_354
; %bb.322:
	v_readlane_b32 s0, v48, 0
	s_waitcnt lgkmcnt(0)
	v_add_f32_e32 v2, v2, v3
	v_readlane_b32 s1, v48, 1
	s_mov_b64 s[4:5], s[0:1]
	v_div_scale_f32 v5, s[0:1], v2, v2, v41
	v_rcp_f32_e32 v6, v5
	v_mov_b32_e32 v3, s5
	v_add_co_u32_e32 v0, vcc, s4, v0
	v_addc_co_u32_e32 v1, vcc, v3, v1, vcc
	v_fma_f32 v3, -v5, v6, 1.0
	v_fmac_f32_e32 v6, v3, v6
	v_div_scale_f32 v3, vcc, v41, v2, v41
	v_mul_f32_e32 v7, v3, v6
	v_fma_f32 v8, -v5, v7, v3
	v_fmac_f32_e32 v7, v8, v6
	v_fma_f32 v3, -v5, v7, v3
	v_div_fmas_f32 v3, v3, v6, v7
	v_div_fixup_f32 v5, v3, v2, v41
	v_mov_b32_e32 v3, 0x7fc00000
	v_cmp_eq_f32_e64 s[64:65], 0, v2
	v_cndmask_b32_e64 v5, v5, v3, s[64:65]
	v_readlane_b32 s2, v48, 2
	v_readlane_b32 s3, v48, 3
	global_store_dword v[0:1], v5, off
	s_and_b64 exec, exec, s[62:63]
	s_cbranch_execz .LBB717_354
; %bb.323:
	v_div_scale_f32 v5, s[0:1], v2, v2, v4
	v_rcp_f32_e32 v6, v5
	v_div_scale_f32 v7, vcc, v4, v2, v4
	v_fma_f32 v8, -v5, v6, 1.0
	v_fmac_f32_e32 v6, v8, v6
	v_mul_f32_e32 v8, v7, v6
	v_fma_f32 v9, -v5, v8, v7
	v_fmac_f32_e32 v8, v9, v6
	v_fma_f32 v5, -v5, v8, v7
	v_div_fmas_f32 v5, v5, v6, v8
	v_div_fixup_f32 v4, v5, v2, v4
	v_cndmask_b32_e64 v3, v4, v3, s[64:65]
	global_store_dword v[0:1], v3, off offset:128
	s_and_b64 exec, exec, s[60:61]
	s_cbranch_execz .LBB717_354
; %bb.324:
	v_div_scale_f32 v3, s[0:1], v2, v2, v40
	v_rcp_f32_e32 v4, v3
	v_div_scale_f32 v5, vcc, v40, v2, v40
	v_fma_f32 v6, -v3, v4, 1.0
	v_fmac_f32_e32 v4, v6, v4
	v_mul_f32_e32 v6, v5, v4
	v_fma_f32 v7, -v3, v6, v5
	v_fmac_f32_e32 v6, v7, v4
	v_fma_f32 v3, -v3, v6, v5
	v_div_fmas_f32 v3, v3, v4, v6
	v_div_fixup_f32 v4, v3, v2, v40
	v_mov_b32_e32 v3, 0x7fc00000
	v_cndmask_b32_e64 v4, v4, v3, s[64:65]
	global_store_dword v[0:1], v4, off offset:256
	s_and_b64 exec, exec, s[58:59]
	s_cbranch_execz .LBB717_354
; %bb.325:
	v_div_scale_f32 v4, s[0:1], v2, v2, v39
	v_rcp_f32_e32 v5, v4
	v_div_scale_f32 v6, vcc, v39, v2, v39
	v_fma_f32 v7, -v4, v5, 1.0
	v_fmac_f32_e32 v5, v7, v5
	v_mul_f32_e32 v7, v6, v5
	v_fma_f32 v8, -v4, v7, v6
	v_fmac_f32_e32 v7, v8, v5
	v_fma_f32 v4, -v4, v7, v6
	v_div_fmas_f32 v4, v4, v5, v7
	v_div_fixup_f32 v4, v4, v2, v39
	v_cndmask_b32_e64 v3, v4, v3, s[64:65]
	global_store_dword v[0:1], v3, off offset:384
	s_and_b64 exec, exec, s[56:57]
	s_cbranch_execz .LBB717_354
; %bb.326:
	v_div_scale_f32 v3, s[0:1], v2, v2, v38
	v_rcp_f32_e32 v4, v3
	v_div_scale_f32 v5, vcc, v38, v2, v38
	v_fma_f32 v6, -v3, v4, 1.0
	v_fmac_f32_e32 v4, v6, v4
	v_mul_f32_e32 v6, v5, v4
	v_fma_f32 v7, -v3, v6, v5
	v_fmac_f32_e32 v6, v7, v4
	v_fma_f32 v3, -v3, v6, v5
	v_div_fmas_f32 v3, v3, v4, v6
	v_div_fixup_f32 v4, v3, v2, v38
	v_mov_b32_e32 v3, 0x7fc00000
	v_cndmask_b32_e64 v4, v4, v3, s[64:65]
	global_store_dword v[0:1], v4, off offset:512
	;; [unrolled: 33-line block ×4, first 2 shown]
	s_and_b64 exec, exec, s[46:47]
	s_cbranch_execz .LBB717_354
; %bb.331:
	v_div_scale_f32 v4, s[0:1], v2, v2, v33
	v_rcp_f32_e32 v5, v4
	v_div_scale_f32 v6, vcc, v33, v2, v33
	v_fma_f32 v7, -v4, v5, 1.0
	v_fmac_f32_e32 v5, v7, v5
	v_mul_f32_e32 v7, v6, v5
	v_fma_f32 v8, -v4, v7, v6
	v_fmac_f32_e32 v7, v8, v5
	v_fma_f32 v4, -v4, v7, v6
	v_div_fmas_f32 v4, v4, v5, v7
	v_div_fixup_f32 v4, v4, v2, v33
	v_cndmask_b32_e64 v3, v4, v3, s[64:65]
	global_store_dword v[0:1], v3, off offset:1152
	s_and_b64 exec, exec, s[44:45]
	s_cbranch_execz .LBB717_354
; %bb.332:
	v_div_scale_f32 v3, s[0:1], v2, v2, v32
	v_rcp_f32_e32 v4, v3
	v_div_scale_f32 v5, vcc, v32, v2, v32
	v_readlane_b32 s0, v48, 4
	v_fma_f32 v6, -v3, v4, 1.0
	v_fmac_f32_e32 v4, v6, v4
	v_mul_f32_e32 v6, v5, v4
	v_fma_f32 v7, -v3, v6, v5
	v_fmac_f32_e32 v6, v7, v4
	v_fma_f32 v3, -v3, v6, v5
	v_div_fmas_f32 v3, v3, v4, v6
	v_div_fixup_f32 v4, v3, v2, v32
	v_mov_b32_e32 v3, 0x7fc00000
	v_cndmask_b32_e64 v4, v4, v3, s[64:65]
	v_readlane_b32 s1, v48, 5
	global_store_dword v[0:1], v4, off offset:1280
	s_and_b64 exec, exec, s[0:1]
	s_cbranch_execz .LBB717_354
; %bb.333:
	v_div_scale_f32 v4, s[0:1], v2, v2, v31
	v_rcp_f32_e32 v5, v4
	v_div_scale_f32 v6, vcc, v31, v2, v31
	v_readlane_b32 s0, v48, 6
	v_fma_f32 v7, -v4, v5, 1.0
	v_fmac_f32_e32 v5, v7, v5
	v_mul_f32_e32 v7, v6, v5
	v_fma_f32 v8, -v4, v7, v6
	v_fmac_f32_e32 v7, v8, v5
	v_fma_f32 v4, -v4, v7, v6
	v_div_fmas_f32 v4, v4, v5, v7
	v_div_fixup_f32 v4, v4, v2, v31
	v_cndmask_b32_e64 v3, v4, v3, s[64:65]
	v_readlane_b32 s1, v48, 7
	global_store_dword v[0:1], v3, off offset:1408
	s_and_b64 exec, exec, s[0:1]
	s_cbranch_execz .LBB717_354
; %bb.334:
	v_div_scale_f32 v3, s[0:1], v2, v2, v30
	v_rcp_f32_e32 v4, v3
	v_div_scale_f32 v5, vcc, v30, v2, v30
	v_readlane_b32 s0, v48, 8
	v_fma_f32 v6, -v3, v4, 1.0
	v_fmac_f32_e32 v4, v6, v4
	v_mul_f32_e32 v6, v5, v4
	v_fma_f32 v7, -v3, v6, v5
	v_fmac_f32_e32 v6, v7, v4
	v_fma_f32 v3, -v3, v6, v5
	v_div_fmas_f32 v3, v3, v4, v6
	v_div_fixup_f32 v4, v3, v2, v30
	v_mov_b32_e32 v3, 0x7fc00000
	v_cndmask_b32_e64 v4, v4, v3, s[64:65]
	v_readlane_b32 s1, v48, 9
	global_store_dword v[0:1], v4, off offset:1536
	s_and_b64 exec, exec, s[0:1]
	s_cbranch_execz .LBB717_354
; %bb.335:
	v_div_scale_f32 v4, s[0:1], v2, v2, v29
	v_rcp_f32_e32 v5, v4
	v_div_scale_f32 v6, vcc, v29, v2, v29
	v_readlane_b32 s0, v48, 10
	v_fma_f32 v7, -v4, v5, 1.0
	v_fmac_f32_e32 v5, v7, v5
	v_mul_f32_e32 v7, v6, v5
	v_fma_f32 v8, -v4, v7, v6
	v_fmac_f32_e32 v7, v8, v5
	v_fma_f32 v4, -v4, v7, v6
	v_div_fmas_f32 v4, v4, v5, v7
	v_div_fixup_f32 v4, v4, v2, v29
	v_cndmask_b32_e64 v3, v4, v3, s[64:65]
	v_readlane_b32 s1, v48, 11
	global_store_dword v[0:1], v3, off offset:1664
	s_and_b64 exec, exec, s[0:1]
	s_cbranch_execz .LBB717_354
; %bb.336:
	v_div_scale_f32 v3, s[0:1], v2, v2, v28
	v_rcp_f32_e32 v4, v3
	v_div_scale_f32 v5, vcc, v28, v2, v28
	v_readlane_b32 s0, v48, 12
	v_fma_f32 v6, -v3, v4, 1.0
	v_fmac_f32_e32 v4, v6, v4
	v_mul_f32_e32 v6, v5, v4
	v_fma_f32 v7, -v3, v6, v5
	v_fmac_f32_e32 v6, v7, v4
	v_fma_f32 v3, -v3, v6, v5
	v_div_fmas_f32 v3, v3, v4, v6
	v_div_fixup_f32 v4, v3, v2, v28
	v_mov_b32_e32 v3, 0x7fc00000
	v_cndmask_b32_e64 v4, v4, v3, s[64:65]
	v_readlane_b32 s1, v48, 13
	global_store_dword v[0:1], v4, off offset:1792
	s_and_b64 exec, exec, s[0:1]
	s_cbranch_execz .LBB717_354
; %bb.337:
	v_div_scale_f32 v4, s[0:1], v2, v2, v27
	v_rcp_f32_e32 v5, v4
	v_div_scale_f32 v6, vcc, v27, v2, v27
	v_readlane_b32 s0, v48, 14
	v_fma_f32 v7, -v4, v5, 1.0
	v_fmac_f32_e32 v5, v7, v5
	v_mul_f32_e32 v7, v6, v5
	v_fma_f32 v8, -v4, v7, v6
	v_fmac_f32_e32 v7, v8, v5
	v_fma_f32 v4, -v4, v7, v6
	v_div_fmas_f32 v4, v4, v5, v7
	v_div_fixup_f32 v4, v4, v2, v27
	v_cndmask_b32_e64 v3, v4, v3, s[64:65]
	v_readlane_b32 s1, v48, 15
	global_store_dword v[0:1], v3, off offset:1920
	s_and_b64 exec, exec, s[0:1]
	s_cbranch_execz .LBB717_354
; %bb.338:
	v_div_scale_f32 v3, s[0:1], v2, v2, v26
	v_rcp_f32_e32 v4, v3
	v_div_scale_f32 v5, vcc, v26, v2, v26
	v_readlane_b32 s0, v48, 16
	v_fma_f32 v6, -v3, v4, 1.0
	v_fmac_f32_e32 v4, v6, v4
	v_mul_f32_e32 v6, v5, v4
	v_fma_f32 v7, -v3, v6, v5
	v_fmac_f32_e32 v6, v7, v4
	v_fma_f32 v3, -v3, v6, v5
	v_div_fmas_f32 v3, v3, v4, v6
	v_div_fixup_f32 v4, v3, v2, v26
	v_mov_b32_e32 v3, 0x7fc00000
	v_cndmask_b32_e64 v4, v4, v3, s[64:65]
	v_readlane_b32 s1, v48, 17
	global_store_dword v[0:1], v4, off offset:2048
	s_and_b64 exec, exec, s[0:1]
	s_cbranch_execz .LBB717_354
; %bb.339:
	v_div_scale_f32 v4, s[0:1], v2, v2, v25
	v_rcp_f32_e32 v5, v4
	v_div_scale_f32 v6, vcc, v25, v2, v25
	v_readlane_b32 s0, v48, 18
	v_fma_f32 v7, -v4, v5, 1.0
	v_fmac_f32_e32 v5, v7, v5
	v_mul_f32_e32 v7, v6, v5
	v_fma_f32 v8, -v4, v7, v6
	v_fmac_f32_e32 v7, v8, v5
	v_fma_f32 v4, -v4, v7, v6
	v_div_fmas_f32 v4, v4, v5, v7
	v_div_fixup_f32 v4, v4, v2, v25
	v_cndmask_b32_e64 v3, v4, v3, s[64:65]
	v_readlane_b32 s1, v48, 19
	global_store_dword v[0:1], v3, off offset:2176
	s_and_b64 exec, exec, s[0:1]
	s_cbranch_execz .LBB717_354
; %bb.340:
	v_div_scale_f32 v3, s[0:1], v2, v2, v24
	v_rcp_f32_e32 v4, v3
	v_div_scale_f32 v5, vcc, v24, v2, v24
	v_readlane_b32 s0, v48, 20
	v_fma_f32 v6, -v3, v4, 1.0
	v_fmac_f32_e32 v4, v6, v4
	v_mul_f32_e32 v6, v5, v4
	v_fma_f32 v7, -v3, v6, v5
	v_fmac_f32_e32 v6, v7, v4
	v_fma_f32 v3, -v3, v6, v5
	v_div_fmas_f32 v3, v3, v4, v6
	v_div_fixup_f32 v4, v3, v2, v24
	v_mov_b32_e32 v3, 0x7fc00000
	v_cndmask_b32_e64 v4, v4, v3, s[64:65]
	v_readlane_b32 s1, v48, 21
	global_store_dword v[0:1], v4, off offset:2304
	s_and_b64 exec, exec, s[0:1]
	s_cbranch_execz .LBB717_354
; %bb.341:
	v_div_scale_f32 v4, s[0:1], v2, v2, v23
	v_rcp_f32_e32 v5, v4
	v_div_scale_f32 v6, vcc, v23, v2, v23
	v_readlane_b32 s0, v48, 22
	v_fma_f32 v7, -v4, v5, 1.0
	v_fmac_f32_e32 v5, v7, v5
	v_mul_f32_e32 v7, v6, v5
	v_fma_f32 v8, -v4, v7, v6
	v_fmac_f32_e32 v7, v8, v5
	v_fma_f32 v4, -v4, v7, v6
	v_div_fmas_f32 v4, v4, v5, v7
	v_div_fixup_f32 v4, v4, v2, v23
	v_cndmask_b32_e64 v3, v4, v3, s[64:65]
	v_readlane_b32 s1, v48, 23
	global_store_dword v[0:1], v3, off offset:2432
	s_and_b64 exec, exec, s[0:1]
	s_cbranch_execz .LBB717_354
; %bb.342:
	v_div_scale_f32 v3, s[0:1], v2, v2, v22
	v_rcp_f32_e32 v4, v3
	v_div_scale_f32 v5, vcc, v22, v2, v22
	v_readlane_b32 s0, v48, 24
	v_fma_f32 v6, -v3, v4, 1.0
	v_fmac_f32_e32 v4, v6, v4
	v_mul_f32_e32 v6, v5, v4
	v_fma_f32 v7, -v3, v6, v5
	v_fmac_f32_e32 v6, v7, v4
	v_fma_f32 v3, -v3, v6, v5
	v_div_fmas_f32 v3, v3, v4, v6
	v_div_fixup_f32 v4, v3, v2, v22
	v_mov_b32_e32 v3, 0x7fc00000
	v_cndmask_b32_e64 v4, v4, v3, s[64:65]
	v_readlane_b32 s1, v48, 25
	global_store_dword v[0:1], v4, off offset:2560
	s_and_b64 exec, exec, s[0:1]
	s_cbranch_execz .LBB717_354
; %bb.343:
	v_div_scale_f32 v4, s[0:1], v2, v2, v21
	v_rcp_f32_e32 v5, v4
	v_div_scale_f32 v6, vcc, v21, v2, v21
	v_readlane_b32 s0, v48, 26
	v_fma_f32 v7, -v4, v5, 1.0
	v_fmac_f32_e32 v5, v7, v5
	v_mul_f32_e32 v7, v6, v5
	v_fma_f32 v8, -v4, v7, v6
	v_fmac_f32_e32 v7, v8, v5
	v_fma_f32 v4, -v4, v7, v6
	v_div_fmas_f32 v4, v4, v5, v7
	v_div_fixup_f32 v4, v4, v2, v21
	v_cndmask_b32_e64 v3, v4, v3, s[64:65]
	v_readlane_b32 s1, v48, 27
	global_store_dword v[0:1], v3, off offset:2688
	s_and_b64 exec, exec, s[0:1]
	s_cbranch_execz .LBB717_354
; %bb.344:
	v_div_scale_f32 v3, s[0:1], v2, v2, v20
	v_rcp_f32_e32 v4, v3
	v_div_scale_f32 v5, vcc, v20, v2, v20
	v_readlane_b32 s0, v48, 28
	v_fma_f32 v6, -v3, v4, 1.0
	v_fmac_f32_e32 v4, v6, v4
	v_mul_f32_e32 v6, v5, v4
	v_fma_f32 v7, -v3, v6, v5
	v_fmac_f32_e32 v6, v7, v4
	v_fma_f32 v3, -v3, v6, v5
	v_div_fmas_f32 v3, v3, v4, v6
	v_div_fixup_f32 v4, v3, v2, v20
	v_mov_b32_e32 v3, 0x7fc00000
	v_cndmask_b32_e64 v4, v4, v3, s[64:65]
	v_readlane_b32 s1, v48, 29
	global_store_dword v[0:1], v4, off offset:2816
	s_and_b64 exec, exec, s[0:1]
	s_cbranch_execz .LBB717_354
; %bb.345:
	v_div_scale_f32 v4, s[0:1], v2, v2, v19
	v_rcp_f32_e32 v5, v4
	v_div_scale_f32 v6, vcc, v19, v2, v19
	v_readlane_b32 s0, v48, 30
	v_fma_f32 v7, -v4, v5, 1.0
	v_fmac_f32_e32 v5, v7, v5
	v_mul_f32_e32 v7, v6, v5
	v_fma_f32 v8, -v4, v7, v6
	v_fmac_f32_e32 v7, v8, v5
	v_fma_f32 v4, -v4, v7, v6
	v_div_fmas_f32 v4, v4, v5, v7
	v_div_fixup_f32 v4, v4, v2, v19
	v_cndmask_b32_e64 v3, v4, v3, s[64:65]
	v_readlane_b32 s1, v48, 31
	global_store_dword v[0:1], v3, off offset:2944
	s_and_b64 exec, exec, s[0:1]
	s_cbranch_execz .LBB717_354
; %bb.346:
	v_div_scale_f32 v3, s[0:1], v2, v2, v18
	v_rcp_f32_e32 v4, v3
	v_div_scale_f32 v5, vcc, v18, v2, v18
	v_readlane_b32 s0, v48, 32
	v_fma_f32 v6, -v3, v4, 1.0
	v_fmac_f32_e32 v4, v6, v4
	v_mul_f32_e32 v6, v5, v4
	v_fma_f32 v7, -v3, v6, v5
	v_fmac_f32_e32 v6, v7, v4
	v_fma_f32 v3, -v3, v6, v5
	v_div_fmas_f32 v3, v3, v4, v6
	v_div_fixup_f32 v4, v3, v2, v18
	v_mov_b32_e32 v3, 0x7fc00000
	v_cndmask_b32_e64 v4, v4, v3, s[64:65]
	v_readlane_b32 s1, v48, 33
	global_store_dword v[0:1], v4, off offset:3072
	s_and_b64 exec, exec, s[0:1]
	s_cbranch_execz .LBB717_354
; %bb.347:
	v_div_scale_f32 v4, s[0:1], v2, v2, v17
	v_rcp_f32_e32 v5, v4
	v_div_scale_f32 v6, vcc, v17, v2, v17
	v_readlane_b32 s0, v48, 34
	v_fma_f32 v7, -v4, v5, 1.0
	v_fmac_f32_e32 v5, v7, v5
	v_mul_f32_e32 v7, v6, v5
	v_fma_f32 v8, -v4, v7, v6
	v_fmac_f32_e32 v7, v8, v5
	v_fma_f32 v4, -v4, v7, v6
	v_div_fmas_f32 v4, v4, v5, v7
	v_div_fixup_f32 v4, v4, v2, v17
	v_cndmask_b32_e64 v3, v4, v3, s[64:65]
	v_readlane_b32 s1, v48, 35
	global_store_dword v[0:1], v3, off offset:3200
	s_and_b64 exec, exec, s[0:1]
	s_cbranch_execz .LBB717_354
; %bb.348:
	v_div_scale_f32 v3, s[0:1], v2, v2, v16
	v_rcp_f32_e32 v4, v3
	v_div_scale_f32 v5, vcc, v16, v2, v16
	v_readlane_b32 s0, v48, 36
	v_fma_f32 v6, -v3, v4, 1.0
	v_fmac_f32_e32 v4, v6, v4
	v_mul_f32_e32 v6, v5, v4
	v_fma_f32 v7, -v3, v6, v5
	v_fmac_f32_e32 v6, v7, v4
	v_fma_f32 v3, -v3, v6, v5
	v_div_fmas_f32 v3, v3, v4, v6
	v_div_fixup_f32 v4, v3, v2, v16
	v_mov_b32_e32 v3, 0x7fc00000
	v_cndmask_b32_e64 v4, v4, v3, s[64:65]
	v_readlane_b32 s1, v48, 37
	global_store_dword v[0:1], v4, off offset:3328
	s_and_b64 exec, exec, s[0:1]
	s_cbranch_execz .LBB717_354
; %bb.349:
	v_div_scale_f32 v4, s[0:1], v2, v2, v15
	v_rcp_f32_e32 v5, v4
	v_div_scale_f32 v6, vcc, v15, v2, v15
	v_readlane_b32 s0, v48, 38
	v_fma_f32 v7, -v4, v5, 1.0
	v_fmac_f32_e32 v5, v7, v5
	v_mul_f32_e32 v7, v6, v5
	v_fma_f32 v8, -v4, v7, v6
	v_fmac_f32_e32 v7, v8, v5
	v_fma_f32 v4, -v4, v7, v6
	v_div_fmas_f32 v4, v4, v5, v7
	v_div_fixup_f32 v4, v4, v2, v15
	v_cndmask_b32_e64 v3, v4, v3, s[64:65]
	v_readlane_b32 s1, v48, 39
	global_store_dword v[0:1], v3, off offset:3456
	s_and_b64 exec, exec, s[0:1]
	s_cbranch_execz .LBB717_354
; %bb.350:
	v_div_scale_f32 v3, s[0:1], v2, v2, v14
	v_rcp_f32_e32 v4, v3
	v_div_scale_f32 v5, vcc, v14, v2, v14
	v_readlane_b32 s0, v48, 40
	v_fma_f32 v6, -v3, v4, 1.0
	v_fmac_f32_e32 v4, v6, v4
	v_mul_f32_e32 v6, v5, v4
	v_fma_f32 v7, -v3, v6, v5
	v_fmac_f32_e32 v6, v7, v4
	v_fma_f32 v3, -v3, v6, v5
	v_div_fmas_f32 v3, v3, v4, v6
	v_div_fixup_f32 v4, v3, v2, v14
	v_mov_b32_e32 v3, 0x7fc00000
	v_cndmask_b32_e64 v4, v4, v3, s[64:65]
	v_readlane_b32 s1, v48, 41
	global_store_dword v[0:1], v4, off offset:3584
	s_and_b64 exec, exec, s[0:1]
	s_cbranch_execz .LBB717_354
; %bb.351:
	v_div_scale_f32 v4, s[0:1], v2, v2, v13
	v_rcp_f32_e32 v5, v4
	v_div_scale_f32 v6, vcc, v13, v2, v13
	v_readlane_b32 s0, v48, 42
	v_fma_f32 v7, -v4, v5, 1.0
	v_fmac_f32_e32 v5, v7, v5
	v_mul_f32_e32 v7, v6, v5
	v_fma_f32 v8, -v4, v7, v6
	v_fmac_f32_e32 v7, v8, v5
	v_fma_f32 v4, -v4, v7, v6
	v_div_fmas_f32 v4, v4, v5, v7
	v_div_fixup_f32 v4, v4, v2, v13
	v_cndmask_b32_e64 v3, v4, v3, s[64:65]
	v_readlane_b32 s1, v48, 43
	global_store_dword v[0:1], v3, off offset:3712
	s_and_b64 exec, exec, s[0:1]
	s_cbranch_execz .LBB717_354
; %bb.352:
	v_div_scale_f32 v3, s[0:1], v2, v2, v12
	v_rcp_f32_e32 v4, v3
	v_div_scale_f32 v5, vcc, v12, v2, v12
	v_readlane_b32 s0, v48, 44
	v_fma_f32 v6, -v3, v4, 1.0
	v_fmac_f32_e32 v4, v6, v4
	v_mul_f32_e32 v6, v5, v4
	v_fma_f32 v7, -v3, v6, v5
	v_fmac_f32_e32 v6, v7, v4
	v_fma_f32 v3, -v3, v6, v5
	v_div_fmas_f32 v3, v3, v4, v6
	v_div_fixup_f32 v4, v3, v2, v12
	v_mov_b32_e32 v3, 0x7fc00000
	v_cndmask_b32_e64 v4, v4, v3, s[64:65]
	v_readlane_b32 s1, v48, 45
	global_store_dword v[0:1], v4, off offset:3840
	s_and_b64 exec, exec, s[0:1]
	s_cbranch_execz .LBB717_354
; %bb.353:
	v_div_scale_f32 v4, s[0:1], v2, v2, v11
	v_rcp_f32_e32 v5, v4
	v_div_scale_f32 v6, vcc, v11, v2, v11
	v_fma_f32 v7, -v4, v5, 1.0
	v_fmac_f32_e32 v5, v7, v5
	v_mul_f32_e32 v7, v6, v5
	v_fma_f32 v8, -v4, v7, v6
	v_fmac_f32_e32 v7, v8, v5
	v_fma_f32 v4, -v4, v7, v6
	v_div_fmas_f32 v4, v4, v5, v7
	v_div_fixup_f32 v2, v4, v2, v11
	v_cndmask_b32_e64 v2, v2, v3, s[64:65]
	global_store_dword v[0:1], v2, off offset:3968
.LBB717_354:
	s_endpgm
	.section	.rodata,"a",@progbits
	.p2align	6, 0x0
	.amdhsa_kernel _ZN12_GLOBAL__N_120softmax_warp_forwardIfffLi10ELb0ELb1ELi32EEEvPT0_PKT_iiiPKbib
		.amdhsa_group_segment_fixed_size 0
		.amdhsa_private_segment_fixed_size 0
		.amdhsa_kernarg_size 304
		.amdhsa_user_sgpr_count 6
		.amdhsa_user_sgpr_private_segment_buffer 1
		.amdhsa_user_sgpr_dispatch_ptr 0
		.amdhsa_user_sgpr_queue_ptr 0
		.amdhsa_user_sgpr_kernarg_segment_ptr 1
		.amdhsa_user_sgpr_dispatch_id 0
		.amdhsa_user_sgpr_flat_scratch_init 0
		.amdhsa_user_sgpr_kernarg_preload_length 0
		.amdhsa_user_sgpr_kernarg_preload_offset 0
		.amdhsa_user_sgpr_private_segment_size 0
		.amdhsa_uses_dynamic_stack 0
		.amdhsa_system_sgpr_private_segment_wavefront_offset 0
		.amdhsa_system_sgpr_workgroup_id_x 1
		.amdhsa_system_sgpr_workgroup_id_y 0
		.amdhsa_system_sgpr_workgroup_id_z 0
		.amdhsa_system_sgpr_workgroup_info 0
		.amdhsa_system_vgpr_workitem_id 1
		.amdhsa_next_free_vgpr 49
		.amdhsa_next_free_sgpr 96
		.amdhsa_accum_offset 52
		.amdhsa_reserve_vcc 1
		.amdhsa_reserve_flat_scratch 0
		.amdhsa_float_round_mode_32 0
		.amdhsa_float_round_mode_16_64 0
		.amdhsa_float_denorm_mode_32 3
		.amdhsa_float_denorm_mode_16_64 3
		.amdhsa_dx10_clamp 1
		.amdhsa_ieee_mode 1
		.amdhsa_fp16_overflow 0
		.amdhsa_tg_split 0
		.amdhsa_exception_fp_ieee_invalid_op 0
		.amdhsa_exception_fp_denorm_src 0
		.amdhsa_exception_fp_ieee_div_zero 0
		.amdhsa_exception_fp_ieee_overflow 0
		.amdhsa_exception_fp_ieee_underflow 0
		.amdhsa_exception_fp_ieee_inexact 0
		.amdhsa_exception_int_div_zero 0
	.end_amdhsa_kernel
	.section	.text._ZN12_GLOBAL__N_120softmax_warp_forwardIfffLi10ELb0ELb1ELi32EEEvPT0_PKT_iiiPKbib,"axG",@progbits,_ZN12_GLOBAL__N_120softmax_warp_forwardIfffLi10ELb0ELb1ELi32EEEvPT0_PKT_iiiPKbib,comdat
.Lfunc_end717:
	.size	_ZN12_GLOBAL__N_120softmax_warp_forwardIfffLi10ELb0ELb1ELi32EEEvPT0_PKT_iiiPKbib, .Lfunc_end717-_ZN12_GLOBAL__N_120softmax_warp_forwardIfffLi10ELb0ELb1ELi32EEEvPT0_PKT_iiiPKbib
                                        ; -- End function
	.section	.AMDGPU.csdata,"",@progbits
; Kernel info:
; codeLenInByte = 15240
; NumSgprs: 100
; NumVgprs: 49
; NumAgprs: 0
; TotalNumVgprs: 49
; ScratchSize: 0
; MemoryBound: 0
; FloatMode: 240
; IeeeMode: 1
; LDSByteSize: 0 bytes/workgroup (compile time only)
; SGPRBlocks: 12
; VGPRBlocks: 6
; NumSGPRsForWavesPerEU: 100
; NumVGPRsForWavesPerEU: 49
; AccumOffset: 52
; Occupancy: 8
; WaveLimiterHint : 0
; COMPUTE_PGM_RSRC2:SCRATCH_EN: 0
; COMPUTE_PGM_RSRC2:USER_SGPR: 6
; COMPUTE_PGM_RSRC2:TRAP_HANDLER: 0
; COMPUTE_PGM_RSRC2:TGID_X_EN: 1
; COMPUTE_PGM_RSRC2:TGID_Y_EN: 0
; COMPUTE_PGM_RSRC2:TGID_Z_EN: 0
; COMPUTE_PGM_RSRC2:TIDIG_COMP_CNT: 1
; COMPUTE_PGM_RSRC3_GFX90A:ACCUM_OFFSET: 12
; COMPUTE_PGM_RSRC3_GFX90A:TG_SPLIT: 0
	.section	.text._ZN12_GLOBAL__N_120softmax_warp_forwardIfffLi11ELb0ELb1ELi64EEEvPT0_PKT_iiiPKbib,"axG",@progbits,_ZN12_GLOBAL__N_120softmax_warp_forwardIfffLi11ELb0ELb1ELi64EEEvPT0_PKT_iiiPKbib,comdat
	.globl	_ZN12_GLOBAL__N_120softmax_warp_forwardIfffLi11ELb0ELb1ELi64EEEvPT0_PKT_iiiPKbib ; -- Begin function _ZN12_GLOBAL__N_120softmax_warp_forwardIfffLi11ELb0ELb1ELi64EEEvPT0_PKT_iiiPKbib
	.p2align	8
	.type	_ZN12_GLOBAL__N_120softmax_warp_forwardIfffLi11ELb0ELb1ELi64EEEvPT0_PKT_iiiPKbib,@function
_ZN12_GLOBAL__N_120softmax_warp_forwardIfffLi11ELb0ELb1ELi64EEEvPT0_PKT_iiiPKbib: ; @_ZN12_GLOBAL__N_120softmax_warp_forwardIfffLi11ELb0ELb1ELi64EEEvPT0_PKT_iiiPKbib
; %bb.0:
	s_load_dword s2, s[4:5], 0x3c
	s_load_dwordx4 s[68:71], s[4:5], 0x10
	s_load_dwordx2 s[0:1], s[4:5], 0x28
	v_bfe_u32 v1, v0, 10, 10
	v_and_b32_e32 v2, 0x3ff, v0
	s_waitcnt lgkmcnt(0)
	s_lshr_b32 s2, s2, 16
	s_mul_i32 s6, s6, s2
	v_add_u32_e32 v3, s6, v1
	v_mul_lo_u32 v6, v3, s69
	v_add_u32_e32 v0, v6, v2
	v_ashrrev_i32_e32 v1, 31, v0
	s_bitcmp0_b32 s1, 0
	v_pk_mov_b32 v[4:5], v[0:1], v[0:1] op_sel:[0,1]
	s_cbranch_scc1 .LBB718_2
; %bb.1:
	s_abs_i32 s1, s0
	v_cvt_f32_u32_e32 v4, s1
	v_xor_b32_e32 v5, s0, v6
	v_sub_u32_e32 v7, 0, v6
	s_sub_i32 s0, 0, s1
	v_rcp_iflag_f32_e32 v4, v4
	v_max_i32_e32 v6, v6, v7
	v_ashrrev_i32_e32 v5, 31, v5
	v_mul_f32_e32 v4, 0x4f7ffffe, v4
	v_cvt_u32_f32_e32 v4, v4
	v_mul_lo_u32 v7, s0, v4
	v_mul_hi_u32 v7, v4, v7
	v_add_u32_e32 v4, v4, v7
	v_mul_hi_u32 v4, v6, v4
	v_mul_lo_u32 v7, v4, s1
	v_sub_u32_e32 v6, v6, v7
	v_add_u32_e32 v8, 1, v4
	v_cmp_le_u32_e32 vcc, s1, v6
	v_subrev_u32_e32 v7, s1, v6
	v_cndmask_b32_e32 v4, v4, v8, vcc
	v_cndmask_b32_e32 v6, v6, v7, vcc
	v_add_u32_e32 v7, 1, v4
	v_cmp_le_u32_e32 vcc, s1, v6
	v_cndmask_b32_e32 v4, v4, v7, vcc
	v_xor_b32_e32 v4, v4, v5
	v_sub_u32_e32 v4, v4, v5
	v_mad_u64_u32 v[4:5], s[0:1], v4, s69, v[2:3]
	v_ashrrev_i32_e32 v5, 31, v4
.LBB718_2:
	s_load_dwordx4 s[0:3], s[4:5], 0x0
                                        ; implicit-def: $vgpr49 : SGPR spill to VGPR lane
	v_sub_u32_e32 v8, s68, v3
	v_lshlrev_b64 v[0:1], 2, v[0:1]
	v_cmp_lt_i32_e64 s[68:69], 0, v8
	v_cmp_gt_i32_e64 s[64:65], s70, v2
	s_waitcnt lgkmcnt(0)
	v_mov_b32_e32 v3, s3
	v_writelane_b32 v49, s0, 0
	v_writelane_b32 v49, s1, 1
	v_add_co_u32_e32 v6, vcc, s2, v0
	v_writelane_b32 v49, s2, 2
	v_addc_co_u32_e32 v7, vcc, v3, v1, vcc
	s_and_b64 s[38:39], s[68:69], s[64:65]
	v_mov_b32_e32 v39, 0xff800000
	v_mov_b32_e32 v40, 0xff800000
	v_writelane_b32 v49, s3, 3
	s_and_saveexec_b64 s[0:1], s[38:39]
	s_cbranch_execz .LBB718_4
; %bb.3:
	global_load_dword v40, v[6:7], off
.LBB718_4:
	s_or_b64 exec, exec, s[0:1]
	v_add_u32_e32 v3, 64, v2
	v_cmp_gt_i32_e64 s[62:63], s70, v3
	s_and_b64 s[36:37], s[68:69], s[62:63]
	s_and_saveexec_b64 s[0:1], s[36:37]
	s_cbranch_execz .LBB718_6
; %bb.5:
	global_load_dword v39, v[6:7], off offset:256
.LBB718_6:
	s_or_b64 exec, exec, s[0:1]
	v_add_u32_e32 v3, 0x80, v2
	v_cmp_gt_i32_e64 s[60:61], s70, v3
	s_and_b64 s[34:35], s[68:69], s[60:61]
	v_mov_b32_e32 v37, 0xff800000
	v_mov_b32_e32 v38, 0xff800000
	s_and_saveexec_b64 s[0:1], s[34:35]
	s_cbranch_execz .LBB718_8
; %bb.7:
	global_load_dword v38, v[6:7], off offset:512
.LBB718_8:
	s_or_b64 exec, exec, s[0:1]
	v_add_u32_e32 v3, 0xc0, v2
	v_cmp_gt_i32_e64 s[58:59], s70, v3
	s_and_b64 s[30:31], s[68:69], s[58:59]
	s_and_saveexec_b64 s[0:1], s[30:31]
	s_cbranch_execz .LBB718_10
; %bb.9:
	global_load_dword v37, v[6:7], off offset:768
.LBB718_10:
	s_or_b64 exec, exec, s[0:1]
	v_add_u32_e32 v3, 0x100, v2
	v_cmp_gt_i32_e64 s[56:57], s70, v3
	s_and_b64 s[28:29], s[68:69], s[56:57]
	v_mov_b32_e32 v35, 0xff800000
	v_mov_b32_e32 v36, 0xff800000
	s_and_saveexec_b64 s[0:1], s[28:29]
	s_cbranch_execz .LBB718_12
; %bb.11:
	global_load_dword v36, v[6:7], off offset:1024
.LBB718_12:
	;; [unrolled: 20-line block ×5, first 2 shown]
	s_or_b64 exec, exec, s[0:1]
	v_add_u32_e32 v3, 0x2c0, v2
	v_cmp_gt_i32_e64 s[0:1], s70, v3
	v_writelane_b32 v49, s0, 4
	s_and_b64 s[14:15], s[68:69], s[0:1]
	v_writelane_b32 v49, s1, 5
	s_and_saveexec_b64 s[0:1], s[14:15]
	s_cbranch_execz .LBB718_26
; %bb.25:
	global_load_dword v29, v[6:7], off offset:2816
.LBB718_26:
	s_or_b64 exec, exec, s[0:1]
	v_add_u32_e32 v3, 0x300, v2
	v_cmp_gt_i32_e64 s[0:1], s70, v3
	v_writelane_b32 v49, s0, 6
	s_and_b64 s[12:13], s[68:69], s[0:1]
	v_mov_b32_e32 v27, 0xff800000
	v_mov_b32_e32 v28, 0xff800000
	v_writelane_b32 v49, s1, 7
	s_and_saveexec_b64 s[0:1], s[12:13]
	s_cbranch_execz .LBB718_28
; %bb.27:
	global_load_dword v28, v[6:7], off offset:3072
.LBB718_28:
	s_or_b64 exec, exec, s[0:1]
	v_add_u32_e32 v3, 0x340, v2
	v_cmp_gt_i32_e64 s[0:1], s70, v3
	v_writelane_b32 v49, s0, 8
	s_and_b64 s[10:11], s[68:69], s[0:1]
	v_writelane_b32 v49, s1, 9
	s_and_saveexec_b64 s[0:1], s[10:11]
	s_cbranch_execz .LBB718_30
; %bb.29:
	global_load_dword v27, v[6:7], off offset:3328
.LBB718_30:
	s_or_b64 exec, exec, s[0:1]
	v_add_u32_e32 v3, 0x380, v2
	v_cmp_gt_i32_e64 s[0:1], s70, v3
	v_writelane_b32 v49, s0, 10
	s_and_b64 s[8:9], s[68:69], s[0:1]
	v_mov_b32_e32 v25, 0xff800000
	v_mov_b32_e32 v26, 0xff800000
	v_writelane_b32 v49, s1, 11
	s_and_saveexec_b64 s[0:1], s[8:9]
	s_cbranch_execz .LBB718_32
; %bb.31:
	global_load_dword v26, v[6:7], off offset:3584
.LBB718_32:
	s_or_b64 exec, exec, s[0:1]
	v_add_u32_e32 v3, 0x3c0, v2
	v_cmp_gt_i32_e64 s[0:1], s70, v3
	v_writelane_b32 v49, s0, 12
	s_and_b64 s[6:7], s[68:69], s[0:1]
	v_writelane_b32 v49, s1, 13
	s_and_saveexec_b64 s[0:1], s[6:7]
	s_cbranch_execz .LBB718_34
; %bb.33:
	global_load_dword v25, v[6:7], off offset:3840
.LBB718_34:
	s_or_b64 exec, exec, s[0:1]
	v_or_b32_e32 v3, 0x400, v2
	v_cmp_gt_i32_e64 s[0:1], s70, v3
	v_writelane_b32 v49, s0, 14
	s_and_b64 s[66:67], s[68:69], s[0:1]
	v_mov_b32_e32 v23, 0xff800000
	v_mov_b32_e32 v24, 0xff800000
	v_writelane_b32 v49, s1, 15
	s_and_saveexec_b64 s[0:1], s[66:67]
	s_cbranch_execz .LBB718_36
; %bb.35:
	v_add_co_u32_e32 v10, vcc, 0x1000, v6
	v_addc_co_u32_e32 v11, vcc, 0, v7, vcc
	global_load_dword v24, v[10:11], off
.LBB718_36:
	s_or_b64 exec, exec, s[0:1]
	v_add_u32_e32 v3, 0x440, v2
	v_cmp_gt_i32_e64 s[0:1], s70, v3
	v_writelane_b32 v49, s0, 16
	s_and_b64 s[2:3], s[68:69], s[0:1]
	v_writelane_b32 v49, s1, 17
	s_and_saveexec_b64 s[0:1], s[2:3]
	s_cbranch_execz .LBB718_38
; %bb.37:
	v_add_co_u32_e32 v10, vcc, 0x1000, v6
	v_addc_co_u32_e32 v11, vcc, 0, v7, vcc
	global_load_dword v23, v[10:11], off offset:256
.LBB718_38:
	s_or_b64 exec, exec, s[0:1]
	v_add_u32_e32 v3, 0x480, v2
	v_cmp_gt_i32_e64 s[0:1], s70, v3
	v_writelane_b32 v49, s0, 18
	v_writelane_b32 v49, s1, 19
	s_and_b64 s[0:1], s[68:69], s[0:1]
	v_mov_b32_e32 v21, 0xff800000
	v_mov_b32_e32 v22, 0xff800000
	s_and_saveexec_b64 s[40:41], s[0:1]
	s_cbranch_execz .LBB718_40
; %bb.39:
	v_add_co_u32_e32 v10, vcc, 0x1000, v6
	v_addc_co_u32_e32 v11, vcc, 0, v7, vcc
	global_load_dword v22, v[10:11], off offset:512
.LBB718_40:
	s_or_b64 exec, exec, s[40:41]
	v_add_u32_e32 v3, 0x4c0, v2
	v_cmp_gt_i32_e64 s[40:41], s70, v3
	v_writelane_b32 v49, s40, 20
	s_and_b64 s[72:73], s[68:69], s[40:41]
	v_writelane_b32 v49, s41, 21
	s_and_saveexec_b64 s[40:41], s[72:73]
	s_cbranch_execz .LBB718_42
; %bb.41:
	v_add_co_u32_e32 v10, vcc, 0x1000, v6
	v_addc_co_u32_e32 v11, vcc, 0, v7, vcc
	global_load_dword v21, v[10:11], off offset:768
.LBB718_42:
	s_or_b64 exec, exec, s[40:41]
	v_add_u32_e32 v3, 0x500, v2
	v_cmp_gt_i32_e64 s[40:41], s70, v3
	v_writelane_b32 v49, s40, 22
	s_and_b64 s[94:95], s[68:69], s[40:41]
	v_mov_b32_e32 v19, 0xff800000
	v_mov_b32_e32 v20, 0xff800000
	v_writelane_b32 v49, s41, 23
	s_and_saveexec_b64 s[40:41], s[94:95]
	s_cbranch_execz .LBB718_44
; %bb.43:
	v_add_co_u32_e32 v10, vcc, 0x1000, v6
	v_addc_co_u32_e32 v11, vcc, 0, v7, vcc
	global_load_dword v20, v[10:11], off offset:1024
.LBB718_44:
	s_or_b64 exec, exec, s[40:41]
	v_add_u32_e32 v3, 0x540, v2
	v_cmp_gt_i32_e64 s[40:41], s70, v3
	v_writelane_b32 v49, s40, 24
	s_and_b64 s[92:93], s[68:69], s[40:41]
	v_writelane_b32 v49, s41, 25
	s_and_saveexec_b64 s[40:41], s[92:93]
	s_cbranch_execz .LBB718_46
; %bb.45:
	v_add_co_u32_e32 v10, vcc, 0x1000, v6
	v_addc_co_u32_e32 v11, vcc, 0, v7, vcc
	global_load_dword v19, v[10:11], off offset:1280
.LBB718_46:
	s_or_b64 exec, exec, s[40:41]
	v_add_u32_e32 v3, 0x580, v2
	v_cmp_gt_i32_e64 s[40:41], s70, v3
	v_writelane_b32 v49, s40, 26
	s_and_b64 s[90:91], s[68:69], s[40:41]
	v_mov_b32_e32 v17, 0xff800000
	v_mov_b32_e32 v18, 0xff800000
	v_writelane_b32 v49, s41, 27
	;; [unrolled: 28-line block ×6, first 2 shown]
	s_and_saveexec_b64 s[40:41], s[74:75]
	s_cbranch_execz .LBB718_64
; %bb.63:
	v_add_co_u32_e32 v42, vcc, 0x1000, v6
	v_addc_co_u32_e32 v43, vcc, 0, v7, vcc
	global_load_dword v10, v[42:43], off offset:3584
.LBB718_64:
	s_or_b64 exec, exec, s[40:41]
	v_add_u32_e32 v2, 0x7c0, v2
	v_cmp_gt_i32_e64 s[40:41], s70, v2
	v_writelane_b32 v49, s40, 44
	s_and_b64 s[68:69], s[68:69], s[40:41]
	v_writelane_b32 v49, s41, 45
	s_and_saveexec_b64 s[40:41], s[68:69]
	s_cbranch_execz .LBB718_66
; %bb.65:
	v_add_co_u32_e32 v2, vcc, 0x1000, v6
	v_addc_co_u32_e32 v3, vcc, 0, v7, vcc
	global_load_dword v9, v[2:3], off offset:3840
.LBB718_66:
	s_or_b64 exec, exec, s[40:41]
	s_load_dwordx2 s[4:5], s[4:5], 0x20
	s_waitcnt lgkmcnt(0)
	v_mov_b32_e32 v3, s5
	v_add_co_u32_e32 v2, vcc, s4, v4
	v_addc_co_u32_e32 v3, vcc, v3, v5, vcc
	s_mov_b64 s[4:5], 0
	s_and_saveexec_b64 s[40:41], s[38:39]
	s_cbranch_execnz .LBB718_98
; %bb.67:
	s_or_b64 exec, exec, s[40:41]
	s_waitcnt vmcnt(0)
	v_mov_b32_e32 v4, v40
	s_and_saveexec_b64 s[70:71], s[36:37]
	s_cbranch_execnz .LBB718_99
.LBB718_68:
	s_or_b64 exec, exec, s[70:71]
	s_and_saveexec_b64 s[70:71], s[34:35]
	s_cbranch_execnz .LBB718_102
.LBB718_69:
	s_or_b64 exec, exec, s[70:71]
	s_and_saveexec_b64 s[70:71], s[30:31]
	s_cbranch_execnz .LBB718_105
.LBB718_70:
	s_or_b64 exec, exec, s[70:71]
	s_and_saveexec_b64 s[70:71], s[28:29]
	s_cbranch_execnz .LBB718_108
.LBB718_71:
	s_or_b64 exec, exec, s[70:71]
	s_and_saveexec_b64 s[70:71], s[26:27]
	s_cbranch_execnz .LBB718_111
.LBB718_72:
	s_or_b64 exec, exec, s[70:71]
	s_and_saveexec_b64 s[70:71], s[24:25]
	s_cbranch_execnz .LBB718_114
.LBB718_73:
	s_or_b64 exec, exec, s[70:71]
	s_and_saveexec_b64 s[70:71], s[22:23]
	s_cbranch_execnz .LBB718_117
.LBB718_74:
	s_or_b64 exec, exec, s[70:71]
	s_and_saveexec_b64 s[70:71], s[20:21]
	s_cbranch_execnz .LBB718_120
.LBB718_75:
	s_or_b64 exec, exec, s[70:71]
	s_and_saveexec_b64 s[70:71], s[18:19]
	s_cbranch_execnz .LBB718_123
.LBB718_76:
	s_or_b64 exec, exec, s[70:71]
	s_and_saveexec_b64 s[70:71], s[16:17]
	s_cbranch_execnz .LBB718_126
.LBB718_77:
	s_or_b64 exec, exec, s[70:71]
	s_and_saveexec_b64 s[70:71], s[14:15]
	s_cbranch_execnz .LBB718_129
.LBB718_78:
	s_or_b64 exec, exec, s[70:71]
	s_and_saveexec_b64 s[70:71], s[12:13]
	s_cbranch_execnz .LBB718_132
.LBB718_79:
	s_or_b64 exec, exec, s[70:71]
	s_and_saveexec_b64 s[70:71], s[10:11]
	s_cbranch_execnz .LBB718_135
.LBB718_80:
	s_or_b64 exec, exec, s[70:71]
	s_and_saveexec_b64 s[70:71], s[8:9]
	s_cbranch_execnz .LBB718_138
.LBB718_81:
	s_or_b64 exec, exec, s[70:71]
	s_and_saveexec_b64 s[70:71], s[6:7]
	s_cbranch_execnz .LBB718_141
.LBB718_82:
	s_or_b64 exec, exec, s[70:71]
	s_and_saveexec_b64 s[70:71], s[66:67]
	s_cbranch_execnz .LBB718_144
.LBB718_83:
	s_or_b64 exec, exec, s[70:71]
	s_and_saveexec_b64 s[70:71], s[2:3]
	s_cbranch_execnz .LBB718_147
.LBB718_84:
	s_or_b64 exec, exec, s[70:71]
	s_and_saveexec_b64 s[70:71], s[0:1]
	s_cbranch_execnz .LBB718_150
.LBB718_85:
	s_or_b64 exec, exec, s[70:71]
	s_and_saveexec_b64 s[70:71], s[72:73]
	s_cbranch_execnz .LBB718_153
.LBB718_86:
	s_or_b64 exec, exec, s[70:71]
	s_and_saveexec_b64 s[70:71], s[94:95]
	s_cbranch_execnz .LBB718_156
.LBB718_87:
	s_or_b64 exec, exec, s[70:71]
	s_and_saveexec_b64 s[70:71], s[92:93]
	s_cbranch_execnz .LBB718_159
.LBB718_88:
	s_or_b64 exec, exec, s[70:71]
	s_and_saveexec_b64 s[70:71], s[90:91]
	s_cbranch_execnz .LBB718_162
.LBB718_89:
	s_or_b64 exec, exec, s[70:71]
	s_and_saveexec_b64 s[70:71], s[88:89]
	s_cbranch_execnz .LBB718_165
.LBB718_90:
	s_or_b64 exec, exec, s[70:71]
	s_and_saveexec_b64 s[70:71], s[86:87]
	s_cbranch_execnz .LBB718_168
.LBB718_91:
	s_or_b64 exec, exec, s[70:71]
	s_and_saveexec_b64 s[70:71], s[84:85]
	s_cbranch_execnz .LBB718_171
.LBB718_92:
	s_or_b64 exec, exec, s[70:71]
	s_and_saveexec_b64 s[70:71], s[82:83]
	s_cbranch_execnz .LBB718_174
.LBB718_93:
	s_or_b64 exec, exec, s[70:71]
	s_and_saveexec_b64 s[70:71], s[80:81]
	s_cbranch_execnz .LBB718_177
.LBB718_94:
	s_or_b64 exec, exec, s[70:71]
	s_and_saveexec_b64 s[70:71], s[78:79]
	s_cbranch_execnz .LBB718_180
.LBB718_95:
	s_or_b64 exec, exec, s[70:71]
	s_and_saveexec_b64 s[70:71], s[76:77]
	s_cbranch_execnz .LBB718_183
.LBB718_96:
	s_or_b64 exec, exec, s[70:71]
	s_and_saveexec_b64 s[70:71], s[74:75]
	s_cbranch_execnz .LBB718_186
.LBB718_97:
	s_or_b64 exec, exec, s[70:71]
	s_and_saveexec_b64 s[70:71], s[68:69]
	s_cbranch_execnz .LBB718_189
	s_branch .LBB718_192
.LBB718_98:
	global_load_ubyte v4, v[2:3], off
	s_waitcnt vmcnt(0)
	v_and_b32_e32 v4, 1, v4
	v_cmp_eq_u32_e32 vcc, 1, v4
	s_xor_b64 s[4:5], vcc, -1
	s_and_b64 s[4:5], s[4:5], exec
	s_or_b64 exec, exec, s[40:41]
	v_mov_b32_e32 v4, v40
	s_and_saveexec_b64 s[70:71], s[36:37]
	s_cbranch_execz .LBB718_68
.LBB718_99:
	global_load_ubyte v4, v[2:3], off offset:64
	s_mov_b64 s[40:41], s[4:5]
	s_waitcnt vmcnt(0)
	v_and_b32_e32 v4, 1, v4
	v_cmp_eq_u32_e32 vcc, 1, v4
	s_xor_b64 vcc, vcc, -1
	v_mov_b32_e32 v4, v40
	s_and_saveexec_b64 s[42:43], vcc
; %bb.100:
	v_cmp_gt_f32_e32 vcc, v40, v39
	s_and_b64 vcc, s[4:5], vcc
	v_cndmask_b32_e32 v4, v39, v40, vcc
	s_or_b64 s[40:41], s[4:5], exec
; %bb.101:
	s_or_b64 exec, exec, s[42:43]
	s_andn2_b64 s[4:5], s[4:5], exec
	s_and_b64 s[40:41], s[40:41], exec
	s_or_b64 s[4:5], s[4:5], s[40:41]
	s_or_b64 exec, exec, s[70:71]
	s_and_saveexec_b64 s[70:71], s[34:35]
	s_cbranch_execz .LBB718_69
.LBB718_102:
	global_load_ubyte v5, v[2:3], off offset:128
	s_mov_b64 s[40:41], s[4:5]
	s_waitcnt vmcnt(0)
	v_and_b32_e32 v5, 1, v5
	v_cmp_eq_u32_e32 vcc, 1, v5
	s_xor_b64 vcc, vcc, -1
	s_and_saveexec_b64 s[42:43], vcc
; %bb.103:
	v_cmp_gt_f32_e32 vcc, v4, v38
	s_and_b64 vcc, s[4:5], vcc
	v_cndmask_b32_e32 v4, v38, v4, vcc
	s_or_b64 s[40:41], s[4:5], exec
; %bb.104:
	s_or_b64 exec, exec, s[42:43]
	s_andn2_b64 s[4:5], s[4:5], exec
	s_and_b64 s[40:41], s[40:41], exec
	s_or_b64 s[4:5], s[4:5], s[40:41]
	s_or_b64 exec, exec, s[70:71]
	s_and_saveexec_b64 s[70:71], s[30:31]
	s_cbranch_execz .LBB718_70
.LBB718_105:
	global_load_ubyte v5, v[2:3], off offset:192
	s_mov_b64 s[40:41], s[4:5]
	s_waitcnt vmcnt(0)
	v_and_b32_e32 v5, 1, v5
	v_cmp_eq_u32_e32 vcc, 1, v5
	s_xor_b64 vcc, vcc, -1
	s_and_saveexec_b64 s[42:43], vcc
; %bb.106:
	v_cmp_gt_f32_e32 vcc, v4, v37
	s_and_b64 vcc, s[4:5], vcc
	v_cndmask_b32_e32 v4, v37, v4, vcc
	s_or_b64 s[40:41], s[4:5], exec
; %bb.107:
	s_or_b64 exec, exec, s[42:43]
	s_andn2_b64 s[4:5], s[4:5], exec
	s_and_b64 s[40:41], s[40:41], exec
	s_or_b64 s[4:5], s[4:5], s[40:41]
	s_or_b64 exec, exec, s[70:71]
	s_and_saveexec_b64 s[70:71], s[28:29]
	s_cbranch_execz .LBB718_71
.LBB718_108:
	global_load_ubyte v5, v[2:3], off offset:256
	s_mov_b64 s[40:41], s[4:5]
	s_waitcnt vmcnt(0)
	v_and_b32_e32 v5, 1, v5
	v_cmp_eq_u32_e32 vcc, 1, v5
	s_xor_b64 vcc, vcc, -1
	s_and_saveexec_b64 s[42:43], vcc
; %bb.109:
	v_cmp_gt_f32_e32 vcc, v4, v36
	s_and_b64 vcc, s[4:5], vcc
	v_cndmask_b32_e32 v4, v36, v4, vcc
	s_or_b64 s[40:41], s[4:5], exec
; %bb.110:
	s_or_b64 exec, exec, s[42:43]
	s_andn2_b64 s[4:5], s[4:5], exec
	s_and_b64 s[40:41], s[40:41], exec
	s_or_b64 s[4:5], s[4:5], s[40:41]
	s_or_b64 exec, exec, s[70:71]
	s_and_saveexec_b64 s[70:71], s[26:27]
	s_cbranch_execz .LBB718_72
.LBB718_111:
	global_load_ubyte v5, v[2:3], off offset:320
	s_mov_b64 s[40:41], s[4:5]
	s_waitcnt vmcnt(0)
	v_and_b32_e32 v5, 1, v5
	v_cmp_eq_u32_e32 vcc, 1, v5
	s_xor_b64 vcc, vcc, -1
	s_and_saveexec_b64 s[42:43], vcc
; %bb.112:
	v_cmp_gt_f32_e32 vcc, v4, v35
	s_and_b64 vcc, s[4:5], vcc
	v_cndmask_b32_e32 v4, v35, v4, vcc
	s_or_b64 s[40:41], s[4:5], exec
; %bb.113:
	s_or_b64 exec, exec, s[42:43]
	s_andn2_b64 s[4:5], s[4:5], exec
	s_and_b64 s[40:41], s[40:41], exec
	s_or_b64 s[4:5], s[4:5], s[40:41]
	s_or_b64 exec, exec, s[70:71]
	s_and_saveexec_b64 s[70:71], s[24:25]
	s_cbranch_execz .LBB718_73
.LBB718_114:
	global_load_ubyte v5, v[2:3], off offset:384
	s_mov_b64 s[40:41], s[4:5]
	s_waitcnt vmcnt(0)
	v_and_b32_e32 v5, 1, v5
	v_cmp_eq_u32_e32 vcc, 1, v5
	s_xor_b64 vcc, vcc, -1
	s_and_saveexec_b64 s[42:43], vcc
; %bb.115:
	v_cmp_gt_f32_e32 vcc, v4, v34
	s_and_b64 vcc, s[4:5], vcc
	v_cndmask_b32_e32 v4, v34, v4, vcc
	s_or_b64 s[40:41], s[4:5], exec
; %bb.116:
	s_or_b64 exec, exec, s[42:43]
	s_andn2_b64 s[4:5], s[4:5], exec
	s_and_b64 s[40:41], s[40:41], exec
	s_or_b64 s[4:5], s[4:5], s[40:41]
	s_or_b64 exec, exec, s[70:71]
	s_and_saveexec_b64 s[70:71], s[22:23]
	s_cbranch_execz .LBB718_74
.LBB718_117:
	global_load_ubyte v5, v[2:3], off offset:448
	s_mov_b64 s[40:41], s[4:5]
	s_waitcnt vmcnt(0)
	v_and_b32_e32 v5, 1, v5
	v_cmp_eq_u32_e32 vcc, 1, v5
	s_xor_b64 vcc, vcc, -1
	s_and_saveexec_b64 s[42:43], vcc
; %bb.118:
	v_cmp_gt_f32_e32 vcc, v4, v33
	s_and_b64 vcc, s[4:5], vcc
	v_cndmask_b32_e32 v4, v33, v4, vcc
	s_or_b64 s[40:41], s[4:5], exec
; %bb.119:
	s_or_b64 exec, exec, s[42:43]
	s_andn2_b64 s[4:5], s[4:5], exec
	s_and_b64 s[40:41], s[40:41], exec
	s_or_b64 s[4:5], s[4:5], s[40:41]
	s_or_b64 exec, exec, s[70:71]
	s_and_saveexec_b64 s[70:71], s[20:21]
	s_cbranch_execz .LBB718_75
.LBB718_120:
	global_load_ubyte v5, v[2:3], off offset:512
	s_mov_b64 s[40:41], s[4:5]
	s_waitcnt vmcnt(0)
	v_and_b32_e32 v5, 1, v5
	v_cmp_eq_u32_e32 vcc, 1, v5
	s_xor_b64 vcc, vcc, -1
	s_and_saveexec_b64 s[42:43], vcc
; %bb.121:
	v_cmp_gt_f32_e32 vcc, v4, v32
	s_and_b64 vcc, s[4:5], vcc
	v_cndmask_b32_e32 v4, v32, v4, vcc
	s_or_b64 s[40:41], s[4:5], exec
; %bb.122:
	s_or_b64 exec, exec, s[42:43]
	s_andn2_b64 s[4:5], s[4:5], exec
	s_and_b64 s[40:41], s[40:41], exec
	s_or_b64 s[4:5], s[4:5], s[40:41]
	s_or_b64 exec, exec, s[70:71]
	s_and_saveexec_b64 s[70:71], s[18:19]
	s_cbranch_execz .LBB718_76
.LBB718_123:
	global_load_ubyte v5, v[2:3], off offset:576
	s_mov_b64 s[40:41], s[4:5]
	s_waitcnt vmcnt(0)
	v_and_b32_e32 v5, 1, v5
	v_cmp_eq_u32_e32 vcc, 1, v5
	s_xor_b64 vcc, vcc, -1
	s_and_saveexec_b64 s[42:43], vcc
; %bb.124:
	v_cmp_gt_f32_e32 vcc, v4, v31
	s_and_b64 vcc, s[4:5], vcc
	v_cndmask_b32_e32 v4, v31, v4, vcc
	s_or_b64 s[40:41], s[4:5], exec
; %bb.125:
	s_or_b64 exec, exec, s[42:43]
	s_andn2_b64 s[4:5], s[4:5], exec
	s_and_b64 s[40:41], s[40:41], exec
	s_or_b64 s[4:5], s[4:5], s[40:41]
	s_or_b64 exec, exec, s[70:71]
	s_and_saveexec_b64 s[70:71], s[16:17]
	s_cbranch_execz .LBB718_77
.LBB718_126:
	global_load_ubyte v5, v[2:3], off offset:640
	s_mov_b64 s[40:41], s[4:5]
	s_waitcnt vmcnt(0)
	v_and_b32_e32 v5, 1, v5
	v_cmp_eq_u32_e32 vcc, 1, v5
	s_xor_b64 vcc, vcc, -1
	s_and_saveexec_b64 s[42:43], vcc
; %bb.127:
	v_cmp_gt_f32_e32 vcc, v4, v30
	s_and_b64 vcc, s[4:5], vcc
	v_cndmask_b32_e32 v4, v30, v4, vcc
	s_or_b64 s[40:41], s[4:5], exec
; %bb.128:
	s_or_b64 exec, exec, s[42:43]
	s_andn2_b64 s[4:5], s[4:5], exec
	s_and_b64 s[40:41], s[40:41], exec
	s_or_b64 s[4:5], s[4:5], s[40:41]
	s_or_b64 exec, exec, s[70:71]
	s_and_saveexec_b64 s[70:71], s[14:15]
	s_cbranch_execz .LBB718_78
.LBB718_129:
	global_load_ubyte v5, v[2:3], off offset:704
	s_mov_b64 s[40:41], s[4:5]
	s_waitcnt vmcnt(0)
	v_and_b32_e32 v5, 1, v5
	v_cmp_eq_u32_e32 vcc, 1, v5
	s_xor_b64 vcc, vcc, -1
	s_and_saveexec_b64 s[42:43], vcc
; %bb.130:
	v_cmp_gt_f32_e32 vcc, v4, v29
	s_and_b64 vcc, s[4:5], vcc
	v_cndmask_b32_e32 v4, v29, v4, vcc
	s_or_b64 s[40:41], s[4:5], exec
; %bb.131:
	s_or_b64 exec, exec, s[42:43]
	s_andn2_b64 s[4:5], s[4:5], exec
	s_and_b64 s[40:41], s[40:41], exec
	s_or_b64 s[4:5], s[4:5], s[40:41]
	s_or_b64 exec, exec, s[70:71]
	s_and_saveexec_b64 s[70:71], s[12:13]
	s_cbranch_execz .LBB718_79
.LBB718_132:
	global_load_ubyte v5, v[2:3], off offset:768
	s_mov_b64 s[40:41], s[4:5]
	s_waitcnt vmcnt(0)
	v_and_b32_e32 v5, 1, v5
	v_cmp_eq_u32_e32 vcc, 1, v5
	s_xor_b64 vcc, vcc, -1
	s_and_saveexec_b64 s[42:43], vcc
; %bb.133:
	v_cmp_gt_f32_e32 vcc, v4, v28
	s_and_b64 vcc, s[4:5], vcc
	v_cndmask_b32_e32 v4, v28, v4, vcc
	s_or_b64 s[40:41], s[4:5], exec
; %bb.134:
	s_or_b64 exec, exec, s[42:43]
	s_andn2_b64 s[4:5], s[4:5], exec
	s_and_b64 s[40:41], s[40:41], exec
	s_or_b64 s[4:5], s[4:5], s[40:41]
	s_or_b64 exec, exec, s[70:71]
	s_and_saveexec_b64 s[70:71], s[10:11]
	s_cbranch_execz .LBB718_80
.LBB718_135:
	global_load_ubyte v5, v[2:3], off offset:832
	s_mov_b64 s[40:41], s[4:5]
	s_waitcnt vmcnt(0)
	v_and_b32_e32 v5, 1, v5
	v_cmp_eq_u32_e32 vcc, 1, v5
	s_xor_b64 vcc, vcc, -1
	s_and_saveexec_b64 s[42:43], vcc
; %bb.136:
	v_cmp_gt_f32_e32 vcc, v4, v27
	s_and_b64 vcc, s[4:5], vcc
	v_cndmask_b32_e32 v4, v27, v4, vcc
	s_or_b64 s[40:41], s[4:5], exec
; %bb.137:
	s_or_b64 exec, exec, s[42:43]
	s_andn2_b64 s[4:5], s[4:5], exec
	s_and_b64 s[40:41], s[40:41], exec
	s_or_b64 s[4:5], s[4:5], s[40:41]
	s_or_b64 exec, exec, s[70:71]
	s_and_saveexec_b64 s[70:71], s[8:9]
	s_cbranch_execz .LBB718_81
.LBB718_138:
	global_load_ubyte v5, v[2:3], off offset:896
	s_mov_b64 s[40:41], s[4:5]
	s_waitcnt vmcnt(0)
	v_and_b32_e32 v5, 1, v5
	v_cmp_eq_u32_e32 vcc, 1, v5
	s_xor_b64 vcc, vcc, -1
	s_and_saveexec_b64 s[42:43], vcc
; %bb.139:
	v_cmp_gt_f32_e32 vcc, v4, v26
	s_and_b64 vcc, s[4:5], vcc
	v_cndmask_b32_e32 v4, v26, v4, vcc
	s_or_b64 s[40:41], s[4:5], exec
; %bb.140:
	s_or_b64 exec, exec, s[42:43]
	s_andn2_b64 s[4:5], s[4:5], exec
	s_and_b64 s[40:41], s[40:41], exec
	s_or_b64 s[4:5], s[4:5], s[40:41]
	s_or_b64 exec, exec, s[70:71]
	s_and_saveexec_b64 s[70:71], s[6:7]
	s_cbranch_execz .LBB718_82
.LBB718_141:
	global_load_ubyte v5, v[2:3], off offset:960
	s_mov_b64 s[40:41], s[4:5]
	s_waitcnt vmcnt(0)
	v_and_b32_e32 v5, 1, v5
	v_cmp_eq_u32_e32 vcc, 1, v5
	s_xor_b64 vcc, vcc, -1
	s_and_saveexec_b64 s[42:43], vcc
; %bb.142:
	v_cmp_gt_f32_e32 vcc, v4, v25
	s_and_b64 vcc, s[4:5], vcc
	v_cndmask_b32_e32 v4, v25, v4, vcc
	s_or_b64 s[40:41], s[4:5], exec
; %bb.143:
	s_or_b64 exec, exec, s[42:43]
	s_andn2_b64 s[4:5], s[4:5], exec
	s_and_b64 s[40:41], s[40:41], exec
	s_or_b64 s[4:5], s[4:5], s[40:41]
	s_or_b64 exec, exec, s[70:71]
	s_and_saveexec_b64 s[70:71], s[66:67]
	s_cbranch_execz .LBB718_83
.LBB718_144:
	global_load_ubyte v5, v[2:3], off offset:1024
	s_mov_b64 s[40:41], s[4:5]
	s_waitcnt vmcnt(0)
	v_and_b32_e32 v5, 1, v5
	v_cmp_eq_u32_e32 vcc, 1, v5
	s_xor_b64 vcc, vcc, -1
	s_and_saveexec_b64 s[42:43], vcc
; %bb.145:
	v_cmp_gt_f32_e32 vcc, v4, v24
	s_and_b64 vcc, s[4:5], vcc
	v_cndmask_b32_e32 v4, v24, v4, vcc
	s_or_b64 s[40:41], s[4:5], exec
; %bb.146:
	s_or_b64 exec, exec, s[42:43]
	s_andn2_b64 s[4:5], s[4:5], exec
	s_and_b64 s[40:41], s[40:41], exec
	s_or_b64 s[4:5], s[4:5], s[40:41]
	s_or_b64 exec, exec, s[70:71]
	s_and_saveexec_b64 s[70:71], s[2:3]
	s_cbranch_execz .LBB718_84
.LBB718_147:
	global_load_ubyte v5, v[2:3], off offset:1088
	s_mov_b64 s[40:41], s[4:5]
	s_waitcnt vmcnt(0)
	v_and_b32_e32 v5, 1, v5
	v_cmp_eq_u32_e32 vcc, 1, v5
	s_xor_b64 vcc, vcc, -1
	s_and_saveexec_b64 s[42:43], vcc
; %bb.148:
	v_cmp_gt_f32_e32 vcc, v4, v23
	s_and_b64 vcc, s[4:5], vcc
	v_cndmask_b32_e32 v4, v23, v4, vcc
	s_or_b64 s[40:41], s[4:5], exec
; %bb.149:
	s_or_b64 exec, exec, s[42:43]
	s_andn2_b64 s[4:5], s[4:5], exec
	s_and_b64 s[40:41], s[40:41], exec
	s_or_b64 s[4:5], s[4:5], s[40:41]
	s_or_b64 exec, exec, s[70:71]
	s_and_saveexec_b64 s[70:71], s[0:1]
	s_cbranch_execz .LBB718_85
.LBB718_150:
	global_load_ubyte v5, v[2:3], off offset:1152
	s_mov_b64 s[40:41], s[4:5]
	s_waitcnt vmcnt(0)
	v_and_b32_e32 v5, 1, v5
	v_cmp_eq_u32_e32 vcc, 1, v5
	s_xor_b64 vcc, vcc, -1
	s_and_saveexec_b64 s[42:43], vcc
; %bb.151:
	v_cmp_gt_f32_e32 vcc, v4, v22
	s_and_b64 vcc, s[4:5], vcc
	v_cndmask_b32_e32 v4, v22, v4, vcc
	s_or_b64 s[40:41], s[4:5], exec
; %bb.152:
	s_or_b64 exec, exec, s[42:43]
	s_andn2_b64 s[4:5], s[4:5], exec
	s_and_b64 s[40:41], s[40:41], exec
	s_or_b64 s[4:5], s[4:5], s[40:41]
	s_or_b64 exec, exec, s[70:71]
	s_and_saveexec_b64 s[70:71], s[72:73]
	s_cbranch_execz .LBB718_86
.LBB718_153:
	global_load_ubyte v5, v[2:3], off offset:1216
	s_mov_b64 s[40:41], s[4:5]
	s_waitcnt vmcnt(0)
	v_and_b32_e32 v5, 1, v5
	v_cmp_eq_u32_e32 vcc, 1, v5
	s_xor_b64 vcc, vcc, -1
	s_and_saveexec_b64 s[42:43], vcc
; %bb.154:
	v_cmp_gt_f32_e32 vcc, v4, v21
	s_and_b64 vcc, s[4:5], vcc
	v_cndmask_b32_e32 v4, v21, v4, vcc
	s_or_b64 s[40:41], s[4:5], exec
; %bb.155:
	s_or_b64 exec, exec, s[42:43]
	s_andn2_b64 s[4:5], s[4:5], exec
	s_and_b64 s[40:41], s[40:41], exec
	s_or_b64 s[4:5], s[4:5], s[40:41]
	s_or_b64 exec, exec, s[70:71]
	s_and_saveexec_b64 s[70:71], s[94:95]
	s_cbranch_execz .LBB718_87
.LBB718_156:
	global_load_ubyte v5, v[2:3], off offset:1280
	s_mov_b64 s[40:41], s[4:5]
	s_waitcnt vmcnt(0)
	v_and_b32_e32 v5, 1, v5
	v_cmp_eq_u32_e32 vcc, 1, v5
	s_xor_b64 vcc, vcc, -1
	s_and_saveexec_b64 s[42:43], vcc
; %bb.157:
	v_cmp_gt_f32_e32 vcc, v4, v20
	s_and_b64 vcc, s[4:5], vcc
	v_cndmask_b32_e32 v4, v20, v4, vcc
	s_or_b64 s[40:41], s[4:5], exec
; %bb.158:
	s_or_b64 exec, exec, s[42:43]
	s_andn2_b64 s[4:5], s[4:5], exec
	s_and_b64 s[40:41], s[40:41], exec
	s_or_b64 s[4:5], s[4:5], s[40:41]
	s_or_b64 exec, exec, s[70:71]
	s_and_saveexec_b64 s[70:71], s[92:93]
	s_cbranch_execz .LBB718_88
.LBB718_159:
	global_load_ubyte v5, v[2:3], off offset:1344
	s_mov_b64 s[40:41], s[4:5]
	s_waitcnt vmcnt(0)
	v_and_b32_e32 v5, 1, v5
	v_cmp_eq_u32_e32 vcc, 1, v5
	s_xor_b64 vcc, vcc, -1
	s_and_saveexec_b64 s[42:43], vcc
; %bb.160:
	v_cmp_gt_f32_e32 vcc, v4, v19
	s_and_b64 vcc, s[4:5], vcc
	v_cndmask_b32_e32 v4, v19, v4, vcc
	s_or_b64 s[40:41], s[4:5], exec
; %bb.161:
	s_or_b64 exec, exec, s[42:43]
	s_andn2_b64 s[4:5], s[4:5], exec
	s_and_b64 s[40:41], s[40:41], exec
	s_or_b64 s[4:5], s[4:5], s[40:41]
	s_or_b64 exec, exec, s[70:71]
	s_and_saveexec_b64 s[70:71], s[90:91]
	s_cbranch_execz .LBB718_89
.LBB718_162:
	global_load_ubyte v5, v[2:3], off offset:1408
	s_mov_b64 s[40:41], s[4:5]
	s_waitcnt vmcnt(0)
	v_and_b32_e32 v5, 1, v5
	v_cmp_eq_u32_e32 vcc, 1, v5
	s_xor_b64 vcc, vcc, -1
	s_and_saveexec_b64 s[42:43], vcc
; %bb.163:
	v_cmp_gt_f32_e32 vcc, v4, v18
	s_and_b64 vcc, s[4:5], vcc
	v_cndmask_b32_e32 v4, v18, v4, vcc
	s_or_b64 s[40:41], s[4:5], exec
; %bb.164:
	s_or_b64 exec, exec, s[42:43]
	s_andn2_b64 s[4:5], s[4:5], exec
	s_and_b64 s[40:41], s[40:41], exec
	s_or_b64 s[4:5], s[4:5], s[40:41]
	s_or_b64 exec, exec, s[70:71]
	s_and_saveexec_b64 s[70:71], s[88:89]
	s_cbranch_execz .LBB718_90
.LBB718_165:
	global_load_ubyte v5, v[2:3], off offset:1472
	s_mov_b64 s[40:41], s[4:5]
	s_waitcnt vmcnt(0)
	v_and_b32_e32 v5, 1, v5
	v_cmp_eq_u32_e32 vcc, 1, v5
	s_xor_b64 vcc, vcc, -1
	s_and_saveexec_b64 s[42:43], vcc
; %bb.166:
	v_cmp_gt_f32_e32 vcc, v4, v17
	s_and_b64 vcc, s[4:5], vcc
	v_cndmask_b32_e32 v4, v17, v4, vcc
	s_or_b64 s[40:41], s[4:5], exec
; %bb.167:
	s_or_b64 exec, exec, s[42:43]
	s_andn2_b64 s[4:5], s[4:5], exec
	s_and_b64 s[40:41], s[40:41], exec
	s_or_b64 s[4:5], s[4:5], s[40:41]
	s_or_b64 exec, exec, s[70:71]
	s_and_saveexec_b64 s[70:71], s[86:87]
	s_cbranch_execz .LBB718_91
.LBB718_168:
	global_load_ubyte v5, v[2:3], off offset:1536
	s_mov_b64 s[40:41], s[4:5]
	s_waitcnt vmcnt(0)
	v_and_b32_e32 v5, 1, v5
	v_cmp_eq_u32_e32 vcc, 1, v5
	s_xor_b64 vcc, vcc, -1
	s_and_saveexec_b64 s[42:43], vcc
; %bb.169:
	v_cmp_gt_f32_e32 vcc, v4, v16
	s_and_b64 vcc, s[4:5], vcc
	v_cndmask_b32_e32 v4, v16, v4, vcc
	s_or_b64 s[40:41], s[4:5], exec
; %bb.170:
	s_or_b64 exec, exec, s[42:43]
	s_andn2_b64 s[4:5], s[4:5], exec
	s_and_b64 s[40:41], s[40:41], exec
	s_or_b64 s[4:5], s[4:5], s[40:41]
	s_or_b64 exec, exec, s[70:71]
	s_and_saveexec_b64 s[70:71], s[84:85]
	s_cbranch_execz .LBB718_92
.LBB718_171:
	global_load_ubyte v5, v[2:3], off offset:1600
	s_mov_b64 s[40:41], s[4:5]
	s_waitcnt vmcnt(0)
	v_and_b32_e32 v5, 1, v5
	v_cmp_eq_u32_e32 vcc, 1, v5
	s_xor_b64 vcc, vcc, -1
	s_and_saveexec_b64 s[42:43], vcc
; %bb.172:
	v_cmp_gt_f32_e32 vcc, v4, v15
	s_and_b64 vcc, s[4:5], vcc
	v_cndmask_b32_e32 v4, v15, v4, vcc
	s_or_b64 s[40:41], s[4:5], exec
; %bb.173:
	s_or_b64 exec, exec, s[42:43]
	s_andn2_b64 s[4:5], s[4:5], exec
	s_and_b64 s[40:41], s[40:41], exec
	s_or_b64 s[4:5], s[4:5], s[40:41]
	s_or_b64 exec, exec, s[70:71]
	s_and_saveexec_b64 s[70:71], s[82:83]
	s_cbranch_execz .LBB718_93
.LBB718_174:
	global_load_ubyte v5, v[2:3], off offset:1664
	s_mov_b64 s[40:41], s[4:5]
	s_waitcnt vmcnt(0)
	v_and_b32_e32 v5, 1, v5
	v_cmp_eq_u32_e32 vcc, 1, v5
	s_xor_b64 vcc, vcc, -1
	s_and_saveexec_b64 s[42:43], vcc
; %bb.175:
	v_cmp_gt_f32_e32 vcc, v4, v14
	s_and_b64 vcc, s[4:5], vcc
	v_cndmask_b32_e32 v4, v14, v4, vcc
	s_or_b64 s[40:41], s[4:5], exec
; %bb.176:
	s_or_b64 exec, exec, s[42:43]
	s_andn2_b64 s[4:5], s[4:5], exec
	s_and_b64 s[40:41], s[40:41], exec
	s_or_b64 s[4:5], s[4:5], s[40:41]
	s_or_b64 exec, exec, s[70:71]
	s_and_saveexec_b64 s[70:71], s[80:81]
	s_cbranch_execz .LBB718_94
.LBB718_177:
	global_load_ubyte v5, v[2:3], off offset:1728
	s_mov_b64 s[40:41], s[4:5]
	s_waitcnt vmcnt(0)
	v_and_b32_e32 v5, 1, v5
	v_cmp_eq_u32_e32 vcc, 1, v5
	s_xor_b64 vcc, vcc, -1
	s_and_saveexec_b64 s[42:43], vcc
; %bb.178:
	v_cmp_gt_f32_e32 vcc, v4, v13
	s_and_b64 vcc, s[4:5], vcc
	v_cndmask_b32_e32 v4, v13, v4, vcc
	s_or_b64 s[40:41], s[4:5], exec
; %bb.179:
	s_or_b64 exec, exec, s[42:43]
	s_andn2_b64 s[4:5], s[4:5], exec
	s_and_b64 s[40:41], s[40:41], exec
	s_or_b64 s[4:5], s[4:5], s[40:41]
	s_or_b64 exec, exec, s[70:71]
	s_and_saveexec_b64 s[70:71], s[78:79]
	s_cbranch_execz .LBB718_95
.LBB718_180:
	global_load_ubyte v5, v[2:3], off offset:1792
	s_mov_b64 s[40:41], s[4:5]
	s_waitcnt vmcnt(0)
	v_and_b32_e32 v5, 1, v5
	v_cmp_eq_u32_e32 vcc, 1, v5
	s_xor_b64 vcc, vcc, -1
	s_and_saveexec_b64 s[42:43], vcc
; %bb.181:
	v_cmp_gt_f32_e32 vcc, v4, v12
	s_and_b64 vcc, s[4:5], vcc
	v_cndmask_b32_e32 v4, v12, v4, vcc
	s_or_b64 s[40:41], s[4:5], exec
; %bb.182:
	s_or_b64 exec, exec, s[42:43]
	s_andn2_b64 s[4:5], s[4:5], exec
	s_and_b64 s[40:41], s[40:41], exec
	s_or_b64 s[4:5], s[4:5], s[40:41]
	s_or_b64 exec, exec, s[70:71]
	s_and_saveexec_b64 s[70:71], s[76:77]
	s_cbranch_execz .LBB718_96
.LBB718_183:
	global_load_ubyte v5, v[2:3], off offset:1856
	s_mov_b64 s[40:41], s[4:5]
	s_waitcnt vmcnt(0)
	v_and_b32_e32 v5, 1, v5
	v_cmp_eq_u32_e32 vcc, 1, v5
	s_xor_b64 vcc, vcc, -1
	s_and_saveexec_b64 s[42:43], vcc
; %bb.184:
	v_cmp_gt_f32_e32 vcc, v4, v11
	s_and_b64 vcc, s[4:5], vcc
	v_cndmask_b32_e32 v4, v11, v4, vcc
	s_or_b64 s[40:41], s[4:5], exec
; %bb.185:
	s_or_b64 exec, exec, s[42:43]
	s_andn2_b64 s[4:5], s[4:5], exec
	s_and_b64 s[40:41], s[40:41], exec
	s_or_b64 s[4:5], s[4:5], s[40:41]
	s_or_b64 exec, exec, s[70:71]
	s_and_saveexec_b64 s[70:71], s[74:75]
	s_cbranch_execz .LBB718_97
.LBB718_186:
	global_load_ubyte v5, v[2:3], off offset:1920
	s_mov_b64 s[40:41], s[4:5]
	s_waitcnt vmcnt(0)
	v_and_b32_e32 v5, 1, v5
	v_cmp_eq_u32_e32 vcc, 1, v5
	s_xor_b64 vcc, vcc, -1
	s_and_saveexec_b64 s[42:43], vcc
; %bb.187:
	v_cmp_gt_f32_e32 vcc, v4, v10
	s_and_b64 vcc, s[4:5], vcc
	v_cndmask_b32_e32 v4, v10, v4, vcc
	s_or_b64 s[40:41], s[4:5], exec
; %bb.188:
	s_or_b64 exec, exec, s[42:43]
	s_andn2_b64 s[4:5], s[4:5], exec
	s_and_b64 s[40:41], s[40:41], exec
	s_or_b64 s[4:5], s[4:5], s[40:41]
	s_or_b64 exec, exec, s[70:71]
	s_and_saveexec_b64 s[70:71], s[68:69]
	s_cbranch_execz .LBB718_192
.LBB718_189:
	global_load_ubyte v5, v[2:3], off offset:1984
	s_mov_b64 s[40:41], s[4:5]
	s_waitcnt vmcnt(0)
	v_and_b32_e32 v5, 1, v5
	v_cmp_eq_u32_e32 vcc, 1, v5
	s_xor_b64 vcc, vcc, -1
	s_and_saveexec_b64 s[42:43], vcc
; %bb.190:
	v_cmp_gt_f32_e32 vcc, v4, v9
	s_and_b64 vcc, s[4:5], vcc
	v_cndmask_b32_e32 v4, v9, v4, vcc
	s_or_b64 s[40:41], s[4:5], exec
; %bb.191:
	s_or_b64 exec, exec, s[42:43]
	s_andn2_b64 s[4:5], s[4:5], exec
	s_and_b64 s[40:41], s[40:41], exec
	s_or_b64 s[4:5], s[4:5], s[40:41]
.LBB718_192:
	s_or_b64 exec, exec, s[70:71]
	v_mov_b32_e32 v5, 0xff800000
	v_cndmask_b32_e64 v4, v5, v4, s[4:5]
	v_mbcnt_lo_u32_b32 v5, -1, 0
	v_mbcnt_hi_u32_b32 v42, -1, v5
	v_and_b32_e32 v5, 64, v42
	v_add_u32_e32 v44, 64, v5
	v_xor_b32_e32 v5, 32, v42
	v_cmp_lt_i32_e32 vcc, v5, v44
	v_cndmask_b32_e32 v5, v42, v5, vcc
	v_lshlrev_b32_e32 v5, 2, v5
	ds_bpermute_b32 v6, v5, v4
	v_xor_b32_e32 v7, 16, v42
	v_xor_b32_e32 v41, 8, v42
	;; [unrolled: 1-line block ×4, first 2 shown]
	s_waitcnt lgkmcnt(0)
	v_cmp_lt_f32_e32 vcc, v4, v6
	v_cndmask_b32_e32 v4, v4, v6, vcc
	v_cmp_lt_i32_e32 vcc, v7, v44
	v_cndmask_b32_e32 v6, v42, v7, vcc
	v_lshlrev_b32_e32 v6, 2, v6
	ds_bpermute_b32 v7, v6, v4
	v_xor_b32_e32 v46, 1, v42
	s_waitcnt lgkmcnt(0)
	v_cmp_lt_f32_e32 vcc, v4, v7
	v_cndmask_b32_e32 v4, v4, v7, vcc
	v_cmp_lt_i32_e32 vcc, v41, v44
	v_cndmask_b32_e32 v7, v42, v41, vcc
	v_lshlrev_b32_e32 v7, 2, v7
	ds_bpermute_b32 v41, v7, v4
	s_waitcnt lgkmcnt(0)
	v_cmp_lt_f32_e32 vcc, v4, v41
	v_cndmask_b32_e32 v4, v4, v41, vcc
	v_cmp_lt_i32_e32 vcc, v43, v44
	v_cndmask_b32_e32 v41, v42, v43, vcc
	v_lshlrev_b32_e32 v41, 2, v41
	ds_bpermute_b32 v43, v41, v4
	;; [unrolled: 7-line block ×4, first 2 shown]
	v_mov_b32_e32 v4, 0
	s_waitcnt lgkmcnt(0)
	v_cmp_lt_f32_e32 vcc, v45, v42
	v_cndmask_b32_e32 v45, v45, v42, vcc
	v_mov_b32_e32 v42, 0
	s_and_saveexec_b64 s[4:5], s[38:39]
	s_cbranch_execz .LBB718_196
; %bb.193:
	global_load_ubyte v42, v[2:3], off
	s_waitcnt vmcnt(0)
	v_and_b32_e32 v42, 1, v42
	v_cmp_eq_u32_e32 vcc, 1, v42
	s_xor_b64 s[40:41], vcc, -1
	v_mov_b32_e32 v42, 0
	s_and_saveexec_b64 s[38:39], s[40:41]
	s_cbranch_execz .LBB718_195
; %bb.194:
	v_sub_f32_e32 v40, v40, v45
	s_mov_b32 s33, 0x3fb8aa3b
	v_mul_f32_e32 v42, 0x3fb8aa3b, v40
	v_fma_f32 v46, v40, s33, -v42
	v_rndne_f32_e32 v47, v42
	v_fmac_f32_e32 v46, 0x32a5705f, v40
	v_sub_f32_e32 v42, v42, v47
	v_add_f32_e32 v42, v42, v46
	v_exp_f32_e32 v42, v42
	v_cvt_i32_f32_e32 v46, v47
	s_mov_b32 s33, 0xc2ce8ed0
	v_cmp_ngt_f32_e32 vcc, s33, v40
	s_mov_b32 s33, 0x42b17218
	v_ldexp_f32 v42, v42, v46
	v_cndmask_b32_e32 v42, 0, v42, vcc
	v_mov_b32_e32 v46, 0x7f800000
	v_cmp_nlt_f32_e32 vcc, s33, v40
	v_cndmask_b32_e32 v42, v46, v42, vcc
.LBB718_195:
	s_or_b64 exec, exec, s[38:39]
.LBB718_196:
	s_or_b64 exec, exec, s[4:5]
	v_mov_b32_e32 v46, v42
	s_and_saveexec_b64 s[4:5], s[36:37]
	s_cbranch_execz .LBB718_200
; %bb.197:
	global_load_ubyte v40, v[2:3], off offset:64
	v_mov_b32_e32 v4, 0
	v_mov_b32_e32 v46, v42
	s_waitcnt vmcnt(0)
	v_and_b32_e32 v40, 1, v40
	v_cmp_eq_u32_e32 vcc, 1, v40
	s_xor_b64 s[38:39], vcc, -1
	s_and_saveexec_b64 s[36:37], s[38:39]
	s_cbranch_execz .LBB718_199
; %bb.198:
	v_sub_f32_e32 v4, v39, v45
	s_mov_b32 s33, 0x3fb8aa3b
	v_mul_f32_e32 v39, 0x3fb8aa3b, v4
	v_fma_f32 v40, v4, s33, -v39
	v_rndne_f32_e32 v46, v39
	v_fmac_f32_e32 v40, 0x32a5705f, v4
	v_sub_f32_e32 v39, v39, v46
	v_add_f32_e32 v39, v39, v40
	v_exp_f32_e32 v39, v39
	v_cvt_i32_f32_e32 v40, v46
	s_mov_b32 s33, 0xc2ce8ed0
	v_cmp_ngt_f32_e32 vcc, s33, v4
	s_mov_b32 s33, 0x42b17218
	v_ldexp_f32 v39, v39, v40
	v_cndmask_b32_e32 v39, 0, v39, vcc
	v_mov_b32_e32 v40, 0x7f800000
	v_cmp_nlt_f32_e32 vcc, s33, v4
	v_cndmask_b32_e32 v4, v40, v39, vcc
	v_add_f32_e32 v46, v42, v4
.LBB718_199:
	s_or_b64 exec, exec, s[36:37]
.LBB718_200:
	s_or_b64 exec, exec, s[4:5]
	v_mov_b32_e32 v39, 0
	v_mov_b32_e32 v40, 0
	s_and_saveexec_b64 s[4:5], s[34:35]
	s_cbranch_execz .LBB718_204
; %bb.201:
	global_load_ubyte v40, v[2:3], off offset:128
	s_waitcnt vmcnt(0)
	v_and_b32_e32 v40, 1, v40
	v_cmp_eq_u32_e32 vcc, 1, v40
	s_xor_b64 s[36:37], vcc, -1
	v_mov_b32_e32 v40, 0
	s_and_saveexec_b64 s[34:35], s[36:37]
	s_cbranch_execz .LBB718_203
; %bb.202:
	v_sub_f32_e32 v38, v38, v45
	s_mov_b32 s33, 0x3fb8aa3b
	v_mul_f32_e32 v40, 0x3fb8aa3b, v38
	v_fma_f32 v47, v38, s33, -v40
	v_rndne_f32_e32 v48, v40
	v_fmac_f32_e32 v47, 0x32a5705f, v38
	v_sub_f32_e32 v40, v40, v48
	v_add_f32_e32 v40, v40, v47
	v_exp_f32_e32 v40, v40
	v_cvt_i32_f32_e32 v47, v48
	s_mov_b32 s33, 0xc2ce8ed0
	v_cmp_ngt_f32_e32 vcc, s33, v38
	s_mov_b32 s33, 0x42b17218
	v_ldexp_f32 v40, v40, v47
	v_cndmask_b32_e32 v40, 0, v40, vcc
	v_mov_b32_e32 v47, 0x7f800000
	v_cmp_nlt_f32_e32 vcc, s33, v38
	v_cndmask_b32_e32 v40, v47, v40, vcc
	v_add_f32_e32 v46, v46, v40
.LBB718_203:
	s_or_b64 exec, exec, s[34:35]
.LBB718_204:
	s_or_b64 exec, exec, s[4:5]
	s_and_saveexec_b64 s[4:5], s[30:31]
	s_cbranch_execz .LBB718_208
; %bb.205:
	global_load_ubyte v38, v[2:3], off offset:192
	v_mov_b32_e32 v39, 0
	s_waitcnt vmcnt(0)
	v_and_b32_e32 v38, 1, v38
	v_cmp_eq_u32_e32 vcc, 1, v38
	s_xor_b64 s[34:35], vcc, -1
	s_and_saveexec_b64 s[30:31], s[34:35]
	s_cbranch_execz .LBB718_207
; %bb.206:
	v_sub_f32_e32 v37, v37, v45
	s_mov_b32 s33, 0x3fb8aa3b
	v_mul_f32_e32 v38, 0x3fb8aa3b, v37
	v_fma_f32 v39, v37, s33, -v38
	v_rndne_f32_e32 v47, v38
	v_fmac_f32_e32 v39, 0x32a5705f, v37
	v_sub_f32_e32 v38, v38, v47
	v_add_f32_e32 v38, v38, v39
	v_exp_f32_e32 v38, v38
	v_cvt_i32_f32_e32 v39, v47
	s_mov_b32 s33, 0xc2ce8ed0
	v_cmp_ngt_f32_e32 vcc, s33, v37
	s_mov_b32 s33, 0x42b17218
	v_ldexp_f32 v38, v38, v39
	v_cndmask_b32_e32 v38, 0, v38, vcc
	v_mov_b32_e32 v39, 0x7f800000
	v_cmp_nlt_f32_e32 vcc, s33, v37
	v_cndmask_b32_e32 v39, v39, v38, vcc
	v_add_f32_e32 v46, v46, v39
.LBB718_207:
	s_or_b64 exec, exec, s[30:31]
.LBB718_208:
	s_or_b64 exec, exec, s[4:5]
	v_mov_b32_e32 v37, 0
	v_mov_b32_e32 v38, 0
	s_and_saveexec_b64 s[4:5], s[28:29]
	s_cbranch_execz .LBB718_212
; %bb.209:
	global_load_ubyte v38, v[2:3], off offset:256
	s_waitcnt vmcnt(0)
	v_and_b32_e32 v38, 1, v38
	v_cmp_eq_u32_e32 vcc, 1, v38
	s_xor_b64 s[30:31], vcc, -1
	v_mov_b32_e32 v38, 0
	s_and_saveexec_b64 s[28:29], s[30:31]
	s_cbranch_execz .LBB718_211
; %bb.210:
	v_sub_f32_e32 v36, v36, v45
	s_mov_b32 s30, 0x3fb8aa3b
	v_mul_f32_e32 v38, 0x3fb8aa3b, v36
	v_fma_f32 v47, v36, s30, -v38
	v_rndne_f32_e32 v48, v38
	v_fmac_f32_e32 v47, 0x32a5705f, v36
	v_sub_f32_e32 v38, v38, v48
	v_add_f32_e32 v38, v38, v47
	v_exp_f32_e32 v38, v38
	v_cvt_i32_f32_e32 v47, v48
	s_mov_b32 s30, 0xc2ce8ed0
	v_cmp_ngt_f32_e32 vcc, s30, v36
	s_mov_b32 s30, 0x42b17218
	v_ldexp_f32 v38, v38, v47
	v_cndmask_b32_e32 v38, 0, v38, vcc
	v_mov_b32_e32 v47, 0x7f800000
	v_cmp_nlt_f32_e32 vcc, s30, v36
	v_cndmask_b32_e32 v38, v47, v38, vcc
	v_add_f32_e32 v46, v46, v38
.LBB718_211:
	s_or_b64 exec, exec, s[28:29]
.LBB718_212:
	s_or_b64 exec, exec, s[4:5]
	s_and_saveexec_b64 s[4:5], s[26:27]
	s_cbranch_execz .LBB718_216
; %bb.213:
	global_load_ubyte v36, v[2:3], off offset:320
	v_mov_b32_e32 v37, 0
	s_waitcnt vmcnt(0)
	v_and_b32_e32 v36, 1, v36
	v_cmp_eq_u32_e32 vcc, 1, v36
	s_xor_b64 s[28:29], vcc, -1
	s_and_saveexec_b64 s[26:27], s[28:29]
	s_cbranch_execz .LBB718_215
; %bb.214:
	v_sub_f32_e32 v35, v35, v45
	s_mov_b32 s28, 0x3fb8aa3b
	v_mul_f32_e32 v36, 0x3fb8aa3b, v35
	v_fma_f32 v37, v35, s28, -v36
	v_rndne_f32_e32 v47, v36
	v_fmac_f32_e32 v37, 0x32a5705f, v35
	v_sub_f32_e32 v36, v36, v47
	v_add_f32_e32 v36, v36, v37
	v_exp_f32_e32 v36, v36
	v_cvt_i32_f32_e32 v37, v47
	s_mov_b32 s28, 0xc2ce8ed0
	v_cmp_ngt_f32_e32 vcc, s28, v35
	s_mov_b32 s28, 0x42b17218
	v_ldexp_f32 v36, v36, v37
	v_cndmask_b32_e32 v36, 0, v36, vcc
	v_mov_b32_e32 v37, 0x7f800000
	v_cmp_nlt_f32_e32 vcc, s28, v35
	v_cndmask_b32_e32 v37, v37, v36, vcc
	v_add_f32_e32 v46, v46, v37
.LBB718_215:
	s_or_b64 exec, exec, s[26:27]
.LBB718_216:
	s_or_b64 exec, exec, s[4:5]
	v_mov_b32_e32 v35, 0
	v_mov_b32_e32 v36, 0
	s_and_saveexec_b64 s[4:5], s[24:25]
	s_cbranch_execz .LBB718_220
; %bb.217:
	global_load_ubyte v36, v[2:3], off offset:384
	s_waitcnt vmcnt(0)
	v_and_b32_e32 v36, 1, v36
	v_cmp_eq_u32_e32 vcc, 1, v36
	s_xor_b64 s[26:27], vcc, -1
	v_mov_b32_e32 v36, 0
	s_and_saveexec_b64 s[24:25], s[26:27]
	s_cbranch_execz .LBB718_219
; %bb.218:
	v_sub_f32_e32 v34, v34, v45
	s_mov_b32 s26, 0x3fb8aa3b
	v_mul_f32_e32 v36, 0x3fb8aa3b, v34
	v_fma_f32 v47, v34, s26, -v36
	v_rndne_f32_e32 v48, v36
	v_fmac_f32_e32 v47, 0x32a5705f, v34
	v_sub_f32_e32 v36, v36, v48
	v_add_f32_e32 v36, v36, v47
	v_exp_f32_e32 v36, v36
	v_cvt_i32_f32_e32 v47, v48
	s_mov_b32 s26, 0xc2ce8ed0
	v_cmp_ngt_f32_e32 vcc, s26, v34
	s_mov_b32 s26, 0x42b17218
	v_ldexp_f32 v36, v36, v47
	v_cndmask_b32_e32 v36, 0, v36, vcc
	v_mov_b32_e32 v47, 0x7f800000
	v_cmp_nlt_f32_e32 vcc, s26, v34
	v_cndmask_b32_e32 v36, v47, v36, vcc
	v_add_f32_e32 v46, v46, v36
.LBB718_219:
	s_or_b64 exec, exec, s[24:25]
.LBB718_220:
	s_or_b64 exec, exec, s[4:5]
	s_and_saveexec_b64 s[4:5], s[22:23]
	s_cbranch_execz .LBB718_224
; %bb.221:
	global_load_ubyte v34, v[2:3], off offset:448
	v_mov_b32_e32 v35, 0
	s_waitcnt vmcnt(0)
	v_and_b32_e32 v34, 1, v34
	v_cmp_eq_u32_e32 vcc, 1, v34
	s_xor_b64 s[24:25], vcc, -1
	s_and_saveexec_b64 s[22:23], s[24:25]
	s_cbranch_execz .LBB718_223
; %bb.222:
	v_sub_f32_e32 v33, v33, v45
	s_mov_b32 s24, 0x3fb8aa3b
	v_mul_f32_e32 v34, 0x3fb8aa3b, v33
	v_fma_f32 v35, v33, s24, -v34
	v_rndne_f32_e32 v47, v34
	v_fmac_f32_e32 v35, 0x32a5705f, v33
	v_sub_f32_e32 v34, v34, v47
	v_add_f32_e32 v34, v34, v35
	v_exp_f32_e32 v34, v34
	v_cvt_i32_f32_e32 v35, v47
	s_mov_b32 s24, 0xc2ce8ed0
	v_cmp_ngt_f32_e32 vcc, s24, v33
	s_mov_b32 s24, 0x42b17218
	v_ldexp_f32 v34, v34, v35
	v_cndmask_b32_e32 v34, 0, v34, vcc
	v_mov_b32_e32 v35, 0x7f800000
	v_cmp_nlt_f32_e32 vcc, s24, v33
	v_cndmask_b32_e32 v35, v35, v34, vcc
	v_add_f32_e32 v46, v46, v35
.LBB718_223:
	s_or_b64 exec, exec, s[22:23]
.LBB718_224:
	s_or_b64 exec, exec, s[4:5]
	v_mov_b32_e32 v33, 0
	v_mov_b32_e32 v34, 0
	s_and_saveexec_b64 s[4:5], s[20:21]
	s_cbranch_execz .LBB718_228
; %bb.225:
	global_load_ubyte v34, v[2:3], off offset:512
	s_waitcnt vmcnt(0)
	v_and_b32_e32 v34, 1, v34
	v_cmp_eq_u32_e32 vcc, 1, v34
	s_xor_b64 s[22:23], vcc, -1
	v_mov_b32_e32 v34, 0
	s_and_saveexec_b64 s[20:21], s[22:23]
	s_cbranch_execz .LBB718_227
; %bb.226:
	v_sub_f32_e32 v32, v32, v45
	s_mov_b32 s22, 0x3fb8aa3b
	v_mul_f32_e32 v34, 0x3fb8aa3b, v32
	v_fma_f32 v47, v32, s22, -v34
	v_rndne_f32_e32 v48, v34
	v_fmac_f32_e32 v47, 0x32a5705f, v32
	v_sub_f32_e32 v34, v34, v48
	v_add_f32_e32 v34, v34, v47
	v_exp_f32_e32 v34, v34
	v_cvt_i32_f32_e32 v47, v48
	s_mov_b32 s22, 0xc2ce8ed0
	v_cmp_ngt_f32_e32 vcc, s22, v32
	s_mov_b32 s22, 0x42b17218
	v_ldexp_f32 v34, v34, v47
	v_cndmask_b32_e32 v34, 0, v34, vcc
	v_mov_b32_e32 v47, 0x7f800000
	v_cmp_nlt_f32_e32 vcc, s22, v32
	v_cndmask_b32_e32 v34, v47, v34, vcc
	v_add_f32_e32 v46, v46, v34
.LBB718_227:
	s_or_b64 exec, exec, s[20:21]
.LBB718_228:
	s_or_b64 exec, exec, s[4:5]
	s_and_saveexec_b64 s[4:5], s[18:19]
	s_cbranch_execz .LBB718_232
; %bb.229:
	global_load_ubyte v32, v[2:3], off offset:576
	v_mov_b32_e32 v33, 0
	s_waitcnt vmcnt(0)
	v_and_b32_e32 v32, 1, v32
	v_cmp_eq_u32_e32 vcc, 1, v32
	s_xor_b64 s[20:21], vcc, -1
	s_and_saveexec_b64 s[18:19], s[20:21]
	s_cbranch_execz .LBB718_231
; %bb.230:
	v_sub_f32_e32 v31, v31, v45
	s_mov_b32 s20, 0x3fb8aa3b
	v_mul_f32_e32 v32, 0x3fb8aa3b, v31
	v_fma_f32 v33, v31, s20, -v32
	v_rndne_f32_e32 v47, v32
	v_fmac_f32_e32 v33, 0x32a5705f, v31
	v_sub_f32_e32 v32, v32, v47
	v_add_f32_e32 v32, v32, v33
	v_exp_f32_e32 v32, v32
	v_cvt_i32_f32_e32 v33, v47
	s_mov_b32 s20, 0xc2ce8ed0
	v_cmp_ngt_f32_e32 vcc, s20, v31
	s_mov_b32 s20, 0x42b17218
	v_ldexp_f32 v32, v32, v33
	v_cndmask_b32_e32 v32, 0, v32, vcc
	v_mov_b32_e32 v33, 0x7f800000
	v_cmp_nlt_f32_e32 vcc, s20, v31
	v_cndmask_b32_e32 v33, v33, v32, vcc
	v_add_f32_e32 v46, v46, v33
.LBB718_231:
	s_or_b64 exec, exec, s[18:19]
.LBB718_232:
	s_or_b64 exec, exec, s[4:5]
	v_mov_b32_e32 v31, 0
	v_mov_b32_e32 v32, 0
	s_and_saveexec_b64 s[4:5], s[16:17]
	s_cbranch_execz .LBB718_236
; %bb.233:
	global_load_ubyte v32, v[2:3], off offset:640
	s_waitcnt vmcnt(0)
	v_and_b32_e32 v32, 1, v32
	v_cmp_eq_u32_e32 vcc, 1, v32
	s_xor_b64 s[18:19], vcc, -1
	v_mov_b32_e32 v32, 0
	s_and_saveexec_b64 s[16:17], s[18:19]
	s_cbranch_execz .LBB718_235
; %bb.234:
	v_sub_f32_e32 v30, v30, v45
	s_mov_b32 s18, 0x3fb8aa3b
	v_mul_f32_e32 v32, 0x3fb8aa3b, v30
	v_fma_f32 v47, v30, s18, -v32
	v_rndne_f32_e32 v48, v32
	v_fmac_f32_e32 v47, 0x32a5705f, v30
	v_sub_f32_e32 v32, v32, v48
	v_add_f32_e32 v32, v32, v47
	v_exp_f32_e32 v32, v32
	v_cvt_i32_f32_e32 v47, v48
	s_mov_b32 s18, 0xc2ce8ed0
	v_cmp_ngt_f32_e32 vcc, s18, v30
	s_mov_b32 s18, 0x42b17218
	v_ldexp_f32 v32, v32, v47
	v_cndmask_b32_e32 v32, 0, v32, vcc
	v_mov_b32_e32 v47, 0x7f800000
	v_cmp_nlt_f32_e32 vcc, s18, v30
	v_cndmask_b32_e32 v32, v47, v32, vcc
	v_add_f32_e32 v46, v46, v32
.LBB718_235:
	s_or_b64 exec, exec, s[16:17]
.LBB718_236:
	s_or_b64 exec, exec, s[4:5]
	s_and_saveexec_b64 s[4:5], s[14:15]
	s_cbranch_execz .LBB718_240
; %bb.237:
	global_load_ubyte v30, v[2:3], off offset:704
	v_mov_b32_e32 v31, 0
	s_waitcnt vmcnt(0)
	v_and_b32_e32 v30, 1, v30
	v_cmp_eq_u32_e32 vcc, 1, v30
	s_xor_b64 s[16:17], vcc, -1
	s_and_saveexec_b64 s[14:15], s[16:17]
	s_cbranch_execz .LBB718_239
; %bb.238:
	v_sub_f32_e32 v29, v29, v45
	s_mov_b32 s16, 0x3fb8aa3b
	v_mul_f32_e32 v30, 0x3fb8aa3b, v29
	v_fma_f32 v31, v29, s16, -v30
	v_rndne_f32_e32 v47, v30
	v_fmac_f32_e32 v31, 0x32a5705f, v29
	v_sub_f32_e32 v30, v30, v47
	v_add_f32_e32 v30, v30, v31
	v_exp_f32_e32 v30, v30
	v_cvt_i32_f32_e32 v31, v47
	s_mov_b32 s16, 0xc2ce8ed0
	v_cmp_ngt_f32_e32 vcc, s16, v29
	s_mov_b32 s16, 0x42b17218
	v_ldexp_f32 v30, v30, v31
	v_cndmask_b32_e32 v30, 0, v30, vcc
	v_mov_b32_e32 v31, 0x7f800000
	v_cmp_nlt_f32_e32 vcc, s16, v29
	v_cndmask_b32_e32 v31, v31, v30, vcc
	v_add_f32_e32 v46, v46, v31
.LBB718_239:
	s_or_b64 exec, exec, s[14:15]
.LBB718_240:
	s_or_b64 exec, exec, s[4:5]
	v_mov_b32_e32 v29, 0
	v_mov_b32_e32 v30, 0
	s_and_saveexec_b64 s[4:5], s[12:13]
	s_cbranch_execz .LBB718_244
; %bb.241:
	global_load_ubyte v30, v[2:3], off offset:768
	s_waitcnt vmcnt(0)
	v_and_b32_e32 v30, 1, v30
	v_cmp_eq_u32_e32 vcc, 1, v30
	s_xor_b64 s[14:15], vcc, -1
	v_mov_b32_e32 v30, 0
	s_and_saveexec_b64 s[12:13], s[14:15]
	s_cbranch_execz .LBB718_243
; %bb.242:
	v_sub_f32_e32 v28, v28, v45
	s_mov_b32 s14, 0x3fb8aa3b
	v_mul_f32_e32 v30, 0x3fb8aa3b, v28
	v_fma_f32 v47, v28, s14, -v30
	v_rndne_f32_e32 v48, v30
	v_fmac_f32_e32 v47, 0x32a5705f, v28
	v_sub_f32_e32 v30, v30, v48
	v_add_f32_e32 v30, v30, v47
	v_exp_f32_e32 v30, v30
	v_cvt_i32_f32_e32 v47, v48
	s_mov_b32 s14, 0xc2ce8ed0
	v_cmp_ngt_f32_e32 vcc, s14, v28
	s_mov_b32 s14, 0x42b17218
	v_ldexp_f32 v30, v30, v47
	v_cndmask_b32_e32 v30, 0, v30, vcc
	v_mov_b32_e32 v47, 0x7f800000
	v_cmp_nlt_f32_e32 vcc, s14, v28
	v_cndmask_b32_e32 v30, v47, v30, vcc
	v_add_f32_e32 v46, v46, v30
.LBB718_243:
	s_or_b64 exec, exec, s[12:13]
.LBB718_244:
	s_or_b64 exec, exec, s[4:5]
	s_and_saveexec_b64 s[4:5], s[10:11]
	s_cbranch_execz .LBB718_248
; %bb.245:
	global_load_ubyte v28, v[2:3], off offset:832
	v_mov_b32_e32 v29, 0
	s_waitcnt vmcnt(0)
	v_and_b32_e32 v28, 1, v28
	v_cmp_eq_u32_e32 vcc, 1, v28
	s_xor_b64 s[12:13], vcc, -1
	s_and_saveexec_b64 s[10:11], s[12:13]
	s_cbranch_execz .LBB718_247
; %bb.246:
	v_sub_f32_e32 v27, v27, v45
	s_mov_b32 s12, 0x3fb8aa3b
	v_mul_f32_e32 v28, 0x3fb8aa3b, v27
	v_fma_f32 v29, v27, s12, -v28
	v_rndne_f32_e32 v47, v28
	v_fmac_f32_e32 v29, 0x32a5705f, v27
	v_sub_f32_e32 v28, v28, v47
	v_add_f32_e32 v28, v28, v29
	v_exp_f32_e32 v28, v28
	v_cvt_i32_f32_e32 v29, v47
	s_mov_b32 s12, 0xc2ce8ed0
	v_cmp_ngt_f32_e32 vcc, s12, v27
	s_mov_b32 s12, 0x42b17218
	v_ldexp_f32 v28, v28, v29
	v_cndmask_b32_e32 v28, 0, v28, vcc
	v_mov_b32_e32 v29, 0x7f800000
	v_cmp_nlt_f32_e32 vcc, s12, v27
	v_cndmask_b32_e32 v29, v29, v28, vcc
	v_add_f32_e32 v46, v46, v29
.LBB718_247:
	s_or_b64 exec, exec, s[10:11]
.LBB718_248:
	s_or_b64 exec, exec, s[4:5]
	v_mov_b32_e32 v27, 0
	v_mov_b32_e32 v28, 0
	s_and_saveexec_b64 s[4:5], s[8:9]
	s_cbranch_execz .LBB718_252
; %bb.249:
	global_load_ubyte v28, v[2:3], off offset:896
	s_waitcnt vmcnt(0)
	v_and_b32_e32 v28, 1, v28
	v_cmp_eq_u32_e32 vcc, 1, v28
	s_xor_b64 s[10:11], vcc, -1
	v_mov_b32_e32 v28, 0
	s_and_saveexec_b64 s[8:9], s[10:11]
	s_cbranch_execz .LBB718_251
; %bb.250:
	v_sub_f32_e32 v26, v26, v45
	s_mov_b32 s10, 0x3fb8aa3b
	v_mul_f32_e32 v28, 0x3fb8aa3b, v26
	v_fma_f32 v47, v26, s10, -v28
	v_rndne_f32_e32 v48, v28
	v_fmac_f32_e32 v47, 0x32a5705f, v26
	v_sub_f32_e32 v28, v28, v48
	v_add_f32_e32 v28, v28, v47
	v_exp_f32_e32 v28, v28
	v_cvt_i32_f32_e32 v47, v48
	s_mov_b32 s10, 0xc2ce8ed0
	v_cmp_ngt_f32_e32 vcc, s10, v26
	s_mov_b32 s10, 0x42b17218
	v_ldexp_f32 v28, v28, v47
	v_cndmask_b32_e32 v28, 0, v28, vcc
	v_mov_b32_e32 v47, 0x7f800000
	v_cmp_nlt_f32_e32 vcc, s10, v26
	v_cndmask_b32_e32 v28, v47, v28, vcc
	v_add_f32_e32 v46, v46, v28
.LBB718_251:
	s_or_b64 exec, exec, s[8:9]
.LBB718_252:
	s_or_b64 exec, exec, s[4:5]
	s_and_saveexec_b64 s[4:5], s[6:7]
	s_cbranch_execz .LBB718_256
; %bb.253:
	global_load_ubyte v26, v[2:3], off offset:960
	v_mov_b32_e32 v27, 0
	s_waitcnt vmcnt(0)
	v_and_b32_e32 v26, 1, v26
	v_cmp_eq_u32_e32 vcc, 1, v26
	s_xor_b64 s[8:9], vcc, -1
	s_and_saveexec_b64 s[6:7], s[8:9]
	s_cbranch_execz .LBB718_255
; %bb.254:
	v_sub_f32_e32 v25, v25, v45
	s_mov_b32 s8, 0x3fb8aa3b
	v_mul_f32_e32 v26, 0x3fb8aa3b, v25
	v_fma_f32 v27, v25, s8, -v26
	v_rndne_f32_e32 v47, v26
	v_fmac_f32_e32 v27, 0x32a5705f, v25
	v_sub_f32_e32 v26, v26, v47
	v_add_f32_e32 v26, v26, v27
	v_exp_f32_e32 v26, v26
	v_cvt_i32_f32_e32 v27, v47
	s_mov_b32 s8, 0xc2ce8ed0
	v_cmp_ngt_f32_e32 vcc, s8, v25
	s_mov_b32 s8, 0x42b17218
	v_ldexp_f32 v26, v26, v27
	v_cndmask_b32_e32 v26, 0, v26, vcc
	v_mov_b32_e32 v27, 0x7f800000
	v_cmp_nlt_f32_e32 vcc, s8, v25
	v_cndmask_b32_e32 v27, v27, v26, vcc
	v_add_f32_e32 v46, v46, v27
.LBB718_255:
	s_or_b64 exec, exec, s[6:7]
.LBB718_256:
	s_or_b64 exec, exec, s[4:5]
	v_mov_b32_e32 v25, 0
	v_mov_b32_e32 v26, 0
	s_and_saveexec_b64 s[4:5], s[66:67]
	s_cbranch_execz .LBB718_260
; %bb.257:
	global_load_ubyte v26, v[2:3], off offset:1024
	s_waitcnt vmcnt(0)
	v_and_b32_e32 v26, 1, v26
	v_cmp_eq_u32_e32 vcc, 1, v26
	s_xor_b64 s[8:9], vcc, -1
	v_mov_b32_e32 v26, 0
	s_and_saveexec_b64 s[6:7], s[8:9]
	s_cbranch_execz .LBB718_259
; %bb.258:
	v_sub_f32_e32 v24, v24, v45
	s_mov_b32 s8, 0x3fb8aa3b
	v_mul_f32_e32 v26, 0x3fb8aa3b, v24
	v_fma_f32 v47, v24, s8, -v26
	v_rndne_f32_e32 v48, v26
	v_fmac_f32_e32 v47, 0x32a5705f, v24
	v_sub_f32_e32 v26, v26, v48
	v_add_f32_e32 v26, v26, v47
	v_exp_f32_e32 v26, v26
	v_cvt_i32_f32_e32 v47, v48
	s_mov_b32 s8, 0xc2ce8ed0
	v_cmp_ngt_f32_e32 vcc, s8, v24
	s_mov_b32 s8, 0x42b17218
	v_ldexp_f32 v26, v26, v47
	v_cndmask_b32_e32 v26, 0, v26, vcc
	v_mov_b32_e32 v47, 0x7f800000
	v_cmp_nlt_f32_e32 vcc, s8, v24
	v_cndmask_b32_e32 v26, v47, v26, vcc
	v_add_f32_e32 v46, v46, v26
.LBB718_259:
	s_or_b64 exec, exec, s[6:7]
.LBB718_260:
	s_or_b64 exec, exec, s[4:5]
	s_and_saveexec_b64 s[4:5], s[2:3]
	s_cbranch_execz .LBB718_264
; %bb.261:
	global_load_ubyte v24, v[2:3], off offset:1088
	v_mov_b32_e32 v25, 0
	s_waitcnt vmcnt(0)
	v_and_b32_e32 v24, 1, v24
	v_cmp_eq_u32_e32 vcc, 1, v24
	s_xor_b64 s[6:7], vcc, -1
	s_and_saveexec_b64 s[2:3], s[6:7]
	s_cbranch_execz .LBB718_263
; %bb.262:
	v_sub_f32_e32 v23, v23, v45
	s_mov_b32 s6, 0x3fb8aa3b
	v_mul_f32_e32 v24, 0x3fb8aa3b, v23
	v_fma_f32 v25, v23, s6, -v24
	v_rndne_f32_e32 v47, v24
	v_fmac_f32_e32 v25, 0x32a5705f, v23
	v_sub_f32_e32 v24, v24, v47
	v_add_f32_e32 v24, v24, v25
	v_exp_f32_e32 v24, v24
	v_cvt_i32_f32_e32 v25, v47
	s_mov_b32 s6, 0xc2ce8ed0
	v_cmp_ngt_f32_e32 vcc, s6, v23
	s_mov_b32 s6, 0x42b17218
	v_ldexp_f32 v24, v24, v25
	v_cndmask_b32_e32 v24, 0, v24, vcc
	v_mov_b32_e32 v25, 0x7f800000
	v_cmp_nlt_f32_e32 vcc, s6, v23
	v_cndmask_b32_e32 v25, v25, v24, vcc
	v_add_f32_e32 v46, v46, v25
.LBB718_263:
	s_or_b64 exec, exec, s[2:3]
.LBB718_264:
	s_or_b64 exec, exec, s[4:5]
	v_mov_b32_e32 v23, 0
	v_mov_b32_e32 v24, 0
	s_and_saveexec_b64 s[2:3], s[0:1]
	s_cbranch_execz .LBB718_268
; %bb.265:
	global_load_ubyte v24, v[2:3], off offset:1152
	s_waitcnt vmcnt(0)
	v_and_b32_e32 v24, 1, v24
	v_cmp_eq_u32_e32 vcc, 1, v24
	s_xor_b64 s[4:5], vcc, -1
	v_mov_b32_e32 v24, 0
	s_and_saveexec_b64 s[0:1], s[4:5]
	s_cbranch_execz .LBB718_267
; %bb.266:
	v_sub_f32_e32 v22, v22, v45
	s_mov_b32 s4, 0x3fb8aa3b
	v_mul_f32_e32 v24, 0x3fb8aa3b, v22
	v_fma_f32 v47, v22, s4, -v24
	v_rndne_f32_e32 v48, v24
	v_fmac_f32_e32 v47, 0x32a5705f, v22
	v_sub_f32_e32 v24, v24, v48
	v_add_f32_e32 v24, v24, v47
	v_exp_f32_e32 v24, v24
	v_cvt_i32_f32_e32 v47, v48
	s_mov_b32 s4, 0xc2ce8ed0
	v_cmp_ngt_f32_e32 vcc, s4, v22
	s_mov_b32 s4, 0x42b17218
	v_ldexp_f32 v24, v24, v47
	v_cndmask_b32_e32 v24, 0, v24, vcc
	v_mov_b32_e32 v47, 0x7f800000
	v_cmp_nlt_f32_e32 vcc, s4, v22
	v_cndmask_b32_e32 v24, v47, v24, vcc
	v_add_f32_e32 v46, v46, v24
.LBB718_267:
	s_or_b64 exec, exec, s[0:1]
.LBB718_268:
	s_or_b64 exec, exec, s[2:3]
	s_and_saveexec_b64 s[0:1], s[72:73]
	s_cbranch_execz .LBB718_272
; %bb.269:
	global_load_ubyte v22, v[2:3], off offset:1216
	v_mov_b32_e32 v23, 0
	s_waitcnt vmcnt(0)
	v_and_b32_e32 v22, 1, v22
	v_cmp_eq_u32_e32 vcc, 1, v22
	s_xor_b64 s[4:5], vcc, -1
	s_and_saveexec_b64 s[2:3], s[4:5]
	s_cbranch_execz .LBB718_271
; %bb.270:
	v_sub_f32_e32 v21, v21, v45
	s_mov_b32 s4, 0x3fb8aa3b
	v_mul_f32_e32 v22, 0x3fb8aa3b, v21
	v_fma_f32 v23, v21, s4, -v22
	v_rndne_f32_e32 v47, v22
	v_fmac_f32_e32 v23, 0x32a5705f, v21
	v_sub_f32_e32 v22, v22, v47
	v_add_f32_e32 v22, v22, v23
	v_exp_f32_e32 v22, v22
	v_cvt_i32_f32_e32 v23, v47
	s_mov_b32 s4, 0xc2ce8ed0
	v_cmp_ngt_f32_e32 vcc, s4, v21
	s_mov_b32 s4, 0x42b17218
	v_ldexp_f32 v22, v22, v23
	v_cndmask_b32_e32 v22, 0, v22, vcc
	v_mov_b32_e32 v23, 0x7f800000
	v_cmp_nlt_f32_e32 vcc, s4, v21
	v_cndmask_b32_e32 v23, v23, v22, vcc
	v_add_f32_e32 v46, v46, v23
.LBB718_271:
	s_or_b64 exec, exec, s[2:3]
.LBB718_272:
	s_or_b64 exec, exec, s[0:1]
	v_mov_b32_e32 v21, 0
	v_mov_b32_e32 v22, 0
	s_and_saveexec_b64 s[0:1], s[94:95]
	s_cbranch_execz .LBB718_276
; %bb.273:
	global_load_ubyte v22, v[2:3], off offset:1280
	s_waitcnt vmcnt(0)
	v_and_b32_e32 v22, 1, v22
	v_cmp_eq_u32_e32 vcc, 1, v22
	s_xor_b64 s[4:5], vcc, -1
	v_mov_b32_e32 v22, 0
	s_and_saveexec_b64 s[2:3], s[4:5]
	s_cbranch_execz .LBB718_275
; %bb.274:
	v_sub_f32_e32 v20, v20, v45
	s_mov_b32 s4, 0x3fb8aa3b
	v_mul_f32_e32 v22, 0x3fb8aa3b, v20
	v_fma_f32 v47, v20, s4, -v22
	v_rndne_f32_e32 v48, v22
	v_fmac_f32_e32 v47, 0x32a5705f, v20
	v_sub_f32_e32 v22, v22, v48
	v_add_f32_e32 v22, v22, v47
	v_exp_f32_e32 v22, v22
	v_cvt_i32_f32_e32 v47, v48
	s_mov_b32 s4, 0xc2ce8ed0
	v_cmp_ngt_f32_e32 vcc, s4, v20
	s_mov_b32 s4, 0x42b17218
	v_ldexp_f32 v22, v22, v47
	v_cndmask_b32_e32 v22, 0, v22, vcc
	v_mov_b32_e32 v47, 0x7f800000
	v_cmp_nlt_f32_e32 vcc, s4, v20
	v_cndmask_b32_e32 v22, v47, v22, vcc
	v_add_f32_e32 v46, v46, v22
.LBB718_275:
	s_or_b64 exec, exec, s[2:3]
.LBB718_276:
	s_or_b64 exec, exec, s[0:1]
	s_and_saveexec_b64 s[0:1], s[92:93]
	s_cbranch_execz .LBB718_280
; %bb.277:
	global_load_ubyte v20, v[2:3], off offset:1344
	v_mov_b32_e32 v21, 0
	s_waitcnt vmcnt(0)
	v_and_b32_e32 v20, 1, v20
	v_cmp_eq_u32_e32 vcc, 1, v20
	s_xor_b64 s[4:5], vcc, -1
	s_and_saveexec_b64 s[2:3], s[4:5]
	s_cbranch_execz .LBB718_279
; %bb.278:
	v_sub_f32_e32 v19, v19, v45
	s_mov_b32 s4, 0x3fb8aa3b
	v_mul_f32_e32 v20, 0x3fb8aa3b, v19
	v_fma_f32 v21, v19, s4, -v20
	v_rndne_f32_e32 v47, v20
	v_fmac_f32_e32 v21, 0x32a5705f, v19
	v_sub_f32_e32 v20, v20, v47
	v_add_f32_e32 v20, v20, v21
	v_exp_f32_e32 v20, v20
	v_cvt_i32_f32_e32 v21, v47
	s_mov_b32 s4, 0xc2ce8ed0
	v_cmp_ngt_f32_e32 vcc, s4, v19
	s_mov_b32 s4, 0x42b17218
	v_ldexp_f32 v20, v20, v21
	v_cndmask_b32_e32 v20, 0, v20, vcc
	v_mov_b32_e32 v21, 0x7f800000
	v_cmp_nlt_f32_e32 vcc, s4, v19
	v_cndmask_b32_e32 v21, v21, v20, vcc
	v_add_f32_e32 v46, v46, v21
.LBB718_279:
	s_or_b64 exec, exec, s[2:3]
.LBB718_280:
	s_or_b64 exec, exec, s[0:1]
	v_mov_b32_e32 v19, 0
	v_mov_b32_e32 v20, 0
	s_and_saveexec_b64 s[0:1], s[90:91]
	s_cbranch_execz .LBB718_284
; %bb.281:
	global_load_ubyte v20, v[2:3], off offset:1408
	s_waitcnt vmcnt(0)
	v_and_b32_e32 v20, 1, v20
	v_cmp_eq_u32_e32 vcc, 1, v20
	s_xor_b64 s[4:5], vcc, -1
	v_mov_b32_e32 v20, 0
	s_and_saveexec_b64 s[2:3], s[4:5]
	s_cbranch_execz .LBB718_283
; %bb.282:
	v_sub_f32_e32 v18, v18, v45
	s_mov_b32 s4, 0x3fb8aa3b
	v_mul_f32_e32 v20, 0x3fb8aa3b, v18
	v_fma_f32 v47, v18, s4, -v20
	v_rndne_f32_e32 v48, v20
	v_fmac_f32_e32 v47, 0x32a5705f, v18
	v_sub_f32_e32 v20, v20, v48
	v_add_f32_e32 v20, v20, v47
	v_exp_f32_e32 v20, v20
	v_cvt_i32_f32_e32 v47, v48
	s_mov_b32 s4, 0xc2ce8ed0
	v_cmp_ngt_f32_e32 vcc, s4, v18
	s_mov_b32 s4, 0x42b17218
	v_ldexp_f32 v20, v20, v47
	v_cndmask_b32_e32 v20, 0, v20, vcc
	v_mov_b32_e32 v47, 0x7f800000
	v_cmp_nlt_f32_e32 vcc, s4, v18
	v_cndmask_b32_e32 v20, v47, v20, vcc
	v_add_f32_e32 v46, v46, v20
.LBB718_283:
	s_or_b64 exec, exec, s[2:3]
.LBB718_284:
	s_or_b64 exec, exec, s[0:1]
	s_and_saveexec_b64 s[0:1], s[88:89]
	s_cbranch_execz .LBB718_288
; %bb.285:
	global_load_ubyte v18, v[2:3], off offset:1472
	v_mov_b32_e32 v19, 0
	s_waitcnt vmcnt(0)
	v_and_b32_e32 v18, 1, v18
	v_cmp_eq_u32_e32 vcc, 1, v18
	s_xor_b64 s[4:5], vcc, -1
	s_and_saveexec_b64 s[2:3], s[4:5]
	s_cbranch_execz .LBB718_287
; %bb.286:
	v_sub_f32_e32 v17, v17, v45
	s_mov_b32 s4, 0x3fb8aa3b
	v_mul_f32_e32 v18, 0x3fb8aa3b, v17
	v_fma_f32 v19, v17, s4, -v18
	v_rndne_f32_e32 v47, v18
	v_fmac_f32_e32 v19, 0x32a5705f, v17
	v_sub_f32_e32 v18, v18, v47
	v_add_f32_e32 v18, v18, v19
	v_exp_f32_e32 v18, v18
	v_cvt_i32_f32_e32 v19, v47
	s_mov_b32 s4, 0xc2ce8ed0
	v_cmp_ngt_f32_e32 vcc, s4, v17
	s_mov_b32 s4, 0x42b17218
	v_ldexp_f32 v18, v18, v19
	v_cndmask_b32_e32 v18, 0, v18, vcc
	v_mov_b32_e32 v19, 0x7f800000
	v_cmp_nlt_f32_e32 vcc, s4, v17
	v_cndmask_b32_e32 v19, v19, v18, vcc
	v_add_f32_e32 v46, v46, v19
.LBB718_287:
	s_or_b64 exec, exec, s[2:3]
.LBB718_288:
	s_or_b64 exec, exec, s[0:1]
	v_mov_b32_e32 v17, 0
	v_mov_b32_e32 v18, 0
	s_and_saveexec_b64 s[0:1], s[86:87]
	s_cbranch_execz .LBB718_292
; %bb.289:
	global_load_ubyte v18, v[2:3], off offset:1536
	s_waitcnt vmcnt(0)
	v_and_b32_e32 v18, 1, v18
	v_cmp_eq_u32_e32 vcc, 1, v18
	s_xor_b64 s[4:5], vcc, -1
	v_mov_b32_e32 v18, 0
	s_and_saveexec_b64 s[2:3], s[4:5]
	s_cbranch_execz .LBB718_291
; %bb.290:
	v_sub_f32_e32 v16, v16, v45
	s_mov_b32 s4, 0x3fb8aa3b
	v_mul_f32_e32 v18, 0x3fb8aa3b, v16
	v_fma_f32 v47, v16, s4, -v18
	v_rndne_f32_e32 v48, v18
	v_fmac_f32_e32 v47, 0x32a5705f, v16
	v_sub_f32_e32 v18, v18, v48
	v_add_f32_e32 v18, v18, v47
	v_exp_f32_e32 v18, v18
	v_cvt_i32_f32_e32 v47, v48
	s_mov_b32 s4, 0xc2ce8ed0
	v_cmp_ngt_f32_e32 vcc, s4, v16
	s_mov_b32 s4, 0x42b17218
	v_ldexp_f32 v18, v18, v47
	v_cndmask_b32_e32 v18, 0, v18, vcc
	v_mov_b32_e32 v47, 0x7f800000
	v_cmp_nlt_f32_e32 vcc, s4, v16
	v_cndmask_b32_e32 v18, v47, v18, vcc
	v_add_f32_e32 v46, v46, v18
.LBB718_291:
	s_or_b64 exec, exec, s[2:3]
.LBB718_292:
	s_or_b64 exec, exec, s[0:1]
	s_and_saveexec_b64 s[0:1], s[84:85]
	s_cbranch_execz .LBB718_296
; %bb.293:
	global_load_ubyte v16, v[2:3], off offset:1600
	v_mov_b32_e32 v17, 0
	s_waitcnt vmcnt(0)
	v_and_b32_e32 v16, 1, v16
	v_cmp_eq_u32_e32 vcc, 1, v16
	s_xor_b64 s[4:5], vcc, -1
	s_and_saveexec_b64 s[2:3], s[4:5]
	s_cbranch_execz .LBB718_295
; %bb.294:
	v_sub_f32_e32 v15, v15, v45
	s_mov_b32 s4, 0x3fb8aa3b
	v_mul_f32_e32 v16, 0x3fb8aa3b, v15
	v_fma_f32 v17, v15, s4, -v16
	v_rndne_f32_e32 v47, v16
	v_fmac_f32_e32 v17, 0x32a5705f, v15
	v_sub_f32_e32 v16, v16, v47
	v_add_f32_e32 v16, v16, v17
	v_exp_f32_e32 v16, v16
	v_cvt_i32_f32_e32 v17, v47
	s_mov_b32 s4, 0xc2ce8ed0
	v_cmp_ngt_f32_e32 vcc, s4, v15
	s_mov_b32 s4, 0x42b17218
	v_ldexp_f32 v16, v16, v17
	v_cndmask_b32_e32 v16, 0, v16, vcc
	v_mov_b32_e32 v17, 0x7f800000
	v_cmp_nlt_f32_e32 vcc, s4, v15
	v_cndmask_b32_e32 v17, v17, v16, vcc
	v_add_f32_e32 v46, v46, v17
.LBB718_295:
	s_or_b64 exec, exec, s[2:3]
.LBB718_296:
	s_or_b64 exec, exec, s[0:1]
	v_mov_b32_e32 v15, 0
	v_mov_b32_e32 v16, 0
	s_and_saveexec_b64 s[0:1], s[82:83]
	s_cbranch_execz .LBB718_300
; %bb.297:
	global_load_ubyte v16, v[2:3], off offset:1664
	s_waitcnt vmcnt(0)
	v_and_b32_e32 v16, 1, v16
	v_cmp_eq_u32_e32 vcc, 1, v16
	s_xor_b64 s[4:5], vcc, -1
	v_mov_b32_e32 v16, 0
	s_and_saveexec_b64 s[2:3], s[4:5]
	s_cbranch_execz .LBB718_299
; %bb.298:
	v_sub_f32_e32 v14, v14, v45
	s_mov_b32 s4, 0x3fb8aa3b
	v_mul_f32_e32 v16, 0x3fb8aa3b, v14
	v_fma_f32 v47, v14, s4, -v16
	v_rndne_f32_e32 v48, v16
	v_fmac_f32_e32 v47, 0x32a5705f, v14
	v_sub_f32_e32 v16, v16, v48
	v_add_f32_e32 v16, v16, v47
	v_exp_f32_e32 v16, v16
	v_cvt_i32_f32_e32 v47, v48
	s_mov_b32 s4, 0xc2ce8ed0
	v_cmp_ngt_f32_e32 vcc, s4, v14
	s_mov_b32 s4, 0x42b17218
	v_ldexp_f32 v16, v16, v47
	v_cndmask_b32_e32 v16, 0, v16, vcc
	v_mov_b32_e32 v47, 0x7f800000
	v_cmp_nlt_f32_e32 vcc, s4, v14
	v_cndmask_b32_e32 v16, v47, v16, vcc
	v_add_f32_e32 v46, v46, v16
.LBB718_299:
	s_or_b64 exec, exec, s[2:3]
.LBB718_300:
	s_or_b64 exec, exec, s[0:1]
	s_and_saveexec_b64 s[0:1], s[80:81]
	s_cbranch_execz .LBB718_304
; %bb.301:
	global_load_ubyte v14, v[2:3], off offset:1728
	v_mov_b32_e32 v15, 0
	s_waitcnt vmcnt(0)
	v_and_b32_e32 v14, 1, v14
	v_cmp_eq_u32_e32 vcc, 1, v14
	s_xor_b64 s[4:5], vcc, -1
	s_and_saveexec_b64 s[2:3], s[4:5]
	s_cbranch_execz .LBB718_303
; %bb.302:
	v_sub_f32_e32 v13, v13, v45
	s_mov_b32 s4, 0x3fb8aa3b
	v_mul_f32_e32 v14, 0x3fb8aa3b, v13
	v_fma_f32 v15, v13, s4, -v14
	v_rndne_f32_e32 v47, v14
	v_fmac_f32_e32 v15, 0x32a5705f, v13
	v_sub_f32_e32 v14, v14, v47
	v_add_f32_e32 v14, v14, v15
	v_exp_f32_e32 v14, v14
	v_cvt_i32_f32_e32 v15, v47
	s_mov_b32 s4, 0xc2ce8ed0
	v_cmp_ngt_f32_e32 vcc, s4, v13
	s_mov_b32 s4, 0x42b17218
	v_ldexp_f32 v14, v14, v15
	v_cndmask_b32_e32 v14, 0, v14, vcc
	v_mov_b32_e32 v15, 0x7f800000
	v_cmp_nlt_f32_e32 vcc, s4, v13
	v_cndmask_b32_e32 v15, v15, v14, vcc
	v_add_f32_e32 v46, v46, v15
.LBB718_303:
	s_or_b64 exec, exec, s[2:3]
.LBB718_304:
	s_or_b64 exec, exec, s[0:1]
	v_mov_b32_e32 v13, 0
	v_mov_b32_e32 v14, 0
	s_and_saveexec_b64 s[0:1], s[78:79]
	s_cbranch_execz .LBB718_308
; %bb.305:
	global_load_ubyte v14, v[2:3], off offset:1792
	s_waitcnt vmcnt(0)
	v_and_b32_e32 v14, 1, v14
	v_cmp_eq_u32_e32 vcc, 1, v14
	s_xor_b64 s[4:5], vcc, -1
	v_mov_b32_e32 v14, 0
	s_and_saveexec_b64 s[2:3], s[4:5]
	s_cbranch_execz .LBB718_307
; %bb.306:
	v_sub_f32_e32 v12, v12, v45
	s_mov_b32 s4, 0x3fb8aa3b
	v_mul_f32_e32 v14, 0x3fb8aa3b, v12
	v_fma_f32 v47, v12, s4, -v14
	v_rndne_f32_e32 v48, v14
	v_fmac_f32_e32 v47, 0x32a5705f, v12
	v_sub_f32_e32 v14, v14, v48
	v_add_f32_e32 v14, v14, v47
	v_exp_f32_e32 v14, v14
	v_cvt_i32_f32_e32 v47, v48
	s_mov_b32 s4, 0xc2ce8ed0
	v_cmp_ngt_f32_e32 vcc, s4, v12
	s_mov_b32 s4, 0x42b17218
	v_ldexp_f32 v14, v14, v47
	v_cndmask_b32_e32 v14, 0, v14, vcc
	v_mov_b32_e32 v47, 0x7f800000
	v_cmp_nlt_f32_e32 vcc, s4, v12
	v_cndmask_b32_e32 v14, v47, v14, vcc
	v_add_f32_e32 v46, v46, v14
.LBB718_307:
	s_or_b64 exec, exec, s[2:3]
.LBB718_308:
	s_or_b64 exec, exec, s[0:1]
	s_and_saveexec_b64 s[0:1], s[76:77]
	s_cbranch_execz .LBB718_312
; %bb.309:
	global_load_ubyte v12, v[2:3], off offset:1856
	v_mov_b32_e32 v13, 0
	s_waitcnt vmcnt(0)
	v_and_b32_e32 v12, 1, v12
	v_cmp_eq_u32_e32 vcc, 1, v12
	s_xor_b64 s[4:5], vcc, -1
	s_and_saveexec_b64 s[2:3], s[4:5]
	s_cbranch_execz .LBB718_311
; %bb.310:
	v_sub_f32_e32 v11, v11, v45
	s_mov_b32 s4, 0x3fb8aa3b
	v_mul_f32_e32 v12, 0x3fb8aa3b, v11
	v_fma_f32 v13, v11, s4, -v12
	v_rndne_f32_e32 v47, v12
	v_fmac_f32_e32 v13, 0x32a5705f, v11
	v_sub_f32_e32 v12, v12, v47
	v_add_f32_e32 v12, v12, v13
	v_exp_f32_e32 v12, v12
	v_cvt_i32_f32_e32 v13, v47
	s_mov_b32 s4, 0xc2ce8ed0
	v_cmp_ngt_f32_e32 vcc, s4, v11
	s_mov_b32 s4, 0x42b17218
	v_ldexp_f32 v12, v12, v13
	v_cndmask_b32_e32 v12, 0, v12, vcc
	v_mov_b32_e32 v13, 0x7f800000
	v_cmp_nlt_f32_e32 vcc, s4, v11
	v_cndmask_b32_e32 v13, v13, v12, vcc
	v_add_f32_e32 v46, v46, v13
.LBB718_311:
	s_or_b64 exec, exec, s[2:3]
.LBB718_312:
	s_or_b64 exec, exec, s[0:1]
	v_mov_b32_e32 v11, 0
	v_mov_b32_e32 v12, 0
	s_and_saveexec_b64 s[0:1], s[74:75]
	s_cbranch_execz .LBB718_316
; %bb.313:
	global_load_ubyte v12, v[2:3], off offset:1920
	s_waitcnt vmcnt(0)
	v_and_b32_e32 v12, 1, v12
	v_cmp_eq_u32_e32 vcc, 1, v12
	s_xor_b64 s[4:5], vcc, -1
	v_mov_b32_e32 v12, 0
	s_and_saveexec_b64 s[2:3], s[4:5]
	s_cbranch_execz .LBB718_315
; %bb.314:
	v_sub_f32_e32 v10, v10, v45
	s_mov_b32 s4, 0x3fb8aa3b
	v_mul_f32_e32 v12, 0x3fb8aa3b, v10
	v_fma_f32 v47, v10, s4, -v12
	v_rndne_f32_e32 v48, v12
	v_fmac_f32_e32 v47, 0x32a5705f, v10
	v_sub_f32_e32 v12, v12, v48
	v_add_f32_e32 v12, v12, v47
	v_exp_f32_e32 v12, v12
	v_cvt_i32_f32_e32 v47, v48
	s_mov_b32 s4, 0xc2ce8ed0
	v_cmp_ngt_f32_e32 vcc, s4, v10
	s_mov_b32 s4, 0x42b17218
	v_ldexp_f32 v12, v12, v47
	v_cndmask_b32_e32 v12, 0, v12, vcc
	v_mov_b32_e32 v47, 0x7f800000
	v_cmp_nlt_f32_e32 vcc, s4, v10
	v_cndmask_b32_e32 v12, v47, v12, vcc
	v_add_f32_e32 v46, v46, v12
.LBB718_315:
	s_or_b64 exec, exec, s[2:3]
.LBB718_316:
	s_or_b64 exec, exec, s[0:1]
	s_and_saveexec_b64 s[0:1], s[68:69]
	s_cbranch_execz .LBB718_320
; %bb.317:
	global_load_ubyte v2, v[2:3], off offset:1984
	v_mov_b32_e32 v11, 0
	s_waitcnt vmcnt(0)
	v_and_b32_e32 v2, 1, v2
	v_cmp_eq_u32_e32 vcc, 1, v2
	s_xor_b64 s[4:5], vcc, -1
	s_and_saveexec_b64 s[2:3], s[4:5]
	s_cbranch_execz .LBB718_319
; %bb.318:
	v_sub_f32_e32 v2, v9, v45
	s_mov_b32 s4, 0x3fb8aa3b
	v_mul_f32_e32 v3, 0x3fb8aa3b, v2
	v_fma_f32 v9, v2, s4, -v3
	v_rndne_f32_e32 v10, v3
	v_fmac_f32_e32 v9, 0x32a5705f, v2
	v_sub_f32_e32 v3, v3, v10
	v_add_f32_e32 v3, v3, v9
	v_exp_f32_e32 v3, v3
	v_cvt_i32_f32_e32 v9, v10
	s_mov_b32 s4, 0xc2ce8ed0
	v_cmp_ngt_f32_e32 vcc, s4, v2
	s_mov_b32 s4, 0x42b17218
	v_ldexp_f32 v3, v3, v9
	v_cndmask_b32_e32 v3, 0, v3, vcc
	v_mov_b32_e32 v9, 0x7f800000
	v_cmp_nlt_f32_e32 vcc, s4, v2
	v_cndmask_b32_e32 v11, v9, v3, vcc
	v_add_f32_e32 v46, v46, v11
.LBB718_319:
	s_or_b64 exec, exec, s[2:3]
.LBB718_320:
	s_or_b64 exec, exec, s[0:1]
	ds_bpermute_b32 v2, v5, v46
	v_cmp_lt_i32_e32 vcc, 0, v8
	s_waitcnt lgkmcnt(0)
	v_add_f32_e32 v2, v46, v2
	ds_bpermute_b32 v3, v6, v2
	s_waitcnt lgkmcnt(0)
	v_add_f32_e32 v2, v2, v3
	ds_bpermute_b32 v3, v7, v2
	;; [unrolled: 3-line block ×5, first 2 shown]
	s_and_saveexec_b64 s[0:1], vcc
	s_cbranch_execz .LBB718_354
; %bb.321:
	s_and_b64 exec, exec, s[64:65]
	s_cbranch_execz .LBB718_354
; %bb.322:
	v_readlane_b32 s0, v49, 0
	s_waitcnt lgkmcnt(0)
	v_add_f32_e32 v2, v2, v3
	v_readlane_b32 s1, v49, 1
	s_mov_b64 s[4:5], s[0:1]
	v_div_scale_f32 v5, s[0:1], v2, v2, v42
	v_rcp_f32_e32 v6, v5
	v_mov_b32_e32 v3, s5
	v_add_co_u32_e32 v0, vcc, s4, v0
	v_addc_co_u32_e32 v1, vcc, v3, v1, vcc
	v_fma_f32 v3, -v5, v6, 1.0
	v_fmac_f32_e32 v6, v3, v6
	v_div_scale_f32 v3, vcc, v42, v2, v42
	v_mul_f32_e32 v7, v3, v6
	v_fma_f32 v8, -v5, v7, v3
	v_fmac_f32_e32 v7, v8, v6
	v_fma_f32 v3, -v5, v7, v3
	v_div_fmas_f32 v3, v3, v6, v7
	v_div_fixup_f32 v5, v3, v2, v42
	v_mov_b32_e32 v3, 0x7fc00000
	v_cmp_eq_f32_e64 s[64:65], 0, v2
	v_cndmask_b32_e64 v5, v5, v3, s[64:65]
	v_readlane_b32 s2, v49, 2
	v_readlane_b32 s3, v49, 3
	global_store_dword v[0:1], v5, off
	s_and_b64 exec, exec, s[62:63]
	s_cbranch_execz .LBB718_354
; %bb.323:
	v_div_scale_f32 v5, s[0:1], v2, v2, v4
	v_rcp_f32_e32 v6, v5
	v_div_scale_f32 v7, vcc, v4, v2, v4
	v_fma_f32 v8, -v5, v6, 1.0
	v_fmac_f32_e32 v6, v8, v6
	v_mul_f32_e32 v8, v7, v6
	v_fma_f32 v9, -v5, v8, v7
	v_fmac_f32_e32 v8, v9, v6
	v_fma_f32 v5, -v5, v8, v7
	v_div_fmas_f32 v5, v5, v6, v8
	v_div_fixup_f32 v4, v5, v2, v4
	v_cndmask_b32_e64 v3, v4, v3, s[64:65]
	global_store_dword v[0:1], v3, off offset:256
	s_and_b64 exec, exec, s[60:61]
	s_cbranch_execz .LBB718_354
; %bb.324:
	v_div_scale_f32 v3, s[0:1], v2, v2, v40
	v_rcp_f32_e32 v4, v3
	v_div_scale_f32 v5, vcc, v40, v2, v40
	v_fma_f32 v6, -v3, v4, 1.0
	v_fmac_f32_e32 v4, v6, v4
	v_mul_f32_e32 v6, v5, v4
	v_fma_f32 v7, -v3, v6, v5
	v_fmac_f32_e32 v6, v7, v4
	v_fma_f32 v3, -v3, v6, v5
	v_div_fmas_f32 v3, v3, v4, v6
	v_div_fixup_f32 v4, v3, v2, v40
	v_mov_b32_e32 v3, 0x7fc00000
	v_cndmask_b32_e64 v4, v4, v3, s[64:65]
	global_store_dword v[0:1], v4, off offset:512
	s_and_b64 exec, exec, s[58:59]
	s_cbranch_execz .LBB718_354
; %bb.325:
	v_div_scale_f32 v4, s[0:1], v2, v2, v39
	v_rcp_f32_e32 v5, v4
	v_div_scale_f32 v6, vcc, v39, v2, v39
	v_fma_f32 v7, -v4, v5, 1.0
	v_fmac_f32_e32 v5, v7, v5
	v_mul_f32_e32 v7, v6, v5
	v_fma_f32 v8, -v4, v7, v6
	v_fmac_f32_e32 v7, v8, v5
	v_fma_f32 v4, -v4, v7, v6
	v_div_fmas_f32 v4, v4, v5, v7
	v_div_fixup_f32 v4, v4, v2, v39
	v_cndmask_b32_e64 v3, v4, v3, s[64:65]
	global_store_dword v[0:1], v3, off offset:768
	s_and_b64 exec, exec, s[56:57]
	s_cbranch_execz .LBB718_354
; %bb.326:
	v_div_scale_f32 v3, s[0:1], v2, v2, v38
	v_rcp_f32_e32 v4, v3
	v_div_scale_f32 v5, vcc, v38, v2, v38
	v_fma_f32 v6, -v3, v4, 1.0
	v_fmac_f32_e32 v4, v6, v4
	v_mul_f32_e32 v6, v5, v4
	v_fma_f32 v7, -v3, v6, v5
	v_fmac_f32_e32 v6, v7, v4
	v_fma_f32 v3, -v3, v6, v5
	v_div_fmas_f32 v3, v3, v4, v6
	v_div_fixup_f32 v4, v3, v2, v38
	v_mov_b32_e32 v3, 0x7fc00000
	v_cndmask_b32_e64 v4, v4, v3, s[64:65]
	global_store_dword v[0:1], v4, off offset:1024
	;; [unrolled: 33-line block ×4, first 2 shown]
	s_and_b64 exec, exec, s[46:47]
	s_cbranch_execz .LBB718_354
; %bb.331:
	v_div_scale_f32 v4, s[0:1], v2, v2, v33
	v_rcp_f32_e32 v5, v4
	v_div_scale_f32 v6, vcc, v33, v2, v33
	v_fma_f32 v7, -v4, v5, 1.0
	v_fmac_f32_e32 v5, v7, v5
	v_mul_f32_e32 v7, v6, v5
	v_fma_f32 v8, -v4, v7, v6
	v_fmac_f32_e32 v7, v8, v5
	v_fma_f32 v4, -v4, v7, v6
	v_div_fmas_f32 v4, v4, v5, v7
	v_div_fixup_f32 v4, v4, v2, v33
	v_cndmask_b32_e64 v3, v4, v3, s[64:65]
	global_store_dword v[0:1], v3, off offset:2304
	s_and_b64 exec, exec, s[44:45]
	s_cbranch_execz .LBB718_354
; %bb.332:
	v_div_scale_f32 v3, s[0:1], v2, v2, v32
	v_rcp_f32_e32 v4, v3
	v_div_scale_f32 v5, vcc, v32, v2, v32
	v_readlane_b32 s0, v49, 4
	v_fma_f32 v6, -v3, v4, 1.0
	v_fmac_f32_e32 v4, v6, v4
	v_mul_f32_e32 v6, v5, v4
	v_fma_f32 v7, -v3, v6, v5
	v_fmac_f32_e32 v6, v7, v4
	v_fma_f32 v3, -v3, v6, v5
	v_div_fmas_f32 v3, v3, v4, v6
	v_div_fixup_f32 v4, v3, v2, v32
	v_mov_b32_e32 v3, 0x7fc00000
	v_cndmask_b32_e64 v4, v4, v3, s[64:65]
	v_readlane_b32 s1, v49, 5
	global_store_dword v[0:1], v4, off offset:2560
	s_and_b64 exec, exec, s[0:1]
	s_cbranch_execz .LBB718_354
; %bb.333:
	v_div_scale_f32 v4, s[0:1], v2, v2, v31
	v_rcp_f32_e32 v5, v4
	v_div_scale_f32 v6, vcc, v31, v2, v31
	v_readlane_b32 s0, v49, 6
	v_fma_f32 v7, -v4, v5, 1.0
	v_fmac_f32_e32 v5, v7, v5
	v_mul_f32_e32 v7, v6, v5
	v_fma_f32 v8, -v4, v7, v6
	v_fmac_f32_e32 v7, v8, v5
	v_fma_f32 v4, -v4, v7, v6
	v_div_fmas_f32 v4, v4, v5, v7
	v_div_fixup_f32 v4, v4, v2, v31
	v_cndmask_b32_e64 v3, v4, v3, s[64:65]
	v_readlane_b32 s1, v49, 7
	global_store_dword v[0:1], v3, off offset:2816
	s_and_b64 exec, exec, s[0:1]
	s_cbranch_execz .LBB718_354
; %bb.334:
	v_div_scale_f32 v3, s[0:1], v2, v2, v30
	v_rcp_f32_e32 v4, v3
	v_div_scale_f32 v5, vcc, v30, v2, v30
	v_readlane_b32 s0, v49, 8
	v_fma_f32 v6, -v3, v4, 1.0
	v_fmac_f32_e32 v4, v6, v4
	v_mul_f32_e32 v6, v5, v4
	v_fma_f32 v7, -v3, v6, v5
	v_fmac_f32_e32 v6, v7, v4
	v_fma_f32 v3, -v3, v6, v5
	v_div_fmas_f32 v3, v3, v4, v6
	v_div_fixup_f32 v4, v3, v2, v30
	v_mov_b32_e32 v3, 0x7fc00000
	v_cndmask_b32_e64 v4, v4, v3, s[64:65]
	v_readlane_b32 s1, v49, 9
	global_store_dword v[0:1], v4, off offset:3072
	s_and_b64 exec, exec, s[0:1]
	s_cbranch_execz .LBB718_354
; %bb.335:
	v_div_scale_f32 v4, s[0:1], v2, v2, v29
	v_rcp_f32_e32 v5, v4
	v_div_scale_f32 v6, vcc, v29, v2, v29
	v_readlane_b32 s0, v49, 10
	v_fma_f32 v7, -v4, v5, 1.0
	v_fmac_f32_e32 v5, v7, v5
	v_mul_f32_e32 v7, v6, v5
	v_fma_f32 v8, -v4, v7, v6
	v_fmac_f32_e32 v7, v8, v5
	v_fma_f32 v4, -v4, v7, v6
	v_div_fmas_f32 v4, v4, v5, v7
	v_div_fixup_f32 v4, v4, v2, v29
	v_cndmask_b32_e64 v3, v4, v3, s[64:65]
	v_readlane_b32 s1, v49, 11
	;; [unrolled: 37-line block ×3, first 2 shown]
	global_store_dword v[0:1], v3, off offset:3840
	s_and_b64 exec, exec, s[0:1]
	s_cbranch_execz .LBB718_354
; %bb.338:
	v_div_scale_f32 v3, s[0:1], v2, v2, v26
	v_rcp_f32_e32 v4, v3
	v_div_scale_f32 v5, vcc, v26, v2, v26
	v_readlane_b32 s0, v49, 16
	v_fma_f32 v6, -v3, v4, 1.0
	v_fmac_f32_e32 v4, v6, v4
	v_mul_f32_e32 v6, v5, v4
	v_fma_f32 v7, -v3, v6, v5
	v_fmac_f32_e32 v6, v7, v4
	v_fma_f32 v3, -v3, v6, v5
	v_div_fmas_f32 v3, v3, v4, v6
	v_div_fixup_f32 v4, v3, v2, v26
	v_mov_b32_e32 v3, 0x7fc00000
	v_cndmask_b32_e64 v6, v4, v3, s[64:65]
	v_add_co_u32_e32 v4, vcc, 0x1000, v0
	v_addc_co_u32_e32 v5, vcc, 0, v1, vcc
	v_readlane_b32 s1, v49, 17
	global_store_dword v[4:5], v6, off
	s_and_b64 exec, exec, s[0:1]
	s_cbranch_execz .LBB718_354
; %bb.339:
	v_div_scale_f32 v4, s[0:1], v2, v2, v25
	v_rcp_f32_e32 v5, v4
	v_div_scale_f32 v6, vcc, v25, v2, v25
	v_readlane_b32 s0, v49, 18
	v_fma_f32 v7, -v4, v5, 1.0
	v_fmac_f32_e32 v5, v7, v5
	v_mul_f32_e32 v7, v6, v5
	v_fma_f32 v8, -v4, v7, v6
	v_fmac_f32_e32 v7, v8, v5
	v_fma_f32 v4, -v4, v7, v6
	v_div_fmas_f32 v4, v4, v5, v7
	v_div_fixup_f32 v4, v4, v2, v25
	v_cndmask_b32_e64 v3, v4, v3, s[64:65]
	v_add_co_u32_e32 v4, vcc, 0x1000, v0
	v_addc_co_u32_e32 v5, vcc, 0, v1, vcc
	v_readlane_b32 s1, v49, 19
	global_store_dword v[4:5], v3, off offset:256
	s_and_b64 exec, exec, s[0:1]
	s_cbranch_execz .LBB718_354
; %bb.340:
	v_div_scale_f32 v3, s[0:1], v2, v2, v24
	v_rcp_f32_e32 v4, v3
	v_div_scale_f32 v5, vcc, v24, v2, v24
	v_readlane_b32 s0, v49, 20
	v_fma_f32 v6, -v3, v4, 1.0
	v_fmac_f32_e32 v4, v6, v4
	v_mul_f32_e32 v6, v5, v4
	v_fma_f32 v7, -v3, v6, v5
	v_fmac_f32_e32 v6, v7, v4
	v_fma_f32 v3, -v3, v6, v5
	v_div_fmas_f32 v3, v3, v4, v6
	v_div_fixup_f32 v4, v3, v2, v24
	v_mov_b32_e32 v3, 0x7fc00000
	v_cndmask_b32_e64 v6, v4, v3, s[64:65]
	v_add_co_u32_e32 v4, vcc, 0x1000, v0
	v_addc_co_u32_e32 v5, vcc, 0, v1, vcc
	v_readlane_b32 s1, v49, 21
	global_store_dword v[4:5], v6, off offset:512
	s_and_b64 exec, exec, s[0:1]
	s_cbranch_execz .LBB718_354
; %bb.341:
	v_div_scale_f32 v4, s[0:1], v2, v2, v23
	v_rcp_f32_e32 v5, v4
	v_div_scale_f32 v6, vcc, v23, v2, v23
	v_readlane_b32 s0, v49, 22
	v_fma_f32 v7, -v4, v5, 1.0
	v_fmac_f32_e32 v5, v7, v5
	v_mul_f32_e32 v7, v6, v5
	v_fma_f32 v8, -v4, v7, v6
	v_fmac_f32_e32 v7, v8, v5
	v_fma_f32 v4, -v4, v7, v6
	v_div_fmas_f32 v4, v4, v5, v7
	v_div_fixup_f32 v4, v4, v2, v23
	v_cndmask_b32_e64 v3, v4, v3, s[64:65]
	v_add_co_u32_e32 v4, vcc, 0x1000, v0
	v_addc_co_u32_e32 v5, vcc, 0, v1, vcc
	v_readlane_b32 s1, v49, 23
	global_store_dword v[4:5], v3, off offset:768
	s_and_b64 exec, exec, s[0:1]
	s_cbranch_execz .LBB718_354
; %bb.342:
	v_div_scale_f32 v3, s[0:1], v2, v2, v22
	v_rcp_f32_e32 v4, v3
	v_div_scale_f32 v5, vcc, v22, v2, v22
	v_readlane_b32 s0, v49, 24
	v_fma_f32 v6, -v3, v4, 1.0
	v_fmac_f32_e32 v4, v6, v4
	v_mul_f32_e32 v6, v5, v4
	v_fma_f32 v7, -v3, v6, v5
	v_fmac_f32_e32 v6, v7, v4
	v_fma_f32 v3, -v3, v6, v5
	v_div_fmas_f32 v3, v3, v4, v6
	v_div_fixup_f32 v4, v3, v2, v22
	v_mov_b32_e32 v3, 0x7fc00000
	v_cndmask_b32_e64 v6, v4, v3, s[64:65]
	v_add_co_u32_e32 v4, vcc, 0x1000, v0
	v_addc_co_u32_e32 v5, vcc, 0, v1, vcc
	v_readlane_b32 s1, v49, 25
	global_store_dword v[4:5], v6, off offset:1024
	;; [unrolled: 41-line block ×7, first 2 shown]
	s_and_b64 exec, exec, s[0:1]
	s_cbranch_execz .LBB718_354
; %bb.353:
	v_div_scale_f32 v4, s[0:1], v2, v2, v11
	v_rcp_f32_e32 v5, v4
	v_div_scale_f32 v6, vcc, v11, v2, v11
	v_fma_f32 v7, -v4, v5, 1.0
	v_fmac_f32_e32 v5, v7, v5
	v_mul_f32_e32 v7, v6, v5
	v_fma_f32 v8, -v4, v7, v6
	v_fmac_f32_e32 v7, v8, v5
	v_fma_f32 v4, -v4, v7, v6
	v_div_fmas_f32 v4, v4, v5, v7
	v_div_fixup_f32 v2, v4, v2, v11
	v_add_co_u32_e32 v0, vcc, 0x1000, v0
	v_cndmask_b32_e64 v2, v2, v3, s[64:65]
	v_addc_co_u32_e32 v1, vcc, 0, v1, vcc
	global_store_dword v[0:1], v2, off offset:3840
.LBB718_354:
	s_endpgm
	.section	.rodata,"a",@progbits
	.p2align	6, 0x0
	.amdhsa_kernel _ZN12_GLOBAL__N_120softmax_warp_forwardIfffLi11ELb0ELb1ELi64EEEvPT0_PKT_iiiPKbib
		.amdhsa_group_segment_fixed_size 0
		.amdhsa_private_segment_fixed_size 0
		.amdhsa_kernarg_size 304
		.amdhsa_user_sgpr_count 6
		.amdhsa_user_sgpr_private_segment_buffer 1
		.amdhsa_user_sgpr_dispatch_ptr 0
		.amdhsa_user_sgpr_queue_ptr 0
		.amdhsa_user_sgpr_kernarg_segment_ptr 1
		.amdhsa_user_sgpr_dispatch_id 0
		.amdhsa_user_sgpr_flat_scratch_init 0
		.amdhsa_user_sgpr_kernarg_preload_length 0
		.amdhsa_user_sgpr_kernarg_preload_offset 0
		.amdhsa_user_sgpr_private_segment_size 0
		.amdhsa_uses_dynamic_stack 0
		.amdhsa_system_sgpr_private_segment_wavefront_offset 0
		.amdhsa_system_sgpr_workgroup_id_x 1
		.amdhsa_system_sgpr_workgroup_id_y 0
		.amdhsa_system_sgpr_workgroup_id_z 0
		.amdhsa_system_sgpr_workgroup_info 0
		.amdhsa_system_vgpr_workitem_id 1
		.amdhsa_next_free_vgpr 50
		.amdhsa_next_free_sgpr 96
		.amdhsa_accum_offset 52
		.amdhsa_reserve_vcc 1
		.amdhsa_reserve_flat_scratch 0
		.amdhsa_float_round_mode_32 0
		.amdhsa_float_round_mode_16_64 0
		.amdhsa_float_denorm_mode_32 3
		.amdhsa_float_denorm_mode_16_64 3
		.amdhsa_dx10_clamp 1
		.amdhsa_ieee_mode 1
		.amdhsa_fp16_overflow 0
		.amdhsa_tg_split 0
		.amdhsa_exception_fp_ieee_invalid_op 0
		.amdhsa_exception_fp_denorm_src 0
		.amdhsa_exception_fp_ieee_div_zero 0
		.amdhsa_exception_fp_ieee_overflow 0
		.amdhsa_exception_fp_ieee_underflow 0
		.amdhsa_exception_fp_ieee_inexact 0
		.amdhsa_exception_int_div_zero 0
	.end_amdhsa_kernel
	.section	.text._ZN12_GLOBAL__N_120softmax_warp_forwardIfffLi11ELb0ELb1ELi64EEEvPT0_PKT_iiiPKbib,"axG",@progbits,_ZN12_GLOBAL__N_120softmax_warp_forwardIfffLi11ELb0ELb1ELi64EEEvPT0_PKT_iiiPKbib,comdat
.Lfunc_end718:
	.size	_ZN12_GLOBAL__N_120softmax_warp_forwardIfffLi11ELb0ELb1ELi64EEEvPT0_PKT_iiiPKbib, .Lfunc_end718-_ZN12_GLOBAL__N_120softmax_warp_forwardIfffLi11ELb0ELb1ELi64EEEvPT0_PKT_iiiPKbib
                                        ; -- End function
	.section	.AMDGPU.csdata,"",@progbits
; Kernel info:
; codeLenInByte = 14572
; NumSgprs: 100
; NumVgprs: 50
; NumAgprs: 0
; TotalNumVgprs: 50
; ScratchSize: 0
; MemoryBound: 0
; FloatMode: 240
; IeeeMode: 1
; LDSByteSize: 0 bytes/workgroup (compile time only)
; SGPRBlocks: 12
; VGPRBlocks: 6
; NumSGPRsForWavesPerEU: 100
; NumVGPRsForWavesPerEU: 50
; AccumOffset: 52
; Occupancy: 8
; WaveLimiterHint : 0
; COMPUTE_PGM_RSRC2:SCRATCH_EN: 0
; COMPUTE_PGM_RSRC2:USER_SGPR: 6
; COMPUTE_PGM_RSRC2:TRAP_HANDLER: 0
; COMPUTE_PGM_RSRC2:TGID_X_EN: 1
; COMPUTE_PGM_RSRC2:TGID_Y_EN: 0
; COMPUTE_PGM_RSRC2:TGID_Z_EN: 0
; COMPUTE_PGM_RSRC2:TIDIG_COMP_CNT: 1
; COMPUTE_PGM_RSRC3_GFX90A:ACCUM_OFFSET: 12
; COMPUTE_PGM_RSRC3_GFX90A:TG_SPLIT: 0
	.section	.text._ZN12_GLOBAL__N_120softmax_warp_forwardIfffLi11ELb0ELb1ELi32EEEvPT0_PKT_iiiPKbib,"axG",@progbits,_ZN12_GLOBAL__N_120softmax_warp_forwardIfffLi11ELb0ELb1ELi32EEEvPT0_PKT_iiiPKbib,comdat
	.globl	_ZN12_GLOBAL__N_120softmax_warp_forwardIfffLi11ELb0ELb1ELi32EEEvPT0_PKT_iiiPKbib ; -- Begin function _ZN12_GLOBAL__N_120softmax_warp_forwardIfffLi11ELb0ELb1ELi32EEEvPT0_PKT_iiiPKbib
	.p2align	8
	.type	_ZN12_GLOBAL__N_120softmax_warp_forwardIfffLi11ELb0ELb1ELi32EEEvPT0_PKT_iiiPKbib,@function
_ZN12_GLOBAL__N_120softmax_warp_forwardIfffLi11ELb0ELb1ELi32EEEvPT0_PKT_iiiPKbib: ; @_ZN12_GLOBAL__N_120softmax_warp_forwardIfffLi11ELb0ELb1ELi32EEEvPT0_PKT_iiiPKbib
; %bb.0:
	s_load_dword s2, s[4:5], 0x3c
	s_load_dwordx4 s[40:43], s[4:5], 0x10
	s_load_dwordx2 s[0:1], s[4:5], 0x28
	v_bfe_u32 v1, v0, 10, 10
	v_and_b32_e32 v2, 0x3ff, v0
	s_waitcnt lgkmcnt(0)
	s_lshr_b32 s2, s2, 16
	s_mul_i32 s6, s6, s2
	v_add_u32_e32 v3, s6, v1
	v_mul_lo_u32 v6, v3, s41
	v_add_u32_e32 v0, v6, v2
	v_ashrrev_i32_e32 v1, 31, v0
	s_bitcmp0_b32 s1, 0
	v_pk_mov_b32 v[4:5], v[0:1], v[0:1] op_sel:[0,1]
	s_cbranch_scc1 .LBB719_2
; %bb.1:
	s_abs_i32 s1, s0
	v_cvt_f32_u32_e32 v4, s1
	v_xor_b32_e32 v5, s0, v6
	v_sub_u32_e32 v7, 0, v6
	s_sub_i32 s0, 0, s1
	v_rcp_iflag_f32_e32 v4, v4
	v_max_i32_e32 v6, v6, v7
	v_ashrrev_i32_e32 v5, 31, v5
	v_mul_f32_e32 v4, 0x4f7ffffe, v4
	v_cvt_u32_f32_e32 v4, v4
	v_mul_lo_u32 v7, s0, v4
	v_mul_hi_u32 v7, v4, v7
	v_add_u32_e32 v4, v4, v7
	v_mul_hi_u32 v4, v6, v4
	v_mul_lo_u32 v7, v4, s1
	v_sub_u32_e32 v6, v6, v7
	v_add_u32_e32 v8, 1, v4
	v_cmp_le_u32_e32 vcc, s1, v6
	v_subrev_u32_e32 v7, s1, v6
	v_cndmask_b32_e32 v4, v4, v8, vcc
	v_cndmask_b32_e32 v6, v6, v7, vcc
	v_add_u32_e32 v7, 1, v4
	v_cmp_le_u32_e32 vcc, s1, v6
	v_cndmask_b32_e32 v4, v4, v7, vcc
	v_xor_b32_e32 v4, v4, v5
	v_sub_u32_e32 v4, v4, v5
	v_mad_u64_u32 v[4:5], s[0:1], v4, s41, v[2:3]
	v_ashrrev_i32_e32 v5, 31, v4
.LBB719_2:
	s_load_dwordx4 s[0:3], s[4:5], 0x0
                                        ; implicit-def: $vgpr81 : SGPR spill to VGPR lane
	v_sub_u32_e32 v8, s40, v3
	v_lshlrev_b64 v[0:1], 2, v[0:1]
	v_cmp_lt_i32_e64 s[38:39], 0, v8
	v_mov_b32_e32 v71, 0xff800000
	s_waitcnt lgkmcnt(0)
	v_mov_b32_e32 v3, s3
	v_writelane_b32 v81, s0, 0
	v_writelane_b32 v81, s1, 1
	;; [unrolled: 1-line block ×4, first 2 shown]
	v_add_co_u32_e32 v6, vcc, s2, v0
	v_cmp_gt_i32_e64 s[0:1], s42, v2
	v_addc_co_u32_e32 v7, vcc, v3, v1, vcc
	v_writelane_b32 v81, s0, 4
	s_and_b64 s[78:79], s[38:39], s[0:1]
	v_mov_b32_e32 v72, 0xff800000
	v_writelane_b32 v81, s1, 5
	s_and_saveexec_b64 s[0:1], s[78:79]
	s_cbranch_execz .LBB719_4
; %bb.3:
	global_load_dword v72, v[6:7], off
.LBB719_4:
	s_or_b64 exec, exec, s[0:1]
	v_add_u32_e32 v3, 32, v2
	v_cmp_gt_i32_e64 s[0:1], s42, v3
	v_writelane_b32 v81, s0, 6
	s_and_b64 s[76:77], s[38:39], s[0:1]
	v_writelane_b32 v81, s1, 7
	s_and_saveexec_b64 s[0:1], s[76:77]
	s_cbranch_execz .LBB719_6
; %bb.5:
	global_load_dword v71, v[6:7], off offset:128
.LBB719_6:
	s_or_b64 exec, exec, s[0:1]
	v_add_u32_e32 v3, 64, v2
	v_cmp_gt_i32_e64 s[0:1], s42, v3
	v_writelane_b32 v81, s0, 8
	s_and_b64 s[74:75], s[38:39], s[0:1]
	v_mov_b32_e32 v69, 0xff800000
	v_mov_b32_e32 v70, 0xff800000
	v_writelane_b32 v81, s1, 9
	s_and_saveexec_b64 s[0:1], s[74:75]
	s_cbranch_execz .LBB719_8
; %bb.7:
	global_load_dword v70, v[6:7], off offset:256
.LBB719_8:
	s_or_b64 exec, exec, s[0:1]
	v_add_u32_e32 v3, 0x60, v2
	v_cmp_gt_i32_e64 s[0:1], s42, v3
	v_writelane_b32 v81, s0, 10
	s_and_b64 s[72:73], s[38:39], s[0:1]
	v_writelane_b32 v81, s1, 11
	s_and_saveexec_b64 s[0:1], s[72:73]
	s_cbranch_execz .LBB719_10
; %bb.9:
	global_load_dword v69, v[6:7], off offset:384
.LBB719_10:
	s_or_b64 exec, exec, s[0:1]
	v_add_u32_e32 v3, 0x80, v2
	v_cmp_gt_i32_e64 s[0:1], s42, v3
	v_writelane_b32 v81, s0, 12
	s_and_b64 s[70:71], s[38:39], s[0:1]
	v_mov_b32_e32 v67, 0xff800000
	v_mov_b32_e32 v68, 0xff800000
	v_writelane_b32 v81, s1, 13
	s_and_saveexec_b64 s[0:1], s[70:71]
	s_cbranch_execz .LBB719_12
; %bb.11:
	global_load_dword v68, v[6:7], off offset:512
.LBB719_12:
	;; [unrolled: 24-line block ×14, first 2 shown]
	s_or_b64 exec, exec, s[0:1]
	v_add_u32_e32 v3, 0x3a0, v2
	v_cmp_gt_i32_e64 s[0:1], s42, v3
	v_writelane_b32 v81, s0, 62
	s_and_b64 s[12:13], s[38:39], s[0:1]
	v_writelane_b32 v81, s1, 63
	s_and_saveexec_b64 s[0:1], s[12:13]
	s_cbranch_execz .LBB719_62
; %bb.61:
	global_load_dword v43, v[6:7], off offset:3712
.LBB719_62:
	s_or_b64 exec, exec, s[0:1]
	v_add_u32_e32 v3, 0x3c0, v2
	v_cmp_gt_i32_e64 s[0:1], s42, v3
                                        ; implicit-def: $vgpr82 : SGPR spill to VGPR lane
	v_mov_b32_e32 v41, 0xff800000
	v_writelane_b32 v82, s0, 0
	s_and_b64 s[10:11], s[38:39], s[0:1]
	v_mov_b32_e32 v42, 0xff800000
	v_writelane_b32 v82, s1, 1
	s_and_saveexec_b64 s[0:1], s[10:11]
	s_cbranch_execz .LBB719_64
; %bb.63:
	global_load_dword v42, v[6:7], off offset:3840
.LBB719_64:
	s_or_b64 exec, exec, s[0:1]
	v_add_u32_e32 v3, 0x3e0, v2
	v_cmp_gt_i32_e64 s[0:1], s42, v3
	v_writelane_b32 v82, s0, 2
	s_and_b64 s[8:9], s[38:39], s[0:1]
	v_writelane_b32 v82, s1, 3
	s_and_saveexec_b64 s[0:1], s[8:9]
	s_cbranch_execz .LBB719_66
; %bb.65:
	global_load_dword v41, v[6:7], off offset:3968
.LBB719_66:
	s_or_b64 exec, exec, s[0:1]
	v_or_b32_e32 v3, 0x400, v2
	v_cmp_gt_i32_e64 s[0:1], s42, v3
	v_writelane_b32 v82, s0, 4
	s_and_b64 s[6:7], s[38:39], s[0:1]
	v_mov_b32_e32 v39, 0xff800000
	v_mov_b32_e32 v40, 0xff800000
	v_writelane_b32 v82, s1, 5
	s_and_saveexec_b64 s[0:1], s[6:7]
	s_cbranch_execz .LBB719_68
; %bb.67:
	v_add_co_u32_e32 v10, vcc, 0x1000, v6
	v_addc_co_u32_e32 v11, vcc, 0, v7, vcc
	global_load_dword v40, v[10:11], off
.LBB719_68:
	s_or_b64 exec, exec, s[0:1]
	v_add_u32_e32 v3, 0x420, v2
	v_cmp_gt_i32_e64 s[0:1], s42, v3
	v_writelane_b32 v82, s0, 6
	s_and_b64 s[36:37], s[38:39], s[0:1]
	v_writelane_b32 v82, s1, 7
	s_and_saveexec_b64 s[0:1], s[36:37]
	s_cbranch_execz .LBB719_70
; %bb.69:
	v_add_co_u32_e32 v10, vcc, 0x1000, v6
	v_addc_co_u32_e32 v11, vcc, 0, v7, vcc
	global_load_dword v39, v[10:11], off offset:128
.LBB719_70:
	s_or_b64 exec, exec, s[0:1]
	v_add_u32_e32 v3, 0x440, v2
	v_cmp_gt_i32_e64 s[0:1], s42, v3
	v_writelane_b32 v82, s0, 8
	s_and_b64 s[2:3], s[38:39], s[0:1]
	v_mov_b32_e32 v37, 0xff800000
	v_mov_b32_e32 v38, 0xff800000
	v_writelane_b32 v82, s1, 9
	s_and_saveexec_b64 s[0:1], s[2:3]
	s_cbranch_execz .LBB719_72
; %bb.71:
	v_add_co_u32_e32 v10, vcc, 0x1000, v6
	v_addc_co_u32_e32 v11, vcc, 0, v7, vcc
	global_load_dword v38, v[10:11], off offset:256
.LBB719_72:
	s_or_b64 exec, exec, s[0:1]
	v_add_u32_e32 v3, 0x460, v2
	v_cmp_gt_i32_e64 s[0:1], s42, v3
	v_writelane_b32 v82, s0, 10
	v_writelane_b32 v82, s1, 11
	s_and_b64 s[0:1], s[38:39], s[0:1]
	s_and_saveexec_b64 s[80:81], s[0:1]
	s_cbranch_execz .LBB719_74
; %bb.73:
	v_add_co_u32_e32 v10, vcc, 0x1000, v6
	v_addc_co_u32_e32 v11, vcc, 0, v7, vcc
	global_load_dword v37, v[10:11], off offset:384
.LBB719_74:
	s_or_b64 exec, exec, s[80:81]
	v_add_u32_e32 v3, 0x480, v2
	v_cmp_gt_i32_e64 s[80:81], s42, v3
	v_writelane_b32 v82, s80, 12
	s_and_b64 s[94:95], s[38:39], s[80:81]
	v_mov_b32_e32 v35, 0xff800000
	v_mov_b32_e32 v36, 0xff800000
	v_writelane_b32 v82, s81, 13
	s_and_saveexec_b64 s[80:81], s[94:95]
	s_cbranch_execz .LBB719_76
; %bb.75:
	v_add_co_u32_e32 v10, vcc, 0x1000, v6
	v_addc_co_u32_e32 v11, vcc, 0, v7, vcc
	global_load_dword v36, v[10:11], off offset:512
.LBB719_76:
	s_or_b64 exec, exec, s[80:81]
	v_add_u32_e32 v3, 0x4a0, v2
	v_cmp_gt_i32_e64 s[80:81], s42, v3
	v_writelane_b32 v82, s80, 14
	s_and_b64 s[92:93], s[38:39], s[80:81]
	v_writelane_b32 v82, s81, 15
	s_and_saveexec_b64 s[80:81], s[92:93]
	s_cbranch_execz .LBB719_78
; %bb.77:
	v_add_co_u32_e32 v10, vcc, 0x1000, v6
	v_addc_co_u32_e32 v11, vcc, 0, v7, vcc
	global_load_dword v35, v[10:11], off offset:640
.LBB719_78:
	s_or_b64 exec, exec, s[80:81]
	v_add_u32_e32 v3, 0x4c0, v2
	v_cmp_gt_i32_e64 s[80:81], s42, v3
	v_writelane_b32 v82, s80, 16
	s_and_b64 s[90:91], s[38:39], s[80:81]
	v_mov_b32_e32 v33, 0xff800000
	v_mov_b32_e32 v34, 0xff800000
	v_writelane_b32 v82, s81, 17
	s_and_saveexec_b64 s[80:81], s[90:91]
	s_cbranch_execz .LBB719_80
; %bb.79:
	v_add_co_u32_e32 v10, vcc, 0x1000, v6
	v_addc_co_u32_e32 v11, vcc, 0, v7, vcc
	global_load_dword v34, v[10:11], off offset:768
.LBB719_80:
	s_or_b64 exec, exec, s[80:81]
	v_add_u32_e32 v3, 0x4e0, v2
	v_cmp_gt_i32_e64 s[80:81], s42, v3
	v_writelane_b32 v82, s80, 18
	s_and_b64 s[88:89], s[38:39], s[80:81]
	v_writelane_b32 v82, s81, 19
	;; [unrolled: 28-line block ×3, first 2 shown]
	s_and_saveexec_b64 s[80:81], s[84:85]
	s_cbranch_execz .LBB719_86
; %bb.85:
	v_add_co_u32_e32 v10, vcc, 0x1000, v6
	v_addc_co_u32_e32 v11, vcc, 0, v7, vcc
	global_load_dword v31, v[10:11], off offset:1152
.LBB719_86:
	s_or_b64 exec, exec, s[80:81]
	v_add_u32_e32 v3, 0x540, v2
	v_cmp_gt_i32_e64 s[80:81], s42, v3
	v_writelane_b32 v82, s80, 24
	s_and_b64 s[82:83], s[38:39], s[80:81]
	v_mov_b32_e32 v29, 0xff800000
	v_mov_b32_e32 v30, 0xff800000
	v_writelane_b32 v82, s81, 25
	s_and_saveexec_b64 s[80:81], s[82:83]
	s_cbranch_execz .LBB719_88
; %bb.87:
	v_add_co_u32_e32 v10, vcc, 0x1000, v6
	v_addc_co_u32_e32 v11, vcc, 0, v7, vcc
	global_load_dword v30, v[10:11], off offset:1280
.LBB719_88:
	s_or_b64 exec, exec, s[80:81]
	v_add_u32_e32 v3, 0x560, v2
	v_cmp_gt_i32_e64 s[80:81], s42, v3
	v_writelane_b32 v82, s80, 26
	v_writelane_b32 v82, s81, 27
	s_and_b64 vcc, s[38:39], s[80:81]
	s_mov_b64 s[80:81], exec
	v_writelane_b32 v82, vcc_lo, 28
	v_writelane_b32 v82, vcc_hi, 29
	s_and_b64 vcc, s[80:81], vcc
	s_mov_b64 exec, vcc
	s_cbranch_execz .LBB719_90
; %bb.89:
	v_add_co_u32_e32 v10, vcc, 0x1000, v6
	v_addc_co_u32_e32 v11, vcc, 0, v7, vcc
	global_load_dword v29, v[10:11], off offset:1408
.LBB719_90:
	s_or_b64 exec, exec, s[80:81]
	v_add_u32_e32 v3, 0x580, v2
	v_cmp_gt_i32_e64 s[80:81], s42, v3
	v_writelane_b32 v82, s80, 30
	v_mov_b32_e32 v27, 0xff800000
	v_mov_b32_e32 v28, 0xff800000
	v_writelane_b32 v82, s81, 31
	s_and_b64 vcc, s[38:39], s[80:81]
	s_mov_b64 s[80:81], exec
	v_writelane_b32 v82, vcc_lo, 32
	v_writelane_b32 v82, vcc_hi, 33
	s_and_b64 vcc, s[80:81], vcc
	s_mov_b64 exec, vcc
	s_cbranch_execz .LBB719_92
; %bb.91:
	v_add_co_u32_e32 v10, vcc, 0x1000, v6
	v_addc_co_u32_e32 v11, vcc, 0, v7, vcc
	global_load_dword v28, v[10:11], off offset:1536
.LBB719_92:
	s_or_b64 exec, exec, s[80:81]
	v_add_u32_e32 v3, 0x5a0, v2
	v_cmp_gt_i32_e64 s[80:81], s42, v3
	v_writelane_b32 v82, s80, 34
	v_writelane_b32 v82, s81, 35
	s_and_b64 vcc, s[38:39], s[80:81]
	s_mov_b64 s[80:81], exec
	v_writelane_b32 v82, vcc_lo, 36
	v_writelane_b32 v82, vcc_hi, 37
	s_and_b64 vcc, s[80:81], vcc
	s_mov_b64 exec, vcc
	s_cbranch_execz .LBB719_94
; %bb.93:
	v_add_co_u32_e32 v10, vcc, 0x1000, v6
	v_addc_co_u32_e32 v11, vcc, 0, v7, vcc
	global_load_dword v27, v[10:11], off offset:1664
.LBB719_94:
	s_or_b64 exec, exec, s[80:81]
	v_add_u32_e32 v3, 0x5c0, v2
	v_cmp_gt_i32_e64 s[80:81], s42, v3
	v_writelane_b32 v82, s80, 38
	v_mov_b32_e32 v25, 0xff800000
	v_mov_b32_e32 v26, 0xff800000
	v_writelane_b32 v82, s81, 39
	s_and_b64 vcc, s[38:39], s[80:81]
	s_mov_b64 s[80:81], exec
	v_writelane_b32 v82, vcc_lo, 40
	v_writelane_b32 v82, vcc_hi, 41
	s_and_b64 vcc, s[80:81], vcc
	s_mov_b64 exec, vcc
	;; [unrolled: 36-line block ×4, first 2 shown]
	s_cbranch_execz .LBB719_104
; %bb.103:
	v_add_co_u32_e32 v10, vcc, 0x1000, v6
	v_addc_co_u32_e32 v11, vcc, 0, v7, vcc
	global_load_dword v22, v[10:11], off offset:2304
.LBB719_104:
	s_or_b64 exec, exec, s[80:81]
	v_add_u32_e32 v3, 0x660, v2
	v_cmp_gt_i32_e64 s[80:81], s42, v3
	v_writelane_b32 v82, s80, 58
	v_writelane_b32 v82, s81, 59
	s_and_b64 vcc, s[38:39], s[80:81]
	s_mov_b64 s[80:81], exec
	v_writelane_b32 v82, vcc_lo, 60
	v_writelane_b32 v82, vcc_hi, 61
	s_and_b64 vcc, s[80:81], vcc
	s_mov_b64 exec, vcc
	s_cbranch_execz .LBB719_106
; %bb.105:
	v_add_co_u32_e32 v10, vcc, 0x1000, v6
	v_addc_co_u32_e32 v11, vcc, 0, v7, vcc
	global_load_dword v21, v[10:11], off offset:2432
.LBB719_106:
	s_or_b64 exec, exec, s[80:81]
	v_add_u32_e32 v3, 0x680, v2
	v_cmp_gt_i32_e64 s[80:81], s42, v3
	v_writelane_b32 v82, s80, 62
	v_mov_b32_e32 v18, 0xff800000
	v_mov_b32_e32 v20, 0xff800000
	v_writelane_b32 v82, s81, 63
	s_and_b64 vcc, s[38:39], s[80:81]
	s_mov_b64 s[80:81], exec
                                        ; implicit-def: $vgpr80 : SGPR spill to VGPR lane
	v_writelane_b32 v80, vcc_lo, 0
	v_writelane_b32 v80, vcc_hi, 1
	s_and_b64 vcc, s[80:81], vcc
	s_mov_b64 exec, vcc
	s_cbranch_execz .LBB719_108
; %bb.107:
	v_add_co_u32_e32 v10, vcc, 0x1000, v6
	v_addc_co_u32_e32 v11, vcc, 0, v7, vcc
	global_load_dword v20, v[10:11], off offset:2560
.LBB719_108:
	s_or_b64 exec, exec, s[80:81]
	v_add_u32_e32 v3, 0x6a0, v2
	v_cmp_gt_i32_e64 s[80:81], s42, v3
	v_writelane_b32 v80, s80, 2
	v_writelane_b32 v80, s81, 3
	s_and_b64 vcc, s[38:39], s[80:81]
	s_mov_b64 s[80:81], exec
	v_writelane_b32 v80, vcc_lo, 4
	v_writelane_b32 v80, vcc_hi, 5
	s_and_b64 vcc, s[80:81], vcc
	s_mov_b64 exec, vcc
	s_cbranch_execz .LBB719_110
; %bb.109:
	v_add_co_u32_e32 v10, vcc, 0x1000, v6
	v_addc_co_u32_e32 v11, vcc, 0, v7, vcc
	global_load_dword v18, v[10:11], off offset:2688
.LBB719_110:
	s_or_b64 exec, exec, s[80:81]
	v_add_u32_e32 v3, 0x6c0, v2
	v_cmp_gt_i32_e64 s[80:81], s42, v3
	v_writelane_b32 v80, s80, 6
	v_mov_b32_e32 v17, 0xff800000
	v_mov_b32_e32 v19, 0xff800000
	v_writelane_b32 v80, s81, 7
	s_and_b64 vcc, s[38:39], s[80:81]
	s_mov_b64 s[80:81], exec
	v_writelane_b32 v80, vcc_lo, 8
	v_writelane_b32 v80, vcc_hi, 9
	s_and_b64 vcc, s[80:81], vcc
	s_mov_b64 exec, vcc
	s_cbranch_execz .LBB719_112
; %bb.111:
	v_add_co_u32_e32 v10, vcc, 0x1000, v6
	v_addc_co_u32_e32 v11, vcc, 0, v7, vcc
	global_load_dword v19, v[10:11], off offset:2816
.LBB719_112:
	s_or_b64 exec, exec, s[80:81]
	v_add_u32_e32 v3, 0x6e0, v2
	v_cmp_gt_i32_e64 s[80:81], s42, v3
	v_writelane_b32 v80, s80, 10
	v_writelane_b32 v80, s81, 11
	s_and_b64 vcc, s[38:39], s[80:81]
	s_mov_b64 s[80:81], exec
	v_writelane_b32 v80, vcc_lo, 12
	v_writelane_b32 v80, vcc_hi, 13
	s_and_b64 vcc, s[80:81], vcc
	s_mov_b64 exec, vcc
	s_cbranch_execz .LBB719_114
; %bb.113:
	v_add_co_u32_e32 v10, vcc, 0x1000, v6
	v_addc_co_u32_e32 v11, vcc, 0, v7, vcc
	global_load_dword v17, v[10:11], off offset:2944
.LBB719_114:
	s_or_b64 exec, exec, s[80:81]
	v_add_u32_e32 v3, 0x700, v2
	v_cmp_gt_i32_e64 s[80:81], s42, v3
	v_writelane_b32 v80, s80, 14
	v_mov_b32_e32 v15, 0xff800000
	v_mov_b32_e32 v16, 0xff800000
	v_writelane_b32 v80, s81, 15
	s_and_b64 vcc, s[38:39], s[80:81]
	s_mov_b64 s[80:81], exec
	;; [unrolled: 36-line block ×5, first 2 shown]
	v_writelane_b32 v80, vcc_lo, 40
	v_writelane_b32 v80, vcc_hi, 41
	s_and_b64 vcc, s[80:81], vcc
	s_mov_b64 exec, vcc
	s_cbranch_execz .LBB719_128
; %bb.127:
	v_add_co_u32_e32 v74, vcc, 0x1000, v6
	v_addc_co_u32_e32 v75, vcc, 0, v7, vcc
	global_load_dword v10, v[74:75], off offset:3840
.LBB719_128:
	s_or_b64 exec, exec, s[80:81]
	v_add_u32_e32 v2, 0x7e0, v2
	v_cmp_gt_i32_e64 s[42:43], s42, v2
	v_writelane_b32 v80, s42, 42
	v_writelane_b32 v80, s43, 43
	s_and_b64 s[42:43], s[38:39], s[42:43]
	s_mov_b64 s[38:39], exec
	v_writelane_b32 v80, s42, 44
	v_writelane_b32 v80, s43, 45
	s_and_b64 s[42:43], s[38:39], s[42:43]
	s_mov_b64 exec, s[42:43]
	s_cbranch_execz .LBB719_130
; %bb.129:
	v_add_co_u32_e32 v2, vcc, 0x1000, v6
	v_addc_co_u32_e32 v3, vcc, 0, v7, vcc
	global_load_dword v9, v[2:3], off offset:3968
.LBB719_130:
	s_or_b64 exec, exec, s[38:39]
	s_load_dwordx2 s[4:5], s[4:5], 0x20
	s_waitcnt lgkmcnt(0)
	v_mov_b32_e32 v3, s5
	v_add_co_u32_e32 v2, vcc, s4, v4
	v_addc_co_u32_e32 v3, vcc, v3, v5, vcc
	s_mov_b64 s[4:5], 0
	s_and_saveexec_b64 s[38:39], s[78:79]
	s_cbranch_execnz .LBB719_173
; %bb.131:
	s_or_b64 exec, exec, s[38:39]
	s_waitcnt vmcnt(0)
	v_mov_b32_e32 v4, v72
	s_and_saveexec_b64 s[42:43], s[76:77]
	s_cbranch_execnz .LBB719_174
.LBB719_132:
	s_or_b64 exec, exec, s[42:43]
	s_and_saveexec_b64 s[42:43], s[74:75]
	s_cbranch_execnz .LBB719_177
.LBB719_133:
	s_or_b64 exec, exec, s[42:43]
	s_and_saveexec_b64 s[42:43], s[72:73]
	s_cbranch_execnz .LBB719_180
.LBB719_134:
	s_or_b64 exec, exec, s[42:43]
	s_and_saveexec_b64 s[42:43], s[70:71]
	s_cbranch_execnz .LBB719_183
.LBB719_135:
	s_or_b64 exec, exec, s[42:43]
	s_and_saveexec_b64 s[42:43], s[68:69]
	s_cbranch_execnz .LBB719_186
.LBB719_136:
	s_or_b64 exec, exec, s[42:43]
	s_and_saveexec_b64 s[42:43], s[66:67]
	s_cbranch_execnz .LBB719_189
.LBB719_137:
	s_or_b64 exec, exec, s[42:43]
	s_and_saveexec_b64 s[42:43], s[64:65]
	s_cbranch_execnz .LBB719_192
.LBB719_138:
	s_or_b64 exec, exec, s[42:43]
	s_and_saveexec_b64 s[42:43], s[62:63]
	s_cbranch_execnz .LBB719_195
.LBB719_139:
	s_or_b64 exec, exec, s[42:43]
	s_and_saveexec_b64 s[42:43], s[60:61]
	s_cbranch_execnz .LBB719_198
.LBB719_140:
	s_or_b64 exec, exec, s[42:43]
	s_and_saveexec_b64 s[42:43], s[58:59]
	s_cbranch_execnz .LBB719_201
.LBB719_141:
	s_or_b64 exec, exec, s[42:43]
	s_and_saveexec_b64 s[42:43], s[56:57]
	s_cbranch_execnz .LBB719_204
.LBB719_142:
	s_or_b64 exec, exec, s[42:43]
	s_and_saveexec_b64 s[42:43], s[54:55]
	s_cbranch_execnz .LBB719_207
.LBB719_143:
	s_or_b64 exec, exec, s[42:43]
	s_and_saveexec_b64 s[42:43], s[52:53]
	s_cbranch_execnz .LBB719_210
.LBB719_144:
	s_or_b64 exec, exec, s[42:43]
	s_and_saveexec_b64 s[42:43], s[50:51]
	s_cbranch_execnz .LBB719_213
.LBB719_145:
	s_or_b64 exec, exec, s[42:43]
	s_and_saveexec_b64 s[42:43], s[48:49]
	s_cbranch_execnz .LBB719_216
.LBB719_146:
	s_or_b64 exec, exec, s[42:43]
	s_and_saveexec_b64 s[42:43], s[46:47]
	s_cbranch_execnz .LBB719_219
.LBB719_147:
	s_or_b64 exec, exec, s[42:43]
	s_and_saveexec_b64 s[42:43], s[44:45]
	s_cbranch_execnz .LBB719_222
.LBB719_148:
	s_or_b64 exec, exec, s[42:43]
	s_and_saveexec_b64 s[42:43], s[40:41]
	s_cbranch_execnz .LBB719_225
.LBB719_149:
	s_or_b64 exec, exec, s[42:43]
	s_and_saveexec_b64 s[42:43], s[34:35]
	s_cbranch_execnz .LBB719_228
.LBB719_150:
	s_or_b64 exec, exec, s[42:43]
	s_and_saveexec_b64 s[42:43], s[30:31]
	s_cbranch_execnz .LBB719_231
.LBB719_151:
	s_or_b64 exec, exec, s[42:43]
	s_and_saveexec_b64 s[42:43], s[28:29]
	s_cbranch_execnz .LBB719_234
.LBB719_152:
	s_or_b64 exec, exec, s[42:43]
	s_and_saveexec_b64 s[42:43], s[26:27]
	s_cbranch_execnz .LBB719_237
.LBB719_153:
	s_or_b64 exec, exec, s[42:43]
	s_and_saveexec_b64 s[42:43], s[24:25]
	s_cbranch_execnz .LBB719_240
.LBB719_154:
	s_or_b64 exec, exec, s[42:43]
	s_and_saveexec_b64 s[42:43], s[22:23]
	s_cbranch_execnz .LBB719_243
.LBB719_155:
	s_or_b64 exec, exec, s[42:43]
	s_and_saveexec_b64 s[42:43], s[20:21]
	s_cbranch_execnz .LBB719_246
.LBB719_156:
	s_or_b64 exec, exec, s[42:43]
	s_and_saveexec_b64 s[42:43], s[18:19]
	s_cbranch_execnz .LBB719_249
.LBB719_157:
	s_or_b64 exec, exec, s[42:43]
	s_and_saveexec_b64 s[42:43], s[16:17]
	s_cbranch_execnz .LBB719_252
.LBB719_158:
	s_or_b64 exec, exec, s[42:43]
	s_and_saveexec_b64 s[42:43], s[14:15]
	s_cbranch_execnz .LBB719_255
.LBB719_159:
	s_or_b64 exec, exec, s[42:43]
	s_and_saveexec_b64 s[42:43], s[12:13]
	s_cbranch_execnz .LBB719_258
.LBB719_160:
	s_or_b64 exec, exec, s[42:43]
	s_and_saveexec_b64 s[42:43], s[10:11]
	s_cbranch_execnz .LBB719_261
.LBB719_161:
	s_or_b64 exec, exec, s[42:43]
	s_and_saveexec_b64 s[42:43], s[8:9]
	s_cbranch_execnz .LBB719_264
.LBB719_162:
	s_or_b64 exec, exec, s[42:43]
	s_and_saveexec_b64 s[42:43], s[6:7]
	s_cbranch_execnz .LBB719_267
.LBB719_163:
	s_or_b64 exec, exec, s[42:43]
	s_and_saveexec_b64 s[42:43], s[36:37]
	s_cbranch_execnz .LBB719_270
.LBB719_164:
	s_or_b64 exec, exec, s[42:43]
	s_and_saveexec_b64 s[42:43], s[2:3]
	s_cbranch_execnz .LBB719_273
.LBB719_165:
	s_or_b64 exec, exec, s[42:43]
	s_and_saveexec_b64 s[42:43], s[0:1]
	s_cbranch_execnz .LBB719_276
.LBB719_166:
	s_or_b64 exec, exec, s[42:43]
	s_and_saveexec_b64 s[42:43], s[94:95]
	s_cbranch_execnz .LBB719_279
.LBB719_167:
	s_or_b64 exec, exec, s[42:43]
	s_and_saveexec_b64 s[42:43], s[92:93]
	s_cbranch_execnz .LBB719_282
.LBB719_168:
	s_or_b64 exec, exec, s[42:43]
	s_and_saveexec_b64 s[42:43], s[90:91]
	s_cbranch_execnz .LBB719_285
.LBB719_169:
	s_or_b64 exec, exec, s[42:43]
	s_and_saveexec_b64 s[42:43], s[88:89]
	s_cbranch_execnz .LBB719_288
.LBB719_170:
	s_or_b64 exec, exec, s[42:43]
	s_and_saveexec_b64 s[42:43], s[86:87]
	s_cbranch_execnz .LBB719_291
.LBB719_171:
	s_or_b64 exec, exec, s[42:43]
	s_and_saveexec_b64 s[42:43], s[84:85]
	s_cbranch_execnz .LBB719_294
.LBB719_172:
	s_or_b64 exec, exec, s[42:43]
	s_and_saveexec_b64 s[42:43], s[82:83]
	s_cbranch_execnz .LBB719_297
	s_branch .LBB719_300
.LBB719_173:
	global_load_ubyte v4, v[2:3], off
	s_waitcnt vmcnt(0)
	v_and_b32_e32 v4, 1, v4
	v_cmp_eq_u32_e32 vcc, 1, v4
	s_xor_b64 s[4:5], vcc, -1
	s_and_b64 s[4:5], s[4:5], exec
	s_or_b64 exec, exec, s[38:39]
	v_mov_b32_e32 v4, v72
	s_and_saveexec_b64 s[42:43], s[76:77]
	s_cbranch_execz .LBB719_132
.LBB719_174:
	global_load_ubyte v4, v[2:3], off offset:32
	s_mov_b64 s[38:39], s[4:5]
	s_waitcnt vmcnt(0)
	v_and_b32_e32 v4, 1, v4
	v_cmp_eq_u32_e32 vcc, 1, v4
	s_xor_b64 vcc, vcc, -1
	v_mov_b32_e32 v4, v72
	s_and_saveexec_b64 s[80:81], vcc
; %bb.175:
	v_cmp_gt_f32_e32 vcc, v72, v71
	s_and_b64 vcc, s[4:5], vcc
	v_cndmask_b32_e32 v4, v71, v72, vcc
	s_or_b64 s[38:39], s[4:5], exec
; %bb.176:
	s_or_b64 exec, exec, s[80:81]
	s_andn2_b64 s[4:5], s[4:5], exec
	s_and_b64 s[38:39], s[38:39], exec
	s_or_b64 s[4:5], s[4:5], s[38:39]
	s_or_b64 exec, exec, s[42:43]
	s_and_saveexec_b64 s[42:43], s[74:75]
	s_cbranch_execz .LBB719_133
.LBB719_177:
	global_load_ubyte v5, v[2:3], off offset:64
	s_mov_b64 s[38:39], s[4:5]
	s_waitcnt vmcnt(0)
	v_and_b32_e32 v5, 1, v5
	v_cmp_eq_u32_e32 vcc, 1, v5
	s_xor_b64 vcc, vcc, -1
	s_and_saveexec_b64 s[80:81], vcc
; %bb.178:
	v_cmp_gt_f32_e32 vcc, v4, v70
	s_and_b64 vcc, s[4:5], vcc
	v_cndmask_b32_e32 v4, v70, v4, vcc
	s_or_b64 s[38:39], s[4:5], exec
; %bb.179:
	s_or_b64 exec, exec, s[80:81]
	s_andn2_b64 s[4:5], s[4:5], exec
	s_and_b64 s[38:39], s[38:39], exec
	s_or_b64 s[4:5], s[4:5], s[38:39]
	s_or_b64 exec, exec, s[42:43]
	s_and_saveexec_b64 s[42:43], s[72:73]
	s_cbranch_execz .LBB719_134
.LBB719_180:
	global_load_ubyte v5, v[2:3], off offset:96
	s_mov_b64 s[38:39], s[4:5]
	s_waitcnt vmcnt(0)
	v_and_b32_e32 v5, 1, v5
	v_cmp_eq_u32_e32 vcc, 1, v5
	s_xor_b64 vcc, vcc, -1
	s_and_saveexec_b64 s[80:81], vcc
; %bb.181:
	v_cmp_gt_f32_e32 vcc, v4, v69
	s_and_b64 vcc, s[4:5], vcc
	v_cndmask_b32_e32 v4, v69, v4, vcc
	s_or_b64 s[38:39], s[4:5], exec
; %bb.182:
	s_or_b64 exec, exec, s[80:81]
	s_andn2_b64 s[4:5], s[4:5], exec
	s_and_b64 s[38:39], s[38:39], exec
	s_or_b64 s[4:5], s[4:5], s[38:39]
	s_or_b64 exec, exec, s[42:43]
	s_and_saveexec_b64 s[42:43], s[70:71]
	s_cbranch_execz .LBB719_135
.LBB719_183:
	global_load_ubyte v5, v[2:3], off offset:128
	s_mov_b64 s[38:39], s[4:5]
	s_waitcnt vmcnt(0)
	v_and_b32_e32 v5, 1, v5
	v_cmp_eq_u32_e32 vcc, 1, v5
	s_xor_b64 vcc, vcc, -1
	s_and_saveexec_b64 s[80:81], vcc
; %bb.184:
	v_cmp_gt_f32_e32 vcc, v4, v68
	s_and_b64 vcc, s[4:5], vcc
	v_cndmask_b32_e32 v4, v68, v4, vcc
	s_or_b64 s[38:39], s[4:5], exec
; %bb.185:
	s_or_b64 exec, exec, s[80:81]
	s_andn2_b64 s[4:5], s[4:5], exec
	s_and_b64 s[38:39], s[38:39], exec
	s_or_b64 s[4:5], s[4:5], s[38:39]
	s_or_b64 exec, exec, s[42:43]
	s_and_saveexec_b64 s[42:43], s[68:69]
	s_cbranch_execz .LBB719_136
.LBB719_186:
	global_load_ubyte v5, v[2:3], off offset:160
	s_mov_b64 s[38:39], s[4:5]
	s_waitcnt vmcnt(0)
	v_and_b32_e32 v5, 1, v5
	v_cmp_eq_u32_e32 vcc, 1, v5
	s_xor_b64 vcc, vcc, -1
	s_and_saveexec_b64 s[80:81], vcc
; %bb.187:
	v_cmp_gt_f32_e32 vcc, v4, v67
	s_and_b64 vcc, s[4:5], vcc
	v_cndmask_b32_e32 v4, v67, v4, vcc
	s_or_b64 s[38:39], s[4:5], exec
; %bb.188:
	s_or_b64 exec, exec, s[80:81]
	s_andn2_b64 s[4:5], s[4:5], exec
	s_and_b64 s[38:39], s[38:39], exec
	s_or_b64 s[4:5], s[4:5], s[38:39]
	s_or_b64 exec, exec, s[42:43]
	s_and_saveexec_b64 s[42:43], s[66:67]
	s_cbranch_execz .LBB719_137
.LBB719_189:
	global_load_ubyte v5, v[2:3], off offset:192
	s_mov_b64 s[38:39], s[4:5]
	s_waitcnt vmcnt(0)
	v_and_b32_e32 v5, 1, v5
	v_cmp_eq_u32_e32 vcc, 1, v5
	s_xor_b64 vcc, vcc, -1
	s_and_saveexec_b64 s[80:81], vcc
; %bb.190:
	v_cmp_gt_f32_e32 vcc, v4, v66
	s_and_b64 vcc, s[4:5], vcc
	v_cndmask_b32_e32 v4, v66, v4, vcc
	s_or_b64 s[38:39], s[4:5], exec
; %bb.191:
	s_or_b64 exec, exec, s[80:81]
	s_andn2_b64 s[4:5], s[4:5], exec
	s_and_b64 s[38:39], s[38:39], exec
	s_or_b64 s[4:5], s[4:5], s[38:39]
	s_or_b64 exec, exec, s[42:43]
	s_and_saveexec_b64 s[42:43], s[64:65]
	s_cbranch_execz .LBB719_138
.LBB719_192:
	global_load_ubyte v5, v[2:3], off offset:224
	s_mov_b64 s[38:39], s[4:5]
	s_waitcnt vmcnt(0)
	v_and_b32_e32 v5, 1, v5
	v_cmp_eq_u32_e32 vcc, 1, v5
	s_xor_b64 vcc, vcc, -1
	s_and_saveexec_b64 s[80:81], vcc
; %bb.193:
	v_cmp_gt_f32_e32 vcc, v4, v65
	s_and_b64 vcc, s[4:5], vcc
	v_cndmask_b32_e32 v4, v65, v4, vcc
	s_or_b64 s[38:39], s[4:5], exec
; %bb.194:
	s_or_b64 exec, exec, s[80:81]
	s_andn2_b64 s[4:5], s[4:5], exec
	s_and_b64 s[38:39], s[38:39], exec
	s_or_b64 s[4:5], s[4:5], s[38:39]
	s_or_b64 exec, exec, s[42:43]
	s_and_saveexec_b64 s[42:43], s[62:63]
	s_cbranch_execz .LBB719_139
.LBB719_195:
	global_load_ubyte v5, v[2:3], off offset:256
	s_mov_b64 s[38:39], s[4:5]
	s_waitcnt vmcnt(0)
	v_and_b32_e32 v5, 1, v5
	v_cmp_eq_u32_e32 vcc, 1, v5
	s_xor_b64 vcc, vcc, -1
	s_and_saveexec_b64 s[80:81], vcc
; %bb.196:
	v_cmp_gt_f32_e32 vcc, v4, v64
	s_and_b64 vcc, s[4:5], vcc
	v_cndmask_b32_e32 v4, v64, v4, vcc
	s_or_b64 s[38:39], s[4:5], exec
; %bb.197:
	s_or_b64 exec, exec, s[80:81]
	s_andn2_b64 s[4:5], s[4:5], exec
	s_and_b64 s[38:39], s[38:39], exec
	s_or_b64 s[4:5], s[4:5], s[38:39]
	s_or_b64 exec, exec, s[42:43]
	s_and_saveexec_b64 s[42:43], s[60:61]
	s_cbranch_execz .LBB719_140
.LBB719_198:
	global_load_ubyte v5, v[2:3], off offset:288
	s_mov_b64 s[38:39], s[4:5]
	s_waitcnt vmcnt(0)
	v_and_b32_e32 v5, 1, v5
	v_cmp_eq_u32_e32 vcc, 1, v5
	s_xor_b64 vcc, vcc, -1
	s_and_saveexec_b64 s[80:81], vcc
; %bb.199:
	v_cmp_gt_f32_e32 vcc, v4, v63
	s_and_b64 vcc, s[4:5], vcc
	v_cndmask_b32_e32 v4, v63, v4, vcc
	s_or_b64 s[38:39], s[4:5], exec
; %bb.200:
	s_or_b64 exec, exec, s[80:81]
	s_andn2_b64 s[4:5], s[4:5], exec
	s_and_b64 s[38:39], s[38:39], exec
	s_or_b64 s[4:5], s[4:5], s[38:39]
	s_or_b64 exec, exec, s[42:43]
	s_and_saveexec_b64 s[42:43], s[58:59]
	s_cbranch_execz .LBB719_141
.LBB719_201:
	global_load_ubyte v5, v[2:3], off offset:320
	s_mov_b64 s[38:39], s[4:5]
	s_waitcnt vmcnt(0)
	v_and_b32_e32 v5, 1, v5
	v_cmp_eq_u32_e32 vcc, 1, v5
	s_xor_b64 vcc, vcc, -1
	s_and_saveexec_b64 s[80:81], vcc
; %bb.202:
	v_cmp_gt_f32_e32 vcc, v4, v62
	s_and_b64 vcc, s[4:5], vcc
	v_cndmask_b32_e32 v4, v62, v4, vcc
	s_or_b64 s[38:39], s[4:5], exec
; %bb.203:
	s_or_b64 exec, exec, s[80:81]
	s_andn2_b64 s[4:5], s[4:5], exec
	s_and_b64 s[38:39], s[38:39], exec
	s_or_b64 s[4:5], s[4:5], s[38:39]
	s_or_b64 exec, exec, s[42:43]
	s_and_saveexec_b64 s[42:43], s[56:57]
	s_cbranch_execz .LBB719_142
.LBB719_204:
	global_load_ubyte v5, v[2:3], off offset:352
	s_mov_b64 s[38:39], s[4:5]
	s_waitcnt vmcnt(0)
	v_and_b32_e32 v5, 1, v5
	v_cmp_eq_u32_e32 vcc, 1, v5
	s_xor_b64 vcc, vcc, -1
	s_and_saveexec_b64 s[80:81], vcc
; %bb.205:
	v_cmp_gt_f32_e32 vcc, v4, v61
	s_and_b64 vcc, s[4:5], vcc
	v_cndmask_b32_e32 v4, v61, v4, vcc
	s_or_b64 s[38:39], s[4:5], exec
; %bb.206:
	s_or_b64 exec, exec, s[80:81]
	s_andn2_b64 s[4:5], s[4:5], exec
	s_and_b64 s[38:39], s[38:39], exec
	s_or_b64 s[4:5], s[4:5], s[38:39]
	s_or_b64 exec, exec, s[42:43]
	s_and_saveexec_b64 s[42:43], s[54:55]
	s_cbranch_execz .LBB719_143
.LBB719_207:
	global_load_ubyte v5, v[2:3], off offset:384
	s_mov_b64 s[38:39], s[4:5]
	s_waitcnt vmcnt(0)
	v_and_b32_e32 v5, 1, v5
	v_cmp_eq_u32_e32 vcc, 1, v5
	s_xor_b64 vcc, vcc, -1
	s_and_saveexec_b64 s[80:81], vcc
; %bb.208:
	v_cmp_gt_f32_e32 vcc, v4, v60
	s_and_b64 vcc, s[4:5], vcc
	v_cndmask_b32_e32 v4, v60, v4, vcc
	s_or_b64 s[38:39], s[4:5], exec
; %bb.209:
	s_or_b64 exec, exec, s[80:81]
	s_andn2_b64 s[4:5], s[4:5], exec
	s_and_b64 s[38:39], s[38:39], exec
	s_or_b64 s[4:5], s[4:5], s[38:39]
	s_or_b64 exec, exec, s[42:43]
	s_and_saveexec_b64 s[42:43], s[52:53]
	s_cbranch_execz .LBB719_144
.LBB719_210:
	global_load_ubyte v5, v[2:3], off offset:416
	s_mov_b64 s[38:39], s[4:5]
	s_waitcnt vmcnt(0)
	v_and_b32_e32 v5, 1, v5
	v_cmp_eq_u32_e32 vcc, 1, v5
	s_xor_b64 vcc, vcc, -1
	s_and_saveexec_b64 s[80:81], vcc
; %bb.211:
	v_cmp_gt_f32_e32 vcc, v4, v59
	s_and_b64 vcc, s[4:5], vcc
	v_cndmask_b32_e32 v4, v59, v4, vcc
	s_or_b64 s[38:39], s[4:5], exec
; %bb.212:
	s_or_b64 exec, exec, s[80:81]
	s_andn2_b64 s[4:5], s[4:5], exec
	s_and_b64 s[38:39], s[38:39], exec
	s_or_b64 s[4:5], s[4:5], s[38:39]
	s_or_b64 exec, exec, s[42:43]
	s_and_saveexec_b64 s[42:43], s[50:51]
	s_cbranch_execz .LBB719_145
.LBB719_213:
	global_load_ubyte v5, v[2:3], off offset:448
	s_mov_b64 s[38:39], s[4:5]
	s_waitcnt vmcnt(0)
	v_and_b32_e32 v5, 1, v5
	v_cmp_eq_u32_e32 vcc, 1, v5
	s_xor_b64 vcc, vcc, -1
	s_and_saveexec_b64 s[80:81], vcc
; %bb.214:
	v_cmp_gt_f32_e32 vcc, v4, v58
	s_and_b64 vcc, s[4:5], vcc
	v_cndmask_b32_e32 v4, v58, v4, vcc
	s_or_b64 s[38:39], s[4:5], exec
; %bb.215:
	s_or_b64 exec, exec, s[80:81]
	s_andn2_b64 s[4:5], s[4:5], exec
	s_and_b64 s[38:39], s[38:39], exec
	s_or_b64 s[4:5], s[4:5], s[38:39]
	s_or_b64 exec, exec, s[42:43]
	s_and_saveexec_b64 s[42:43], s[48:49]
	s_cbranch_execz .LBB719_146
.LBB719_216:
	global_load_ubyte v5, v[2:3], off offset:480
	s_mov_b64 s[38:39], s[4:5]
	s_waitcnt vmcnt(0)
	v_and_b32_e32 v5, 1, v5
	v_cmp_eq_u32_e32 vcc, 1, v5
	s_xor_b64 vcc, vcc, -1
	s_and_saveexec_b64 s[80:81], vcc
; %bb.217:
	v_cmp_gt_f32_e32 vcc, v4, v57
	s_and_b64 vcc, s[4:5], vcc
	v_cndmask_b32_e32 v4, v57, v4, vcc
	s_or_b64 s[38:39], s[4:5], exec
; %bb.218:
	s_or_b64 exec, exec, s[80:81]
	s_andn2_b64 s[4:5], s[4:5], exec
	s_and_b64 s[38:39], s[38:39], exec
	s_or_b64 s[4:5], s[4:5], s[38:39]
	s_or_b64 exec, exec, s[42:43]
	s_and_saveexec_b64 s[42:43], s[46:47]
	s_cbranch_execz .LBB719_147
.LBB719_219:
	global_load_ubyte v5, v[2:3], off offset:512
	s_mov_b64 s[38:39], s[4:5]
	s_waitcnt vmcnt(0)
	v_and_b32_e32 v5, 1, v5
	v_cmp_eq_u32_e32 vcc, 1, v5
	s_xor_b64 vcc, vcc, -1
	s_and_saveexec_b64 s[80:81], vcc
; %bb.220:
	v_cmp_gt_f32_e32 vcc, v4, v56
	s_and_b64 vcc, s[4:5], vcc
	v_cndmask_b32_e32 v4, v56, v4, vcc
	s_or_b64 s[38:39], s[4:5], exec
; %bb.221:
	s_or_b64 exec, exec, s[80:81]
	s_andn2_b64 s[4:5], s[4:5], exec
	s_and_b64 s[38:39], s[38:39], exec
	s_or_b64 s[4:5], s[4:5], s[38:39]
	s_or_b64 exec, exec, s[42:43]
	s_and_saveexec_b64 s[42:43], s[44:45]
	s_cbranch_execz .LBB719_148
.LBB719_222:
	global_load_ubyte v5, v[2:3], off offset:544
	s_mov_b64 s[38:39], s[4:5]
	s_waitcnt vmcnt(0)
	v_and_b32_e32 v5, 1, v5
	v_cmp_eq_u32_e32 vcc, 1, v5
	s_xor_b64 vcc, vcc, -1
	s_and_saveexec_b64 s[80:81], vcc
; %bb.223:
	v_cmp_gt_f32_e32 vcc, v4, v55
	s_and_b64 vcc, s[4:5], vcc
	v_cndmask_b32_e32 v4, v55, v4, vcc
	s_or_b64 s[38:39], s[4:5], exec
; %bb.224:
	s_or_b64 exec, exec, s[80:81]
	s_andn2_b64 s[4:5], s[4:5], exec
	s_and_b64 s[38:39], s[38:39], exec
	s_or_b64 s[4:5], s[4:5], s[38:39]
	s_or_b64 exec, exec, s[42:43]
	s_and_saveexec_b64 s[42:43], s[40:41]
	s_cbranch_execz .LBB719_149
.LBB719_225:
	global_load_ubyte v5, v[2:3], off offset:576
	s_mov_b64 s[38:39], s[4:5]
	s_waitcnt vmcnt(0)
	v_and_b32_e32 v5, 1, v5
	v_cmp_eq_u32_e32 vcc, 1, v5
	s_xor_b64 vcc, vcc, -1
	s_and_saveexec_b64 s[80:81], vcc
; %bb.226:
	v_cmp_gt_f32_e32 vcc, v4, v54
	s_and_b64 vcc, s[4:5], vcc
	v_cndmask_b32_e32 v4, v54, v4, vcc
	s_or_b64 s[38:39], s[4:5], exec
; %bb.227:
	s_or_b64 exec, exec, s[80:81]
	s_andn2_b64 s[4:5], s[4:5], exec
	s_and_b64 s[38:39], s[38:39], exec
	s_or_b64 s[4:5], s[4:5], s[38:39]
	s_or_b64 exec, exec, s[42:43]
	s_and_saveexec_b64 s[42:43], s[34:35]
	s_cbranch_execz .LBB719_150
.LBB719_228:
	global_load_ubyte v5, v[2:3], off offset:608
	s_mov_b64 s[38:39], s[4:5]
	s_waitcnt vmcnt(0)
	v_and_b32_e32 v5, 1, v5
	v_cmp_eq_u32_e32 vcc, 1, v5
	s_xor_b64 vcc, vcc, -1
	s_and_saveexec_b64 s[80:81], vcc
; %bb.229:
	v_cmp_gt_f32_e32 vcc, v4, v53
	s_and_b64 vcc, s[4:5], vcc
	v_cndmask_b32_e32 v4, v53, v4, vcc
	s_or_b64 s[38:39], s[4:5], exec
; %bb.230:
	s_or_b64 exec, exec, s[80:81]
	s_andn2_b64 s[4:5], s[4:5], exec
	s_and_b64 s[38:39], s[38:39], exec
	s_or_b64 s[4:5], s[4:5], s[38:39]
	s_or_b64 exec, exec, s[42:43]
	s_and_saveexec_b64 s[42:43], s[30:31]
	s_cbranch_execz .LBB719_151
.LBB719_231:
	global_load_ubyte v5, v[2:3], off offset:640
	s_mov_b64 s[38:39], s[4:5]
	s_waitcnt vmcnt(0)
	v_and_b32_e32 v5, 1, v5
	v_cmp_eq_u32_e32 vcc, 1, v5
	s_xor_b64 vcc, vcc, -1
	s_and_saveexec_b64 s[80:81], vcc
; %bb.232:
	v_cmp_gt_f32_e32 vcc, v4, v52
	s_and_b64 vcc, s[4:5], vcc
	v_cndmask_b32_e32 v4, v52, v4, vcc
	s_or_b64 s[38:39], s[4:5], exec
; %bb.233:
	s_or_b64 exec, exec, s[80:81]
	s_andn2_b64 s[4:5], s[4:5], exec
	s_and_b64 s[38:39], s[38:39], exec
	s_or_b64 s[4:5], s[4:5], s[38:39]
	s_or_b64 exec, exec, s[42:43]
	s_and_saveexec_b64 s[42:43], s[28:29]
	s_cbranch_execz .LBB719_152
.LBB719_234:
	global_load_ubyte v5, v[2:3], off offset:672
	s_mov_b64 s[38:39], s[4:5]
	s_waitcnt vmcnt(0)
	v_and_b32_e32 v5, 1, v5
	v_cmp_eq_u32_e32 vcc, 1, v5
	s_xor_b64 vcc, vcc, -1
	s_and_saveexec_b64 s[80:81], vcc
; %bb.235:
	v_cmp_gt_f32_e32 vcc, v4, v51
	s_and_b64 vcc, s[4:5], vcc
	v_cndmask_b32_e32 v4, v51, v4, vcc
	s_or_b64 s[38:39], s[4:5], exec
; %bb.236:
	s_or_b64 exec, exec, s[80:81]
	s_andn2_b64 s[4:5], s[4:5], exec
	s_and_b64 s[38:39], s[38:39], exec
	s_or_b64 s[4:5], s[4:5], s[38:39]
	s_or_b64 exec, exec, s[42:43]
	s_and_saveexec_b64 s[42:43], s[26:27]
	s_cbranch_execz .LBB719_153
.LBB719_237:
	global_load_ubyte v5, v[2:3], off offset:704
	s_mov_b64 s[38:39], s[4:5]
	s_waitcnt vmcnt(0)
	v_and_b32_e32 v5, 1, v5
	v_cmp_eq_u32_e32 vcc, 1, v5
	s_xor_b64 vcc, vcc, -1
	s_and_saveexec_b64 s[80:81], vcc
; %bb.238:
	v_cmp_gt_f32_e32 vcc, v4, v50
	s_and_b64 vcc, s[4:5], vcc
	v_cndmask_b32_e32 v4, v50, v4, vcc
	s_or_b64 s[38:39], s[4:5], exec
; %bb.239:
	s_or_b64 exec, exec, s[80:81]
	s_andn2_b64 s[4:5], s[4:5], exec
	s_and_b64 s[38:39], s[38:39], exec
	s_or_b64 s[4:5], s[4:5], s[38:39]
	s_or_b64 exec, exec, s[42:43]
	s_and_saveexec_b64 s[42:43], s[24:25]
	s_cbranch_execz .LBB719_154
.LBB719_240:
	global_load_ubyte v5, v[2:3], off offset:736
	s_mov_b64 s[38:39], s[4:5]
	s_waitcnt vmcnt(0)
	v_and_b32_e32 v5, 1, v5
	v_cmp_eq_u32_e32 vcc, 1, v5
	s_xor_b64 vcc, vcc, -1
	s_and_saveexec_b64 s[80:81], vcc
; %bb.241:
	v_cmp_gt_f32_e32 vcc, v4, v49
	s_and_b64 vcc, s[4:5], vcc
	v_cndmask_b32_e32 v4, v49, v4, vcc
	s_or_b64 s[38:39], s[4:5], exec
; %bb.242:
	s_or_b64 exec, exec, s[80:81]
	s_andn2_b64 s[4:5], s[4:5], exec
	s_and_b64 s[38:39], s[38:39], exec
	s_or_b64 s[4:5], s[4:5], s[38:39]
	s_or_b64 exec, exec, s[42:43]
	s_and_saveexec_b64 s[42:43], s[22:23]
	s_cbranch_execz .LBB719_155
.LBB719_243:
	global_load_ubyte v5, v[2:3], off offset:768
	s_mov_b64 s[38:39], s[4:5]
	s_waitcnt vmcnt(0)
	v_and_b32_e32 v5, 1, v5
	v_cmp_eq_u32_e32 vcc, 1, v5
	s_xor_b64 vcc, vcc, -1
	s_and_saveexec_b64 s[80:81], vcc
; %bb.244:
	v_cmp_gt_f32_e32 vcc, v4, v48
	s_and_b64 vcc, s[4:5], vcc
	v_cndmask_b32_e32 v4, v48, v4, vcc
	s_or_b64 s[38:39], s[4:5], exec
; %bb.245:
	s_or_b64 exec, exec, s[80:81]
	s_andn2_b64 s[4:5], s[4:5], exec
	s_and_b64 s[38:39], s[38:39], exec
	s_or_b64 s[4:5], s[4:5], s[38:39]
	s_or_b64 exec, exec, s[42:43]
	s_and_saveexec_b64 s[42:43], s[20:21]
	s_cbranch_execz .LBB719_156
.LBB719_246:
	global_load_ubyte v5, v[2:3], off offset:800
	s_mov_b64 s[38:39], s[4:5]
	s_waitcnt vmcnt(0)
	v_and_b32_e32 v5, 1, v5
	v_cmp_eq_u32_e32 vcc, 1, v5
	s_xor_b64 vcc, vcc, -1
	s_and_saveexec_b64 s[80:81], vcc
; %bb.247:
	v_cmp_gt_f32_e32 vcc, v4, v47
	s_and_b64 vcc, s[4:5], vcc
	v_cndmask_b32_e32 v4, v47, v4, vcc
	s_or_b64 s[38:39], s[4:5], exec
; %bb.248:
	s_or_b64 exec, exec, s[80:81]
	s_andn2_b64 s[4:5], s[4:5], exec
	s_and_b64 s[38:39], s[38:39], exec
	s_or_b64 s[4:5], s[4:5], s[38:39]
	s_or_b64 exec, exec, s[42:43]
	s_and_saveexec_b64 s[42:43], s[18:19]
	s_cbranch_execz .LBB719_157
.LBB719_249:
	global_load_ubyte v5, v[2:3], off offset:832
	s_mov_b64 s[38:39], s[4:5]
	s_waitcnt vmcnt(0)
	v_and_b32_e32 v5, 1, v5
	v_cmp_eq_u32_e32 vcc, 1, v5
	s_xor_b64 vcc, vcc, -1
	s_and_saveexec_b64 s[80:81], vcc
; %bb.250:
	v_cmp_gt_f32_e32 vcc, v4, v46
	s_and_b64 vcc, s[4:5], vcc
	v_cndmask_b32_e32 v4, v46, v4, vcc
	s_or_b64 s[38:39], s[4:5], exec
; %bb.251:
	s_or_b64 exec, exec, s[80:81]
	s_andn2_b64 s[4:5], s[4:5], exec
	s_and_b64 s[38:39], s[38:39], exec
	s_or_b64 s[4:5], s[4:5], s[38:39]
	s_or_b64 exec, exec, s[42:43]
	s_and_saveexec_b64 s[42:43], s[16:17]
	s_cbranch_execz .LBB719_158
.LBB719_252:
	global_load_ubyte v5, v[2:3], off offset:864
	s_mov_b64 s[38:39], s[4:5]
	s_waitcnt vmcnt(0)
	v_and_b32_e32 v5, 1, v5
	v_cmp_eq_u32_e32 vcc, 1, v5
	s_xor_b64 vcc, vcc, -1
	s_and_saveexec_b64 s[80:81], vcc
; %bb.253:
	v_cmp_gt_f32_e32 vcc, v4, v45
	s_and_b64 vcc, s[4:5], vcc
	v_cndmask_b32_e32 v4, v45, v4, vcc
	s_or_b64 s[38:39], s[4:5], exec
; %bb.254:
	s_or_b64 exec, exec, s[80:81]
	s_andn2_b64 s[4:5], s[4:5], exec
	s_and_b64 s[38:39], s[38:39], exec
	s_or_b64 s[4:5], s[4:5], s[38:39]
	s_or_b64 exec, exec, s[42:43]
	s_and_saveexec_b64 s[42:43], s[14:15]
	s_cbranch_execz .LBB719_159
.LBB719_255:
	global_load_ubyte v5, v[2:3], off offset:896
	s_mov_b64 s[38:39], s[4:5]
	s_waitcnt vmcnt(0)
	v_and_b32_e32 v5, 1, v5
	v_cmp_eq_u32_e32 vcc, 1, v5
	s_xor_b64 vcc, vcc, -1
	s_and_saveexec_b64 s[80:81], vcc
; %bb.256:
	v_cmp_gt_f32_e32 vcc, v4, v44
	s_and_b64 vcc, s[4:5], vcc
	v_cndmask_b32_e32 v4, v44, v4, vcc
	s_or_b64 s[38:39], s[4:5], exec
; %bb.257:
	s_or_b64 exec, exec, s[80:81]
	s_andn2_b64 s[4:5], s[4:5], exec
	s_and_b64 s[38:39], s[38:39], exec
	s_or_b64 s[4:5], s[4:5], s[38:39]
	s_or_b64 exec, exec, s[42:43]
	s_and_saveexec_b64 s[42:43], s[12:13]
	s_cbranch_execz .LBB719_160
.LBB719_258:
	global_load_ubyte v5, v[2:3], off offset:928
	s_mov_b64 s[38:39], s[4:5]
	s_waitcnt vmcnt(0)
	v_and_b32_e32 v5, 1, v5
	v_cmp_eq_u32_e32 vcc, 1, v5
	s_xor_b64 vcc, vcc, -1
	s_and_saveexec_b64 s[80:81], vcc
; %bb.259:
	v_cmp_gt_f32_e32 vcc, v4, v43
	s_and_b64 vcc, s[4:5], vcc
	v_cndmask_b32_e32 v4, v43, v4, vcc
	s_or_b64 s[38:39], s[4:5], exec
; %bb.260:
	s_or_b64 exec, exec, s[80:81]
	s_andn2_b64 s[4:5], s[4:5], exec
	s_and_b64 s[38:39], s[38:39], exec
	s_or_b64 s[4:5], s[4:5], s[38:39]
	s_or_b64 exec, exec, s[42:43]
	s_and_saveexec_b64 s[42:43], s[10:11]
	s_cbranch_execz .LBB719_161
.LBB719_261:
	global_load_ubyte v5, v[2:3], off offset:960
	s_mov_b64 s[38:39], s[4:5]
	s_waitcnt vmcnt(0)
	v_and_b32_e32 v5, 1, v5
	v_cmp_eq_u32_e32 vcc, 1, v5
	s_xor_b64 vcc, vcc, -1
	s_and_saveexec_b64 s[80:81], vcc
; %bb.262:
	v_cmp_gt_f32_e32 vcc, v4, v42
	s_and_b64 vcc, s[4:5], vcc
	v_cndmask_b32_e32 v4, v42, v4, vcc
	s_or_b64 s[38:39], s[4:5], exec
; %bb.263:
	s_or_b64 exec, exec, s[80:81]
	s_andn2_b64 s[4:5], s[4:5], exec
	s_and_b64 s[38:39], s[38:39], exec
	s_or_b64 s[4:5], s[4:5], s[38:39]
	s_or_b64 exec, exec, s[42:43]
	s_and_saveexec_b64 s[42:43], s[8:9]
	s_cbranch_execz .LBB719_162
.LBB719_264:
	global_load_ubyte v5, v[2:3], off offset:992
	s_mov_b64 s[38:39], s[4:5]
	s_waitcnt vmcnt(0)
	v_and_b32_e32 v5, 1, v5
	v_cmp_eq_u32_e32 vcc, 1, v5
	s_xor_b64 vcc, vcc, -1
	s_and_saveexec_b64 s[80:81], vcc
; %bb.265:
	v_cmp_gt_f32_e32 vcc, v4, v41
	s_and_b64 vcc, s[4:5], vcc
	v_cndmask_b32_e32 v4, v41, v4, vcc
	s_or_b64 s[38:39], s[4:5], exec
; %bb.266:
	s_or_b64 exec, exec, s[80:81]
	s_andn2_b64 s[4:5], s[4:5], exec
	s_and_b64 s[38:39], s[38:39], exec
	s_or_b64 s[4:5], s[4:5], s[38:39]
	s_or_b64 exec, exec, s[42:43]
	s_and_saveexec_b64 s[42:43], s[6:7]
	s_cbranch_execz .LBB719_163
.LBB719_267:
	global_load_ubyte v5, v[2:3], off offset:1024
	s_mov_b64 s[38:39], s[4:5]
	s_waitcnt vmcnt(0)
	v_and_b32_e32 v5, 1, v5
	v_cmp_eq_u32_e32 vcc, 1, v5
	s_xor_b64 vcc, vcc, -1
	s_and_saveexec_b64 s[80:81], vcc
; %bb.268:
	v_cmp_gt_f32_e32 vcc, v4, v40
	s_and_b64 vcc, s[4:5], vcc
	v_cndmask_b32_e32 v4, v40, v4, vcc
	s_or_b64 s[38:39], s[4:5], exec
; %bb.269:
	s_or_b64 exec, exec, s[80:81]
	s_andn2_b64 s[4:5], s[4:5], exec
	s_and_b64 s[38:39], s[38:39], exec
	s_or_b64 s[4:5], s[4:5], s[38:39]
	s_or_b64 exec, exec, s[42:43]
	s_and_saveexec_b64 s[42:43], s[36:37]
	s_cbranch_execz .LBB719_164
.LBB719_270:
	global_load_ubyte v5, v[2:3], off offset:1056
	s_mov_b64 s[38:39], s[4:5]
	s_waitcnt vmcnt(0)
	v_and_b32_e32 v5, 1, v5
	v_cmp_eq_u32_e32 vcc, 1, v5
	s_xor_b64 vcc, vcc, -1
	s_and_saveexec_b64 s[80:81], vcc
; %bb.271:
	v_cmp_gt_f32_e32 vcc, v4, v39
	s_and_b64 vcc, s[4:5], vcc
	v_cndmask_b32_e32 v4, v39, v4, vcc
	s_or_b64 s[38:39], s[4:5], exec
; %bb.272:
	s_or_b64 exec, exec, s[80:81]
	s_andn2_b64 s[4:5], s[4:5], exec
	s_and_b64 s[38:39], s[38:39], exec
	s_or_b64 s[4:5], s[4:5], s[38:39]
	s_or_b64 exec, exec, s[42:43]
	s_and_saveexec_b64 s[42:43], s[2:3]
	s_cbranch_execz .LBB719_165
.LBB719_273:
	global_load_ubyte v5, v[2:3], off offset:1088
	s_mov_b64 s[38:39], s[4:5]
	s_waitcnt vmcnt(0)
	v_and_b32_e32 v5, 1, v5
	v_cmp_eq_u32_e32 vcc, 1, v5
	s_xor_b64 vcc, vcc, -1
	s_and_saveexec_b64 s[80:81], vcc
; %bb.274:
	v_cmp_gt_f32_e32 vcc, v4, v38
	s_and_b64 vcc, s[4:5], vcc
	v_cndmask_b32_e32 v4, v38, v4, vcc
	s_or_b64 s[38:39], s[4:5], exec
; %bb.275:
	s_or_b64 exec, exec, s[80:81]
	s_andn2_b64 s[4:5], s[4:5], exec
	s_and_b64 s[38:39], s[38:39], exec
	s_or_b64 s[4:5], s[4:5], s[38:39]
	s_or_b64 exec, exec, s[42:43]
	s_and_saveexec_b64 s[42:43], s[0:1]
	s_cbranch_execz .LBB719_166
.LBB719_276:
	global_load_ubyte v5, v[2:3], off offset:1120
	s_mov_b64 s[38:39], s[4:5]
	s_waitcnt vmcnt(0)
	v_and_b32_e32 v5, 1, v5
	v_cmp_eq_u32_e32 vcc, 1, v5
	s_xor_b64 vcc, vcc, -1
	s_and_saveexec_b64 s[80:81], vcc
; %bb.277:
	v_cmp_gt_f32_e32 vcc, v4, v37
	s_and_b64 vcc, s[4:5], vcc
	v_cndmask_b32_e32 v4, v37, v4, vcc
	s_or_b64 s[38:39], s[4:5], exec
; %bb.278:
	s_or_b64 exec, exec, s[80:81]
	s_andn2_b64 s[4:5], s[4:5], exec
	s_and_b64 s[38:39], s[38:39], exec
	s_or_b64 s[4:5], s[4:5], s[38:39]
	s_or_b64 exec, exec, s[42:43]
	s_and_saveexec_b64 s[42:43], s[94:95]
	s_cbranch_execz .LBB719_167
.LBB719_279:
	global_load_ubyte v5, v[2:3], off offset:1152
	s_mov_b64 s[38:39], s[4:5]
	s_waitcnt vmcnt(0)
	v_and_b32_e32 v5, 1, v5
	v_cmp_eq_u32_e32 vcc, 1, v5
	s_xor_b64 vcc, vcc, -1
	s_and_saveexec_b64 s[80:81], vcc
; %bb.280:
	v_cmp_gt_f32_e32 vcc, v4, v36
	s_and_b64 vcc, s[4:5], vcc
	v_cndmask_b32_e32 v4, v36, v4, vcc
	s_or_b64 s[38:39], s[4:5], exec
; %bb.281:
	s_or_b64 exec, exec, s[80:81]
	s_andn2_b64 s[4:5], s[4:5], exec
	s_and_b64 s[38:39], s[38:39], exec
	s_or_b64 s[4:5], s[4:5], s[38:39]
	s_or_b64 exec, exec, s[42:43]
	s_and_saveexec_b64 s[42:43], s[92:93]
	s_cbranch_execz .LBB719_168
.LBB719_282:
	global_load_ubyte v5, v[2:3], off offset:1184
	s_mov_b64 s[38:39], s[4:5]
	s_waitcnt vmcnt(0)
	v_and_b32_e32 v5, 1, v5
	v_cmp_eq_u32_e32 vcc, 1, v5
	s_xor_b64 vcc, vcc, -1
	s_and_saveexec_b64 s[80:81], vcc
; %bb.283:
	v_cmp_gt_f32_e32 vcc, v4, v35
	s_and_b64 vcc, s[4:5], vcc
	v_cndmask_b32_e32 v4, v35, v4, vcc
	s_or_b64 s[38:39], s[4:5], exec
; %bb.284:
	s_or_b64 exec, exec, s[80:81]
	s_andn2_b64 s[4:5], s[4:5], exec
	s_and_b64 s[38:39], s[38:39], exec
	s_or_b64 s[4:5], s[4:5], s[38:39]
	s_or_b64 exec, exec, s[42:43]
	s_and_saveexec_b64 s[42:43], s[90:91]
	s_cbranch_execz .LBB719_169
.LBB719_285:
	global_load_ubyte v5, v[2:3], off offset:1216
	s_mov_b64 s[38:39], s[4:5]
	s_waitcnt vmcnt(0)
	v_and_b32_e32 v5, 1, v5
	v_cmp_eq_u32_e32 vcc, 1, v5
	s_xor_b64 vcc, vcc, -1
	s_and_saveexec_b64 s[80:81], vcc
; %bb.286:
	v_cmp_gt_f32_e32 vcc, v4, v34
	s_and_b64 vcc, s[4:5], vcc
	v_cndmask_b32_e32 v4, v34, v4, vcc
	s_or_b64 s[38:39], s[4:5], exec
; %bb.287:
	s_or_b64 exec, exec, s[80:81]
	s_andn2_b64 s[4:5], s[4:5], exec
	s_and_b64 s[38:39], s[38:39], exec
	s_or_b64 s[4:5], s[4:5], s[38:39]
	s_or_b64 exec, exec, s[42:43]
	s_and_saveexec_b64 s[42:43], s[88:89]
	s_cbranch_execz .LBB719_170
.LBB719_288:
	global_load_ubyte v5, v[2:3], off offset:1248
	s_mov_b64 s[38:39], s[4:5]
	s_waitcnt vmcnt(0)
	v_and_b32_e32 v5, 1, v5
	v_cmp_eq_u32_e32 vcc, 1, v5
	s_xor_b64 vcc, vcc, -1
	s_and_saveexec_b64 s[80:81], vcc
; %bb.289:
	v_cmp_gt_f32_e32 vcc, v4, v33
	s_and_b64 vcc, s[4:5], vcc
	v_cndmask_b32_e32 v4, v33, v4, vcc
	s_or_b64 s[38:39], s[4:5], exec
; %bb.290:
	s_or_b64 exec, exec, s[80:81]
	s_andn2_b64 s[4:5], s[4:5], exec
	s_and_b64 s[38:39], s[38:39], exec
	s_or_b64 s[4:5], s[4:5], s[38:39]
	s_or_b64 exec, exec, s[42:43]
	s_and_saveexec_b64 s[42:43], s[86:87]
	s_cbranch_execz .LBB719_171
.LBB719_291:
	global_load_ubyte v5, v[2:3], off offset:1280
	s_mov_b64 s[38:39], s[4:5]
	s_waitcnt vmcnt(0)
	v_and_b32_e32 v5, 1, v5
	v_cmp_eq_u32_e32 vcc, 1, v5
	s_xor_b64 vcc, vcc, -1
	s_and_saveexec_b64 s[80:81], vcc
; %bb.292:
	v_cmp_gt_f32_e32 vcc, v4, v32
	s_and_b64 vcc, s[4:5], vcc
	v_cndmask_b32_e32 v4, v32, v4, vcc
	s_or_b64 s[38:39], s[4:5], exec
; %bb.293:
	s_or_b64 exec, exec, s[80:81]
	s_andn2_b64 s[4:5], s[4:5], exec
	s_and_b64 s[38:39], s[38:39], exec
	s_or_b64 s[4:5], s[4:5], s[38:39]
	s_or_b64 exec, exec, s[42:43]
	s_and_saveexec_b64 s[42:43], s[84:85]
	s_cbranch_execz .LBB719_172
.LBB719_294:
	global_load_ubyte v5, v[2:3], off offset:1312
	s_mov_b64 s[38:39], s[4:5]
	s_waitcnt vmcnt(0)
	v_and_b32_e32 v5, 1, v5
	v_cmp_eq_u32_e32 vcc, 1, v5
	s_xor_b64 vcc, vcc, -1
	s_and_saveexec_b64 s[80:81], vcc
; %bb.295:
	v_cmp_gt_f32_e32 vcc, v4, v31
	s_and_b64 vcc, s[4:5], vcc
	v_cndmask_b32_e32 v4, v31, v4, vcc
	s_or_b64 s[38:39], s[4:5], exec
; %bb.296:
	s_or_b64 exec, exec, s[80:81]
	s_andn2_b64 s[4:5], s[4:5], exec
	s_and_b64 s[38:39], s[38:39], exec
	s_or_b64 s[4:5], s[4:5], s[38:39]
	s_or_b64 exec, exec, s[42:43]
	s_and_saveexec_b64 s[42:43], s[82:83]
	s_cbranch_execz .LBB719_300
.LBB719_297:
	global_load_ubyte v5, v[2:3], off offset:1344
	s_mov_b64 s[38:39], s[4:5]
	s_waitcnt vmcnt(0)
	v_and_b32_e32 v5, 1, v5
	v_cmp_eq_u32_e32 vcc, 1, v5
	s_xor_b64 vcc, vcc, -1
	s_and_saveexec_b64 s[80:81], vcc
; %bb.298:
	v_cmp_gt_f32_e32 vcc, v4, v30
	s_and_b64 vcc, s[4:5], vcc
	v_cndmask_b32_e32 v4, v30, v4, vcc
	s_or_b64 s[38:39], s[4:5], exec
; %bb.299:
	s_or_b64 exec, exec, s[80:81]
	s_andn2_b64 s[4:5], s[4:5], exec
	s_and_b64 s[38:39], s[38:39], exec
	s_or_b64 s[4:5], s[4:5], s[38:39]
.LBB719_300:
	s_or_b64 exec, exec, s[42:43]
	s_mov_b64 s[42:43], exec
	v_readlane_b32 s38, v82, 28
	v_readlane_b32 s39, v82, 29
	s_and_b64 s[38:39], s[42:43], s[38:39]
	s_mov_b64 exec, s[38:39]
	s_cbranch_execz .LBB719_304
; %bb.301:
	global_load_ubyte v5, v[2:3], off offset:1376
	s_mov_b64 s[38:39], s[4:5]
	s_waitcnt vmcnt(0)
	v_and_b32_e32 v5, 1, v5
	v_cmp_eq_u32_e32 vcc, 1, v5
	s_xor_b64 vcc, vcc, -1
	s_and_saveexec_b64 s[80:81], vcc
; %bb.302:
	v_cmp_gt_f32_e32 vcc, v4, v29
	s_and_b64 vcc, s[4:5], vcc
	v_cndmask_b32_e32 v4, v29, v4, vcc
	s_or_b64 s[38:39], s[4:5], exec
; %bb.303:
	s_or_b64 exec, exec, s[80:81]
	s_andn2_b64 s[4:5], s[4:5], exec
	s_and_b64 s[38:39], s[38:39], exec
	s_or_b64 s[4:5], s[4:5], s[38:39]
.LBB719_304:
	s_or_b64 exec, exec, s[42:43]
	s_mov_b64 s[42:43], exec
	v_readlane_b32 s38, v82, 32
	v_readlane_b32 s39, v82, 33
	s_and_b64 s[38:39], s[42:43], s[38:39]
	s_mov_b64 exec, s[38:39]
	s_cbranch_execz .LBB719_308
; %bb.305:
	global_load_ubyte v5, v[2:3], off offset:1408
	s_mov_b64 s[38:39], s[4:5]
	s_waitcnt vmcnt(0)
	v_and_b32_e32 v5, 1, v5
	v_cmp_eq_u32_e32 vcc, 1, v5
	s_xor_b64 vcc, vcc, -1
	s_and_saveexec_b64 s[80:81], vcc
; %bb.306:
	v_cmp_gt_f32_e32 vcc, v4, v28
	s_and_b64 vcc, s[4:5], vcc
	v_cndmask_b32_e32 v4, v28, v4, vcc
	s_or_b64 s[38:39], s[4:5], exec
; %bb.307:
	s_or_b64 exec, exec, s[80:81]
	s_andn2_b64 s[4:5], s[4:5], exec
	s_and_b64 s[38:39], s[38:39], exec
	s_or_b64 s[4:5], s[4:5], s[38:39]
.LBB719_308:
	;; [unrolled: 26-line block ×21, first 2 shown]
	s_or_b64 exec, exec, s[42:43]
	v_mov_b32_e32 v5, 0xff800000
	v_cndmask_b32_e64 v4, v5, v4, s[4:5]
	v_mbcnt_lo_u32_b32 v5, -1, 0
	v_mbcnt_hi_u32_b32 v73, -1, v5
	v_and_b32_e32 v5, 0x60, v73
	v_add_u32_e32 v75, 32, v5
	v_xor_b32_e32 v5, 16, v73
	v_cmp_lt_i32_e32 vcc, v5, v75
	v_cndmask_b32_e32 v5, v73, v5, vcc
	v_lshlrev_b32_e32 v5, 2, v5
	ds_bpermute_b32 v6, v5, v4
	v_xor_b32_e32 v7, 8, v73
	v_xor_b32_e32 v74, 4, v73
	;; [unrolled: 1-line block ×4, first 2 shown]
	s_waitcnt lgkmcnt(0)
	v_cmp_lt_f32_e32 vcc, v4, v6
	v_cndmask_b32_e32 v4, v4, v6, vcc
	v_cmp_lt_i32_e32 vcc, v7, v75
	v_cndmask_b32_e32 v6, v73, v7, vcc
	v_lshlrev_b32_e32 v6, 2, v6
	ds_bpermute_b32 v7, v6, v4
	s_waitcnt lgkmcnt(0)
	v_cmp_lt_f32_e32 vcc, v4, v7
	v_cndmask_b32_e32 v4, v4, v7, vcc
	v_cmp_lt_i32_e32 vcc, v74, v75
	v_cndmask_b32_e32 v7, v73, v74, vcc
	v_lshlrev_b32_e32 v7, 2, v7
	ds_bpermute_b32 v74, v7, v4
	;; [unrolled: 7-line block ×4, first 2 shown]
	v_mov_b32_e32 v4, 0
	s_waitcnt lgkmcnt(0)
	v_cmp_lt_f32_e32 vcc, v76, v73
	v_cndmask_b32_e32 v76, v76, v73, vcc
	v_mov_b32_e32 v73, 0
	s_and_saveexec_b64 s[4:5], s[78:79]
	s_cbranch_execz .LBB719_388
; %bb.385:
	global_load_ubyte v73, v[2:3], off
	s_waitcnt vmcnt(0)
	v_and_b32_e32 v73, 1, v73
	v_cmp_eq_u32_e32 vcc, 1, v73
	s_xor_b64 s[38:39], vcc, -1
	v_mov_b32_e32 v73, 0
	s_and_saveexec_b64 s[42:43], s[38:39]
	s_cbranch_execz .LBB719_387
; %bb.386:
	v_sub_f32_e32 v72, v72, v76
	s_mov_b32 s33, 0x3fb8aa3b
	v_mul_f32_e32 v73, 0x3fb8aa3b, v72
	v_fma_f32 v77, v72, s33, -v73
	v_rndne_f32_e32 v78, v73
	v_fmac_f32_e32 v77, 0x32a5705f, v72
	v_sub_f32_e32 v73, v73, v78
	v_add_f32_e32 v73, v73, v77
	v_exp_f32_e32 v73, v73
	v_cvt_i32_f32_e32 v77, v78
	s_mov_b32 s33, 0xc2ce8ed0
	v_cmp_ngt_f32_e32 vcc, s33, v72
	s_mov_b32 s33, 0x42b17218
	v_ldexp_f32 v73, v73, v77
	v_cndmask_b32_e32 v73, 0, v73, vcc
	v_mov_b32_e32 v77, 0x7f800000
	v_cmp_nlt_f32_e32 vcc, s33, v72
	v_cndmask_b32_e32 v73, v77, v73, vcc
.LBB719_387:
	s_or_b64 exec, exec, s[42:43]
.LBB719_388:
	s_or_b64 exec, exec, s[4:5]
	v_mov_b32_e32 v77, v73
	s_and_saveexec_b64 s[4:5], s[76:77]
	s_cbranch_execz .LBB719_392
; %bb.389:
	global_load_ubyte v72, v[2:3], off offset:32
	v_mov_b32_e32 v4, 0
	v_mov_b32_e32 v77, v73
	s_waitcnt vmcnt(0)
	v_and_b32_e32 v72, 1, v72
	v_cmp_eq_u32_e32 vcc, 1, v72
	s_xor_b64 s[38:39], vcc, -1
	s_and_saveexec_b64 s[42:43], s[38:39]
	s_cbranch_execz .LBB719_391
; %bb.390:
	v_sub_f32_e32 v4, v71, v76
	s_mov_b32 s33, 0x3fb8aa3b
	v_mul_f32_e32 v71, 0x3fb8aa3b, v4
	v_fma_f32 v72, v4, s33, -v71
	v_rndne_f32_e32 v77, v71
	v_fmac_f32_e32 v72, 0x32a5705f, v4
	v_sub_f32_e32 v71, v71, v77
	v_add_f32_e32 v71, v71, v72
	v_exp_f32_e32 v71, v71
	v_cvt_i32_f32_e32 v72, v77
	s_mov_b32 s33, 0xc2ce8ed0
	v_cmp_ngt_f32_e32 vcc, s33, v4
	s_mov_b32 s33, 0x42b17218
	v_ldexp_f32 v71, v71, v72
	v_cndmask_b32_e32 v71, 0, v71, vcc
	v_mov_b32_e32 v72, 0x7f800000
	v_cmp_nlt_f32_e32 vcc, s33, v4
	v_cndmask_b32_e32 v4, v72, v71, vcc
	v_add_f32_e32 v77, v73, v4
.LBB719_391:
	s_or_b64 exec, exec, s[42:43]
.LBB719_392:
	s_or_b64 exec, exec, s[4:5]
	v_mov_b32_e32 v71, 0
	v_mov_b32_e32 v72, 0
	s_and_saveexec_b64 s[4:5], s[74:75]
	s_cbranch_execz .LBB719_396
; %bb.393:
	global_load_ubyte v72, v[2:3], off offset:64
	s_waitcnt vmcnt(0)
	v_and_b32_e32 v72, 1, v72
	v_cmp_eq_u32_e32 vcc, 1, v72
	s_xor_b64 s[38:39], vcc, -1
	v_mov_b32_e32 v72, 0
	s_and_saveexec_b64 s[42:43], s[38:39]
	s_cbranch_execz .LBB719_395
; %bb.394:
	v_sub_f32_e32 v70, v70, v76
	s_mov_b32 s33, 0x3fb8aa3b
	v_mul_f32_e32 v72, 0x3fb8aa3b, v70
	v_fma_f32 v78, v70, s33, -v72
	v_rndne_f32_e32 v79, v72
	v_fmac_f32_e32 v78, 0x32a5705f, v70
	v_sub_f32_e32 v72, v72, v79
	v_add_f32_e32 v72, v72, v78
	v_exp_f32_e32 v72, v72
	v_cvt_i32_f32_e32 v78, v79
	s_mov_b32 s33, 0xc2ce8ed0
	v_cmp_ngt_f32_e32 vcc, s33, v70
	s_mov_b32 s33, 0x42b17218
	v_ldexp_f32 v72, v72, v78
	v_cndmask_b32_e32 v72, 0, v72, vcc
	v_mov_b32_e32 v78, 0x7f800000
	v_cmp_nlt_f32_e32 vcc, s33, v70
	v_cndmask_b32_e32 v72, v78, v72, vcc
	v_add_f32_e32 v77, v77, v72
.LBB719_395:
	s_or_b64 exec, exec, s[42:43]
.LBB719_396:
	s_or_b64 exec, exec, s[4:5]
	s_and_saveexec_b64 s[4:5], s[72:73]
	s_cbranch_execz .LBB719_400
; %bb.397:
	global_load_ubyte v70, v[2:3], off offset:96
	v_mov_b32_e32 v71, 0
	s_waitcnt vmcnt(0)
	v_and_b32_e32 v70, 1, v70
	v_cmp_eq_u32_e32 vcc, 1, v70
	s_xor_b64 s[38:39], vcc, -1
	s_and_saveexec_b64 s[42:43], s[38:39]
	s_cbranch_execz .LBB719_399
; %bb.398:
	v_sub_f32_e32 v69, v69, v76
	s_mov_b32 s33, 0x3fb8aa3b
	v_mul_f32_e32 v70, 0x3fb8aa3b, v69
	v_fma_f32 v71, v69, s33, -v70
	v_rndne_f32_e32 v78, v70
	v_fmac_f32_e32 v71, 0x32a5705f, v69
	v_sub_f32_e32 v70, v70, v78
	v_add_f32_e32 v70, v70, v71
	v_exp_f32_e32 v70, v70
	v_cvt_i32_f32_e32 v71, v78
	s_mov_b32 s33, 0xc2ce8ed0
	v_cmp_ngt_f32_e32 vcc, s33, v69
	s_mov_b32 s33, 0x42b17218
	v_ldexp_f32 v70, v70, v71
	v_cndmask_b32_e32 v70, 0, v70, vcc
	v_mov_b32_e32 v71, 0x7f800000
	v_cmp_nlt_f32_e32 vcc, s33, v69
	v_cndmask_b32_e32 v71, v71, v70, vcc
	v_add_f32_e32 v77, v77, v71
.LBB719_399:
	s_or_b64 exec, exec, s[42:43]
.LBB719_400:
	s_or_b64 exec, exec, s[4:5]
	v_mov_b32_e32 v69, 0
	v_mov_b32_e32 v70, 0
	s_and_saveexec_b64 s[4:5], s[70:71]
	s_cbranch_execz .LBB719_404
; %bb.401:
	global_load_ubyte v70, v[2:3], off offset:128
	s_waitcnt vmcnt(0)
	v_and_b32_e32 v70, 1, v70
	v_cmp_eq_u32_e32 vcc, 1, v70
	s_xor_b64 s[38:39], vcc, -1
	v_mov_b32_e32 v70, 0
	s_and_saveexec_b64 s[42:43], s[38:39]
	s_cbranch_execz .LBB719_403
; %bb.402:
	v_sub_f32_e32 v68, v68, v76
	s_mov_b32 s33, 0x3fb8aa3b
	v_mul_f32_e32 v70, 0x3fb8aa3b, v68
	v_fma_f32 v78, v68, s33, -v70
	v_rndne_f32_e32 v79, v70
	v_fmac_f32_e32 v78, 0x32a5705f, v68
	v_sub_f32_e32 v70, v70, v79
	v_add_f32_e32 v70, v70, v78
	v_exp_f32_e32 v70, v70
	v_cvt_i32_f32_e32 v78, v79
	s_mov_b32 s33, 0xc2ce8ed0
	v_cmp_ngt_f32_e32 vcc, s33, v68
	s_mov_b32 s33, 0x42b17218
	v_ldexp_f32 v70, v70, v78
	v_cndmask_b32_e32 v70, 0, v70, vcc
	v_mov_b32_e32 v78, 0x7f800000
	v_cmp_nlt_f32_e32 vcc, s33, v68
	v_cndmask_b32_e32 v70, v78, v70, vcc
	v_add_f32_e32 v77, v77, v70
.LBB719_403:
	s_or_b64 exec, exec, s[42:43]
.LBB719_404:
	s_or_b64 exec, exec, s[4:5]
	s_and_saveexec_b64 s[4:5], s[68:69]
	s_cbranch_execz .LBB719_408
; %bb.405:
	global_load_ubyte v68, v[2:3], off offset:160
	v_mov_b32_e32 v69, 0
	s_waitcnt vmcnt(0)
	v_and_b32_e32 v68, 1, v68
	v_cmp_eq_u32_e32 vcc, 1, v68
	s_xor_b64 s[38:39], vcc, -1
	s_and_saveexec_b64 s[42:43], s[38:39]
	s_cbranch_execz .LBB719_407
; %bb.406:
	v_sub_f32_e32 v67, v67, v76
	s_mov_b32 s33, 0x3fb8aa3b
	v_mul_f32_e32 v68, 0x3fb8aa3b, v67
	v_fma_f32 v69, v67, s33, -v68
	v_rndne_f32_e32 v78, v68
	v_fmac_f32_e32 v69, 0x32a5705f, v67
	v_sub_f32_e32 v68, v68, v78
	v_add_f32_e32 v68, v68, v69
	v_exp_f32_e32 v68, v68
	v_cvt_i32_f32_e32 v69, v78
	s_mov_b32 s33, 0xc2ce8ed0
	v_cmp_ngt_f32_e32 vcc, s33, v67
	s_mov_b32 s33, 0x42b17218
	v_ldexp_f32 v68, v68, v69
	v_cndmask_b32_e32 v68, 0, v68, vcc
	v_mov_b32_e32 v69, 0x7f800000
	v_cmp_nlt_f32_e32 vcc, s33, v67
	v_cndmask_b32_e32 v69, v69, v68, vcc
	v_add_f32_e32 v77, v77, v69
.LBB719_407:
	s_or_b64 exec, exec, s[42:43]
.LBB719_408:
	s_or_b64 exec, exec, s[4:5]
	v_mov_b32_e32 v67, 0
	v_mov_b32_e32 v68, 0
	s_and_saveexec_b64 s[4:5], s[66:67]
	s_cbranch_execz .LBB719_412
; %bb.409:
	global_load_ubyte v68, v[2:3], off offset:192
	s_waitcnt vmcnt(0)
	v_and_b32_e32 v68, 1, v68
	v_cmp_eq_u32_e32 vcc, 1, v68
	s_xor_b64 s[38:39], vcc, -1
	v_mov_b32_e32 v68, 0
	s_and_saveexec_b64 s[42:43], s[38:39]
	s_cbranch_execz .LBB719_411
; %bb.410:
	v_sub_f32_e32 v66, v66, v76
	s_mov_b32 s33, 0x3fb8aa3b
	v_mul_f32_e32 v68, 0x3fb8aa3b, v66
	v_fma_f32 v78, v66, s33, -v68
	v_rndne_f32_e32 v79, v68
	v_fmac_f32_e32 v78, 0x32a5705f, v66
	v_sub_f32_e32 v68, v68, v79
	v_add_f32_e32 v68, v68, v78
	v_exp_f32_e32 v68, v68
	v_cvt_i32_f32_e32 v78, v79
	s_mov_b32 s33, 0xc2ce8ed0
	v_cmp_ngt_f32_e32 vcc, s33, v66
	s_mov_b32 s33, 0x42b17218
	v_ldexp_f32 v68, v68, v78
	v_cndmask_b32_e32 v68, 0, v68, vcc
	v_mov_b32_e32 v78, 0x7f800000
	v_cmp_nlt_f32_e32 vcc, s33, v66
	v_cndmask_b32_e32 v68, v78, v68, vcc
	v_add_f32_e32 v77, v77, v68
.LBB719_411:
	s_or_b64 exec, exec, s[42:43]
.LBB719_412:
	s_or_b64 exec, exec, s[4:5]
	s_and_saveexec_b64 s[4:5], s[64:65]
	s_cbranch_execz .LBB719_416
; %bb.413:
	global_load_ubyte v66, v[2:3], off offset:224
	v_mov_b32_e32 v67, 0
	s_waitcnt vmcnt(0)
	v_and_b32_e32 v66, 1, v66
	v_cmp_eq_u32_e32 vcc, 1, v66
	s_xor_b64 s[38:39], vcc, -1
	s_and_saveexec_b64 s[42:43], s[38:39]
	s_cbranch_execz .LBB719_415
; %bb.414:
	v_sub_f32_e32 v65, v65, v76
	s_mov_b32 s33, 0x3fb8aa3b
	v_mul_f32_e32 v66, 0x3fb8aa3b, v65
	v_fma_f32 v67, v65, s33, -v66
	v_rndne_f32_e32 v78, v66
	v_fmac_f32_e32 v67, 0x32a5705f, v65
	v_sub_f32_e32 v66, v66, v78
	v_add_f32_e32 v66, v66, v67
	v_exp_f32_e32 v66, v66
	v_cvt_i32_f32_e32 v67, v78
	s_mov_b32 s33, 0xc2ce8ed0
	v_cmp_ngt_f32_e32 vcc, s33, v65
	s_mov_b32 s33, 0x42b17218
	v_ldexp_f32 v66, v66, v67
	v_cndmask_b32_e32 v66, 0, v66, vcc
	v_mov_b32_e32 v67, 0x7f800000
	v_cmp_nlt_f32_e32 vcc, s33, v65
	v_cndmask_b32_e32 v67, v67, v66, vcc
	v_add_f32_e32 v77, v77, v67
.LBB719_415:
	s_or_b64 exec, exec, s[42:43]
.LBB719_416:
	s_or_b64 exec, exec, s[4:5]
	v_mov_b32_e32 v65, 0
	v_mov_b32_e32 v66, 0
	s_and_saveexec_b64 s[4:5], s[62:63]
	s_cbranch_execz .LBB719_420
; %bb.417:
	global_load_ubyte v66, v[2:3], off offset:256
	s_waitcnt vmcnt(0)
	v_and_b32_e32 v66, 1, v66
	v_cmp_eq_u32_e32 vcc, 1, v66
	s_xor_b64 s[38:39], vcc, -1
	v_mov_b32_e32 v66, 0
	s_and_saveexec_b64 s[42:43], s[38:39]
	s_cbranch_execz .LBB719_419
; %bb.418:
	v_sub_f32_e32 v64, v64, v76
	s_mov_b32 s33, 0x3fb8aa3b
	v_mul_f32_e32 v66, 0x3fb8aa3b, v64
	v_fma_f32 v78, v64, s33, -v66
	v_rndne_f32_e32 v79, v66
	v_fmac_f32_e32 v78, 0x32a5705f, v64
	v_sub_f32_e32 v66, v66, v79
	v_add_f32_e32 v66, v66, v78
	v_exp_f32_e32 v66, v66
	v_cvt_i32_f32_e32 v78, v79
	s_mov_b32 s33, 0xc2ce8ed0
	v_cmp_ngt_f32_e32 vcc, s33, v64
	s_mov_b32 s33, 0x42b17218
	v_ldexp_f32 v66, v66, v78
	v_cndmask_b32_e32 v66, 0, v66, vcc
	v_mov_b32_e32 v78, 0x7f800000
	v_cmp_nlt_f32_e32 vcc, s33, v64
	v_cndmask_b32_e32 v66, v78, v66, vcc
	v_add_f32_e32 v77, v77, v66
.LBB719_419:
	s_or_b64 exec, exec, s[42:43]
.LBB719_420:
	s_or_b64 exec, exec, s[4:5]
	s_and_saveexec_b64 s[4:5], s[60:61]
	s_cbranch_execz .LBB719_424
; %bb.421:
	global_load_ubyte v64, v[2:3], off offset:288
	v_mov_b32_e32 v65, 0
	s_waitcnt vmcnt(0)
	v_and_b32_e32 v64, 1, v64
	v_cmp_eq_u32_e32 vcc, 1, v64
	s_xor_b64 s[38:39], vcc, -1
	s_and_saveexec_b64 s[42:43], s[38:39]
	s_cbranch_execz .LBB719_423
; %bb.422:
	v_sub_f32_e32 v63, v63, v76
	s_mov_b32 s33, 0x3fb8aa3b
	v_mul_f32_e32 v64, 0x3fb8aa3b, v63
	v_fma_f32 v65, v63, s33, -v64
	v_rndne_f32_e32 v78, v64
	v_fmac_f32_e32 v65, 0x32a5705f, v63
	v_sub_f32_e32 v64, v64, v78
	v_add_f32_e32 v64, v64, v65
	v_exp_f32_e32 v64, v64
	v_cvt_i32_f32_e32 v65, v78
	s_mov_b32 s33, 0xc2ce8ed0
	v_cmp_ngt_f32_e32 vcc, s33, v63
	s_mov_b32 s33, 0x42b17218
	v_ldexp_f32 v64, v64, v65
	v_cndmask_b32_e32 v64, 0, v64, vcc
	v_mov_b32_e32 v65, 0x7f800000
	v_cmp_nlt_f32_e32 vcc, s33, v63
	v_cndmask_b32_e32 v65, v65, v64, vcc
	v_add_f32_e32 v77, v77, v65
.LBB719_423:
	s_or_b64 exec, exec, s[42:43]
.LBB719_424:
	s_or_b64 exec, exec, s[4:5]
	v_mov_b32_e32 v63, 0
	v_mov_b32_e32 v64, 0
	s_and_saveexec_b64 s[4:5], s[58:59]
	s_cbranch_execz .LBB719_428
; %bb.425:
	global_load_ubyte v64, v[2:3], off offset:320
	s_waitcnt vmcnt(0)
	v_and_b32_e32 v64, 1, v64
	v_cmp_eq_u32_e32 vcc, 1, v64
	s_xor_b64 s[38:39], vcc, -1
	v_mov_b32_e32 v64, 0
	s_and_saveexec_b64 s[42:43], s[38:39]
	s_cbranch_execz .LBB719_427
; %bb.426:
	v_sub_f32_e32 v62, v62, v76
	s_mov_b32 s33, 0x3fb8aa3b
	v_mul_f32_e32 v64, 0x3fb8aa3b, v62
	v_fma_f32 v78, v62, s33, -v64
	v_rndne_f32_e32 v79, v64
	v_fmac_f32_e32 v78, 0x32a5705f, v62
	v_sub_f32_e32 v64, v64, v79
	v_add_f32_e32 v64, v64, v78
	v_exp_f32_e32 v64, v64
	v_cvt_i32_f32_e32 v78, v79
	s_mov_b32 s33, 0xc2ce8ed0
	v_cmp_ngt_f32_e32 vcc, s33, v62
	s_mov_b32 s33, 0x42b17218
	v_ldexp_f32 v64, v64, v78
	v_cndmask_b32_e32 v64, 0, v64, vcc
	v_mov_b32_e32 v78, 0x7f800000
	v_cmp_nlt_f32_e32 vcc, s33, v62
	v_cndmask_b32_e32 v64, v78, v64, vcc
	v_add_f32_e32 v77, v77, v64
.LBB719_427:
	s_or_b64 exec, exec, s[42:43]
.LBB719_428:
	s_or_b64 exec, exec, s[4:5]
	s_and_saveexec_b64 s[4:5], s[56:57]
	s_cbranch_execz .LBB719_432
; %bb.429:
	global_load_ubyte v62, v[2:3], off offset:352
	v_mov_b32_e32 v63, 0
	s_waitcnt vmcnt(0)
	v_and_b32_e32 v62, 1, v62
	v_cmp_eq_u32_e32 vcc, 1, v62
	s_xor_b64 s[38:39], vcc, -1
	s_and_saveexec_b64 s[42:43], s[38:39]
	s_cbranch_execz .LBB719_431
; %bb.430:
	v_sub_f32_e32 v61, v61, v76
	s_mov_b32 s33, 0x3fb8aa3b
	v_mul_f32_e32 v62, 0x3fb8aa3b, v61
	v_fma_f32 v63, v61, s33, -v62
	v_rndne_f32_e32 v78, v62
	v_fmac_f32_e32 v63, 0x32a5705f, v61
	v_sub_f32_e32 v62, v62, v78
	v_add_f32_e32 v62, v62, v63
	v_exp_f32_e32 v62, v62
	v_cvt_i32_f32_e32 v63, v78
	s_mov_b32 s33, 0xc2ce8ed0
	v_cmp_ngt_f32_e32 vcc, s33, v61
	s_mov_b32 s33, 0x42b17218
	v_ldexp_f32 v62, v62, v63
	v_cndmask_b32_e32 v62, 0, v62, vcc
	v_mov_b32_e32 v63, 0x7f800000
	v_cmp_nlt_f32_e32 vcc, s33, v61
	v_cndmask_b32_e32 v63, v63, v62, vcc
	v_add_f32_e32 v77, v77, v63
.LBB719_431:
	s_or_b64 exec, exec, s[42:43]
.LBB719_432:
	s_or_b64 exec, exec, s[4:5]
	v_mov_b32_e32 v61, 0
	v_mov_b32_e32 v62, 0
	s_and_saveexec_b64 s[4:5], s[54:55]
	s_cbranch_execz .LBB719_436
; %bb.433:
	global_load_ubyte v62, v[2:3], off offset:384
	s_waitcnt vmcnt(0)
	v_and_b32_e32 v62, 1, v62
	v_cmp_eq_u32_e32 vcc, 1, v62
	s_xor_b64 s[38:39], vcc, -1
	v_mov_b32_e32 v62, 0
	s_and_saveexec_b64 s[42:43], s[38:39]
	s_cbranch_execz .LBB719_435
; %bb.434:
	v_sub_f32_e32 v60, v60, v76
	s_mov_b32 s33, 0x3fb8aa3b
	v_mul_f32_e32 v62, 0x3fb8aa3b, v60
	v_fma_f32 v78, v60, s33, -v62
	v_rndne_f32_e32 v79, v62
	v_fmac_f32_e32 v78, 0x32a5705f, v60
	v_sub_f32_e32 v62, v62, v79
	v_add_f32_e32 v62, v62, v78
	v_exp_f32_e32 v62, v62
	v_cvt_i32_f32_e32 v78, v79
	s_mov_b32 s33, 0xc2ce8ed0
	v_cmp_ngt_f32_e32 vcc, s33, v60
	s_mov_b32 s33, 0x42b17218
	v_ldexp_f32 v62, v62, v78
	v_cndmask_b32_e32 v62, 0, v62, vcc
	v_mov_b32_e32 v78, 0x7f800000
	v_cmp_nlt_f32_e32 vcc, s33, v60
	v_cndmask_b32_e32 v62, v78, v62, vcc
	v_add_f32_e32 v77, v77, v62
.LBB719_435:
	s_or_b64 exec, exec, s[42:43]
.LBB719_436:
	s_or_b64 exec, exec, s[4:5]
	s_and_saveexec_b64 s[4:5], s[52:53]
	s_cbranch_execz .LBB719_440
; %bb.437:
	global_load_ubyte v60, v[2:3], off offset:416
	v_mov_b32_e32 v61, 0
	s_waitcnt vmcnt(0)
	v_and_b32_e32 v60, 1, v60
	v_cmp_eq_u32_e32 vcc, 1, v60
	s_xor_b64 s[38:39], vcc, -1
	s_and_saveexec_b64 s[42:43], s[38:39]
	s_cbranch_execz .LBB719_439
; %bb.438:
	v_sub_f32_e32 v59, v59, v76
	s_mov_b32 s33, 0x3fb8aa3b
	v_mul_f32_e32 v60, 0x3fb8aa3b, v59
	v_fma_f32 v61, v59, s33, -v60
	v_rndne_f32_e32 v78, v60
	v_fmac_f32_e32 v61, 0x32a5705f, v59
	v_sub_f32_e32 v60, v60, v78
	v_add_f32_e32 v60, v60, v61
	v_exp_f32_e32 v60, v60
	v_cvt_i32_f32_e32 v61, v78
	s_mov_b32 s33, 0xc2ce8ed0
	v_cmp_ngt_f32_e32 vcc, s33, v59
	s_mov_b32 s33, 0x42b17218
	v_ldexp_f32 v60, v60, v61
	v_cndmask_b32_e32 v60, 0, v60, vcc
	v_mov_b32_e32 v61, 0x7f800000
	v_cmp_nlt_f32_e32 vcc, s33, v59
	v_cndmask_b32_e32 v61, v61, v60, vcc
	v_add_f32_e32 v77, v77, v61
.LBB719_439:
	s_or_b64 exec, exec, s[42:43]
.LBB719_440:
	s_or_b64 exec, exec, s[4:5]
	v_mov_b32_e32 v59, 0
	v_mov_b32_e32 v60, 0
	s_and_saveexec_b64 s[4:5], s[50:51]
	s_cbranch_execz .LBB719_444
; %bb.441:
	global_load_ubyte v60, v[2:3], off offset:448
	s_waitcnt vmcnt(0)
	v_and_b32_e32 v60, 1, v60
	v_cmp_eq_u32_e32 vcc, 1, v60
	s_xor_b64 s[38:39], vcc, -1
	v_mov_b32_e32 v60, 0
	s_and_saveexec_b64 s[42:43], s[38:39]
	s_cbranch_execz .LBB719_443
; %bb.442:
	v_sub_f32_e32 v58, v58, v76
	s_mov_b32 s33, 0x3fb8aa3b
	v_mul_f32_e32 v60, 0x3fb8aa3b, v58
	v_fma_f32 v78, v58, s33, -v60
	v_rndne_f32_e32 v79, v60
	v_fmac_f32_e32 v78, 0x32a5705f, v58
	v_sub_f32_e32 v60, v60, v79
	v_add_f32_e32 v60, v60, v78
	v_exp_f32_e32 v60, v60
	v_cvt_i32_f32_e32 v78, v79
	s_mov_b32 s33, 0xc2ce8ed0
	v_cmp_ngt_f32_e32 vcc, s33, v58
	s_mov_b32 s33, 0x42b17218
	v_ldexp_f32 v60, v60, v78
	v_cndmask_b32_e32 v60, 0, v60, vcc
	v_mov_b32_e32 v78, 0x7f800000
	v_cmp_nlt_f32_e32 vcc, s33, v58
	v_cndmask_b32_e32 v60, v78, v60, vcc
	v_add_f32_e32 v77, v77, v60
.LBB719_443:
	s_or_b64 exec, exec, s[42:43]
.LBB719_444:
	s_or_b64 exec, exec, s[4:5]
	s_and_saveexec_b64 s[4:5], s[48:49]
	s_cbranch_execz .LBB719_448
; %bb.445:
	global_load_ubyte v58, v[2:3], off offset:480
	v_mov_b32_e32 v59, 0
	s_waitcnt vmcnt(0)
	v_and_b32_e32 v58, 1, v58
	v_cmp_eq_u32_e32 vcc, 1, v58
	s_xor_b64 s[38:39], vcc, -1
	s_and_saveexec_b64 s[42:43], s[38:39]
	s_cbranch_execz .LBB719_447
; %bb.446:
	v_sub_f32_e32 v57, v57, v76
	s_mov_b32 s33, 0x3fb8aa3b
	v_mul_f32_e32 v58, 0x3fb8aa3b, v57
	v_fma_f32 v59, v57, s33, -v58
	v_rndne_f32_e32 v78, v58
	v_fmac_f32_e32 v59, 0x32a5705f, v57
	v_sub_f32_e32 v58, v58, v78
	v_add_f32_e32 v58, v58, v59
	v_exp_f32_e32 v58, v58
	v_cvt_i32_f32_e32 v59, v78
	s_mov_b32 s33, 0xc2ce8ed0
	v_cmp_ngt_f32_e32 vcc, s33, v57
	s_mov_b32 s33, 0x42b17218
	v_ldexp_f32 v58, v58, v59
	v_cndmask_b32_e32 v58, 0, v58, vcc
	v_mov_b32_e32 v59, 0x7f800000
	v_cmp_nlt_f32_e32 vcc, s33, v57
	v_cndmask_b32_e32 v59, v59, v58, vcc
	v_add_f32_e32 v77, v77, v59
.LBB719_447:
	s_or_b64 exec, exec, s[42:43]
.LBB719_448:
	s_or_b64 exec, exec, s[4:5]
	v_mov_b32_e32 v57, 0
	v_mov_b32_e32 v58, 0
	s_and_saveexec_b64 s[4:5], s[46:47]
	s_cbranch_execz .LBB719_452
; %bb.449:
	global_load_ubyte v58, v[2:3], off offset:512
	s_waitcnt vmcnt(0)
	v_and_b32_e32 v58, 1, v58
	v_cmp_eq_u32_e32 vcc, 1, v58
	s_xor_b64 s[38:39], vcc, -1
	v_mov_b32_e32 v58, 0
	s_and_saveexec_b64 s[42:43], s[38:39]
	s_cbranch_execz .LBB719_451
; %bb.450:
	v_sub_f32_e32 v56, v56, v76
	s_mov_b32 s33, 0x3fb8aa3b
	v_mul_f32_e32 v58, 0x3fb8aa3b, v56
	v_fma_f32 v78, v56, s33, -v58
	v_rndne_f32_e32 v79, v58
	v_fmac_f32_e32 v78, 0x32a5705f, v56
	v_sub_f32_e32 v58, v58, v79
	v_add_f32_e32 v58, v58, v78
	v_exp_f32_e32 v58, v58
	v_cvt_i32_f32_e32 v78, v79
	s_mov_b32 s33, 0xc2ce8ed0
	v_cmp_ngt_f32_e32 vcc, s33, v56
	s_mov_b32 s33, 0x42b17218
	v_ldexp_f32 v58, v58, v78
	v_cndmask_b32_e32 v58, 0, v58, vcc
	v_mov_b32_e32 v78, 0x7f800000
	v_cmp_nlt_f32_e32 vcc, s33, v56
	v_cndmask_b32_e32 v58, v78, v58, vcc
	v_add_f32_e32 v77, v77, v58
.LBB719_451:
	s_or_b64 exec, exec, s[42:43]
.LBB719_452:
	s_or_b64 exec, exec, s[4:5]
	s_and_saveexec_b64 s[4:5], s[44:45]
	s_cbranch_execz .LBB719_456
; %bb.453:
	global_load_ubyte v56, v[2:3], off offset:544
	v_mov_b32_e32 v57, 0
	s_waitcnt vmcnt(0)
	v_and_b32_e32 v56, 1, v56
	v_cmp_eq_u32_e32 vcc, 1, v56
	s_xor_b64 s[38:39], vcc, -1
	s_and_saveexec_b64 s[42:43], s[38:39]
	s_cbranch_execz .LBB719_455
; %bb.454:
	v_sub_f32_e32 v55, v55, v76
	s_mov_b32 s33, 0x3fb8aa3b
	v_mul_f32_e32 v56, 0x3fb8aa3b, v55
	v_fma_f32 v57, v55, s33, -v56
	v_rndne_f32_e32 v78, v56
	v_fmac_f32_e32 v57, 0x32a5705f, v55
	v_sub_f32_e32 v56, v56, v78
	v_add_f32_e32 v56, v56, v57
	v_exp_f32_e32 v56, v56
	v_cvt_i32_f32_e32 v57, v78
	s_mov_b32 s33, 0xc2ce8ed0
	v_cmp_ngt_f32_e32 vcc, s33, v55
	s_mov_b32 s33, 0x42b17218
	v_ldexp_f32 v56, v56, v57
	v_cndmask_b32_e32 v56, 0, v56, vcc
	v_mov_b32_e32 v57, 0x7f800000
	v_cmp_nlt_f32_e32 vcc, s33, v55
	v_cndmask_b32_e32 v57, v57, v56, vcc
	v_add_f32_e32 v77, v77, v57
.LBB719_455:
	s_or_b64 exec, exec, s[42:43]
.LBB719_456:
	s_or_b64 exec, exec, s[4:5]
	v_mov_b32_e32 v55, 0
	v_mov_b32_e32 v56, 0
	s_and_saveexec_b64 s[4:5], s[40:41]
	s_cbranch_execz .LBB719_460
; %bb.457:
	global_load_ubyte v56, v[2:3], off offset:576
	s_waitcnt vmcnt(0)
	v_and_b32_e32 v56, 1, v56
	v_cmp_eq_u32_e32 vcc, 1, v56
	s_xor_b64 s[38:39], vcc, -1
	v_mov_b32_e32 v56, 0
	s_and_saveexec_b64 s[40:41], s[38:39]
	s_cbranch_execz .LBB719_459
; %bb.458:
	v_sub_f32_e32 v54, v54, v76
	s_mov_b32 s33, 0x3fb8aa3b
	v_mul_f32_e32 v56, 0x3fb8aa3b, v54
	v_fma_f32 v78, v54, s33, -v56
	v_rndne_f32_e32 v79, v56
	v_fmac_f32_e32 v78, 0x32a5705f, v54
	v_sub_f32_e32 v56, v56, v79
	v_add_f32_e32 v56, v56, v78
	v_exp_f32_e32 v56, v56
	v_cvt_i32_f32_e32 v78, v79
	s_mov_b32 s33, 0xc2ce8ed0
	v_cmp_ngt_f32_e32 vcc, s33, v54
	s_mov_b32 s33, 0x42b17218
	v_ldexp_f32 v56, v56, v78
	v_cndmask_b32_e32 v56, 0, v56, vcc
	v_mov_b32_e32 v78, 0x7f800000
	v_cmp_nlt_f32_e32 vcc, s33, v54
	v_cndmask_b32_e32 v56, v78, v56, vcc
	v_add_f32_e32 v77, v77, v56
.LBB719_459:
	s_or_b64 exec, exec, s[40:41]
.LBB719_460:
	s_or_b64 exec, exec, s[4:5]
	s_and_saveexec_b64 s[4:5], s[34:35]
	s_cbranch_execz .LBB719_464
; %bb.461:
	global_load_ubyte v54, v[2:3], off offset:608
	v_mov_b32_e32 v55, 0
	s_waitcnt vmcnt(0)
	v_and_b32_e32 v54, 1, v54
	v_cmp_eq_u32_e32 vcc, 1, v54
	s_xor_b64 s[38:39], vcc, -1
	s_and_saveexec_b64 s[34:35], s[38:39]
	s_cbranch_execz .LBB719_463
; %bb.462:
	v_sub_f32_e32 v53, v53, v76
	s_mov_b32 s33, 0x3fb8aa3b
	v_mul_f32_e32 v54, 0x3fb8aa3b, v53
	v_fma_f32 v55, v53, s33, -v54
	v_rndne_f32_e32 v78, v54
	v_fmac_f32_e32 v55, 0x32a5705f, v53
	v_sub_f32_e32 v54, v54, v78
	v_add_f32_e32 v54, v54, v55
	v_exp_f32_e32 v54, v54
	v_cvt_i32_f32_e32 v55, v78
	s_mov_b32 s33, 0xc2ce8ed0
	v_cmp_ngt_f32_e32 vcc, s33, v53
	s_mov_b32 s33, 0x42b17218
	v_ldexp_f32 v54, v54, v55
	v_cndmask_b32_e32 v54, 0, v54, vcc
	v_mov_b32_e32 v55, 0x7f800000
	v_cmp_nlt_f32_e32 vcc, s33, v53
	v_cndmask_b32_e32 v55, v55, v54, vcc
	v_add_f32_e32 v77, v77, v55
.LBB719_463:
	s_or_b64 exec, exec, s[34:35]
.LBB719_464:
	s_or_b64 exec, exec, s[4:5]
	v_mov_b32_e32 v53, 0
	v_mov_b32_e32 v54, 0
	s_and_saveexec_b64 s[4:5], s[30:31]
	s_cbranch_execz .LBB719_468
; %bb.465:
	global_load_ubyte v54, v[2:3], off offset:640
	s_waitcnt vmcnt(0)
	v_and_b32_e32 v54, 1, v54
	v_cmp_eq_u32_e32 vcc, 1, v54
	s_xor_b64 s[34:35], vcc, -1
	v_mov_b32_e32 v54, 0
	s_and_saveexec_b64 s[30:31], s[34:35]
	s_cbranch_execz .LBB719_467
; %bb.466:
	v_sub_f32_e32 v52, v52, v76
	s_mov_b32 s33, 0x3fb8aa3b
	v_mul_f32_e32 v54, 0x3fb8aa3b, v52
	v_fma_f32 v78, v52, s33, -v54
	v_rndne_f32_e32 v79, v54
	v_fmac_f32_e32 v78, 0x32a5705f, v52
	v_sub_f32_e32 v54, v54, v79
	v_add_f32_e32 v54, v54, v78
	v_exp_f32_e32 v54, v54
	v_cvt_i32_f32_e32 v78, v79
	s_mov_b32 s33, 0xc2ce8ed0
	v_cmp_ngt_f32_e32 vcc, s33, v52
	s_mov_b32 s33, 0x42b17218
	v_ldexp_f32 v54, v54, v78
	v_cndmask_b32_e32 v54, 0, v54, vcc
	v_mov_b32_e32 v78, 0x7f800000
	v_cmp_nlt_f32_e32 vcc, s33, v52
	v_cndmask_b32_e32 v54, v78, v54, vcc
	v_add_f32_e32 v77, v77, v54
.LBB719_467:
	s_or_b64 exec, exec, s[30:31]
.LBB719_468:
	s_or_b64 exec, exec, s[4:5]
	s_and_saveexec_b64 s[4:5], s[28:29]
	s_cbranch_execz .LBB719_472
; %bb.469:
	global_load_ubyte v52, v[2:3], off offset:672
	v_mov_b32_e32 v53, 0
	s_waitcnt vmcnt(0)
	v_and_b32_e32 v52, 1, v52
	v_cmp_eq_u32_e32 vcc, 1, v52
	s_xor_b64 s[30:31], vcc, -1
	s_and_saveexec_b64 s[28:29], s[30:31]
	s_cbranch_execz .LBB719_471
; %bb.470:
	v_sub_f32_e32 v51, v51, v76
	s_mov_b32 s30, 0x3fb8aa3b
	v_mul_f32_e32 v52, 0x3fb8aa3b, v51
	v_fma_f32 v53, v51, s30, -v52
	v_rndne_f32_e32 v78, v52
	v_fmac_f32_e32 v53, 0x32a5705f, v51
	v_sub_f32_e32 v52, v52, v78
	v_add_f32_e32 v52, v52, v53
	v_exp_f32_e32 v52, v52
	v_cvt_i32_f32_e32 v53, v78
	s_mov_b32 s30, 0xc2ce8ed0
	v_cmp_ngt_f32_e32 vcc, s30, v51
	s_mov_b32 s30, 0x42b17218
	v_ldexp_f32 v52, v52, v53
	v_cndmask_b32_e32 v52, 0, v52, vcc
	v_mov_b32_e32 v53, 0x7f800000
	v_cmp_nlt_f32_e32 vcc, s30, v51
	v_cndmask_b32_e32 v53, v53, v52, vcc
	v_add_f32_e32 v77, v77, v53
.LBB719_471:
	s_or_b64 exec, exec, s[28:29]
.LBB719_472:
	s_or_b64 exec, exec, s[4:5]
	v_mov_b32_e32 v51, 0
	v_mov_b32_e32 v52, 0
	s_and_saveexec_b64 s[4:5], s[26:27]
	s_cbranch_execz .LBB719_476
; %bb.473:
	global_load_ubyte v52, v[2:3], off offset:704
	s_waitcnt vmcnt(0)
	v_and_b32_e32 v52, 1, v52
	v_cmp_eq_u32_e32 vcc, 1, v52
	s_xor_b64 s[28:29], vcc, -1
	v_mov_b32_e32 v52, 0
	s_and_saveexec_b64 s[26:27], s[28:29]
	s_cbranch_execz .LBB719_475
; %bb.474:
	v_sub_f32_e32 v50, v50, v76
	s_mov_b32 s28, 0x3fb8aa3b
	v_mul_f32_e32 v52, 0x3fb8aa3b, v50
	v_fma_f32 v78, v50, s28, -v52
	v_rndne_f32_e32 v79, v52
	v_fmac_f32_e32 v78, 0x32a5705f, v50
	v_sub_f32_e32 v52, v52, v79
	v_add_f32_e32 v52, v52, v78
	v_exp_f32_e32 v52, v52
	v_cvt_i32_f32_e32 v78, v79
	s_mov_b32 s28, 0xc2ce8ed0
	v_cmp_ngt_f32_e32 vcc, s28, v50
	s_mov_b32 s28, 0x42b17218
	v_ldexp_f32 v52, v52, v78
	v_cndmask_b32_e32 v52, 0, v52, vcc
	v_mov_b32_e32 v78, 0x7f800000
	v_cmp_nlt_f32_e32 vcc, s28, v50
	v_cndmask_b32_e32 v52, v78, v52, vcc
	v_add_f32_e32 v77, v77, v52
.LBB719_475:
	s_or_b64 exec, exec, s[26:27]
.LBB719_476:
	s_or_b64 exec, exec, s[4:5]
	s_and_saveexec_b64 s[4:5], s[24:25]
	s_cbranch_execz .LBB719_480
; %bb.477:
	global_load_ubyte v50, v[2:3], off offset:736
	v_mov_b32_e32 v51, 0
	s_waitcnt vmcnt(0)
	v_and_b32_e32 v50, 1, v50
	v_cmp_eq_u32_e32 vcc, 1, v50
	s_xor_b64 s[26:27], vcc, -1
	s_and_saveexec_b64 s[24:25], s[26:27]
	s_cbranch_execz .LBB719_479
; %bb.478:
	v_sub_f32_e32 v49, v49, v76
	s_mov_b32 s26, 0x3fb8aa3b
	v_mul_f32_e32 v50, 0x3fb8aa3b, v49
	v_fma_f32 v51, v49, s26, -v50
	v_rndne_f32_e32 v78, v50
	v_fmac_f32_e32 v51, 0x32a5705f, v49
	v_sub_f32_e32 v50, v50, v78
	v_add_f32_e32 v50, v50, v51
	v_exp_f32_e32 v50, v50
	v_cvt_i32_f32_e32 v51, v78
	s_mov_b32 s26, 0xc2ce8ed0
	v_cmp_ngt_f32_e32 vcc, s26, v49
	s_mov_b32 s26, 0x42b17218
	v_ldexp_f32 v50, v50, v51
	v_cndmask_b32_e32 v50, 0, v50, vcc
	v_mov_b32_e32 v51, 0x7f800000
	v_cmp_nlt_f32_e32 vcc, s26, v49
	v_cndmask_b32_e32 v51, v51, v50, vcc
	v_add_f32_e32 v77, v77, v51
.LBB719_479:
	s_or_b64 exec, exec, s[24:25]
.LBB719_480:
	s_or_b64 exec, exec, s[4:5]
	v_mov_b32_e32 v49, 0
	v_mov_b32_e32 v50, 0
	s_and_saveexec_b64 s[4:5], s[22:23]
	s_cbranch_execz .LBB719_484
; %bb.481:
	global_load_ubyte v50, v[2:3], off offset:768
	s_waitcnt vmcnt(0)
	v_and_b32_e32 v50, 1, v50
	v_cmp_eq_u32_e32 vcc, 1, v50
	s_xor_b64 s[24:25], vcc, -1
	v_mov_b32_e32 v50, 0
	s_and_saveexec_b64 s[22:23], s[24:25]
	s_cbranch_execz .LBB719_483
; %bb.482:
	v_sub_f32_e32 v48, v48, v76
	s_mov_b32 s24, 0x3fb8aa3b
	v_mul_f32_e32 v50, 0x3fb8aa3b, v48
	v_fma_f32 v78, v48, s24, -v50
	v_rndne_f32_e32 v79, v50
	v_fmac_f32_e32 v78, 0x32a5705f, v48
	v_sub_f32_e32 v50, v50, v79
	v_add_f32_e32 v50, v50, v78
	v_exp_f32_e32 v50, v50
	v_cvt_i32_f32_e32 v78, v79
	s_mov_b32 s24, 0xc2ce8ed0
	v_cmp_ngt_f32_e32 vcc, s24, v48
	s_mov_b32 s24, 0x42b17218
	v_ldexp_f32 v50, v50, v78
	v_cndmask_b32_e32 v50, 0, v50, vcc
	v_mov_b32_e32 v78, 0x7f800000
	v_cmp_nlt_f32_e32 vcc, s24, v48
	v_cndmask_b32_e32 v50, v78, v50, vcc
	v_add_f32_e32 v77, v77, v50
.LBB719_483:
	s_or_b64 exec, exec, s[22:23]
.LBB719_484:
	s_or_b64 exec, exec, s[4:5]
	s_and_saveexec_b64 s[4:5], s[20:21]
	s_cbranch_execz .LBB719_488
; %bb.485:
	global_load_ubyte v48, v[2:3], off offset:800
	v_mov_b32_e32 v49, 0
	s_waitcnt vmcnt(0)
	v_and_b32_e32 v48, 1, v48
	v_cmp_eq_u32_e32 vcc, 1, v48
	s_xor_b64 s[22:23], vcc, -1
	s_and_saveexec_b64 s[20:21], s[22:23]
	s_cbranch_execz .LBB719_487
; %bb.486:
	v_sub_f32_e32 v47, v47, v76
	s_mov_b32 s22, 0x3fb8aa3b
	v_mul_f32_e32 v48, 0x3fb8aa3b, v47
	v_fma_f32 v49, v47, s22, -v48
	v_rndne_f32_e32 v78, v48
	v_fmac_f32_e32 v49, 0x32a5705f, v47
	v_sub_f32_e32 v48, v48, v78
	v_add_f32_e32 v48, v48, v49
	v_exp_f32_e32 v48, v48
	v_cvt_i32_f32_e32 v49, v78
	s_mov_b32 s22, 0xc2ce8ed0
	v_cmp_ngt_f32_e32 vcc, s22, v47
	s_mov_b32 s22, 0x42b17218
	v_ldexp_f32 v48, v48, v49
	v_cndmask_b32_e32 v48, 0, v48, vcc
	v_mov_b32_e32 v49, 0x7f800000
	v_cmp_nlt_f32_e32 vcc, s22, v47
	v_cndmask_b32_e32 v49, v49, v48, vcc
	v_add_f32_e32 v77, v77, v49
.LBB719_487:
	s_or_b64 exec, exec, s[20:21]
.LBB719_488:
	s_or_b64 exec, exec, s[4:5]
	v_mov_b32_e32 v47, 0
	v_mov_b32_e32 v48, 0
	s_and_saveexec_b64 s[4:5], s[18:19]
	s_cbranch_execz .LBB719_492
; %bb.489:
	global_load_ubyte v48, v[2:3], off offset:832
	s_waitcnt vmcnt(0)
	v_and_b32_e32 v48, 1, v48
	v_cmp_eq_u32_e32 vcc, 1, v48
	s_xor_b64 s[20:21], vcc, -1
	v_mov_b32_e32 v48, 0
	s_and_saveexec_b64 s[18:19], s[20:21]
	s_cbranch_execz .LBB719_491
; %bb.490:
	v_sub_f32_e32 v46, v46, v76
	s_mov_b32 s20, 0x3fb8aa3b
	v_mul_f32_e32 v48, 0x3fb8aa3b, v46
	v_fma_f32 v78, v46, s20, -v48
	v_rndne_f32_e32 v79, v48
	v_fmac_f32_e32 v78, 0x32a5705f, v46
	v_sub_f32_e32 v48, v48, v79
	v_add_f32_e32 v48, v48, v78
	v_exp_f32_e32 v48, v48
	v_cvt_i32_f32_e32 v78, v79
	s_mov_b32 s20, 0xc2ce8ed0
	v_cmp_ngt_f32_e32 vcc, s20, v46
	s_mov_b32 s20, 0x42b17218
	v_ldexp_f32 v48, v48, v78
	v_cndmask_b32_e32 v48, 0, v48, vcc
	v_mov_b32_e32 v78, 0x7f800000
	v_cmp_nlt_f32_e32 vcc, s20, v46
	v_cndmask_b32_e32 v48, v78, v48, vcc
	v_add_f32_e32 v77, v77, v48
.LBB719_491:
	s_or_b64 exec, exec, s[18:19]
.LBB719_492:
	s_or_b64 exec, exec, s[4:5]
	s_and_saveexec_b64 s[4:5], s[16:17]
	s_cbranch_execz .LBB719_496
; %bb.493:
	global_load_ubyte v46, v[2:3], off offset:864
	v_mov_b32_e32 v47, 0
	s_waitcnt vmcnt(0)
	v_and_b32_e32 v46, 1, v46
	v_cmp_eq_u32_e32 vcc, 1, v46
	s_xor_b64 s[18:19], vcc, -1
	s_and_saveexec_b64 s[16:17], s[18:19]
	s_cbranch_execz .LBB719_495
; %bb.494:
	v_sub_f32_e32 v45, v45, v76
	s_mov_b32 s18, 0x3fb8aa3b
	v_mul_f32_e32 v46, 0x3fb8aa3b, v45
	v_fma_f32 v47, v45, s18, -v46
	v_rndne_f32_e32 v78, v46
	v_fmac_f32_e32 v47, 0x32a5705f, v45
	v_sub_f32_e32 v46, v46, v78
	v_add_f32_e32 v46, v46, v47
	v_exp_f32_e32 v46, v46
	v_cvt_i32_f32_e32 v47, v78
	s_mov_b32 s18, 0xc2ce8ed0
	v_cmp_ngt_f32_e32 vcc, s18, v45
	s_mov_b32 s18, 0x42b17218
	v_ldexp_f32 v46, v46, v47
	v_cndmask_b32_e32 v46, 0, v46, vcc
	v_mov_b32_e32 v47, 0x7f800000
	v_cmp_nlt_f32_e32 vcc, s18, v45
	v_cndmask_b32_e32 v47, v47, v46, vcc
	v_add_f32_e32 v77, v77, v47
.LBB719_495:
	s_or_b64 exec, exec, s[16:17]
.LBB719_496:
	s_or_b64 exec, exec, s[4:5]
	v_mov_b32_e32 v45, 0
	v_mov_b32_e32 v46, 0
	s_and_saveexec_b64 s[4:5], s[14:15]
	s_cbranch_execz .LBB719_500
; %bb.497:
	global_load_ubyte v46, v[2:3], off offset:896
	s_waitcnt vmcnt(0)
	v_and_b32_e32 v46, 1, v46
	v_cmp_eq_u32_e32 vcc, 1, v46
	s_xor_b64 s[16:17], vcc, -1
	v_mov_b32_e32 v46, 0
	s_and_saveexec_b64 s[14:15], s[16:17]
	s_cbranch_execz .LBB719_499
; %bb.498:
	v_sub_f32_e32 v44, v44, v76
	s_mov_b32 s16, 0x3fb8aa3b
	v_mul_f32_e32 v46, 0x3fb8aa3b, v44
	v_fma_f32 v78, v44, s16, -v46
	v_rndne_f32_e32 v79, v46
	v_fmac_f32_e32 v78, 0x32a5705f, v44
	v_sub_f32_e32 v46, v46, v79
	v_add_f32_e32 v46, v46, v78
	v_exp_f32_e32 v46, v46
	v_cvt_i32_f32_e32 v78, v79
	s_mov_b32 s16, 0xc2ce8ed0
	v_cmp_ngt_f32_e32 vcc, s16, v44
	s_mov_b32 s16, 0x42b17218
	v_ldexp_f32 v46, v46, v78
	v_cndmask_b32_e32 v46, 0, v46, vcc
	v_mov_b32_e32 v78, 0x7f800000
	v_cmp_nlt_f32_e32 vcc, s16, v44
	v_cndmask_b32_e32 v46, v78, v46, vcc
	v_add_f32_e32 v77, v77, v46
.LBB719_499:
	s_or_b64 exec, exec, s[14:15]
.LBB719_500:
	s_or_b64 exec, exec, s[4:5]
	s_and_saveexec_b64 s[4:5], s[12:13]
	s_cbranch_execz .LBB719_504
; %bb.501:
	global_load_ubyte v44, v[2:3], off offset:928
	v_mov_b32_e32 v45, 0
	s_waitcnt vmcnt(0)
	v_and_b32_e32 v44, 1, v44
	v_cmp_eq_u32_e32 vcc, 1, v44
	s_xor_b64 s[14:15], vcc, -1
	s_and_saveexec_b64 s[12:13], s[14:15]
	s_cbranch_execz .LBB719_503
; %bb.502:
	v_sub_f32_e32 v43, v43, v76
	s_mov_b32 s14, 0x3fb8aa3b
	v_mul_f32_e32 v44, 0x3fb8aa3b, v43
	v_fma_f32 v45, v43, s14, -v44
	v_rndne_f32_e32 v78, v44
	v_fmac_f32_e32 v45, 0x32a5705f, v43
	v_sub_f32_e32 v44, v44, v78
	v_add_f32_e32 v44, v44, v45
	v_exp_f32_e32 v44, v44
	v_cvt_i32_f32_e32 v45, v78
	s_mov_b32 s14, 0xc2ce8ed0
	v_cmp_ngt_f32_e32 vcc, s14, v43
	s_mov_b32 s14, 0x42b17218
	v_ldexp_f32 v44, v44, v45
	v_cndmask_b32_e32 v44, 0, v44, vcc
	v_mov_b32_e32 v45, 0x7f800000
	v_cmp_nlt_f32_e32 vcc, s14, v43
	v_cndmask_b32_e32 v45, v45, v44, vcc
	v_add_f32_e32 v77, v77, v45
.LBB719_503:
	s_or_b64 exec, exec, s[12:13]
.LBB719_504:
	s_or_b64 exec, exec, s[4:5]
	v_mov_b32_e32 v43, 0
	v_mov_b32_e32 v44, 0
	s_and_saveexec_b64 s[4:5], s[10:11]
	s_cbranch_execz .LBB719_508
; %bb.505:
	global_load_ubyte v44, v[2:3], off offset:960
	s_waitcnt vmcnt(0)
	v_and_b32_e32 v44, 1, v44
	v_cmp_eq_u32_e32 vcc, 1, v44
	s_xor_b64 s[12:13], vcc, -1
	v_mov_b32_e32 v44, 0
	s_and_saveexec_b64 s[10:11], s[12:13]
	s_cbranch_execz .LBB719_507
; %bb.506:
	v_sub_f32_e32 v42, v42, v76
	s_mov_b32 s12, 0x3fb8aa3b
	v_mul_f32_e32 v44, 0x3fb8aa3b, v42
	v_fma_f32 v78, v42, s12, -v44
	v_rndne_f32_e32 v79, v44
	v_fmac_f32_e32 v78, 0x32a5705f, v42
	v_sub_f32_e32 v44, v44, v79
	v_add_f32_e32 v44, v44, v78
	v_exp_f32_e32 v44, v44
	v_cvt_i32_f32_e32 v78, v79
	s_mov_b32 s12, 0xc2ce8ed0
	v_cmp_ngt_f32_e32 vcc, s12, v42
	s_mov_b32 s12, 0x42b17218
	v_ldexp_f32 v44, v44, v78
	v_cndmask_b32_e32 v44, 0, v44, vcc
	v_mov_b32_e32 v78, 0x7f800000
	v_cmp_nlt_f32_e32 vcc, s12, v42
	v_cndmask_b32_e32 v44, v78, v44, vcc
	v_add_f32_e32 v77, v77, v44
.LBB719_507:
	s_or_b64 exec, exec, s[10:11]
.LBB719_508:
	s_or_b64 exec, exec, s[4:5]
	s_and_saveexec_b64 s[4:5], s[8:9]
	s_cbranch_execz .LBB719_512
; %bb.509:
	global_load_ubyte v42, v[2:3], off offset:992
	v_mov_b32_e32 v43, 0
	s_waitcnt vmcnt(0)
	v_and_b32_e32 v42, 1, v42
	v_cmp_eq_u32_e32 vcc, 1, v42
	s_xor_b64 s[10:11], vcc, -1
	s_and_saveexec_b64 s[8:9], s[10:11]
	s_cbranch_execz .LBB719_511
; %bb.510:
	v_sub_f32_e32 v41, v41, v76
	s_mov_b32 s10, 0x3fb8aa3b
	v_mul_f32_e32 v42, 0x3fb8aa3b, v41
	v_fma_f32 v43, v41, s10, -v42
	v_rndne_f32_e32 v78, v42
	v_fmac_f32_e32 v43, 0x32a5705f, v41
	v_sub_f32_e32 v42, v42, v78
	v_add_f32_e32 v42, v42, v43
	v_exp_f32_e32 v42, v42
	v_cvt_i32_f32_e32 v43, v78
	s_mov_b32 s10, 0xc2ce8ed0
	v_cmp_ngt_f32_e32 vcc, s10, v41
	s_mov_b32 s10, 0x42b17218
	v_ldexp_f32 v42, v42, v43
	v_cndmask_b32_e32 v42, 0, v42, vcc
	v_mov_b32_e32 v43, 0x7f800000
	v_cmp_nlt_f32_e32 vcc, s10, v41
	v_cndmask_b32_e32 v43, v43, v42, vcc
	v_add_f32_e32 v77, v77, v43
.LBB719_511:
	s_or_b64 exec, exec, s[8:9]
.LBB719_512:
	s_or_b64 exec, exec, s[4:5]
	v_mov_b32_e32 v41, 0
	v_mov_b32_e32 v42, 0
	s_and_saveexec_b64 s[4:5], s[6:7]
	s_cbranch_execz .LBB719_516
; %bb.513:
	global_load_ubyte v42, v[2:3], off offset:1024
	s_waitcnt vmcnt(0)
	v_and_b32_e32 v42, 1, v42
	v_cmp_eq_u32_e32 vcc, 1, v42
	s_xor_b64 s[8:9], vcc, -1
	v_mov_b32_e32 v42, 0
	s_and_saveexec_b64 s[6:7], s[8:9]
	s_cbranch_execz .LBB719_515
; %bb.514:
	v_sub_f32_e32 v40, v40, v76
	s_mov_b32 s8, 0x3fb8aa3b
	v_mul_f32_e32 v42, 0x3fb8aa3b, v40
	v_fma_f32 v78, v40, s8, -v42
	v_rndne_f32_e32 v79, v42
	v_fmac_f32_e32 v78, 0x32a5705f, v40
	v_sub_f32_e32 v42, v42, v79
	v_add_f32_e32 v42, v42, v78
	v_exp_f32_e32 v42, v42
	v_cvt_i32_f32_e32 v78, v79
	s_mov_b32 s8, 0xc2ce8ed0
	v_cmp_ngt_f32_e32 vcc, s8, v40
	s_mov_b32 s8, 0x42b17218
	v_ldexp_f32 v42, v42, v78
	v_cndmask_b32_e32 v42, 0, v42, vcc
	v_mov_b32_e32 v78, 0x7f800000
	v_cmp_nlt_f32_e32 vcc, s8, v40
	v_cndmask_b32_e32 v42, v78, v42, vcc
	v_add_f32_e32 v77, v77, v42
.LBB719_515:
	s_or_b64 exec, exec, s[6:7]
.LBB719_516:
	s_or_b64 exec, exec, s[4:5]
	s_and_saveexec_b64 s[4:5], s[36:37]
	s_cbranch_execz .LBB719_520
; %bb.517:
	global_load_ubyte v40, v[2:3], off offset:1056
	v_mov_b32_e32 v41, 0
	s_waitcnt vmcnt(0)
	v_and_b32_e32 v40, 1, v40
	v_cmp_eq_u32_e32 vcc, 1, v40
	s_xor_b64 s[8:9], vcc, -1
	s_and_saveexec_b64 s[6:7], s[8:9]
	s_cbranch_execz .LBB719_519
; %bb.518:
	v_sub_f32_e32 v39, v39, v76
	s_mov_b32 s8, 0x3fb8aa3b
	v_mul_f32_e32 v40, 0x3fb8aa3b, v39
	v_fma_f32 v41, v39, s8, -v40
	v_rndne_f32_e32 v78, v40
	v_fmac_f32_e32 v41, 0x32a5705f, v39
	v_sub_f32_e32 v40, v40, v78
	v_add_f32_e32 v40, v40, v41
	v_exp_f32_e32 v40, v40
	v_cvt_i32_f32_e32 v41, v78
	s_mov_b32 s8, 0xc2ce8ed0
	v_cmp_ngt_f32_e32 vcc, s8, v39
	s_mov_b32 s8, 0x42b17218
	v_ldexp_f32 v40, v40, v41
	v_cndmask_b32_e32 v40, 0, v40, vcc
	v_mov_b32_e32 v41, 0x7f800000
	v_cmp_nlt_f32_e32 vcc, s8, v39
	v_cndmask_b32_e32 v41, v41, v40, vcc
	v_add_f32_e32 v77, v77, v41
.LBB719_519:
	s_or_b64 exec, exec, s[6:7]
.LBB719_520:
	s_or_b64 exec, exec, s[4:5]
	v_mov_b32_e32 v39, 0
	v_mov_b32_e32 v40, 0
	s_and_saveexec_b64 s[4:5], s[2:3]
	s_cbranch_execz .LBB719_524
; %bb.521:
	global_load_ubyte v40, v[2:3], off offset:1088
	s_waitcnt vmcnt(0)
	v_and_b32_e32 v40, 1, v40
	v_cmp_eq_u32_e32 vcc, 1, v40
	s_xor_b64 s[6:7], vcc, -1
	v_mov_b32_e32 v40, 0
	s_and_saveexec_b64 s[2:3], s[6:7]
	s_cbranch_execz .LBB719_523
; %bb.522:
	v_sub_f32_e32 v38, v38, v76
	s_mov_b32 s6, 0x3fb8aa3b
	v_mul_f32_e32 v40, 0x3fb8aa3b, v38
	v_fma_f32 v78, v38, s6, -v40
	v_rndne_f32_e32 v79, v40
	v_fmac_f32_e32 v78, 0x32a5705f, v38
	v_sub_f32_e32 v40, v40, v79
	v_add_f32_e32 v40, v40, v78
	v_exp_f32_e32 v40, v40
	v_cvt_i32_f32_e32 v78, v79
	s_mov_b32 s6, 0xc2ce8ed0
	v_cmp_ngt_f32_e32 vcc, s6, v38
	s_mov_b32 s6, 0x42b17218
	v_ldexp_f32 v40, v40, v78
	v_cndmask_b32_e32 v40, 0, v40, vcc
	v_mov_b32_e32 v78, 0x7f800000
	v_cmp_nlt_f32_e32 vcc, s6, v38
	v_cndmask_b32_e32 v40, v78, v40, vcc
	v_add_f32_e32 v77, v77, v40
.LBB719_523:
	s_or_b64 exec, exec, s[2:3]
.LBB719_524:
	s_or_b64 exec, exec, s[4:5]
	s_and_saveexec_b64 s[2:3], s[0:1]
	s_cbranch_execz .LBB719_528
; %bb.525:
	global_load_ubyte v38, v[2:3], off offset:1120
	v_mov_b32_e32 v39, 0
	s_waitcnt vmcnt(0)
	v_and_b32_e32 v38, 1, v38
	v_cmp_eq_u32_e32 vcc, 1, v38
	s_xor_b64 s[4:5], vcc, -1
	s_and_saveexec_b64 s[0:1], s[4:5]
	s_cbranch_execz .LBB719_527
; %bb.526:
	v_sub_f32_e32 v37, v37, v76
	s_mov_b32 s4, 0x3fb8aa3b
	v_mul_f32_e32 v38, 0x3fb8aa3b, v37
	v_fma_f32 v39, v37, s4, -v38
	v_rndne_f32_e32 v78, v38
	v_fmac_f32_e32 v39, 0x32a5705f, v37
	v_sub_f32_e32 v38, v38, v78
	v_add_f32_e32 v38, v38, v39
	v_exp_f32_e32 v38, v38
	v_cvt_i32_f32_e32 v39, v78
	s_mov_b32 s4, 0xc2ce8ed0
	v_cmp_ngt_f32_e32 vcc, s4, v37
	s_mov_b32 s4, 0x42b17218
	v_ldexp_f32 v38, v38, v39
	v_cndmask_b32_e32 v38, 0, v38, vcc
	v_mov_b32_e32 v39, 0x7f800000
	v_cmp_nlt_f32_e32 vcc, s4, v37
	v_cndmask_b32_e32 v39, v39, v38, vcc
	v_add_f32_e32 v77, v77, v39
.LBB719_527:
	s_or_b64 exec, exec, s[0:1]
.LBB719_528:
	s_or_b64 exec, exec, s[2:3]
	v_mov_b32_e32 v37, 0
	v_mov_b32_e32 v38, 0
	s_and_saveexec_b64 s[0:1], s[94:95]
	s_cbranch_execz .LBB719_532
; %bb.529:
	global_load_ubyte v38, v[2:3], off offset:1152
	s_waitcnt vmcnt(0)
	v_and_b32_e32 v38, 1, v38
	v_cmp_eq_u32_e32 vcc, 1, v38
	s_xor_b64 s[4:5], vcc, -1
	v_mov_b32_e32 v38, 0
	s_and_saveexec_b64 s[2:3], s[4:5]
	s_cbranch_execz .LBB719_531
; %bb.530:
	v_sub_f32_e32 v36, v36, v76
	s_mov_b32 s4, 0x3fb8aa3b
	v_mul_f32_e32 v38, 0x3fb8aa3b, v36
	v_fma_f32 v78, v36, s4, -v38
	v_rndne_f32_e32 v79, v38
	v_fmac_f32_e32 v78, 0x32a5705f, v36
	v_sub_f32_e32 v38, v38, v79
	v_add_f32_e32 v38, v38, v78
	v_exp_f32_e32 v38, v38
	v_cvt_i32_f32_e32 v78, v79
	s_mov_b32 s4, 0xc2ce8ed0
	v_cmp_ngt_f32_e32 vcc, s4, v36
	s_mov_b32 s4, 0x42b17218
	v_ldexp_f32 v38, v38, v78
	v_cndmask_b32_e32 v38, 0, v38, vcc
	v_mov_b32_e32 v78, 0x7f800000
	v_cmp_nlt_f32_e32 vcc, s4, v36
	v_cndmask_b32_e32 v38, v78, v38, vcc
	v_add_f32_e32 v77, v77, v38
.LBB719_531:
	s_or_b64 exec, exec, s[2:3]
.LBB719_532:
	s_or_b64 exec, exec, s[0:1]
	s_and_saveexec_b64 s[0:1], s[92:93]
	s_cbranch_execz .LBB719_536
; %bb.533:
	global_load_ubyte v36, v[2:3], off offset:1184
	v_mov_b32_e32 v37, 0
	s_waitcnt vmcnt(0)
	v_and_b32_e32 v36, 1, v36
	v_cmp_eq_u32_e32 vcc, 1, v36
	s_xor_b64 s[4:5], vcc, -1
	s_and_saveexec_b64 s[2:3], s[4:5]
	s_cbranch_execz .LBB719_535
; %bb.534:
	v_sub_f32_e32 v35, v35, v76
	s_mov_b32 s4, 0x3fb8aa3b
	v_mul_f32_e32 v36, 0x3fb8aa3b, v35
	v_fma_f32 v37, v35, s4, -v36
	v_rndne_f32_e32 v78, v36
	v_fmac_f32_e32 v37, 0x32a5705f, v35
	v_sub_f32_e32 v36, v36, v78
	v_add_f32_e32 v36, v36, v37
	v_exp_f32_e32 v36, v36
	v_cvt_i32_f32_e32 v37, v78
	s_mov_b32 s4, 0xc2ce8ed0
	v_cmp_ngt_f32_e32 vcc, s4, v35
	s_mov_b32 s4, 0x42b17218
	v_ldexp_f32 v36, v36, v37
	v_cndmask_b32_e32 v36, 0, v36, vcc
	v_mov_b32_e32 v37, 0x7f800000
	v_cmp_nlt_f32_e32 vcc, s4, v35
	v_cndmask_b32_e32 v37, v37, v36, vcc
	v_add_f32_e32 v77, v77, v37
.LBB719_535:
	s_or_b64 exec, exec, s[2:3]
.LBB719_536:
	s_or_b64 exec, exec, s[0:1]
	v_mov_b32_e32 v35, 0
	v_mov_b32_e32 v36, 0
	s_and_saveexec_b64 s[0:1], s[90:91]
	s_cbranch_execz .LBB719_540
; %bb.537:
	global_load_ubyte v36, v[2:3], off offset:1216
	s_waitcnt vmcnt(0)
	v_and_b32_e32 v36, 1, v36
	v_cmp_eq_u32_e32 vcc, 1, v36
	s_xor_b64 s[4:5], vcc, -1
	v_mov_b32_e32 v36, 0
	s_and_saveexec_b64 s[2:3], s[4:5]
	s_cbranch_execz .LBB719_539
; %bb.538:
	v_sub_f32_e32 v34, v34, v76
	s_mov_b32 s4, 0x3fb8aa3b
	v_mul_f32_e32 v36, 0x3fb8aa3b, v34
	v_fma_f32 v78, v34, s4, -v36
	v_rndne_f32_e32 v79, v36
	v_fmac_f32_e32 v78, 0x32a5705f, v34
	v_sub_f32_e32 v36, v36, v79
	v_add_f32_e32 v36, v36, v78
	v_exp_f32_e32 v36, v36
	v_cvt_i32_f32_e32 v78, v79
	s_mov_b32 s4, 0xc2ce8ed0
	v_cmp_ngt_f32_e32 vcc, s4, v34
	s_mov_b32 s4, 0x42b17218
	v_ldexp_f32 v36, v36, v78
	v_cndmask_b32_e32 v36, 0, v36, vcc
	v_mov_b32_e32 v78, 0x7f800000
	v_cmp_nlt_f32_e32 vcc, s4, v34
	v_cndmask_b32_e32 v36, v78, v36, vcc
	v_add_f32_e32 v77, v77, v36
.LBB719_539:
	s_or_b64 exec, exec, s[2:3]
.LBB719_540:
	s_or_b64 exec, exec, s[0:1]
	s_and_saveexec_b64 s[0:1], s[88:89]
	s_cbranch_execz .LBB719_544
; %bb.541:
	global_load_ubyte v34, v[2:3], off offset:1248
	v_mov_b32_e32 v35, 0
	s_waitcnt vmcnt(0)
	v_and_b32_e32 v34, 1, v34
	v_cmp_eq_u32_e32 vcc, 1, v34
	s_xor_b64 s[4:5], vcc, -1
	s_and_saveexec_b64 s[2:3], s[4:5]
	s_cbranch_execz .LBB719_543
; %bb.542:
	v_sub_f32_e32 v33, v33, v76
	s_mov_b32 s4, 0x3fb8aa3b
	v_mul_f32_e32 v34, 0x3fb8aa3b, v33
	v_fma_f32 v35, v33, s4, -v34
	v_rndne_f32_e32 v78, v34
	v_fmac_f32_e32 v35, 0x32a5705f, v33
	v_sub_f32_e32 v34, v34, v78
	v_add_f32_e32 v34, v34, v35
	v_exp_f32_e32 v34, v34
	v_cvt_i32_f32_e32 v35, v78
	s_mov_b32 s4, 0xc2ce8ed0
	v_cmp_ngt_f32_e32 vcc, s4, v33
	s_mov_b32 s4, 0x42b17218
	v_ldexp_f32 v34, v34, v35
	v_cndmask_b32_e32 v34, 0, v34, vcc
	v_mov_b32_e32 v35, 0x7f800000
	v_cmp_nlt_f32_e32 vcc, s4, v33
	v_cndmask_b32_e32 v35, v35, v34, vcc
	v_add_f32_e32 v77, v77, v35
.LBB719_543:
	s_or_b64 exec, exec, s[2:3]
.LBB719_544:
	s_or_b64 exec, exec, s[0:1]
	v_mov_b32_e32 v33, 0
	v_mov_b32_e32 v34, 0
	s_and_saveexec_b64 s[0:1], s[86:87]
	s_cbranch_execz .LBB719_548
; %bb.545:
	global_load_ubyte v34, v[2:3], off offset:1280
	s_waitcnt vmcnt(0)
	v_and_b32_e32 v34, 1, v34
	v_cmp_eq_u32_e32 vcc, 1, v34
	s_xor_b64 s[4:5], vcc, -1
	v_mov_b32_e32 v34, 0
	s_and_saveexec_b64 s[2:3], s[4:5]
	s_cbranch_execz .LBB719_547
; %bb.546:
	v_sub_f32_e32 v32, v32, v76
	s_mov_b32 s4, 0x3fb8aa3b
	v_mul_f32_e32 v34, 0x3fb8aa3b, v32
	v_fma_f32 v78, v32, s4, -v34
	v_rndne_f32_e32 v79, v34
	v_fmac_f32_e32 v78, 0x32a5705f, v32
	v_sub_f32_e32 v34, v34, v79
	v_add_f32_e32 v34, v34, v78
	v_exp_f32_e32 v34, v34
	v_cvt_i32_f32_e32 v78, v79
	s_mov_b32 s4, 0xc2ce8ed0
	v_cmp_ngt_f32_e32 vcc, s4, v32
	s_mov_b32 s4, 0x42b17218
	v_ldexp_f32 v34, v34, v78
	v_cndmask_b32_e32 v34, 0, v34, vcc
	v_mov_b32_e32 v78, 0x7f800000
	v_cmp_nlt_f32_e32 vcc, s4, v32
	v_cndmask_b32_e32 v34, v78, v34, vcc
	v_add_f32_e32 v77, v77, v34
.LBB719_547:
	s_or_b64 exec, exec, s[2:3]
.LBB719_548:
	s_or_b64 exec, exec, s[0:1]
	s_and_saveexec_b64 s[0:1], s[84:85]
	s_cbranch_execz .LBB719_552
; %bb.549:
	global_load_ubyte v32, v[2:3], off offset:1312
	v_mov_b32_e32 v33, 0
	s_waitcnt vmcnt(0)
	v_and_b32_e32 v32, 1, v32
	v_cmp_eq_u32_e32 vcc, 1, v32
	s_xor_b64 s[4:5], vcc, -1
	s_and_saveexec_b64 s[2:3], s[4:5]
	s_cbranch_execz .LBB719_551
; %bb.550:
	v_sub_f32_e32 v31, v31, v76
	s_mov_b32 s4, 0x3fb8aa3b
	v_mul_f32_e32 v32, 0x3fb8aa3b, v31
	v_fma_f32 v33, v31, s4, -v32
	v_rndne_f32_e32 v78, v32
	v_fmac_f32_e32 v33, 0x32a5705f, v31
	v_sub_f32_e32 v32, v32, v78
	v_add_f32_e32 v32, v32, v33
	v_exp_f32_e32 v32, v32
	v_cvt_i32_f32_e32 v33, v78
	s_mov_b32 s4, 0xc2ce8ed0
	v_cmp_ngt_f32_e32 vcc, s4, v31
	s_mov_b32 s4, 0x42b17218
	v_ldexp_f32 v32, v32, v33
	v_cndmask_b32_e32 v32, 0, v32, vcc
	v_mov_b32_e32 v33, 0x7f800000
	v_cmp_nlt_f32_e32 vcc, s4, v31
	v_cndmask_b32_e32 v33, v33, v32, vcc
	v_add_f32_e32 v77, v77, v33
.LBB719_551:
	s_or_b64 exec, exec, s[2:3]
.LBB719_552:
	s_or_b64 exec, exec, s[0:1]
	v_mov_b32_e32 v31, 0
	v_mov_b32_e32 v32, 0
	s_and_saveexec_b64 s[0:1], s[82:83]
	s_cbranch_execz .LBB719_556
; %bb.553:
	global_load_ubyte v32, v[2:3], off offset:1344
	s_waitcnt vmcnt(0)
	v_and_b32_e32 v32, 1, v32
	v_cmp_eq_u32_e32 vcc, 1, v32
	s_xor_b64 s[4:5], vcc, -1
	v_mov_b32_e32 v32, 0
	s_and_saveexec_b64 s[2:3], s[4:5]
	s_cbranch_execz .LBB719_555
; %bb.554:
	v_sub_f32_e32 v30, v30, v76
	s_mov_b32 s4, 0x3fb8aa3b
	v_mul_f32_e32 v32, 0x3fb8aa3b, v30
	v_fma_f32 v78, v30, s4, -v32
	v_rndne_f32_e32 v79, v32
	v_fmac_f32_e32 v78, 0x32a5705f, v30
	v_sub_f32_e32 v32, v32, v79
	v_add_f32_e32 v32, v32, v78
	v_exp_f32_e32 v32, v32
	v_cvt_i32_f32_e32 v78, v79
	s_mov_b32 s4, 0xc2ce8ed0
	v_cmp_ngt_f32_e32 vcc, s4, v30
	s_mov_b32 s4, 0x42b17218
	v_ldexp_f32 v32, v32, v78
	v_cndmask_b32_e32 v32, 0, v32, vcc
	v_mov_b32_e32 v78, 0x7f800000
	v_cmp_nlt_f32_e32 vcc, s4, v30
	v_cndmask_b32_e32 v32, v78, v32, vcc
	v_add_f32_e32 v77, v77, v32
.LBB719_555:
	s_or_b64 exec, exec, s[2:3]
.LBB719_556:
	s_or_b64 exec, exec, s[0:1]
	s_mov_b64 s[0:1], exec
	v_readlane_b32 s2, v82, 28
	v_readlane_b32 s3, v82, 29
	s_and_b64 s[2:3], s[0:1], s[2:3]
	s_mov_b64 exec, s[2:3]
	s_cbranch_execz .LBB719_560
; %bb.557:
	global_load_ubyte v30, v[2:3], off offset:1376
	v_mov_b32_e32 v31, 0
	s_waitcnt vmcnt(0)
	v_and_b32_e32 v30, 1, v30
	v_cmp_eq_u32_e32 vcc, 1, v30
	s_xor_b64 s[4:5], vcc, -1
	s_and_saveexec_b64 s[2:3], s[4:5]
	s_cbranch_execz .LBB719_559
; %bb.558:
	v_sub_f32_e32 v29, v29, v76
	s_mov_b32 s4, 0x3fb8aa3b
	v_mul_f32_e32 v30, 0x3fb8aa3b, v29
	v_fma_f32 v31, v29, s4, -v30
	v_rndne_f32_e32 v78, v30
	v_fmac_f32_e32 v31, 0x32a5705f, v29
	v_sub_f32_e32 v30, v30, v78
	v_add_f32_e32 v30, v30, v31
	v_exp_f32_e32 v30, v30
	v_cvt_i32_f32_e32 v31, v78
	s_mov_b32 s4, 0xc2ce8ed0
	v_cmp_ngt_f32_e32 vcc, s4, v29
	s_mov_b32 s4, 0x42b17218
	v_ldexp_f32 v30, v30, v31
	v_cndmask_b32_e32 v30, 0, v30, vcc
	v_mov_b32_e32 v31, 0x7f800000
	v_cmp_nlt_f32_e32 vcc, s4, v29
	v_cndmask_b32_e32 v31, v31, v30, vcc
	v_add_f32_e32 v77, v77, v31
.LBB719_559:
	s_or_b64 exec, exec, s[2:3]
.LBB719_560:
	s_or_b64 exec, exec, s[0:1]
	v_mov_b32_e32 v29, 0
	v_mov_b32_e32 v30, 0
	s_mov_b64 s[0:1], exec
	v_readlane_b32 s2, v82, 32
	v_readlane_b32 s3, v82, 33
	s_and_b64 s[2:3], s[0:1], s[2:3]
	s_mov_b64 exec, s[2:3]
	s_cbranch_execz .LBB719_564
; %bb.561:
	global_load_ubyte v30, v[2:3], off offset:1408
	s_waitcnt vmcnt(0)
	v_and_b32_e32 v30, 1, v30
	v_cmp_eq_u32_e32 vcc, 1, v30
	s_xor_b64 s[4:5], vcc, -1
	v_mov_b32_e32 v30, 0
	s_and_saveexec_b64 s[2:3], s[4:5]
	s_cbranch_execz .LBB719_563
; %bb.562:
	v_sub_f32_e32 v28, v28, v76
	s_mov_b32 s4, 0x3fb8aa3b
	v_mul_f32_e32 v30, 0x3fb8aa3b, v28
	v_fma_f32 v78, v28, s4, -v30
	v_rndne_f32_e32 v79, v30
	v_fmac_f32_e32 v78, 0x32a5705f, v28
	v_sub_f32_e32 v30, v30, v79
	v_add_f32_e32 v30, v30, v78
	v_exp_f32_e32 v30, v30
	v_cvt_i32_f32_e32 v78, v79
	s_mov_b32 s4, 0xc2ce8ed0
	v_cmp_ngt_f32_e32 vcc, s4, v28
	s_mov_b32 s4, 0x42b17218
	v_ldexp_f32 v30, v30, v78
	v_cndmask_b32_e32 v30, 0, v30, vcc
	v_mov_b32_e32 v78, 0x7f800000
	v_cmp_nlt_f32_e32 vcc, s4, v28
	v_cndmask_b32_e32 v30, v78, v30, vcc
	v_add_f32_e32 v77, v77, v30
.LBB719_563:
	s_or_b64 exec, exec, s[2:3]
.LBB719_564:
	s_or_b64 exec, exec, s[0:1]
	s_mov_b64 s[0:1], exec
	v_readlane_b32 s2, v82, 36
	v_readlane_b32 s3, v82, 37
	s_and_b64 s[2:3], s[0:1], s[2:3]
	s_mov_b64 exec, s[2:3]
	s_cbranch_execz .LBB719_568
; %bb.565:
	global_load_ubyte v28, v[2:3], off offset:1440
	v_mov_b32_e32 v29, 0
	s_waitcnt vmcnt(0)
	v_and_b32_e32 v28, 1, v28
	v_cmp_eq_u32_e32 vcc, 1, v28
	s_xor_b64 s[4:5], vcc, -1
	s_and_saveexec_b64 s[2:3], s[4:5]
	s_cbranch_execz .LBB719_567
; %bb.566:
	v_sub_f32_e32 v27, v27, v76
	s_mov_b32 s4, 0x3fb8aa3b
	v_mul_f32_e32 v28, 0x3fb8aa3b, v27
	v_fma_f32 v29, v27, s4, -v28
	v_rndne_f32_e32 v78, v28
	v_fmac_f32_e32 v29, 0x32a5705f, v27
	v_sub_f32_e32 v28, v28, v78
	v_add_f32_e32 v28, v28, v29
	v_exp_f32_e32 v28, v28
	v_cvt_i32_f32_e32 v29, v78
	s_mov_b32 s4, 0xc2ce8ed0
	v_cmp_ngt_f32_e32 vcc, s4, v27
	s_mov_b32 s4, 0x42b17218
	v_ldexp_f32 v28, v28, v29
	v_cndmask_b32_e32 v28, 0, v28, vcc
	v_mov_b32_e32 v29, 0x7f800000
	v_cmp_nlt_f32_e32 vcc, s4, v27
	v_cndmask_b32_e32 v29, v29, v28, vcc
	v_add_f32_e32 v77, v77, v29
.LBB719_567:
	s_or_b64 exec, exec, s[2:3]
.LBB719_568:
	s_or_b64 exec, exec, s[0:1]
	v_mov_b32_e32 v27, 0
	v_mov_b32_e32 v28, 0
	s_mov_b64 s[0:1], exec
	v_readlane_b32 s2, v82, 40
	v_readlane_b32 s3, v82, 41
	s_and_b64 s[2:3], s[0:1], s[2:3]
	s_mov_b64 exec, s[2:3]
	s_cbranch_execz .LBB719_572
; %bb.569:
	global_load_ubyte v28, v[2:3], off offset:1472
	s_waitcnt vmcnt(0)
	v_and_b32_e32 v28, 1, v28
	v_cmp_eq_u32_e32 vcc, 1, v28
	s_xor_b64 s[4:5], vcc, -1
	v_mov_b32_e32 v28, 0
	s_and_saveexec_b64 s[2:3], s[4:5]
	s_cbranch_execz .LBB719_571
; %bb.570:
	v_sub_f32_e32 v26, v26, v76
	s_mov_b32 s4, 0x3fb8aa3b
	v_mul_f32_e32 v28, 0x3fb8aa3b, v26
	v_fma_f32 v78, v26, s4, -v28
	v_rndne_f32_e32 v79, v28
	v_fmac_f32_e32 v78, 0x32a5705f, v26
	v_sub_f32_e32 v28, v28, v79
	v_add_f32_e32 v28, v28, v78
	v_exp_f32_e32 v28, v28
	v_cvt_i32_f32_e32 v78, v79
	s_mov_b32 s4, 0xc2ce8ed0
	v_cmp_ngt_f32_e32 vcc, s4, v26
	s_mov_b32 s4, 0x42b17218
	v_ldexp_f32 v28, v28, v78
	v_cndmask_b32_e32 v28, 0, v28, vcc
	v_mov_b32_e32 v78, 0x7f800000
	v_cmp_nlt_f32_e32 vcc, s4, v26
	v_cndmask_b32_e32 v28, v78, v28, vcc
	v_add_f32_e32 v77, v77, v28
.LBB719_571:
	s_or_b64 exec, exec, s[2:3]
.LBB719_572:
	s_or_b64 exec, exec, s[0:1]
	s_mov_b64 s[0:1], exec
	v_readlane_b32 s2, v82, 44
	v_readlane_b32 s3, v82, 45
	s_and_b64 s[2:3], s[0:1], s[2:3]
	s_mov_b64 exec, s[2:3]
	s_cbranch_execz .LBB719_576
; %bb.573:
	global_load_ubyte v26, v[2:3], off offset:1504
	v_mov_b32_e32 v27, 0
	s_waitcnt vmcnt(0)
	v_and_b32_e32 v26, 1, v26
	v_cmp_eq_u32_e32 vcc, 1, v26
	s_xor_b64 s[4:5], vcc, -1
	s_and_saveexec_b64 s[2:3], s[4:5]
	s_cbranch_execz .LBB719_575
; %bb.574:
	v_sub_f32_e32 v25, v25, v76
	s_mov_b32 s4, 0x3fb8aa3b
	v_mul_f32_e32 v26, 0x3fb8aa3b, v25
	v_fma_f32 v27, v25, s4, -v26
	v_rndne_f32_e32 v78, v26
	v_fmac_f32_e32 v27, 0x32a5705f, v25
	v_sub_f32_e32 v26, v26, v78
	v_add_f32_e32 v26, v26, v27
	v_exp_f32_e32 v26, v26
	v_cvt_i32_f32_e32 v27, v78
	s_mov_b32 s4, 0xc2ce8ed0
	v_cmp_ngt_f32_e32 vcc, s4, v25
	s_mov_b32 s4, 0x42b17218
	v_ldexp_f32 v26, v26, v27
	v_cndmask_b32_e32 v26, 0, v26, vcc
	v_mov_b32_e32 v27, 0x7f800000
	v_cmp_nlt_f32_e32 vcc, s4, v25
	v_cndmask_b32_e32 v27, v27, v26, vcc
	v_add_f32_e32 v77, v77, v27
.LBB719_575:
	s_or_b64 exec, exec, s[2:3]
.LBB719_576:
	s_or_b64 exec, exec, s[0:1]
	v_mov_b32_e32 v25, 0
	v_mov_b32_e32 v26, 0
	s_mov_b64 s[0:1], exec
	v_readlane_b32 s2, v82, 48
	v_readlane_b32 s3, v82, 49
	s_and_b64 s[2:3], s[0:1], s[2:3]
	s_mov_b64 exec, s[2:3]
	s_cbranch_execz .LBB719_580
; %bb.577:
	global_load_ubyte v26, v[2:3], off offset:1536
	s_waitcnt vmcnt(0)
	v_and_b32_e32 v26, 1, v26
	v_cmp_eq_u32_e32 vcc, 1, v26
	s_xor_b64 s[4:5], vcc, -1
	v_mov_b32_e32 v26, 0
	s_and_saveexec_b64 s[2:3], s[4:5]
	s_cbranch_execz .LBB719_579
; %bb.578:
	v_sub_f32_e32 v24, v24, v76
	s_mov_b32 s4, 0x3fb8aa3b
	v_mul_f32_e32 v26, 0x3fb8aa3b, v24
	v_fma_f32 v78, v24, s4, -v26
	v_rndne_f32_e32 v79, v26
	v_fmac_f32_e32 v78, 0x32a5705f, v24
	v_sub_f32_e32 v26, v26, v79
	v_add_f32_e32 v26, v26, v78
	v_exp_f32_e32 v26, v26
	v_cvt_i32_f32_e32 v78, v79
	s_mov_b32 s4, 0xc2ce8ed0
	v_cmp_ngt_f32_e32 vcc, s4, v24
	s_mov_b32 s4, 0x42b17218
	v_ldexp_f32 v26, v26, v78
	v_cndmask_b32_e32 v26, 0, v26, vcc
	v_mov_b32_e32 v78, 0x7f800000
	v_cmp_nlt_f32_e32 vcc, s4, v24
	v_cndmask_b32_e32 v26, v78, v26, vcc
	v_add_f32_e32 v77, v77, v26
.LBB719_579:
	s_or_b64 exec, exec, s[2:3]
.LBB719_580:
	s_or_b64 exec, exec, s[0:1]
	s_mov_b64 s[0:1], exec
	v_readlane_b32 s2, v82, 52
	v_readlane_b32 s3, v82, 53
	s_and_b64 s[2:3], s[0:1], s[2:3]
	s_mov_b64 exec, s[2:3]
	s_cbranch_execz .LBB719_584
; %bb.581:
	global_load_ubyte v24, v[2:3], off offset:1568
	v_mov_b32_e32 v25, 0
	s_waitcnt vmcnt(0)
	v_and_b32_e32 v24, 1, v24
	v_cmp_eq_u32_e32 vcc, 1, v24
	s_xor_b64 s[4:5], vcc, -1
	s_and_saveexec_b64 s[2:3], s[4:5]
	s_cbranch_execz .LBB719_583
; %bb.582:
	v_sub_f32_e32 v23, v23, v76
	s_mov_b32 s4, 0x3fb8aa3b
	v_mul_f32_e32 v24, 0x3fb8aa3b, v23
	v_fma_f32 v25, v23, s4, -v24
	v_rndne_f32_e32 v78, v24
	v_fmac_f32_e32 v25, 0x32a5705f, v23
	v_sub_f32_e32 v24, v24, v78
	v_add_f32_e32 v24, v24, v25
	v_exp_f32_e32 v24, v24
	v_cvt_i32_f32_e32 v25, v78
	s_mov_b32 s4, 0xc2ce8ed0
	v_cmp_ngt_f32_e32 vcc, s4, v23
	s_mov_b32 s4, 0x42b17218
	v_ldexp_f32 v24, v24, v25
	v_cndmask_b32_e32 v24, 0, v24, vcc
	v_mov_b32_e32 v25, 0x7f800000
	v_cmp_nlt_f32_e32 vcc, s4, v23
	v_cndmask_b32_e32 v25, v25, v24, vcc
	v_add_f32_e32 v77, v77, v25
.LBB719_583:
	s_or_b64 exec, exec, s[2:3]
.LBB719_584:
	s_or_b64 exec, exec, s[0:1]
	v_mov_b32_e32 v23, 0
	v_mov_b32_e32 v24, 0
	s_mov_b64 s[0:1], exec
	v_readlane_b32 s2, v82, 56
	v_readlane_b32 s3, v82, 57
	s_and_b64 s[2:3], s[0:1], s[2:3]
	s_mov_b64 exec, s[2:3]
	s_cbranch_execz .LBB719_588
; %bb.585:
	global_load_ubyte v24, v[2:3], off offset:1600
	s_waitcnt vmcnt(0)
	v_and_b32_e32 v24, 1, v24
	v_cmp_eq_u32_e32 vcc, 1, v24
	s_xor_b64 s[4:5], vcc, -1
	v_mov_b32_e32 v24, 0
	s_and_saveexec_b64 s[2:3], s[4:5]
	s_cbranch_execz .LBB719_587
; %bb.586:
	v_sub_f32_e32 v22, v22, v76
	s_mov_b32 s4, 0x3fb8aa3b
	v_mul_f32_e32 v24, 0x3fb8aa3b, v22
	v_fma_f32 v78, v22, s4, -v24
	v_rndne_f32_e32 v79, v24
	v_fmac_f32_e32 v78, 0x32a5705f, v22
	v_sub_f32_e32 v24, v24, v79
	v_add_f32_e32 v24, v24, v78
	v_exp_f32_e32 v24, v24
	v_cvt_i32_f32_e32 v78, v79
	s_mov_b32 s4, 0xc2ce8ed0
	v_cmp_ngt_f32_e32 vcc, s4, v22
	s_mov_b32 s4, 0x42b17218
	v_ldexp_f32 v24, v24, v78
	v_cndmask_b32_e32 v24, 0, v24, vcc
	v_mov_b32_e32 v78, 0x7f800000
	v_cmp_nlt_f32_e32 vcc, s4, v22
	v_cndmask_b32_e32 v24, v78, v24, vcc
	v_add_f32_e32 v77, v77, v24
.LBB719_587:
	s_or_b64 exec, exec, s[2:3]
.LBB719_588:
	s_or_b64 exec, exec, s[0:1]
	s_mov_b64 s[0:1], exec
	v_readlane_b32 s2, v82, 60
	v_readlane_b32 s3, v82, 61
	s_and_b64 s[2:3], s[0:1], s[2:3]
	s_mov_b64 exec, s[2:3]
	s_cbranch_execz .LBB719_592
; %bb.589:
	global_load_ubyte v22, v[2:3], off offset:1632
	v_mov_b32_e32 v23, 0
	s_waitcnt vmcnt(0)
	v_and_b32_e32 v22, 1, v22
	v_cmp_eq_u32_e32 vcc, 1, v22
	s_xor_b64 s[4:5], vcc, -1
	s_and_saveexec_b64 s[2:3], s[4:5]
	s_cbranch_execz .LBB719_591
; %bb.590:
	v_sub_f32_e32 v21, v21, v76
	s_mov_b32 s4, 0x3fb8aa3b
	v_mul_f32_e32 v22, 0x3fb8aa3b, v21
	v_fma_f32 v23, v21, s4, -v22
	v_rndne_f32_e32 v78, v22
	v_fmac_f32_e32 v23, 0x32a5705f, v21
	v_sub_f32_e32 v22, v22, v78
	v_add_f32_e32 v22, v22, v23
	v_exp_f32_e32 v22, v22
	v_cvt_i32_f32_e32 v23, v78
	s_mov_b32 s4, 0xc2ce8ed0
	v_cmp_ngt_f32_e32 vcc, s4, v21
	s_mov_b32 s4, 0x42b17218
	v_ldexp_f32 v22, v22, v23
	v_cndmask_b32_e32 v22, 0, v22, vcc
	v_mov_b32_e32 v23, 0x7f800000
	v_cmp_nlt_f32_e32 vcc, s4, v21
	v_cndmask_b32_e32 v23, v23, v22, vcc
	v_add_f32_e32 v77, v77, v23
.LBB719_591:
	s_or_b64 exec, exec, s[2:3]
.LBB719_592:
	s_or_b64 exec, exec, s[0:1]
	v_mov_b32_e32 v21, 0
	v_mov_b32_e32 v22, 0
	s_mov_b64 s[0:1], exec
	v_readlane_b32 s2, v80, 0
	v_readlane_b32 s3, v80, 1
	s_and_b64 s[2:3], s[0:1], s[2:3]
	s_mov_b64 exec, s[2:3]
	s_cbranch_execz .LBB719_596
; %bb.593:
	global_load_ubyte v22, v[2:3], off offset:1664
	s_waitcnt vmcnt(0)
	v_and_b32_e32 v22, 1, v22
	v_cmp_eq_u32_e32 vcc, 1, v22
	s_xor_b64 s[4:5], vcc, -1
	v_mov_b32_e32 v22, 0
	s_and_saveexec_b64 s[2:3], s[4:5]
	s_cbranch_execz .LBB719_595
; %bb.594:
	v_sub_f32_e32 v20, v20, v76
	s_mov_b32 s4, 0x3fb8aa3b
	v_mul_f32_e32 v22, 0x3fb8aa3b, v20
	v_fma_f32 v78, v20, s4, -v22
	v_rndne_f32_e32 v79, v22
	v_fmac_f32_e32 v78, 0x32a5705f, v20
	v_sub_f32_e32 v22, v22, v79
	v_add_f32_e32 v22, v22, v78
	v_exp_f32_e32 v22, v22
	v_cvt_i32_f32_e32 v78, v79
	s_mov_b32 s4, 0xc2ce8ed0
	v_cmp_ngt_f32_e32 vcc, s4, v20
	s_mov_b32 s4, 0x42b17218
	v_ldexp_f32 v22, v22, v78
	v_cndmask_b32_e32 v22, 0, v22, vcc
	v_mov_b32_e32 v78, 0x7f800000
	v_cmp_nlt_f32_e32 vcc, s4, v20
	v_cndmask_b32_e32 v22, v78, v22, vcc
	v_add_f32_e32 v77, v77, v22
.LBB719_595:
	s_or_b64 exec, exec, s[2:3]
.LBB719_596:
	s_or_b64 exec, exec, s[0:1]
	s_mov_b64 s[0:1], exec
	v_readlane_b32 s2, v80, 4
	v_readlane_b32 s3, v80, 5
	s_and_b64 s[2:3], s[0:1], s[2:3]
	s_mov_b64 exec, s[2:3]
	s_cbranch_execz .LBB719_600
; %bb.597:
	global_load_ubyte v20, v[2:3], off offset:1696
	v_mov_b32_e32 v21, 0
	s_waitcnt vmcnt(0)
	v_and_b32_e32 v20, 1, v20
	v_cmp_eq_u32_e32 vcc, 1, v20
	s_xor_b64 s[4:5], vcc, -1
	s_and_saveexec_b64 s[2:3], s[4:5]
	s_cbranch_execz .LBB719_599
; %bb.598:
	v_sub_f32_e32 v18, v18, v76
	s_mov_b32 s4, 0x3fb8aa3b
	v_mul_f32_e32 v20, 0x3fb8aa3b, v18
	v_fma_f32 v21, v18, s4, -v20
	v_rndne_f32_e32 v78, v20
	v_fmac_f32_e32 v21, 0x32a5705f, v18
	v_sub_f32_e32 v20, v20, v78
	v_add_f32_e32 v20, v20, v21
	v_exp_f32_e32 v20, v20
	v_cvt_i32_f32_e32 v21, v78
	s_mov_b32 s4, 0xc2ce8ed0
	v_cmp_ngt_f32_e32 vcc, s4, v18
	s_mov_b32 s4, 0x42b17218
	v_ldexp_f32 v20, v20, v21
	v_cndmask_b32_e32 v20, 0, v20, vcc
	v_mov_b32_e32 v21, 0x7f800000
	v_cmp_nlt_f32_e32 vcc, s4, v18
	v_cndmask_b32_e32 v21, v21, v20, vcc
	v_add_f32_e32 v77, v77, v21
.LBB719_599:
	s_or_b64 exec, exec, s[2:3]
.LBB719_600:
	s_or_b64 exec, exec, s[0:1]
	v_mov_b32_e32 v18, 0
	v_mov_b32_e32 v20, 0
	s_mov_b64 s[0:1], exec
	v_readlane_b32 s2, v80, 8
	v_readlane_b32 s3, v80, 9
	s_and_b64 s[2:3], s[0:1], s[2:3]
	s_mov_b64 exec, s[2:3]
	s_cbranch_execz .LBB719_604
; %bb.601:
	global_load_ubyte v20, v[2:3], off offset:1728
	s_waitcnt vmcnt(0)
	v_and_b32_e32 v20, 1, v20
	v_cmp_eq_u32_e32 vcc, 1, v20
	s_xor_b64 s[4:5], vcc, -1
	v_mov_b32_e32 v20, 0
	s_and_saveexec_b64 s[2:3], s[4:5]
	s_cbranch_execz .LBB719_603
; %bb.602:
	v_sub_f32_e32 v19, v19, v76
	s_mov_b32 s4, 0x3fb8aa3b
	v_mul_f32_e32 v20, 0x3fb8aa3b, v19
	v_fma_f32 v78, v19, s4, -v20
	v_rndne_f32_e32 v79, v20
	v_fmac_f32_e32 v78, 0x32a5705f, v19
	v_sub_f32_e32 v20, v20, v79
	v_add_f32_e32 v20, v20, v78
	v_exp_f32_e32 v20, v20
	v_cvt_i32_f32_e32 v78, v79
	s_mov_b32 s4, 0xc2ce8ed0
	v_cmp_ngt_f32_e32 vcc, s4, v19
	s_mov_b32 s4, 0x42b17218
	v_ldexp_f32 v20, v20, v78
	v_cndmask_b32_e32 v20, 0, v20, vcc
	v_mov_b32_e32 v78, 0x7f800000
	v_cmp_nlt_f32_e32 vcc, s4, v19
	v_cndmask_b32_e32 v20, v78, v20, vcc
	v_add_f32_e32 v77, v77, v20
.LBB719_603:
	s_or_b64 exec, exec, s[2:3]
.LBB719_604:
	s_or_b64 exec, exec, s[0:1]
	s_mov_b64 s[0:1], exec
	v_readlane_b32 s2, v80, 12
	v_readlane_b32 s3, v80, 13
	s_and_b64 s[2:3], s[0:1], s[2:3]
	s_mov_b64 exec, s[2:3]
	s_cbranch_execz .LBB719_608
; %bb.605:
	global_load_ubyte v18, v[2:3], off offset:1760
	s_waitcnt vmcnt(0)
	v_and_b32_e32 v18, 1, v18
	v_cmp_eq_u32_e32 vcc, 1, v18
	s_xor_b64 s[4:5], vcc, -1
	v_mov_b32_e32 v18, 0
	s_and_saveexec_b64 s[2:3], s[4:5]
	s_cbranch_execz .LBB719_607
; %bb.606:
	v_sub_f32_e32 v17, v17, v76
	s_mov_b32 s4, 0x3fb8aa3b
	v_mul_f32_e32 v18, 0x3fb8aa3b, v17
	v_fma_f32 v19, v17, s4, -v18
	v_rndne_f32_e32 v78, v18
	v_fmac_f32_e32 v19, 0x32a5705f, v17
	v_sub_f32_e32 v18, v18, v78
	v_add_f32_e32 v18, v18, v19
	v_exp_f32_e32 v18, v18
	v_cvt_i32_f32_e32 v19, v78
	s_mov_b32 s4, 0xc2ce8ed0
	v_cmp_ngt_f32_e32 vcc, s4, v17
	s_mov_b32 s4, 0x42b17218
	v_ldexp_f32 v18, v18, v19
	v_cndmask_b32_e32 v18, 0, v18, vcc
	v_mov_b32_e32 v19, 0x7f800000
	v_cmp_nlt_f32_e32 vcc, s4, v17
	v_cndmask_b32_e32 v18, v19, v18, vcc
	v_add_f32_e32 v77, v77, v18
.LBB719_607:
	s_or_b64 exec, exec, s[2:3]
.LBB719_608:
	s_or_b64 exec, exec, s[0:1]
	v_mov_b32_e32 v17, 0
	v_mov_b32_e32 v19, 0
	s_mov_b64 s[0:1], exec
	v_readlane_b32 s2, v80, 16
	v_readlane_b32 s3, v80, 17
	s_and_b64 s[2:3], s[0:1], s[2:3]
	s_mov_b64 exec, s[2:3]
	s_cbranch_execz .LBB719_612
; %bb.609:
	global_load_ubyte v19, v[2:3], off offset:1792
	s_waitcnt vmcnt(0)
	v_and_b32_e32 v19, 1, v19
	v_cmp_eq_u32_e32 vcc, 1, v19
	s_xor_b64 s[4:5], vcc, -1
	v_mov_b32_e32 v19, 0
	s_and_saveexec_b64 s[2:3], s[4:5]
	s_cbranch_execz .LBB719_611
; %bb.610:
	v_sub_f32_e32 v16, v16, v76
	s_mov_b32 s4, 0x3fb8aa3b
	v_mul_f32_e32 v19, 0x3fb8aa3b, v16
	v_fma_f32 v78, v16, s4, -v19
	v_rndne_f32_e32 v79, v19
	v_fmac_f32_e32 v78, 0x32a5705f, v16
	v_sub_f32_e32 v19, v19, v79
	v_add_f32_e32 v19, v19, v78
	v_exp_f32_e32 v19, v19
	v_cvt_i32_f32_e32 v78, v79
	s_mov_b32 s4, 0xc2ce8ed0
	v_cmp_ngt_f32_e32 vcc, s4, v16
	s_mov_b32 s4, 0x42b17218
	v_ldexp_f32 v19, v19, v78
	v_cndmask_b32_e32 v19, 0, v19, vcc
	v_mov_b32_e32 v78, 0x7f800000
	v_cmp_nlt_f32_e32 vcc, s4, v16
	v_cndmask_b32_e32 v19, v78, v19, vcc
	v_add_f32_e32 v77, v77, v19
.LBB719_611:
	s_or_b64 exec, exec, s[2:3]
.LBB719_612:
	s_or_b64 exec, exec, s[0:1]
	s_mov_b64 s[0:1], exec
	v_readlane_b32 s2, v80, 20
	v_readlane_b32 s3, v80, 21
	s_and_b64 s[2:3], s[0:1], s[2:3]
	s_mov_b64 exec, s[2:3]
	s_cbranch_execz .LBB719_616
; %bb.613:
	global_load_ubyte v16, v[2:3], off offset:1824
	v_mov_b32_e32 v17, 0
	s_waitcnt vmcnt(0)
	v_and_b32_e32 v16, 1, v16
	v_cmp_eq_u32_e32 vcc, 1, v16
	s_xor_b64 s[4:5], vcc, -1
	s_and_saveexec_b64 s[2:3], s[4:5]
	s_cbranch_execz .LBB719_615
; %bb.614:
	v_sub_f32_e32 v15, v15, v76
	s_mov_b32 s4, 0x3fb8aa3b
	v_mul_f32_e32 v16, 0x3fb8aa3b, v15
	v_fma_f32 v17, v15, s4, -v16
	v_rndne_f32_e32 v78, v16
	v_fmac_f32_e32 v17, 0x32a5705f, v15
	v_sub_f32_e32 v16, v16, v78
	v_add_f32_e32 v16, v16, v17
	v_exp_f32_e32 v16, v16
	v_cvt_i32_f32_e32 v17, v78
	s_mov_b32 s4, 0xc2ce8ed0
	v_cmp_ngt_f32_e32 vcc, s4, v15
	s_mov_b32 s4, 0x42b17218
	v_ldexp_f32 v16, v16, v17
	v_cndmask_b32_e32 v16, 0, v16, vcc
	v_mov_b32_e32 v17, 0x7f800000
	v_cmp_nlt_f32_e32 vcc, s4, v15
	v_cndmask_b32_e32 v17, v17, v16, vcc
	v_add_f32_e32 v77, v77, v17
.LBB719_615:
	s_or_b64 exec, exec, s[2:3]
.LBB719_616:
	s_or_b64 exec, exec, s[0:1]
	v_mov_b32_e32 v15, 0
	v_mov_b32_e32 v16, 0
	s_mov_b64 s[0:1], exec
	v_readlane_b32 s2, v80, 24
	v_readlane_b32 s3, v80, 25
	s_and_b64 s[2:3], s[0:1], s[2:3]
	s_mov_b64 exec, s[2:3]
	s_cbranch_execz .LBB719_620
; %bb.617:
	global_load_ubyte v16, v[2:3], off offset:1856
	s_waitcnt vmcnt(0)
	v_and_b32_e32 v16, 1, v16
	v_cmp_eq_u32_e32 vcc, 1, v16
	s_xor_b64 s[4:5], vcc, -1
	v_mov_b32_e32 v16, 0
	s_and_saveexec_b64 s[2:3], s[4:5]
	s_cbranch_execz .LBB719_619
; %bb.618:
	v_sub_f32_e32 v14, v14, v76
	s_mov_b32 s4, 0x3fb8aa3b
	v_mul_f32_e32 v16, 0x3fb8aa3b, v14
	v_fma_f32 v78, v14, s4, -v16
	v_rndne_f32_e32 v79, v16
	v_fmac_f32_e32 v78, 0x32a5705f, v14
	v_sub_f32_e32 v16, v16, v79
	v_add_f32_e32 v16, v16, v78
	v_exp_f32_e32 v16, v16
	v_cvt_i32_f32_e32 v78, v79
	s_mov_b32 s4, 0xc2ce8ed0
	v_cmp_ngt_f32_e32 vcc, s4, v14
	s_mov_b32 s4, 0x42b17218
	v_ldexp_f32 v16, v16, v78
	v_cndmask_b32_e32 v16, 0, v16, vcc
	v_mov_b32_e32 v78, 0x7f800000
	v_cmp_nlt_f32_e32 vcc, s4, v14
	v_cndmask_b32_e32 v16, v78, v16, vcc
	v_add_f32_e32 v77, v77, v16
.LBB719_619:
	s_or_b64 exec, exec, s[2:3]
.LBB719_620:
	s_or_b64 exec, exec, s[0:1]
	s_mov_b64 s[0:1], exec
	v_readlane_b32 s2, v80, 28
	v_readlane_b32 s3, v80, 29
	s_and_b64 s[2:3], s[0:1], s[2:3]
	s_mov_b64 exec, s[2:3]
	s_cbranch_execz .LBB719_624
; %bb.621:
	global_load_ubyte v14, v[2:3], off offset:1888
	v_mov_b32_e32 v15, 0
	s_waitcnt vmcnt(0)
	v_and_b32_e32 v14, 1, v14
	v_cmp_eq_u32_e32 vcc, 1, v14
	s_xor_b64 s[4:5], vcc, -1
	s_and_saveexec_b64 s[2:3], s[4:5]
	s_cbranch_execz .LBB719_623
; %bb.622:
	v_sub_f32_e32 v13, v13, v76
	s_mov_b32 s4, 0x3fb8aa3b
	v_mul_f32_e32 v14, 0x3fb8aa3b, v13
	v_fma_f32 v15, v13, s4, -v14
	v_rndne_f32_e32 v78, v14
	v_fmac_f32_e32 v15, 0x32a5705f, v13
	v_sub_f32_e32 v14, v14, v78
	v_add_f32_e32 v14, v14, v15
	v_exp_f32_e32 v14, v14
	v_cvt_i32_f32_e32 v15, v78
	s_mov_b32 s4, 0xc2ce8ed0
	v_cmp_ngt_f32_e32 vcc, s4, v13
	s_mov_b32 s4, 0x42b17218
	v_ldexp_f32 v14, v14, v15
	v_cndmask_b32_e32 v14, 0, v14, vcc
	v_mov_b32_e32 v15, 0x7f800000
	v_cmp_nlt_f32_e32 vcc, s4, v13
	v_cndmask_b32_e32 v15, v15, v14, vcc
	v_add_f32_e32 v77, v77, v15
.LBB719_623:
	s_or_b64 exec, exec, s[2:3]
.LBB719_624:
	s_or_b64 exec, exec, s[0:1]
	v_mov_b32_e32 v13, 0
	v_mov_b32_e32 v14, 0
	s_mov_b64 s[0:1], exec
	v_readlane_b32 s2, v80, 32
	v_readlane_b32 s3, v80, 33
	s_and_b64 s[2:3], s[0:1], s[2:3]
	s_mov_b64 exec, s[2:3]
	s_cbranch_execz .LBB719_628
; %bb.625:
	global_load_ubyte v14, v[2:3], off offset:1920
	s_waitcnt vmcnt(0)
	v_and_b32_e32 v14, 1, v14
	v_cmp_eq_u32_e32 vcc, 1, v14
	s_xor_b64 s[4:5], vcc, -1
	v_mov_b32_e32 v14, 0
	s_and_saveexec_b64 s[2:3], s[4:5]
	s_cbranch_execz .LBB719_627
; %bb.626:
	v_sub_f32_e32 v12, v12, v76
	s_mov_b32 s4, 0x3fb8aa3b
	v_mul_f32_e32 v14, 0x3fb8aa3b, v12
	v_fma_f32 v78, v12, s4, -v14
	v_rndne_f32_e32 v79, v14
	v_fmac_f32_e32 v78, 0x32a5705f, v12
	v_sub_f32_e32 v14, v14, v79
	v_add_f32_e32 v14, v14, v78
	v_exp_f32_e32 v14, v14
	v_cvt_i32_f32_e32 v78, v79
	s_mov_b32 s4, 0xc2ce8ed0
	v_cmp_ngt_f32_e32 vcc, s4, v12
	s_mov_b32 s4, 0x42b17218
	v_ldexp_f32 v14, v14, v78
	v_cndmask_b32_e32 v14, 0, v14, vcc
	v_mov_b32_e32 v78, 0x7f800000
	v_cmp_nlt_f32_e32 vcc, s4, v12
	v_cndmask_b32_e32 v14, v78, v14, vcc
	v_add_f32_e32 v77, v77, v14
.LBB719_627:
	s_or_b64 exec, exec, s[2:3]
.LBB719_628:
	s_or_b64 exec, exec, s[0:1]
	s_mov_b64 s[0:1], exec
	v_readlane_b32 s2, v80, 36
	v_readlane_b32 s3, v80, 37
	s_and_b64 s[2:3], s[0:1], s[2:3]
	s_mov_b64 exec, s[2:3]
	s_cbranch_execz .LBB719_632
; %bb.629:
	global_load_ubyte v12, v[2:3], off offset:1952
	v_mov_b32_e32 v13, 0
	s_waitcnt vmcnt(0)
	v_and_b32_e32 v12, 1, v12
	v_cmp_eq_u32_e32 vcc, 1, v12
	s_xor_b64 s[4:5], vcc, -1
	s_and_saveexec_b64 s[2:3], s[4:5]
	s_cbranch_execz .LBB719_631
; %bb.630:
	v_sub_f32_e32 v11, v11, v76
	s_mov_b32 s4, 0x3fb8aa3b
	v_mul_f32_e32 v12, 0x3fb8aa3b, v11
	v_fma_f32 v13, v11, s4, -v12
	v_rndne_f32_e32 v78, v12
	v_fmac_f32_e32 v13, 0x32a5705f, v11
	v_sub_f32_e32 v12, v12, v78
	v_add_f32_e32 v12, v12, v13
	v_exp_f32_e32 v12, v12
	v_cvt_i32_f32_e32 v13, v78
	s_mov_b32 s4, 0xc2ce8ed0
	v_cmp_ngt_f32_e32 vcc, s4, v11
	s_mov_b32 s4, 0x42b17218
	v_ldexp_f32 v12, v12, v13
	v_cndmask_b32_e32 v12, 0, v12, vcc
	v_mov_b32_e32 v13, 0x7f800000
	v_cmp_nlt_f32_e32 vcc, s4, v11
	v_cndmask_b32_e32 v13, v13, v12, vcc
	v_add_f32_e32 v77, v77, v13
.LBB719_631:
	s_or_b64 exec, exec, s[2:3]
.LBB719_632:
	s_or_b64 exec, exec, s[0:1]
	v_mov_b32_e32 v11, 0
	v_mov_b32_e32 v12, 0
	s_mov_b64 s[0:1], exec
	v_readlane_b32 s2, v80, 40
	v_readlane_b32 s3, v80, 41
	s_and_b64 s[2:3], s[0:1], s[2:3]
	s_mov_b64 exec, s[2:3]
	s_cbranch_execz .LBB719_636
; %bb.633:
	global_load_ubyte v12, v[2:3], off offset:1984
	s_waitcnt vmcnt(0)
	v_and_b32_e32 v12, 1, v12
	v_cmp_eq_u32_e32 vcc, 1, v12
	s_xor_b64 s[4:5], vcc, -1
	v_mov_b32_e32 v12, 0
	s_and_saveexec_b64 s[2:3], s[4:5]
	s_cbranch_execz .LBB719_635
; %bb.634:
	v_sub_f32_e32 v10, v10, v76
	s_mov_b32 s4, 0x3fb8aa3b
	v_mul_f32_e32 v12, 0x3fb8aa3b, v10
	v_fma_f32 v78, v10, s4, -v12
	v_rndne_f32_e32 v79, v12
	v_fmac_f32_e32 v78, 0x32a5705f, v10
	v_sub_f32_e32 v12, v12, v79
	v_add_f32_e32 v12, v12, v78
	v_exp_f32_e32 v12, v12
	v_cvt_i32_f32_e32 v78, v79
	s_mov_b32 s4, 0xc2ce8ed0
	v_cmp_ngt_f32_e32 vcc, s4, v10
	s_mov_b32 s4, 0x42b17218
	v_ldexp_f32 v12, v12, v78
	v_cndmask_b32_e32 v12, 0, v12, vcc
	v_mov_b32_e32 v78, 0x7f800000
	v_cmp_nlt_f32_e32 vcc, s4, v10
	v_cndmask_b32_e32 v12, v78, v12, vcc
	v_add_f32_e32 v77, v77, v12
.LBB719_635:
	s_or_b64 exec, exec, s[2:3]
.LBB719_636:
	s_or_b64 exec, exec, s[0:1]
	s_mov_b64 s[0:1], exec
	v_readlane_b32 s2, v80, 44
	v_readlane_b32 s3, v80, 45
	s_and_b64 s[2:3], s[0:1], s[2:3]
	s_mov_b64 exec, s[2:3]
	s_cbranch_execz .LBB719_640
; %bb.637:
	global_load_ubyte v2, v[2:3], off offset:2016
	v_mov_b32_e32 v11, 0
	s_waitcnt vmcnt(0)
	v_and_b32_e32 v2, 1, v2
	v_cmp_eq_u32_e32 vcc, 1, v2
	s_xor_b64 s[4:5], vcc, -1
	s_and_saveexec_b64 s[2:3], s[4:5]
	s_cbranch_execz .LBB719_639
; %bb.638:
	v_sub_f32_e32 v2, v9, v76
	s_mov_b32 s4, 0x3fb8aa3b
	v_mul_f32_e32 v3, 0x3fb8aa3b, v2
	v_fma_f32 v9, v2, s4, -v3
	v_rndne_f32_e32 v10, v3
	v_fmac_f32_e32 v9, 0x32a5705f, v2
	v_sub_f32_e32 v3, v3, v10
	v_add_f32_e32 v3, v3, v9
	v_exp_f32_e32 v3, v3
	v_cvt_i32_f32_e32 v9, v10
	s_mov_b32 s4, 0xc2ce8ed0
	v_cmp_ngt_f32_e32 vcc, s4, v2
	s_mov_b32 s4, 0x42b17218
	v_ldexp_f32 v3, v3, v9
	v_cndmask_b32_e32 v3, 0, v3, vcc
	v_mov_b32_e32 v9, 0x7f800000
	v_cmp_nlt_f32_e32 vcc, s4, v2
	v_cndmask_b32_e32 v11, v9, v3, vcc
	v_add_f32_e32 v77, v77, v11
.LBB719_639:
	s_or_b64 exec, exec, s[2:3]
.LBB719_640:
	s_or_b64 exec, exec, s[0:1]
	ds_bpermute_b32 v2, v5, v77
	v_cmp_lt_i32_e32 vcc, 0, v8
	s_waitcnt lgkmcnt(0)
	v_add_f32_e32 v2, v77, v2
	ds_bpermute_b32 v3, v6, v2
	s_waitcnt lgkmcnt(0)
	v_add_f32_e32 v2, v2, v3
	ds_bpermute_b32 v3, v7, v2
	;; [unrolled: 3-line block ×4, first 2 shown]
	s_and_saveexec_b64 s[0:1], vcc
	s_cbranch_execz .LBB719_706
; %bb.641:
	v_readlane_b32 s0, v81, 4
	v_readlane_b32 s1, v81, 5
	s_and_b64 exec, exec, s[0:1]
	s_cbranch_execz .LBB719_706
; %bb.642:
	v_readlane_b32 s0, v81, 0
	s_waitcnt lgkmcnt(0)
	v_add_f32_e32 v2, v2, v3
	v_readlane_b32 s1, v81, 1
	s_mov_b64 s[4:5], s[0:1]
	v_div_scale_f32 v5, s[0:1], v2, v2, v73
	v_rcp_f32_e32 v6, v5
	v_mov_b32_e32 v3, s5
	v_add_co_u32_e32 v0, vcc, s4, v0
	v_addc_co_u32_e32 v1, vcc, v3, v1, vcc
	v_fma_f32 v3, -v5, v6, 1.0
	v_fmac_f32_e32 v6, v3, v6
	v_div_scale_f32 v3, vcc, v73, v2, v73
	v_mul_f32_e32 v7, v3, v6
	v_fma_f32 v8, -v5, v7, v3
	v_fmac_f32_e32 v7, v8, v6
	v_fma_f32 v3, -v5, v7, v3
	v_div_fmas_f32 v3, v3, v6, v7
	v_div_fixup_f32 v5, v3, v2, v73
	v_mov_b32_e32 v3, 0x7fc00000
	v_cmp_eq_f32_e64 s[34:35], 0, v2
	v_readlane_b32 s0, v81, 6
	v_cndmask_b32_e64 v5, v5, v3, s[34:35]
	v_readlane_b32 s1, v81, 7
	v_readlane_b32 s2, v81, 2
	;; [unrolled: 1-line block ×3, first 2 shown]
	global_store_dword v[0:1], v5, off
	s_and_b64 exec, exec, s[0:1]
	s_cbranch_execz .LBB719_706
; %bb.643:
	v_div_scale_f32 v5, s[0:1], v2, v2, v4
	v_rcp_f32_e32 v6, v5
	v_div_scale_f32 v7, vcc, v4, v2, v4
	v_readlane_b32 s0, v81, 8
	v_fma_f32 v8, -v5, v6, 1.0
	v_fmac_f32_e32 v6, v8, v6
	v_mul_f32_e32 v8, v7, v6
	v_fma_f32 v9, -v5, v8, v7
	v_fmac_f32_e32 v8, v9, v6
	v_fma_f32 v5, -v5, v8, v7
	v_div_fmas_f32 v5, v5, v6, v8
	v_div_fixup_f32 v4, v5, v2, v4
	v_cndmask_b32_e64 v3, v4, v3, s[34:35]
	v_readlane_b32 s1, v81, 9
	global_store_dword v[0:1], v3, off offset:128
	s_and_b64 exec, exec, s[0:1]
	s_cbranch_execz .LBB719_706
; %bb.644:
	v_div_scale_f32 v3, s[0:1], v2, v2, v72
	v_rcp_f32_e32 v4, v3
	v_div_scale_f32 v5, vcc, v72, v2, v72
	v_readlane_b32 s0, v81, 10
	v_fma_f32 v6, -v3, v4, 1.0
	v_fmac_f32_e32 v4, v6, v4
	v_mul_f32_e32 v6, v5, v4
	v_fma_f32 v7, -v3, v6, v5
	v_fmac_f32_e32 v6, v7, v4
	v_fma_f32 v3, -v3, v6, v5
	v_div_fmas_f32 v3, v3, v4, v6
	v_div_fixup_f32 v4, v3, v2, v72
	v_mov_b32_e32 v3, 0x7fc00000
	v_cndmask_b32_e64 v4, v4, v3, s[34:35]
	v_readlane_b32 s1, v81, 11
	global_store_dword v[0:1], v4, off offset:256
	s_and_b64 exec, exec, s[0:1]
	s_cbranch_execz .LBB719_706
; %bb.645:
	v_div_scale_f32 v4, s[0:1], v2, v2, v71
	v_rcp_f32_e32 v5, v4
	v_div_scale_f32 v6, vcc, v71, v2, v71
	v_readlane_b32 s0, v81, 12
	v_fma_f32 v7, -v4, v5, 1.0
	v_fmac_f32_e32 v5, v7, v5
	v_mul_f32_e32 v7, v6, v5
	v_fma_f32 v8, -v4, v7, v6
	v_fmac_f32_e32 v7, v8, v5
	v_fma_f32 v4, -v4, v7, v6
	v_div_fmas_f32 v4, v4, v5, v7
	v_div_fixup_f32 v4, v4, v2, v71
	v_cndmask_b32_e64 v3, v4, v3, s[34:35]
	v_readlane_b32 s1, v81, 13
	global_store_dword v[0:1], v3, off offset:384
	s_and_b64 exec, exec, s[0:1]
	s_cbranch_execz .LBB719_706
; %bb.646:
	v_div_scale_f32 v3, s[0:1], v2, v2, v70
	v_rcp_f32_e32 v4, v3
	v_div_scale_f32 v5, vcc, v70, v2, v70
	v_readlane_b32 s0, v81, 14
	v_fma_f32 v6, -v3, v4, 1.0
	v_fmac_f32_e32 v4, v6, v4
	v_mul_f32_e32 v6, v5, v4
	v_fma_f32 v7, -v3, v6, v5
	v_fmac_f32_e32 v6, v7, v4
	v_fma_f32 v3, -v3, v6, v5
	v_div_fmas_f32 v3, v3, v4, v6
	v_div_fixup_f32 v4, v3, v2, v70
	v_mov_b32_e32 v3, 0x7fc00000
	v_cndmask_b32_e64 v4, v4, v3, s[34:35]
	v_readlane_b32 s1, v81, 15
	global_store_dword v[0:1], v4, off offset:512
	;; [unrolled: 37-line block ×15, first 2 shown]
	s_and_b64 exec, exec, s[0:1]
	s_cbranch_execz .LBB719_706
; %bb.673:
	v_div_scale_f32 v4, s[0:1], v2, v2, v43
	v_rcp_f32_e32 v5, v4
	v_div_scale_f32 v6, vcc, v43, v2, v43
	v_readlane_b32 s0, v82, 4
	v_fma_f32 v7, -v4, v5, 1.0
	v_fmac_f32_e32 v5, v7, v5
	v_mul_f32_e32 v7, v6, v5
	v_fma_f32 v8, -v4, v7, v6
	v_fmac_f32_e32 v7, v8, v5
	v_fma_f32 v4, -v4, v7, v6
	v_div_fmas_f32 v4, v4, v5, v7
	v_div_fixup_f32 v4, v4, v2, v43
	v_cndmask_b32_e64 v3, v4, v3, s[34:35]
	v_readlane_b32 s1, v82, 5
	global_store_dword v[0:1], v3, off offset:3968
	s_and_b64 exec, exec, s[0:1]
	s_cbranch_execz .LBB719_706
; %bb.674:
	v_div_scale_f32 v3, s[0:1], v2, v2, v42
	v_rcp_f32_e32 v4, v3
	v_div_scale_f32 v5, vcc, v42, v2, v42
	v_readlane_b32 s0, v82, 6
	v_fma_f32 v6, -v3, v4, 1.0
	v_fmac_f32_e32 v4, v6, v4
	v_mul_f32_e32 v6, v5, v4
	v_fma_f32 v7, -v3, v6, v5
	v_fmac_f32_e32 v6, v7, v4
	v_fma_f32 v3, -v3, v6, v5
	v_div_fmas_f32 v3, v3, v4, v6
	v_div_fixup_f32 v4, v3, v2, v42
	v_mov_b32_e32 v3, 0x7fc00000
	v_cndmask_b32_e64 v6, v4, v3, s[34:35]
	v_add_co_u32_e32 v4, vcc, 0x1000, v0
	v_addc_co_u32_e32 v5, vcc, 0, v1, vcc
	v_readlane_b32 s1, v82, 7
	global_store_dword v[4:5], v6, off
	s_and_b64 exec, exec, s[0:1]
	s_cbranch_execz .LBB719_706
; %bb.675:
	v_div_scale_f32 v4, s[0:1], v2, v2, v41
	v_rcp_f32_e32 v5, v4
	v_div_scale_f32 v6, vcc, v41, v2, v41
	v_readlane_b32 s0, v82, 8
	v_fma_f32 v7, -v4, v5, 1.0
	v_fmac_f32_e32 v5, v7, v5
	v_mul_f32_e32 v7, v6, v5
	v_fma_f32 v8, -v4, v7, v6
	v_fmac_f32_e32 v7, v8, v5
	v_fma_f32 v4, -v4, v7, v6
	v_div_fmas_f32 v4, v4, v5, v7
	v_div_fixup_f32 v4, v4, v2, v41
	v_cndmask_b32_e64 v3, v4, v3, s[34:35]
	v_add_co_u32_e32 v4, vcc, 0x1000, v0
	v_addc_co_u32_e32 v5, vcc, 0, v1, vcc
	v_readlane_b32 s1, v82, 9
	global_store_dword v[4:5], v3, off offset:128
	s_and_b64 exec, exec, s[0:1]
	s_cbranch_execz .LBB719_706
; %bb.676:
	v_div_scale_f32 v3, s[0:1], v2, v2, v40
	v_rcp_f32_e32 v4, v3
	v_div_scale_f32 v5, vcc, v40, v2, v40
	v_readlane_b32 s0, v82, 10
	v_fma_f32 v6, -v3, v4, 1.0
	v_fmac_f32_e32 v4, v6, v4
	v_mul_f32_e32 v6, v5, v4
	v_fma_f32 v7, -v3, v6, v5
	v_fmac_f32_e32 v6, v7, v4
	v_fma_f32 v3, -v3, v6, v5
	v_div_fmas_f32 v3, v3, v4, v6
	v_div_fixup_f32 v4, v3, v2, v40
	v_mov_b32_e32 v3, 0x7fc00000
	v_cndmask_b32_e64 v6, v4, v3, s[34:35]
	v_add_co_u32_e32 v4, vcc, 0x1000, v0
	v_addc_co_u32_e32 v5, vcc, 0, v1, vcc
	v_readlane_b32 s1, v82, 11
	global_store_dword v[4:5], v6, off offset:256
	s_and_b64 exec, exec, s[0:1]
	s_cbranch_execz .LBB719_706
; %bb.677:
	v_div_scale_f32 v4, s[0:1], v2, v2, v39
	v_rcp_f32_e32 v5, v4
	v_div_scale_f32 v6, vcc, v39, v2, v39
	v_readlane_b32 s0, v82, 12
	v_fma_f32 v7, -v4, v5, 1.0
	v_fmac_f32_e32 v5, v7, v5
	v_mul_f32_e32 v7, v6, v5
	v_fma_f32 v8, -v4, v7, v6
	v_fmac_f32_e32 v7, v8, v5
	v_fma_f32 v4, -v4, v7, v6
	v_div_fmas_f32 v4, v4, v5, v7
	v_div_fixup_f32 v4, v4, v2, v39
	v_cndmask_b32_e64 v3, v4, v3, s[34:35]
	v_add_co_u32_e32 v4, vcc, 0x1000, v0
	v_addc_co_u32_e32 v5, vcc, 0, v1, vcc
	v_readlane_b32 s1, v82, 13
	global_store_dword v[4:5], v3, off offset:384
	s_and_b64 exec, exec, s[0:1]
	s_cbranch_execz .LBB719_706
; %bb.678:
	v_div_scale_f32 v3, s[0:1], v2, v2, v38
	v_rcp_f32_e32 v4, v3
	v_div_scale_f32 v5, vcc, v38, v2, v38
	v_readlane_b32 s0, v82, 14
	v_fma_f32 v6, -v3, v4, 1.0
	v_fmac_f32_e32 v4, v6, v4
	v_mul_f32_e32 v6, v5, v4
	v_fma_f32 v7, -v3, v6, v5
	v_fmac_f32_e32 v6, v7, v4
	v_fma_f32 v3, -v3, v6, v5
	v_div_fmas_f32 v3, v3, v4, v6
	v_div_fixup_f32 v4, v3, v2, v38
	v_mov_b32_e32 v3, 0x7fc00000
	v_cndmask_b32_e64 v6, v4, v3, s[34:35]
	v_add_co_u32_e32 v4, vcc, 0x1000, v0
	v_addc_co_u32_e32 v5, vcc, 0, v1, vcc
	v_readlane_b32 s1, v82, 15
	global_store_dword v[4:5], v6, off offset:512
	s_and_b64 exec, exec, s[0:1]
	s_cbranch_execz .LBB719_706
; %bb.679:
	v_div_scale_f32 v4, s[0:1], v2, v2, v37
	v_rcp_f32_e32 v5, v4
	v_div_scale_f32 v6, vcc, v37, v2, v37
	v_readlane_b32 s0, v82, 16
	v_fma_f32 v7, -v4, v5, 1.0
	v_fmac_f32_e32 v5, v7, v5
	v_mul_f32_e32 v7, v6, v5
	v_fma_f32 v8, -v4, v7, v6
	v_fmac_f32_e32 v7, v8, v5
	v_fma_f32 v4, -v4, v7, v6
	v_div_fmas_f32 v4, v4, v5, v7
	v_div_fixup_f32 v4, v4, v2, v37
	v_cndmask_b32_e64 v3, v4, v3, s[34:35]
	v_add_co_u32_e32 v4, vcc, 0x1000, v0
	v_addc_co_u32_e32 v5, vcc, 0, v1, vcc
	v_readlane_b32 s1, v82, 17
	global_store_dword v[4:5], v3, off offset:640
	s_and_b64 exec, exec, s[0:1]
	s_cbranch_execz .LBB719_706
; %bb.680:
	v_div_scale_f32 v3, s[0:1], v2, v2, v36
	v_rcp_f32_e32 v4, v3
	v_div_scale_f32 v5, vcc, v36, v2, v36
	v_readlane_b32 s0, v82, 18
	v_fma_f32 v6, -v3, v4, 1.0
	v_fmac_f32_e32 v4, v6, v4
	v_mul_f32_e32 v6, v5, v4
	v_fma_f32 v7, -v3, v6, v5
	v_fmac_f32_e32 v6, v7, v4
	v_fma_f32 v3, -v3, v6, v5
	v_div_fmas_f32 v3, v3, v4, v6
	v_div_fixup_f32 v4, v3, v2, v36
	v_mov_b32_e32 v3, 0x7fc00000
	v_cndmask_b32_e64 v6, v4, v3, s[34:35]
	v_add_co_u32_e32 v4, vcc, 0x1000, v0
	v_addc_co_u32_e32 v5, vcc, 0, v1, vcc
	v_readlane_b32 s1, v82, 19
	global_store_dword v[4:5], v6, off offset:768
	s_and_b64 exec, exec, s[0:1]
	s_cbranch_execz .LBB719_706
; %bb.681:
	v_div_scale_f32 v4, s[0:1], v2, v2, v35
	v_rcp_f32_e32 v5, v4
	v_div_scale_f32 v6, vcc, v35, v2, v35
	v_readlane_b32 s0, v82, 20
	v_fma_f32 v7, -v4, v5, 1.0
	v_fmac_f32_e32 v5, v7, v5
	v_mul_f32_e32 v7, v6, v5
	v_fma_f32 v8, -v4, v7, v6
	v_fmac_f32_e32 v7, v8, v5
	v_fma_f32 v4, -v4, v7, v6
	v_div_fmas_f32 v4, v4, v5, v7
	v_div_fixup_f32 v4, v4, v2, v35
	v_cndmask_b32_e64 v3, v4, v3, s[34:35]
	v_add_co_u32_e32 v4, vcc, 0x1000, v0
	v_addc_co_u32_e32 v5, vcc, 0, v1, vcc
	v_readlane_b32 s1, v82, 21
	global_store_dword v[4:5], v3, off offset:896
	s_and_b64 exec, exec, s[0:1]
	s_cbranch_execz .LBB719_706
; %bb.682:
	v_div_scale_f32 v3, s[0:1], v2, v2, v34
	v_rcp_f32_e32 v4, v3
	v_div_scale_f32 v5, vcc, v34, v2, v34
	v_readlane_b32 s0, v82, 22
	v_fma_f32 v6, -v3, v4, 1.0
	v_fmac_f32_e32 v4, v6, v4
	v_mul_f32_e32 v6, v5, v4
	v_fma_f32 v7, -v3, v6, v5
	v_fmac_f32_e32 v6, v7, v4
	v_fma_f32 v3, -v3, v6, v5
	v_div_fmas_f32 v3, v3, v4, v6
	v_div_fixup_f32 v4, v3, v2, v34
	v_mov_b32_e32 v3, 0x7fc00000
	v_cndmask_b32_e64 v6, v4, v3, s[34:35]
	v_add_co_u32_e32 v4, vcc, 0x1000, v0
	v_addc_co_u32_e32 v5, vcc, 0, v1, vcc
	v_readlane_b32 s1, v82, 23
	global_store_dword v[4:5], v6, off offset:1024
	s_and_b64 exec, exec, s[0:1]
	s_cbranch_execz .LBB719_706
; %bb.683:
	v_div_scale_f32 v4, s[0:1], v2, v2, v33
	v_rcp_f32_e32 v5, v4
	v_div_scale_f32 v6, vcc, v33, v2, v33
	v_readlane_b32 s0, v82, 24
	v_fma_f32 v7, -v4, v5, 1.0
	v_fmac_f32_e32 v5, v7, v5
	v_mul_f32_e32 v7, v6, v5
	v_fma_f32 v8, -v4, v7, v6
	v_fmac_f32_e32 v7, v8, v5
	v_fma_f32 v4, -v4, v7, v6
	v_div_fmas_f32 v4, v4, v5, v7
	v_div_fixup_f32 v4, v4, v2, v33
	v_cndmask_b32_e64 v3, v4, v3, s[34:35]
	v_add_co_u32_e32 v4, vcc, 0x1000, v0
	v_addc_co_u32_e32 v5, vcc, 0, v1, vcc
	v_readlane_b32 s1, v82, 25
	global_store_dword v[4:5], v3, off offset:1152
	s_and_b64 exec, exec, s[0:1]
	s_cbranch_execz .LBB719_706
; %bb.684:
	v_div_scale_f32 v3, s[0:1], v2, v2, v32
	v_rcp_f32_e32 v4, v3
	v_div_scale_f32 v5, vcc, v32, v2, v32
	v_readlane_b32 s0, v82, 26
	v_fma_f32 v6, -v3, v4, 1.0
	v_fmac_f32_e32 v4, v6, v4
	v_mul_f32_e32 v6, v5, v4
	v_fma_f32 v7, -v3, v6, v5
	v_fmac_f32_e32 v6, v7, v4
	v_fma_f32 v3, -v3, v6, v5
	v_div_fmas_f32 v3, v3, v4, v6
	v_div_fixup_f32 v4, v3, v2, v32
	v_mov_b32_e32 v3, 0x7fc00000
	v_cndmask_b32_e64 v6, v4, v3, s[34:35]
	v_add_co_u32_e32 v4, vcc, 0x1000, v0
	v_addc_co_u32_e32 v5, vcc, 0, v1, vcc
	v_readlane_b32 s1, v82, 27
	global_store_dword v[4:5], v6, off offset:1280
	s_and_b64 exec, exec, s[0:1]
	s_cbranch_execz .LBB719_706
; %bb.685:
	v_div_scale_f32 v4, s[0:1], v2, v2, v31
	v_rcp_f32_e32 v5, v4
	v_div_scale_f32 v6, vcc, v31, v2, v31
	v_readlane_b32 s0, v82, 30
	v_fma_f32 v7, -v4, v5, 1.0
	v_fmac_f32_e32 v5, v7, v5
	v_mul_f32_e32 v7, v6, v5
	v_fma_f32 v8, -v4, v7, v6
	v_fmac_f32_e32 v7, v8, v5
	v_fma_f32 v4, -v4, v7, v6
	v_div_fmas_f32 v4, v4, v5, v7
	v_div_fixup_f32 v4, v4, v2, v31
	v_cndmask_b32_e64 v3, v4, v3, s[34:35]
	v_add_co_u32_e32 v4, vcc, 0x1000, v0
	v_addc_co_u32_e32 v5, vcc, 0, v1, vcc
	v_readlane_b32 s1, v82, 31
	global_store_dword v[4:5], v3, off offset:1408
	s_and_b64 exec, exec, s[0:1]
	s_cbranch_execz .LBB719_706
; %bb.686:
	v_div_scale_f32 v3, s[0:1], v2, v2, v30
	v_rcp_f32_e32 v4, v3
	v_div_scale_f32 v5, vcc, v30, v2, v30
	v_readlane_b32 s0, v82, 34
	v_fma_f32 v6, -v3, v4, 1.0
	v_fmac_f32_e32 v4, v6, v4
	v_mul_f32_e32 v6, v5, v4
	v_fma_f32 v7, -v3, v6, v5
	v_fmac_f32_e32 v6, v7, v4
	v_fma_f32 v3, -v3, v6, v5
	v_div_fmas_f32 v3, v3, v4, v6
	v_div_fixup_f32 v4, v3, v2, v30
	v_mov_b32_e32 v3, 0x7fc00000
	v_cndmask_b32_e64 v6, v4, v3, s[34:35]
	v_add_co_u32_e32 v4, vcc, 0x1000, v0
	v_addc_co_u32_e32 v5, vcc, 0, v1, vcc
	v_readlane_b32 s1, v82, 35
	global_store_dword v[4:5], v6, off offset:1536
	s_and_b64 exec, exec, s[0:1]
	s_cbranch_execz .LBB719_706
; %bb.687:
	v_div_scale_f32 v4, s[0:1], v2, v2, v29
	v_rcp_f32_e32 v5, v4
	v_div_scale_f32 v6, vcc, v29, v2, v29
	v_readlane_b32 s0, v82, 38
	v_fma_f32 v7, -v4, v5, 1.0
	v_fmac_f32_e32 v5, v7, v5
	v_mul_f32_e32 v7, v6, v5
	v_fma_f32 v8, -v4, v7, v6
	v_fmac_f32_e32 v7, v8, v5
	v_fma_f32 v4, -v4, v7, v6
	v_div_fmas_f32 v4, v4, v5, v7
	v_div_fixup_f32 v4, v4, v2, v29
	v_cndmask_b32_e64 v3, v4, v3, s[34:35]
	v_add_co_u32_e32 v4, vcc, 0x1000, v0
	v_addc_co_u32_e32 v5, vcc, 0, v1, vcc
	v_readlane_b32 s1, v82, 39
	global_store_dword v[4:5], v3, off offset:1664
	s_and_b64 exec, exec, s[0:1]
	s_cbranch_execz .LBB719_706
; %bb.688:
	v_div_scale_f32 v3, s[0:1], v2, v2, v28
	v_rcp_f32_e32 v4, v3
	v_div_scale_f32 v5, vcc, v28, v2, v28
	v_readlane_b32 s0, v82, 42
	v_fma_f32 v6, -v3, v4, 1.0
	v_fmac_f32_e32 v4, v6, v4
	v_mul_f32_e32 v6, v5, v4
	v_fma_f32 v7, -v3, v6, v5
	v_fmac_f32_e32 v6, v7, v4
	v_fma_f32 v3, -v3, v6, v5
	v_div_fmas_f32 v3, v3, v4, v6
	v_div_fixup_f32 v4, v3, v2, v28
	v_mov_b32_e32 v3, 0x7fc00000
	v_cndmask_b32_e64 v6, v4, v3, s[34:35]
	v_add_co_u32_e32 v4, vcc, 0x1000, v0
	v_addc_co_u32_e32 v5, vcc, 0, v1, vcc
	v_readlane_b32 s1, v82, 43
	global_store_dword v[4:5], v6, off offset:1792
	s_and_b64 exec, exec, s[0:1]
	s_cbranch_execz .LBB719_706
; %bb.689:
	v_div_scale_f32 v4, s[0:1], v2, v2, v27
	v_rcp_f32_e32 v5, v4
	v_div_scale_f32 v6, vcc, v27, v2, v27
	v_readlane_b32 s0, v82, 46
	v_fma_f32 v7, -v4, v5, 1.0
	v_fmac_f32_e32 v5, v7, v5
	v_mul_f32_e32 v7, v6, v5
	v_fma_f32 v8, -v4, v7, v6
	v_fmac_f32_e32 v7, v8, v5
	v_fma_f32 v4, -v4, v7, v6
	v_div_fmas_f32 v4, v4, v5, v7
	v_div_fixup_f32 v4, v4, v2, v27
	v_cndmask_b32_e64 v3, v4, v3, s[34:35]
	v_add_co_u32_e32 v4, vcc, 0x1000, v0
	v_addc_co_u32_e32 v5, vcc, 0, v1, vcc
	v_readlane_b32 s1, v82, 47
	global_store_dword v[4:5], v3, off offset:1920
	s_and_b64 exec, exec, s[0:1]
	s_cbranch_execz .LBB719_706
; %bb.690:
	v_div_scale_f32 v3, s[0:1], v2, v2, v26
	v_rcp_f32_e32 v4, v3
	v_div_scale_f32 v5, vcc, v26, v2, v26
	v_readlane_b32 s0, v82, 50
	v_fma_f32 v6, -v3, v4, 1.0
	v_fmac_f32_e32 v4, v6, v4
	v_mul_f32_e32 v6, v5, v4
	v_fma_f32 v7, -v3, v6, v5
	v_fmac_f32_e32 v6, v7, v4
	v_fma_f32 v3, -v3, v6, v5
	v_div_fmas_f32 v3, v3, v4, v6
	v_div_fixup_f32 v4, v3, v2, v26
	v_mov_b32_e32 v3, 0x7fc00000
	v_cndmask_b32_e64 v6, v4, v3, s[34:35]
	v_add_co_u32_e32 v4, vcc, 0x1000, v0
	v_addc_co_u32_e32 v5, vcc, 0, v1, vcc
	v_readlane_b32 s1, v82, 51
	global_store_dword v[4:5], v6, off offset:2048
	s_and_b64 exec, exec, s[0:1]
	s_cbranch_execz .LBB719_706
; %bb.691:
	v_div_scale_f32 v4, s[0:1], v2, v2, v25
	v_rcp_f32_e32 v5, v4
	v_div_scale_f32 v6, vcc, v25, v2, v25
	v_readlane_b32 s0, v82, 54
	v_fma_f32 v7, -v4, v5, 1.0
	v_fmac_f32_e32 v5, v7, v5
	v_mul_f32_e32 v7, v6, v5
	v_fma_f32 v8, -v4, v7, v6
	v_fmac_f32_e32 v7, v8, v5
	v_fma_f32 v4, -v4, v7, v6
	v_div_fmas_f32 v4, v4, v5, v7
	v_div_fixup_f32 v4, v4, v2, v25
	v_cndmask_b32_e64 v3, v4, v3, s[34:35]
	v_add_co_u32_e32 v4, vcc, 0x1000, v0
	v_addc_co_u32_e32 v5, vcc, 0, v1, vcc
	v_readlane_b32 s1, v82, 55
	global_store_dword v[4:5], v3, off offset:2176
	s_and_b64 exec, exec, s[0:1]
	s_cbranch_execz .LBB719_706
; %bb.692:
	v_div_scale_f32 v3, s[0:1], v2, v2, v24
	v_rcp_f32_e32 v4, v3
	v_div_scale_f32 v5, vcc, v24, v2, v24
	v_readlane_b32 s0, v82, 58
	v_fma_f32 v6, -v3, v4, 1.0
	v_fmac_f32_e32 v4, v6, v4
	v_mul_f32_e32 v6, v5, v4
	v_fma_f32 v7, -v3, v6, v5
	v_fmac_f32_e32 v6, v7, v4
	v_fma_f32 v3, -v3, v6, v5
	v_div_fmas_f32 v3, v3, v4, v6
	v_div_fixup_f32 v4, v3, v2, v24
	v_mov_b32_e32 v3, 0x7fc00000
	v_cndmask_b32_e64 v6, v4, v3, s[34:35]
	v_add_co_u32_e32 v4, vcc, 0x1000, v0
	v_addc_co_u32_e32 v5, vcc, 0, v1, vcc
	v_readlane_b32 s1, v82, 59
	global_store_dword v[4:5], v6, off offset:2304
	s_and_b64 exec, exec, s[0:1]
	s_cbranch_execz .LBB719_706
; %bb.693:
	v_div_scale_f32 v4, s[0:1], v2, v2, v23
	v_rcp_f32_e32 v5, v4
	v_div_scale_f32 v6, vcc, v23, v2, v23
	v_readlane_b32 s0, v82, 62
	v_fma_f32 v7, -v4, v5, 1.0
	v_fmac_f32_e32 v5, v7, v5
	v_mul_f32_e32 v7, v6, v5
	v_fma_f32 v8, -v4, v7, v6
	v_fmac_f32_e32 v7, v8, v5
	v_fma_f32 v4, -v4, v7, v6
	v_div_fmas_f32 v4, v4, v5, v7
	v_div_fixup_f32 v4, v4, v2, v23
	v_cndmask_b32_e64 v3, v4, v3, s[34:35]
	v_add_co_u32_e32 v4, vcc, 0x1000, v0
	v_addc_co_u32_e32 v5, vcc, 0, v1, vcc
	v_readlane_b32 s1, v82, 63
	global_store_dword v[4:5], v3, off offset:2432
	s_and_b64 exec, exec, s[0:1]
	s_cbranch_execz .LBB719_706
; %bb.694:
	v_div_scale_f32 v3, s[0:1], v2, v2, v22
	v_rcp_f32_e32 v4, v3
	v_div_scale_f32 v5, vcc, v22, v2, v22
	v_readlane_b32 s0, v80, 2
	v_fma_f32 v6, -v3, v4, 1.0
	v_fmac_f32_e32 v4, v6, v4
	v_mul_f32_e32 v6, v5, v4
	v_fma_f32 v7, -v3, v6, v5
	v_fmac_f32_e32 v6, v7, v4
	v_fma_f32 v3, -v3, v6, v5
	v_div_fmas_f32 v3, v3, v4, v6
	v_div_fixup_f32 v4, v3, v2, v22
	v_mov_b32_e32 v3, 0x7fc00000
	v_cndmask_b32_e64 v6, v4, v3, s[34:35]
	v_add_co_u32_e32 v4, vcc, 0x1000, v0
	v_addc_co_u32_e32 v5, vcc, 0, v1, vcc
	v_readlane_b32 s1, v80, 3
	global_store_dword v[4:5], v6, off offset:2560
	s_and_b64 exec, exec, s[0:1]
	s_cbranch_execz .LBB719_706
; %bb.695:
	v_div_scale_f32 v4, s[0:1], v2, v2, v21
	v_rcp_f32_e32 v5, v4
	v_div_scale_f32 v6, vcc, v21, v2, v21
	v_readlane_b32 s0, v80, 6
	v_fma_f32 v7, -v4, v5, 1.0
	v_fmac_f32_e32 v5, v7, v5
	v_mul_f32_e32 v7, v6, v5
	v_fma_f32 v8, -v4, v7, v6
	v_fmac_f32_e32 v7, v8, v5
	v_fma_f32 v4, -v4, v7, v6
	v_div_fmas_f32 v4, v4, v5, v7
	v_div_fixup_f32 v4, v4, v2, v21
	v_cndmask_b32_e64 v3, v4, v3, s[34:35]
	v_add_co_u32_e32 v4, vcc, 0x1000, v0
	v_addc_co_u32_e32 v5, vcc, 0, v1, vcc
	v_readlane_b32 s1, v80, 7
	global_store_dword v[4:5], v3, off offset:2688
	s_and_b64 exec, exec, s[0:1]
	s_cbranch_execz .LBB719_706
; %bb.696:
	v_div_scale_f32 v3, s[0:1], v2, v2, v20
	v_rcp_f32_e32 v4, v3
	v_div_scale_f32 v5, vcc, v20, v2, v20
	v_readlane_b32 s0, v80, 10
	v_fma_f32 v6, -v3, v4, 1.0
	v_fmac_f32_e32 v4, v6, v4
	v_mul_f32_e32 v6, v5, v4
	v_fma_f32 v7, -v3, v6, v5
	v_fmac_f32_e32 v6, v7, v4
	v_fma_f32 v3, -v3, v6, v5
	v_div_fmas_f32 v3, v3, v4, v6
	v_div_fixup_f32 v4, v3, v2, v20
	v_mov_b32_e32 v3, 0x7fc00000
	v_cndmask_b32_e64 v6, v4, v3, s[34:35]
	v_add_co_u32_e32 v4, vcc, 0x1000, v0
	v_addc_co_u32_e32 v5, vcc, 0, v1, vcc
	v_readlane_b32 s1, v80, 11
	global_store_dword v[4:5], v6, off offset:2816
	s_and_b64 exec, exec, s[0:1]
	s_cbranch_execz .LBB719_706
; %bb.697:
	v_div_scale_f32 v4, s[0:1], v2, v2, v18
	v_rcp_f32_e32 v5, v4
	v_div_scale_f32 v6, vcc, v18, v2, v18
	v_readlane_b32 s0, v80, 14
	v_fma_f32 v7, -v4, v5, 1.0
	v_fmac_f32_e32 v5, v7, v5
	v_mul_f32_e32 v7, v6, v5
	v_fma_f32 v8, -v4, v7, v6
	v_fmac_f32_e32 v7, v8, v5
	v_fma_f32 v4, -v4, v7, v6
	v_div_fmas_f32 v4, v4, v5, v7
	v_div_fixup_f32 v4, v4, v2, v18
	v_cndmask_b32_e64 v3, v4, v3, s[34:35]
	v_add_co_u32_e32 v4, vcc, 0x1000, v0
	v_addc_co_u32_e32 v5, vcc, 0, v1, vcc
	v_readlane_b32 s1, v80, 15
	global_store_dword v[4:5], v3, off offset:2944
	s_and_b64 exec, exec, s[0:1]
	s_cbranch_execz .LBB719_706
; %bb.698:
	v_div_scale_f32 v3, s[0:1], v2, v2, v19
	v_rcp_f32_e32 v4, v3
	v_div_scale_f32 v5, vcc, v19, v2, v19
	v_readlane_b32 s0, v80, 18
	v_fma_f32 v6, -v3, v4, 1.0
	v_fmac_f32_e32 v4, v6, v4
	v_mul_f32_e32 v6, v5, v4
	v_fma_f32 v7, -v3, v6, v5
	v_fmac_f32_e32 v6, v7, v4
	v_fma_f32 v3, -v3, v6, v5
	v_div_fmas_f32 v3, v3, v4, v6
	v_div_fixup_f32 v4, v3, v2, v19
	v_mov_b32_e32 v3, 0x7fc00000
	v_cndmask_b32_e64 v6, v4, v3, s[34:35]
	v_add_co_u32_e32 v4, vcc, 0x1000, v0
	v_addc_co_u32_e32 v5, vcc, 0, v1, vcc
	v_readlane_b32 s1, v80, 19
	global_store_dword v[4:5], v6, off offset:3072
	s_and_b64 exec, exec, s[0:1]
	s_cbranch_execz .LBB719_706
; %bb.699:
	v_div_scale_f32 v4, s[0:1], v2, v2, v17
	v_rcp_f32_e32 v5, v4
	v_div_scale_f32 v6, vcc, v17, v2, v17
	v_readlane_b32 s0, v80, 22
	v_fma_f32 v7, -v4, v5, 1.0
	v_fmac_f32_e32 v5, v7, v5
	v_mul_f32_e32 v7, v6, v5
	v_fma_f32 v8, -v4, v7, v6
	v_fmac_f32_e32 v7, v8, v5
	v_fma_f32 v4, -v4, v7, v6
	v_div_fmas_f32 v4, v4, v5, v7
	v_div_fixup_f32 v4, v4, v2, v17
	v_cndmask_b32_e64 v3, v4, v3, s[34:35]
	v_add_co_u32_e32 v4, vcc, 0x1000, v0
	v_addc_co_u32_e32 v5, vcc, 0, v1, vcc
	v_readlane_b32 s1, v80, 23
	global_store_dword v[4:5], v3, off offset:3200
	s_and_b64 exec, exec, s[0:1]
	s_cbranch_execz .LBB719_706
; %bb.700:
	v_div_scale_f32 v3, s[0:1], v2, v2, v16
	v_rcp_f32_e32 v4, v3
	v_div_scale_f32 v5, vcc, v16, v2, v16
	v_readlane_b32 s0, v80, 26
	v_fma_f32 v6, -v3, v4, 1.0
	v_fmac_f32_e32 v4, v6, v4
	v_mul_f32_e32 v6, v5, v4
	v_fma_f32 v7, -v3, v6, v5
	v_fmac_f32_e32 v6, v7, v4
	v_fma_f32 v3, -v3, v6, v5
	v_div_fmas_f32 v3, v3, v4, v6
	v_div_fixup_f32 v4, v3, v2, v16
	v_mov_b32_e32 v3, 0x7fc00000
	v_cndmask_b32_e64 v6, v4, v3, s[34:35]
	v_add_co_u32_e32 v4, vcc, 0x1000, v0
	v_addc_co_u32_e32 v5, vcc, 0, v1, vcc
	v_readlane_b32 s1, v80, 27
	global_store_dword v[4:5], v6, off offset:3328
	s_and_b64 exec, exec, s[0:1]
	s_cbranch_execz .LBB719_706
; %bb.701:
	v_div_scale_f32 v4, s[0:1], v2, v2, v15
	v_rcp_f32_e32 v5, v4
	v_div_scale_f32 v6, vcc, v15, v2, v15
	v_readlane_b32 s0, v80, 30
	v_fma_f32 v7, -v4, v5, 1.0
	v_fmac_f32_e32 v5, v7, v5
	v_mul_f32_e32 v7, v6, v5
	v_fma_f32 v8, -v4, v7, v6
	v_fmac_f32_e32 v7, v8, v5
	v_fma_f32 v4, -v4, v7, v6
	v_div_fmas_f32 v4, v4, v5, v7
	v_div_fixup_f32 v4, v4, v2, v15
	v_cndmask_b32_e64 v3, v4, v3, s[34:35]
	v_add_co_u32_e32 v4, vcc, 0x1000, v0
	v_addc_co_u32_e32 v5, vcc, 0, v1, vcc
	v_readlane_b32 s1, v80, 31
	global_store_dword v[4:5], v3, off offset:3456
	s_and_b64 exec, exec, s[0:1]
	s_cbranch_execz .LBB719_706
; %bb.702:
	v_div_scale_f32 v3, s[0:1], v2, v2, v14
	v_rcp_f32_e32 v4, v3
	v_div_scale_f32 v5, vcc, v14, v2, v14
	v_readlane_b32 s0, v80, 34
	v_fma_f32 v6, -v3, v4, 1.0
	v_fmac_f32_e32 v4, v6, v4
	v_mul_f32_e32 v6, v5, v4
	v_fma_f32 v7, -v3, v6, v5
	v_fmac_f32_e32 v6, v7, v4
	v_fma_f32 v3, -v3, v6, v5
	v_div_fmas_f32 v3, v3, v4, v6
	v_div_fixup_f32 v4, v3, v2, v14
	v_mov_b32_e32 v3, 0x7fc00000
	v_cndmask_b32_e64 v6, v4, v3, s[34:35]
	v_add_co_u32_e32 v4, vcc, 0x1000, v0
	v_addc_co_u32_e32 v5, vcc, 0, v1, vcc
	v_readlane_b32 s1, v80, 35
	global_store_dword v[4:5], v6, off offset:3584
	s_and_b64 exec, exec, s[0:1]
	s_cbranch_execz .LBB719_706
; %bb.703:
	v_div_scale_f32 v4, s[0:1], v2, v2, v13
	v_rcp_f32_e32 v5, v4
	v_div_scale_f32 v6, vcc, v13, v2, v13
	v_readlane_b32 s0, v80, 38
	v_fma_f32 v7, -v4, v5, 1.0
	v_fmac_f32_e32 v5, v7, v5
	v_mul_f32_e32 v7, v6, v5
	v_fma_f32 v8, -v4, v7, v6
	v_fmac_f32_e32 v7, v8, v5
	v_fma_f32 v4, -v4, v7, v6
	v_div_fmas_f32 v4, v4, v5, v7
	v_div_fixup_f32 v4, v4, v2, v13
	v_cndmask_b32_e64 v3, v4, v3, s[34:35]
	v_add_co_u32_e32 v4, vcc, 0x1000, v0
	v_addc_co_u32_e32 v5, vcc, 0, v1, vcc
	v_readlane_b32 s1, v80, 39
	global_store_dword v[4:5], v3, off offset:3712
	s_and_b64 exec, exec, s[0:1]
	s_cbranch_execz .LBB719_706
; %bb.704:
	v_div_scale_f32 v3, s[0:1], v2, v2, v12
	v_rcp_f32_e32 v4, v3
	v_div_scale_f32 v5, vcc, v12, v2, v12
	v_readlane_b32 s0, v80, 42
	v_fma_f32 v6, -v3, v4, 1.0
	v_fmac_f32_e32 v4, v6, v4
	v_mul_f32_e32 v6, v5, v4
	v_fma_f32 v7, -v3, v6, v5
	v_fmac_f32_e32 v6, v7, v4
	v_fma_f32 v3, -v3, v6, v5
	v_div_fmas_f32 v3, v3, v4, v6
	v_div_fixup_f32 v4, v3, v2, v12
	v_mov_b32_e32 v3, 0x7fc00000
	v_cndmask_b32_e64 v6, v4, v3, s[34:35]
	v_add_co_u32_e32 v4, vcc, 0x1000, v0
	v_addc_co_u32_e32 v5, vcc, 0, v1, vcc
	v_readlane_b32 s1, v80, 43
	global_store_dword v[4:5], v6, off offset:3840
	s_and_b64 exec, exec, s[0:1]
	s_cbranch_execz .LBB719_706
; %bb.705:
	v_div_scale_f32 v4, s[0:1], v2, v2, v11
	v_rcp_f32_e32 v5, v4
	v_div_scale_f32 v6, vcc, v11, v2, v11
	v_fma_f32 v7, -v4, v5, 1.0
	v_fmac_f32_e32 v5, v7, v5
	v_mul_f32_e32 v7, v6, v5
	v_fma_f32 v8, -v4, v7, v6
	v_fmac_f32_e32 v7, v8, v5
	v_fma_f32 v4, -v4, v7, v6
	v_div_fmas_f32 v4, v4, v5, v7
	v_div_fixup_f32 v2, v4, v2, v11
	v_add_co_u32_e32 v0, vcc, 0x1000, v0
	v_cndmask_b32_e64 v2, v2, v3, s[34:35]
	v_addc_co_u32_e32 v1, vcc, 0, v1, vcc
	global_store_dword v[0:1], v2, off offset:3968
.LBB719_706:
	s_endpgm
	.section	.rodata,"a",@progbits
	.p2align	6, 0x0
	.amdhsa_kernel _ZN12_GLOBAL__N_120softmax_warp_forwardIfffLi11ELb0ELb1ELi32EEEvPT0_PKT_iiiPKbib
		.amdhsa_group_segment_fixed_size 0
		.amdhsa_private_segment_fixed_size 0
		.amdhsa_kernarg_size 304
		.amdhsa_user_sgpr_count 6
		.amdhsa_user_sgpr_private_segment_buffer 1
		.amdhsa_user_sgpr_dispatch_ptr 0
		.amdhsa_user_sgpr_queue_ptr 0
		.amdhsa_user_sgpr_kernarg_segment_ptr 1
		.amdhsa_user_sgpr_dispatch_id 0
		.amdhsa_user_sgpr_flat_scratch_init 0
		.amdhsa_user_sgpr_kernarg_preload_length 0
		.amdhsa_user_sgpr_kernarg_preload_offset 0
		.amdhsa_user_sgpr_private_segment_size 0
		.amdhsa_uses_dynamic_stack 0
		.amdhsa_system_sgpr_private_segment_wavefront_offset 0
		.amdhsa_system_sgpr_workgroup_id_x 1
		.amdhsa_system_sgpr_workgroup_id_y 0
		.amdhsa_system_sgpr_workgroup_id_z 0
		.amdhsa_system_sgpr_workgroup_info 0
		.amdhsa_system_vgpr_workitem_id 1
		.amdhsa_next_free_vgpr 83
		.amdhsa_next_free_sgpr 96
		.amdhsa_accum_offset 84
		.amdhsa_reserve_vcc 1
		.amdhsa_reserve_flat_scratch 0
		.amdhsa_float_round_mode_32 0
		.amdhsa_float_round_mode_16_64 0
		.amdhsa_float_denorm_mode_32 3
		.amdhsa_float_denorm_mode_16_64 3
		.amdhsa_dx10_clamp 1
		.amdhsa_ieee_mode 1
		.amdhsa_fp16_overflow 0
		.amdhsa_tg_split 0
		.amdhsa_exception_fp_ieee_invalid_op 0
		.amdhsa_exception_fp_denorm_src 0
		.amdhsa_exception_fp_ieee_div_zero 0
		.amdhsa_exception_fp_ieee_overflow 0
		.amdhsa_exception_fp_ieee_underflow 0
		.amdhsa_exception_fp_ieee_inexact 0
		.amdhsa_exception_int_div_zero 0
	.end_amdhsa_kernel
	.section	.text._ZN12_GLOBAL__N_120softmax_warp_forwardIfffLi11ELb0ELb1ELi32EEEvPT0_PKT_iiiPKbib,"axG",@progbits,_ZN12_GLOBAL__N_120softmax_warp_forwardIfffLi11ELb0ELb1ELi32EEEvPT0_PKT_iiiPKbib,comdat
.Lfunc_end719:
	.size	_ZN12_GLOBAL__N_120softmax_warp_forwardIfffLi11ELb0ELb1ELi32EEEvPT0_PKT_iiiPKbib, .Lfunc_end719-_ZN12_GLOBAL__N_120softmax_warp_forwardIfffLi11ELb0ELb1ELi32EEEvPT0_PKT_iiiPKbib
                                        ; -- End function
	.section	.AMDGPU.csdata,"",@progbits
; Kernel info:
; codeLenInByte = 30340
; NumSgprs: 100
; NumVgprs: 83
; NumAgprs: 0
; TotalNumVgprs: 83
; ScratchSize: 0
; MemoryBound: 0
; FloatMode: 240
; IeeeMode: 1
; LDSByteSize: 0 bytes/workgroup (compile time only)
; SGPRBlocks: 12
; VGPRBlocks: 10
; NumSGPRsForWavesPerEU: 100
; NumVGPRsForWavesPerEU: 83
; AccumOffset: 84
; Occupancy: 5
; WaveLimiterHint : 0
; COMPUTE_PGM_RSRC2:SCRATCH_EN: 0
; COMPUTE_PGM_RSRC2:USER_SGPR: 6
; COMPUTE_PGM_RSRC2:TRAP_HANDLER: 0
; COMPUTE_PGM_RSRC2:TGID_X_EN: 1
; COMPUTE_PGM_RSRC2:TGID_Y_EN: 0
; COMPUTE_PGM_RSRC2:TGID_Z_EN: 0
; COMPUTE_PGM_RSRC2:TIDIG_COMP_CNT: 1
; COMPUTE_PGM_RSRC3_GFX90A:ACCUM_OFFSET: 20
; COMPUTE_PGM_RSRC3_GFX90A:TG_SPLIT: 0
	.section	.text._ZN12_GLOBAL__N_120softmax_warp_forwardIN3c104HalfES2_fLi0ELb0ELb1ELi64EEEvPT0_PKT_iiiPKbib,"axG",@progbits,_ZN12_GLOBAL__N_120softmax_warp_forwardIN3c104HalfES2_fLi0ELb0ELb1ELi64EEEvPT0_PKT_iiiPKbib,comdat
	.globl	_ZN12_GLOBAL__N_120softmax_warp_forwardIN3c104HalfES2_fLi0ELb0ELb1ELi64EEEvPT0_PKT_iiiPKbib ; -- Begin function _ZN12_GLOBAL__N_120softmax_warp_forwardIN3c104HalfES2_fLi0ELb0ELb1ELi64EEEvPT0_PKT_iiiPKbib
	.p2align	8
	.type	_ZN12_GLOBAL__N_120softmax_warp_forwardIN3c104HalfES2_fLi0ELb0ELb1ELi64EEEvPT0_PKT_iiiPKbib,@function
_ZN12_GLOBAL__N_120softmax_warp_forwardIN3c104HalfES2_fLi0ELb0ELb1ELi64EEEvPT0_PKT_iiiPKbib: ; @_ZN12_GLOBAL__N_120softmax_warp_forwardIN3c104HalfES2_fLi0ELb0ELb1ELi64EEEvPT0_PKT_iiiPKbib
; %bb.0:
	s_load_dwordx2 s[0:1], s[4:5], 0x28
	s_load_dword s2, s[4:5], 0x3c
	s_load_dwordx4 s[8:11], s[4:5], 0x10
	v_bfe_u32 v1, v0, 10, 10
	v_and_b32_e32 v4, 0x3ff, v0
	s_waitcnt lgkmcnt(0)
	s_bitcmp1_b32 s1, 0
	s_cselect_b64 s[16:17], -1, 0
	s_lshr_b32 s2, s2, 16
	s_mul_i32 s6, s6, s2
	v_add_lshl_u32 v5, s6, v1, 1
	v_mul_lo_u32 v6, v5, s9
	v_add_u32_e32 v0, v6, v4
	v_ashrrev_i32_e32 v1, 31, v0
	s_bitcmp0_b32 s1, 0
	v_pk_mov_b32 v[2:3], v[0:1], v[0:1] op_sel:[0,1]
	s_cbranch_scc1 .LBB720_2
; %bb.1:
	s_abs_i32 s1, s0
	v_cvt_f32_u32_e32 v2, s1
	v_xor_b32_e32 v3, s0, v6
	v_sub_u32_e32 v7, 0, v6
	s_sub_i32 s0, 0, s1
	v_rcp_iflag_f32_e32 v2, v2
	v_max_i32_e32 v6, v6, v7
	v_ashrrev_i32_e32 v3, 31, v3
	v_mul_f32_e32 v2, 0x4f7ffffe, v2
	v_cvt_u32_f32_e32 v2, v2
	v_mul_lo_u32 v7, s0, v2
	v_mul_hi_u32 v7, v2, v7
	v_add_u32_e32 v2, v2, v7
	v_mul_hi_u32 v2, v6, v2
	v_mul_lo_u32 v7, v2, s1
	v_sub_u32_e32 v6, v6, v7
	v_add_u32_e32 v8, 1, v2
	v_cmp_le_u32_e32 vcc, s1, v6
	v_subrev_u32_e32 v7, s1, v6
	v_cndmask_b32_e32 v2, v2, v8, vcc
	v_cndmask_b32_e32 v6, v6, v7, vcc
	v_add_u32_e32 v7, 1, v2
	v_cmp_le_u32_e32 vcc, s1, v6
	v_cndmask_b32_e32 v2, v2, v7, vcc
	v_xor_b32_e32 v2, v2, v3
	v_sub_u32_e32 v2, v2, v3
	v_mad_u64_u32 v[2:3], s[0:1], v2, s9, v[4:5]
	v_ashrrev_i32_e32 v3, 31, v2
.LBB720_2:
	s_load_dwordx4 s[12:15], s[4:5], 0x0
	v_lshlrev_b64 v[0:1], 1, v[0:1]
	v_sub_u32_e32 v8, s8, v5
	v_cmp_gt_i32_e64 s[0:1], s10, v4
	v_mov_b32_e32 v9, 0xff800000
	s_waitcnt lgkmcnt(0)
	v_mov_b32_e32 v5, s15
	v_add_co_u32_e32 v6, vcc, s14, v0
	v_addc_co_u32_e32 v7, vcc, v5, v1, vcc
	v_cmp_lt_i32_e32 vcc, 0, v8
	s_and_b64 s[8:9], s[0:1], vcc
	v_mov_b32_e32 v10, 0xff800000
	s_and_saveexec_b64 s[2:3], s[8:9]
	s_cbranch_execz .LBB720_4
; %bb.3:
	global_load_ushort v4, v[6:7], off
	s_waitcnt vmcnt(0)
	v_cvt_f32_f16_e32 v10, v4
.LBB720_4:
	s_or_b64 exec, exec, s[2:3]
	v_cmp_lt_i32_e64 s[2:3], 1, v8
	s_and_b64 s[6:7], s[0:1], s[2:3]
	s_and_saveexec_b64 s[14:15], s[6:7]
	s_cbranch_execz .LBB720_6
; %bb.5:
	s_mov_b32 s11, 0
	s_lshl_b64 s[2:3], s[10:11], 1
	v_mov_b32_e32 v5, s3
	v_add_co_u32_e64 v4, s[2:3], s2, v6
	v_addc_co_u32_e64 v5, s[2:3], v7, v5, s[2:3]
	global_load_ushort v4, v[4:5], off
	s_waitcnt vmcnt(0)
	v_cvt_f32_f16_e32 v9, v4
.LBB720_6:
	s_or_b64 exec, exec, s[14:15]
	s_load_dwordx2 s[2:3], s[4:5], 0x20
	s_waitcnt lgkmcnt(0)
	v_mov_b32_e32 v5, s3
	v_add_co_u32_e64 v4, s[2:3], s2, v2
	v_addc_co_u32_e64 v5, s[2:3], v5, v3, s[2:3]
	v_mov_b32_e32 v2, 0xff800000
	s_and_saveexec_b64 s[4:5], s[8:9]
	s_cbranch_execz .LBB720_8
; %bb.7:
	global_load_ubyte v2, v[4:5], off
	v_mov_b32_e32 v3, 0xff800000
	s_waitcnt vmcnt(0)
	v_and_b32_e32 v2, 1, v2
	v_cmp_eq_u32_e64 s[2:3], 1, v2
	v_cndmask_b32_e64 v2, v10, v3, s[2:3]
.LBB720_8:
	s_or_b64 exec, exec, s[4:5]
	s_mov_b64 s[2:3], 0
	s_and_saveexec_b64 s[4:5], s[6:7]
	s_cbranch_execz .LBB720_10
; %bb.9:
	s_and_b64 s[2:3], s[16:17], exec
	s_cselect_b32 s2, 0, 0
	s_cselect_b32 s3, 0, s10
	v_mov_b32_e32 v3, s2
	v_add_co_u32_e64 v6, s[2:3], s3, v4
	v_addc_co_u32_e64 v7, s[2:3], v5, v3, s[2:3]
	global_load_ubyte v3, v[6:7], off
	s_waitcnt vmcnt(0)
	v_and_b32_e32 v3, 1, v3
	v_cmp_eq_u32_e64 s[2:3], 1, v3
	s_xor_b64 s[2:3], s[2:3], -1
	s_and_b64 s[2:3], s[2:3], exec
.LBB720_10:
	s_or_b64 exec, exec, s[4:5]
	v_mov_b32_e32 v3, 0xff800000
	v_cndmask_b32_e64 v11, v3, v9, s[2:3]
	v_cndmask_b32_e64 v12, v2, v2, s[2:3]
	s_mov_b32 s2, 0
	s_mov_b32 s3, s2
	v_mov_b32_e32 v6, 0
	v_pk_mov_b32 v[2:3], s[2:3], s[2:3] op_sel:[0,1]
	v_mov_b32_e32 v7, 0
	s_and_saveexec_b64 s[4:5], s[8:9]
	s_cbranch_execnz .LBB720_14
; %bb.11:
	s_or_b64 exec, exec, s[4:5]
	s_and_saveexec_b64 s[4:5], s[6:7]
	s_cbranch_execnz .LBB720_17
.LBB720_12:
	s_or_b64 exec, exec, s[4:5]
	s_and_saveexec_b64 s[2:3], vcc
	s_cbranch_execnz .LBB720_20
.LBB720_13:
	s_endpgm
.LBB720_14:
	global_load_ubyte v7, v[4:5], off
	v_pk_mov_b32 v[2:3], s[2:3], s[2:3] op_sel:[0,1]
	s_waitcnt vmcnt(0)
	v_and_b32_e32 v7, 1, v7
	v_cmp_eq_u32_e64 s[2:3], 1, v7
	s_xor_b64 s[2:3], s[2:3], -1
	v_mov_b32_e32 v7, 0
	s_and_saveexec_b64 s[8:9], s[2:3]
	s_cbranch_execz .LBB720_16
; %bb.15:
	v_sub_f32_e32 v2, v10, v12
	s_mov_b32 s2, 0x3fb8aa3b
	v_mul_f32_e32 v3, 0x3fb8aa3b, v2
	v_fma_f32 v7, v2, s2, -v3
	v_rndne_f32_e32 v10, v3
	v_fmac_f32_e32 v7, 0x32a5705f, v2
	v_sub_f32_e32 v3, v3, v10
	v_add_f32_e32 v3, v3, v7
	v_exp_f32_e32 v3, v3
	v_cvt_i32_f32_e32 v7, v10
	s_mov_b32 s2, 0xc2ce8ed0
	v_cmp_ngt_f32_e64 s[2:3], s2, v2
	v_mov_b32_e32 v10, 0x7f800000
	v_ldexp_f32 v7, v3, v7
	v_cndmask_b32_e64 v7, 0, v7, s[2:3]
	s_mov_b32 s2, 0x42b17218
	v_cmp_nlt_f32_e64 s[2:3], s2, v2
	v_cndmask_b32_e64 v2, v10, v7, s[2:3]
	v_mov_b32_e32 v3, 0
	v_mov_b32_e32 v7, v2
.LBB720_16:
	s_or_b64 exec, exec, s[8:9]
	s_or_b64 exec, exec, s[4:5]
	s_and_saveexec_b64 s[4:5], s[6:7]
	s_cbranch_execz .LBB720_12
.LBB720_17:
	s_and_b64 s[2:3], s[16:17], exec
	s_cselect_b32 s2, 0, 0
	s_cselect_b32 s3, 0, s10
	v_mov_b32_e32 v6, s2
	v_add_co_u32_e64 v4, s[2:3], s3, v4
	v_addc_co_u32_e64 v5, s[2:3], v5, v6, s[2:3]
	global_load_ubyte v4, v[4:5], off
	v_mov_b32_e32 v6, 0
	s_waitcnt vmcnt(0)
	v_and_b32_e32 v4, 1, v4
	v_cmp_eq_u32_e64 s[2:3], 1, v4
	s_xor_b64 s[2:3], s[2:3], -1
	s_and_saveexec_b64 s[6:7], s[2:3]
	s_cbranch_execz .LBB720_19
; %bb.18:
	v_sub_f32_e32 v4, v9, v11
	s_mov_b32 s2, 0x3fb8aa3b
	v_mul_f32_e32 v5, 0x3fb8aa3b, v4
	v_fma_f32 v6, v4, s2, -v5
	v_rndne_f32_e32 v9, v5
	v_fmac_f32_e32 v6, 0x32a5705f, v4
	v_sub_f32_e32 v5, v5, v9
	v_add_f32_e32 v5, v5, v6
	v_exp_f32_e32 v5, v5
	v_cvt_i32_f32_e32 v6, v9
	s_mov_b32 s2, 0xc2ce8ed0
	v_cmp_ngt_f32_e64 s[2:3], s2, v4
	v_ldexp_f32 v5, v5, v6
	v_cndmask_b32_e64 v5, 0, v5, s[2:3]
	s_mov_b32 s2, 0x42b17218
	v_mov_b32_e32 v6, 0x7f800000
	v_cmp_nlt_f32_e64 s[2:3], s2, v4
	v_cndmask_b32_e64 v6, v6, v5, s[2:3]
	v_add_f32_e32 v3, v3, v6
.LBB720_19:
	s_or_b64 exec, exec, s[6:7]
	s_or_b64 exec, exec, s[4:5]
	s_and_saveexec_b64 s[2:3], vcc
	s_cbranch_execz .LBB720_13
.LBB720_20:
	v_mov_b32_e32 v4, s13
	v_add_co_u32_e32 v0, vcc, s12, v0
	v_addc_co_u32_e32 v1, vcc, v4, v1, vcc
	s_and_saveexec_b64 s[2:3], s[0:1]
	s_cbranch_execz .LBB720_25
; %bb.21:
	v_cmp_neq_f32_e32 vcc, 0, v2
	s_and_saveexec_b64 s[4:5], vcc
	s_xor_b64 s[4:5], exec, s[4:5]
	s_cbranch_execz .LBB720_23
; %bb.22:
	v_div_scale_f32 v4, s[6:7], v2, v2, v7
	v_rcp_f32_e32 v5, v4
	v_div_scale_f32 v9, vcc, v7, v2, v7
	v_fma_f32 v10, -v4, v5, 1.0
	v_fmac_f32_e32 v5, v10, v5
	v_mul_f32_e32 v10, v9, v5
	v_fma_f32 v11, -v4, v10, v9
	v_fmac_f32_e32 v10, v11, v5
	v_fma_f32 v4, -v4, v10, v9
	v_div_fmas_f32 v4, v4, v5, v10
	v_div_fixup_f32 v2, v4, v2, v7
	v_cvt_f16_f32_e32 v2, v2
	global_store_short v[0:1], v2, off
.LBB720_23:
	s_andn2_saveexec_b64 s[4:5], s[4:5]
	s_cbranch_execz .LBB720_25
; %bb.24:
	v_mov_b32_e32 v2, 0x7e00
	global_store_short v[0:1], v2, off
.LBB720_25:
	s_or_b64 exec, exec, s[2:3]
	v_cmp_ne_u32_e32 vcc, 1, v8
	s_and_b64 exec, exec, vcc
	s_cbranch_execz .LBB720_13
; %bb.26:
	s_and_b64 exec, exec, s[0:1]
	s_cbranch_execz .LBB720_13
; %bb.27:
	s_mov_b32 s11, 0
	s_lshl_b64 s[0:1], s[10:11], 1
	v_mov_b32_e32 v2, s1
	v_add_co_u32_e64 v0, s[0:1], s0, v0
	v_cmp_neq_f32_e32 vcc, 0, v3
	v_addc_co_u32_e64 v1, s[0:1], v1, v2, s[0:1]
	s_and_saveexec_b64 s[0:1], vcc
	s_xor_b64 s[0:1], exec, s[0:1]
	s_cbranch_execz .LBB720_29
; %bb.28:
	v_div_scale_f32 v2, s[2:3], v3, v3, v6
	v_rcp_f32_e32 v4, v2
	v_div_scale_f32 v5, vcc, v6, v3, v6
	v_fma_f32 v7, -v2, v4, 1.0
	v_fmac_f32_e32 v4, v7, v4
	v_mul_f32_e32 v7, v5, v4
	v_fma_f32 v8, -v2, v7, v5
	v_fmac_f32_e32 v7, v8, v4
	v_fma_f32 v2, -v2, v7, v5
	v_div_fmas_f32 v2, v2, v4, v7
	v_div_fixup_f32 v2, v2, v3, v6
	v_cvt_f16_f32_e32 v2, v2
	global_store_short v[0:1], v2, off
                                        ; implicit-def: $vgpr0_vgpr1
.LBB720_29:
	s_andn2_saveexec_b64 s[0:1], s[0:1]
	s_cbranch_execz .LBB720_13
; %bb.30:
	v_mov_b32_e32 v2, 0x7e00
	global_store_short v[0:1], v2, off
	s_endpgm
	.section	.rodata,"a",@progbits
	.p2align	6, 0x0
	.amdhsa_kernel _ZN12_GLOBAL__N_120softmax_warp_forwardIN3c104HalfES2_fLi0ELb0ELb1ELi64EEEvPT0_PKT_iiiPKbib
		.amdhsa_group_segment_fixed_size 0
		.amdhsa_private_segment_fixed_size 0
		.amdhsa_kernarg_size 304
		.amdhsa_user_sgpr_count 6
		.amdhsa_user_sgpr_private_segment_buffer 1
		.amdhsa_user_sgpr_dispatch_ptr 0
		.amdhsa_user_sgpr_queue_ptr 0
		.amdhsa_user_sgpr_kernarg_segment_ptr 1
		.amdhsa_user_sgpr_dispatch_id 0
		.amdhsa_user_sgpr_flat_scratch_init 0
		.amdhsa_user_sgpr_kernarg_preload_length 0
		.amdhsa_user_sgpr_kernarg_preload_offset 0
		.amdhsa_user_sgpr_private_segment_size 0
		.amdhsa_uses_dynamic_stack 0
		.amdhsa_system_sgpr_private_segment_wavefront_offset 0
		.amdhsa_system_sgpr_workgroup_id_x 1
		.amdhsa_system_sgpr_workgroup_id_y 0
		.amdhsa_system_sgpr_workgroup_id_z 0
		.amdhsa_system_sgpr_workgroup_info 0
		.amdhsa_system_vgpr_workitem_id 1
		.amdhsa_next_free_vgpr 13
		.amdhsa_next_free_sgpr 18
		.amdhsa_accum_offset 16
		.amdhsa_reserve_vcc 1
		.amdhsa_reserve_flat_scratch 0
		.amdhsa_float_round_mode_32 0
		.amdhsa_float_round_mode_16_64 0
		.amdhsa_float_denorm_mode_32 3
		.amdhsa_float_denorm_mode_16_64 3
		.amdhsa_dx10_clamp 1
		.amdhsa_ieee_mode 1
		.amdhsa_fp16_overflow 0
		.amdhsa_tg_split 0
		.amdhsa_exception_fp_ieee_invalid_op 0
		.amdhsa_exception_fp_denorm_src 0
		.amdhsa_exception_fp_ieee_div_zero 0
		.amdhsa_exception_fp_ieee_overflow 0
		.amdhsa_exception_fp_ieee_underflow 0
		.amdhsa_exception_fp_ieee_inexact 0
		.amdhsa_exception_int_div_zero 0
	.end_amdhsa_kernel
	.section	.text._ZN12_GLOBAL__N_120softmax_warp_forwardIN3c104HalfES2_fLi0ELb0ELb1ELi64EEEvPT0_PKT_iiiPKbib,"axG",@progbits,_ZN12_GLOBAL__N_120softmax_warp_forwardIN3c104HalfES2_fLi0ELb0ELb1ELi64EEEvPT0_PKT_iiiPKbib,comdat
.Lfunc_end720:
	.size	_ZN12_GLOBAL__N_120softmax_warp_forwardIN3c104HalfES2_fLi0ELb0ELb1ELi64EEEvPT0_PKT_iiiPKbib, .Lfunc_end720-_ZN12_GLOBAL__N_120softmax_warp_forwardIN3c104HalfES2_fLi0ELb0ELb1ELi64EEEvPT0_PKT_iiiPKbib
                                        ; -- End function
	.section	.AMDGPU.csdata,"",@progbits
; Kernel info:
; codeLenInByte = 1384
; NumSgprs: 22
; NumVgprs: 13
; NumAgprs: 0
; TotalNumVgprs: 13
; ScratchSize: 0
; MemoryBound: 0
; FloatMode: 240
; IeeeMode: 1
; LDSByteSize: 0 bytes/workgroup (compile time only)
; SGPRBlocks: 2
; VGPRBlocks: 1
; NumSGPRsForWavesPerEU: 22
; NumVGPRsForWavesPerEU: 13
; AccumOffset: 16
; Occupancy: 8
; WaveLimiterHint : 0
; COMPUTE_PGM_RSRC2:SCRATCH_EN: 0
; COMPUTE_PGM_RSRC2:USER_SGPR: 6
; COMPUTE_PGM_RSRC2:TRAP_HANDLER: 0
; COMPUTE_PGM_RSRC2:TGID_X_EN: 1
; COMPUTE_PGM_RSRC2:TGID_Y_EN: 0
; COMPUTE_PGM_RSRC2:TGID_Z_EN: 0
; COMPUTE_PGM_RSRC2:TIDIG_COMP_CNT: 1
; COMPUTE_PGM_RSRC3_GFX90A:ACCUM_OFFSET: 3
; COMPUTE_PGM_RSRC3_GFX90A:TG_SPLIT: 0
	.section	.text._ZN12_GLOBAL__N_120softmax_warp_forwardIN3c104HalfES2_fLi0ELb0ELb1ELi32EEEvPT0_PKT_iiiPKbib,"axG",@progbits,_ZN12_GLOBAL__N_120softmax_warp_forwardIN3c104HalfES2_fLi0ELb0ELb1ELi32EEEvPT0_PKT_iiiPKbib,comdat
	.globl	_ZN12_GLOBAL__N_120softmax_warp_forwardIN3c104HalfES2_fLi0ELb0ELb1ELi32EEEvPT0_PKT_iiiPKbib ; -- Begin function _ZN12_GLOBAL__N_120softmax_warp_forwardIN3c104HalfES2_fLi0ELb0ELb1ELi32EEEvPT0_PKT_iiiPKbib
	.p2align	8
	.type	_ZN12_GLOBAL__N_120softmax_warp_forwardIN3c104HalfES2_fLi0ELb0ELb1ELi32EEEvPT0_PKT_iiiPKbib,@function
_ZN12_GLOBAL__N_120softmax_warp_forwardIN3c104HalfES2_fLi0ELb0ELb1ELi32EEEvPT0_PKT_iiiPKbib: ; @_ZN12_GLOBAL__N_120softmax_warp_forwardIN3c104HalfES2_fLi0ELb0ELb1ELi32EEEvPT0_PKT_iiiPKbib
; %bb.0:
	s_load_dwordx2 s[0:1], s[4:5], 0x28
	s_load_dword s2, s[4:5], 0x3c
	s_load_dwordx4 s[8:11], s[4:5], 0x10
	v_bfe_u32 v1, v0, 10, 10
	v_and_b32_e32 v4, 0x3ff, v0
	s_waitcnt lgkmcnt(0)
	s_bitcmp1_b32 s1, 0
	s_cselect_b64 s[16:17], -1, 0
	s_lshr_b32 s2, s2, 16
	s_mul_i32 s6, s6, s2
	v_add_lshl_u32 v5, s6, v1, 1
	v_mul_lo_u32 v6, v5, s9
	v_add_u32_e32 v0, v6, v4
	v_ashrrev_i32_e32 v1, 31, v0
	s_bitcmp0_b32 s1, 0
	v_pk_mov_b32 v[2:3], v[0:1], v[0:1] op_sel:[0,1]
	s_cbranch_scc1 .LBB721_2
; %bb.1:
	s_abs_i32 s1, s0
	v_cvt_f32_u32_e32 v2, s1
	v_xor_b32_e32 v3, s0, v6
	v_sub_u32_e32 v7, 0, v6
	s_sub_i32 s0, 0, s1
	v_rcp_iflag_f32_e32 v2, v2
	v_max_i32_e32 v6, v6, v7
	v_ashrrev_i32_e32 v3, 31, v3
	v_mul_f32_e32 v2, 0x4f7ffffe, v2
	v_cvt_u32_f32_e32 v2, v2
	v_mul_lo_u32 v7, s0, v2
	v_mul_hi_u32 v7, v2, v7
	v_add_u32_e32 v2, v2, v7
	v_mul_hi_u32 v2, v6, v2
	v_mul_lo_u32 v7, v2, s1
	v_sub_u32_e32 v6, v6, v7
	v_add_u32_e32 v8, 1, v2
	v_cmp_le_u32_e32 vcc, s1, v6
	v_subrev_u32_e32 v7, s1, v6
	v_cndmask_b32_e32 v2, v2, v8, vcc
	v_cndmask_b32_e32 v6, v6, v7, vcc
	v_add_u32_e32 v7, 1, v2
	v_cmp_le_u32_e32 vcc, s1, v6
	v_cndmask_b32_e32 v2, v2, v7, vcc
	v_xor_b32_e32 v2, v2, v3
	v_sub_u32_e32 v2, v2, v3
	v_mad_u64_u32 v[2:3], s[0:1], v2, s9, v[4:5]
	v_ashrrev_i32_e32 v3, 31, v2
.LBB721_2:
	s_load_dwordx4 s[12:15], s[4:5], 0x0
	v_lshlrev_b64 v[0:1], 1, v[0:1]
	v_sub_u32_e32 v8, s8, v5
	v_cmp_gt_i32_e64 s[0:1], s10, v4
	v_mov_b32_e32 v9, 0xff800000
	s_waitcnt lgkmcnt(0)
	v_mov_b32_e32 v5, s15
	v_add_co_u32_e32 v6, vcc, s14, v0
	v_addc_co_u32_e32 v7, vcc, v5, v1, vcc
	v_cmp_lt_i32_e32 vcc, 0, v8
	s_and_b64 s[8:9], s[0:1], vcc
	v_mov_b32_e32 v10, 0xff800000
	s_and_saveexec_b64 s[2:3], s[8:9]
	s_cbranch_execz .LBB721_4
; %bb.3:
	global_load_ushort v4, v[6:7], off
	s_waitcnt vmcnt(0)
	v_cvt_f32_f16_e32 v10, v4
.LBB721_4:
	s_or_b64 exec, exec, s[2:3]
	v_cmp_lt_i32_e64 s[2:3], 1, v8
	s_and_b64 s[6:7], s[0:1], s[2:3]
	s_and_saveexec_b64 s[14:15], s[6:7]
	s_cbranch_execz .LBB721_6
; %bb.5:
	s_mov_b32 s11, 0
	s_lshl_b64 s[2:3], s[10:11], 1
	v_mov_b32_e32 v5, s3
	v_add_co_u32_e64 v4, s[2:3], s2, v6
	v_addc_co_u32_e64 v5, s[2:3], v7, v5, s[2:3]
	global_load_ushort v4, v[4:5], off
	s_waitcnt vmcnt(0)
	v_cvt_f32_f16_e32 v9, v4
.LBB721_6:
	s_or_b64 exec, exec, s[14:15]
	s_load_dwordx2 s[2:3], s[4:5], 0x20
	s_waitcnt lgkmcnt(0)
	v_mov_b32_e32 v5, s3
	v_add_co_u32_e64 v4, s[2:3], s2, v2
	v_addc_co_u32_e64 v5, s[2:3], v5, v3, s[2:3]
	v_mov_b32_e32 v2, 0xff800000
	s_and_saveexec_b64 s[4:5], s[8:9]
	s_cbranch_execz .LBB721_8
; %bb.7:
	global_load_ubyte v2, v[4:5], off
	v_mov_b32_e32 v3, 0xff800000
	s_waitcnt vmcnt(0)
	v_and_b32_e32 v2, 1, v2
	v_cmp_eq_u32_e64 s[2:3], 1, v2
	v_cndmask_b32_e64 v2, v10, v3, s[2:3]
.LBB721_8:
	s_or_b64 exec, exec, s[4:5]
	s_mov_b64 s[2:3], 0
	s_and_saveexec_b64 s[4:5], s[6:7]
	s_cbranch_execz .LBB721_10
; %bb.9:
	s_and_b64 s[2:3], s[16:17], exec
	s_cselect_b32 s2, 0, 0
	s_cselect_b32 s3, 0, s10
	v_mov_b32_e32 v3, s2
	v_add_co_u32_e64 v6, s[2:3], s3, v4
	v_addc_co_u32_e64 v7, s[2:3], v5, v3, s[2:3]
	global_load_ubyte v3, v[6:7], off
	s_waitcnt vmcnt(0)
	v_and_b32_e32 v3, 1, v3
	v_cmp_eq_u32_e64 s[2:3], 1, v3
	s_xor_b64 s[2:3], s[2:3], -1
	s_and_b64 s[2:3], s[2:3], exec
.LBB721_10:
	s_or_b64 exec, exec, s[4:5]
	v_mov_b32_e32 v3, 0xff800000
	v_cndmask_b32_e64 v11, v3, v9, s[2:3]
	v_cndmask_b32_e64 v12, v2, v2, s[2:3]
	s_mov_b32 s2, 0
	s_mov_b32 s3, s2
	v_mov_b32_e32 v6, 0
	v_pk_mov_b32 v[2:3], s[2:3], s[2:3] op_sel:[0,1]
	v_mov_b32_e32 v7, 0
	s_and_saveexec_b64 s[4:5], s[8:9]
	s_cbranch_execnz .LBB721_14
; %bb.11:
	s_or_b64 exec, exec, s[4:5]
	s_and_saveexec_b64 s[4:5], s[6:7]
	s_cbranch_execnz .LBB721_17
.LBB721_12:
	s_or_b64 exec, exec, s[4:5]
	s_and_saveexec_b64 s[2:3], vcc
	s_cbranch_execnz .LBB721_20
.LBB721_13:
	s_endpgm
.LBB721_14:
	global_load_ubyte v7, v[4:5], off
	v_pk_mov_b32 v[2:3], s[2:3], s[2:3] op_sel:[0,1]
	s_waitcnt vmcnt(0)
	v_and_b32_e32 v7, 1, v7
	v_cmp_eq_u32_e64 s[2:3], 1, v7
	s_xor_b64 s[2:3], s[2:3], -1
	v_mov_b32_e32 v7, 0
	s_and_saveexec_b64 s[8:9], s[2:3]
	s_cbranch_execz .LBB721_16
; %bb.15:
	v_sub_f32_e32 v2, v10, v12
	s_mov_b32 s2, 0x3fb8aa3b
	v_mul_f32_e32 v3, 0x3fb8aa3b, v2
	v_fma_f32 v7, v2, s2, -v3
	v_rndne_f32_e32 v10, v3
	v_fmac_f32_e32 v7, 0x32a5705f, v2
	v_sub_f32_e32 v3, v3, v10
	v_add_f32_e32 v3, v3, v7
	v_exp_f32_e32 v3, v3
	v_cvt_i32_f32_e32 v7, v10
	s_mov_b32 s2, 0xc2ce8ed0
	v_cmp_ngt_f32_e64 s[2:3], s2, v2
	v_mov_b32_e32 v10, 0x7f800000
	v_ldexp_f32 v7, v3, v7
	v_cndmask_b32_e64 v7, 0, v7, s[2:3]
	s_mov_b32 s2, 0x42b17218
	v_cmp_nlt_f32_e64 s[2:3], s2, v2
	v_cndmask_b32_e64 v2, v10, v7, s[2:3]
	v_mov_b32_e32 v3, 0
	v_mov_b32_e32 v7, v2
.LBB721_16:
	s_or_b64 exec, exec, s[8:9]
	s_or_b64 exec, exec, s[4:5]
	s_and_saveexec_b64 s[4:5], s[6:7]
	s_cbranch_execz .LBB721_12
.LBB721_17:
	s_and_b64 s[2:3], s[16:17], exec
	s_cselect_b32 s2, 0, 0
	s_cselect_b32 s3, 0, s10
	v_mov_b32_e32 v6, s2
	v_add_co_u32_e64 v4, s[2:3], s3, v4
	v_addc_co_u32_e64 v5, s[2:3], v5, v6, s[2:3]
	global_load_ubyte v4, v[4:5], off
	v_mov_b32_e32 v6, 0
	s_waitcnt vmcnt(0)
	v_and_b32_e32 v4, 1, v4
	v_cmp_eq_u32_e64 s[2:3], 1, v4
	s_xor_b64 s[2:3], s[2:3], -1
	s_and_saveexec_b64 s[6:7], s[2:3]
	s_cbranch_execz .LBB721_19
; %bb.18:
	v_sub_f32_e32 v4, v9, v11
	s_mov_b32 s2, 0x3fb8aa3b
	v_mul_f32_e32 v5, 0x3fb8aa3b, v4
	v_fma_f32 v6, v4, s2, -v5
	v_rndne_f32_e32 v9, v5
	v_fmac_f32_e32 v6, 0x32a5705f, v4
	v_sub_f32_e32 v5, v5, v9
	v_add_f32_e32 v5, v5, v6
	v_exp_f32_e32 v5, v5
	v_cvt_i32_f32_e32 v6, v9
	s_mov_b32 s2, 0xc2ce8ed0
	v_cmp_ngt_f32_e64 s[2:3], s2, v4
	v_ldexp_f32 v5, v5, v6
	v_cndmask_b32_e64 v5, 0, v5, s[2:3]
	s_mov_b32 s2, 0x42b17218
	v_mov_b32_e32 v6, 0x7f800000
	v_cmp_nlt_f32_e64 s[2:3], s2, v4
	v_cndmask_b32_e64 v6, v6, v5, s[2:3]
	v_add_f32_e32 v3, v3, v6
.LBB721_19:
	s_or_b64 exec, exec, s[6:7]
	s_or_b64 exec, exec, s[4:5]
	s_and_saveexec_b64 s[2:3], vcc
	s_cbranch_execz .LBB721_13
.LBB721_20:
	v_mov_b32_e32 v4, s13
	v_add_co_u32_e32 v0, vcc, s12, v0
	v_addc_co_u32_e32 v1, vcc, v4, v1, vcc
	s_and_saveexec_b64 s[2:3], s[0:1]
	s_cbranch_execz .LBB721_25
; %bb.21:
	v_cmp_neq_f32_e32 vcc, 0, v2
	s_and_saveexec_b64 s[4:5], vcc
	s_xor_b64 s[4:5], exec, s[4:5]
	s_cbranch_execz .LBB721_23
; %bb.22:
	v_div_scale_f32 v4, s[6:7], v2, v2, v7
	v_rcp_f32_e32 v5, v4
	v_div_scale_f32 v9, vcc, v7, v2, v7
	v_fma_f32 v10, -v4, v5, 1.0
	v_fmac_f32_e32 v5, v10, v5
	v_mul_f32_e32 v10, v9, v5
	v_fma_f32 v11, -v4, v10, v9
	v_fmac_f32_e32 v10, v11, v5
	v_fma_f32 v4, -v4, v10, v9
	v_div_fmas_f32 v4, v4, v5, v10
	v_div_fixup_f32 v2, v4, v2, v7
	v_cvt_f16_f32_e32 v2, v2
	global_store_short v[0:1], v2, off
.LBB721_23:
	s_andn2_saveexec_b64 s[4:5], s[4:5]
	s_cbranch_execz .LBB721_25
; %bb.24:
	v_mov_b32_e32 v2, 0x7e00
	global_store_short v[0:1], v2, off
.LBB721_25:
	s_or_b64 exec, exec, s[2:3]
	v_cmp_ne_u32_e32 vcc, 1, v8
	s_and_b64 exec, exec, vcc
	s_cbranch_execz .LBB721_13
; %bb.26:
	s_and_b64 exec, exec, s[0:1]
	s_cbranch_execz .LBB721_13
; %bb.27:
	s_mov_b32 s11, 0
	s_lshl_b64 s[0:1], s[10:11], 1
	v_mov_b32_e32 v2, s1
	v_add_co_u32_e64 v0, s[0:1], s0, v0
	v_cmp_neq_f32_e32 vcc, 0, v3
	v_addc_co_u32_e64 v1, s[0:1], v1, v2, s[0:1]
	s_and_saveexec_b64 s[0:1], vcc
	s_xor_b64 s[0:1], exec, s[0:1]
	s_cbranch_execz .LBB721_29
; %bb.28:
	v_div_scale_f32 v2, s[2:3], v3, v3, v6
	v_rcp_f32_e32 v4, v2
	v_div_scale_f32 v5, vcc, v6, v3, v6
	v_fma_f32 v7, -v2, v4, 1.0
	v_fmac_f32_e32 v4, v7, v4
	v_mul_f32_e32 v7, v5, v4
	v_fma_f32 v8, -v2, v7, v5
	v_fmac_f32_e32 v7, v8, v4
	v_fma_f32 v2, -v2, v7, v5
	v_div_fmas_f32 v2, v2, v4, v7
	v_div_fixup_f32 v2, v2, v3, v6
	v_cvt_f16_f32_e32 v2, v2
	global_store_short v[0:1], v2, off
                                        ; implicit-def: $vgpr0_vgpr1
.LBB721_29:
	s_andn2_saveexec_b64 s[0:1], s[0:1]
	s_cbranch_execz .LBB721_13
; %bb.30:
	v_mov_b32_e32 v2, 0x7e00
	global_store_short v[0:1], v2, off
	s_endpgm
	.section	.rodata,"a",@progbits
	.p2align	6, 0x0
	.amdhsa_kernel _ZN12_GLOBAL__N_120softmax_warp_forwardIN3c104HalfES2_fLi0ELb0ELb1ELi32EEEvPT0_PKT_iiiPKbib
		.amdhsa_group_segment_fixed_size 0
		.amdhsa_private_segment_fixed_size 0
		.amdhsa_kernarg_size 304
		.amdhsa_user_sgpr_count 6
		.amdhsa_user_sgpr_private_segment_buffer 1
		.amdhsa_user_sgpr_dispatch_ptr 0
		.amdhsa_user_sgpr_queue_ptr 0
		.amdhsa_user_sgpr_kernarg_segment_ptr 1
		.amdhsa_user_sgpr_dispatch_id 0
		.amdhsa_user_sgpr_flat_scratch_init 0
		.amdhsa_user_sgpr_kernarg_preload_length 0
		.amdhsa_user_sgpr_kernarg_preload_offset 0
		.amdhsa_user_sgpr_private_segment_size 0
		.amdhsa_uses_dynamic_stack 0
		.amdhsa_system_sgpr_private_segment_wavefront_offset 0
		.amdhsa_system_sgpr_workgroup_id_x 1
		.amdhsa_system_sgpr_workgroup_id_y 0
		.amdhsa_system_sgpr_workgroup_id_z 0
		.amdhsa_system_sgpr_workgroup_info 0
		.amdhsa_system_vgpr_workitem_id 1
		.amdhsa_next_free_vgpr 13
		.amdhsa_next_free_sgpr 18
		.amdhsa_accum_offset 16
		.amdhsa_reserve_vcc 1
		.amdhsa_reserve_flat_scratch 0
		.amdhsa_float_round_mode_32 0
		.amdhsa_float_round_mode_16_64 0
		.amdhsa_float_denorm_mode_32 3
		.amdhsa_float_denorm_mode_16_64 3
		.amdhsa_dx10_clamp 1
		.amdhsa_ieee_mode 1
		.amdhsa_fp16_overflow 0
		.amdhsa_tg_split 0
		.amdhsa_exception_fp_ieee_invalid_op 0
		.amdhsa_exception_fp_denorm_src 0
		.amdhsa_exception_fp_ieee_div_zero 0
		.amdhsa_exception_fp_ieee_overflow 0
		.amdhsa_exception_fp_ieee_underflow 0
		.amdhsa_exception_fp_ieee_inexact 0
		.amdhsa_exception_int_div_zero 0
	.end_amdhsa_kernel
	.section	.text._ZN12_GLOBAL__N_120softmax_warp_forwardIN3c104HalfES2_fLi0ELb0ELb1ELi32EEEvPT0_PKT_iiiPKbib,"axG",@progbits,_ZN12_GLOBAL__N_120softmax_warp_forwardIN3c104HalfES2_fLi0ELb0ELb1ELi32EEEvPT0_PKT_iiiPKbib,comdat
.Lfunc_end721:
	.size	_ZN12_GLOBAL__N_120softmax_warp_forwardIN3c104HalfES2_fLi0ELb0ELb1ELi32EEEvPT0_PKT_iiiPKbib, .Lfunc_end721-_ZN12_GLOBAL__N_120softmax_warp_forwardIN3c104HalfES2_fLi0ELb0ELb1ELi32EEEvPT0_PKT_iiiPKbib
                                        ; -- End function
	.section	.AMDGPU.csdata,"",@progbits
; Kernel info:
; codeLenInByte = 1384
; NumSgprs: 22
; NumVgprs: 13
; NumAgprs: 0
; TotalNumVgprs: 13
; ScratchSize: 0
; MemoryBound: 0
; FloatMode: 240
; IeeeMode: 1
; LDSByteSize: 0 bytes/workgroup (compile time only)
; SGPRBlocks: 2
; VGPRBlocks: 1
; NumSGPRsForWavesPerEU: 22
; NumVGPRsForWavesPerEU: 13
; AccumOffset: 16
; Occupancy: 8
; WaveLimiterHint : 0
; COMPUTE_PGM_RSRC2:SCRATCH_EN: 0
; COMPUTE_PGM_RSRC2:USER_SGPR: 6
; COMPUTE_PGM_RSRC2:TRAP_HANDLER: 0
; COMPUTE_PGM_RSRC2:TGID_X_EN: 1
; COMPUTE_PGM_RSRC2:TGID_Y_EN: 0
; COMPUTE_PGM_RSRC2:TGID_Z_EN: 0
; COMPUTE_PGM_RSRC2:TIDIG_COMP_CNT: 1
; COMPUTE_PGM_RSRC3_GFX90A:ACCUM_OFFSET: 3
; COMPUTE_PGM_RSRC3_GFX90A:TG_SPLIT: 0
	.section	.text._ZN12_GLOBAL__N_120softmax_warp_forwardIN3c104HalfES2_fLi1ELb0ELb1ELi64EEEvPT0_PKT_iiiPKbib,"axG",@progbits,_ZN12_GLOBAL__N_120softmax_warp_forwardIN3c104HalfES2_fLi1ELb0ELb1ELi64EEEvPT0_PKT_iiiPKbib,comdat
	.globl	_ZN12_GLOBAL__N_120softmax_warp_forwardIN3c104HalfES2_fLi1ELb0ELb1ELi64EEEvPT0_PKT_iiiPKbib ; -- Begin function _ZN12_GLOBAL__N_120softmax_warp_forwardIN3c104HalfES2_fLi1ELb0ELb1ELi64EEEvPT0_PKT_iiiPKbib
	.p2align	8
	.type	_ZN12_GLOBAL__N_120softmax_warp_forwardIN3c104HalfES2_fLi1ELb0ELb1ELi64EEEvPT0_PKT_iiiPKbib,@function
_ZN12_GLOBAL__N_120softmax_warp_forwardIN3c104HalfES2_fLi1ELb0ELb1ELi64EEEvPT0_PKT_iiiPKbib: ; @_ZN12_GLOBAL__N_120softmax_warp_forwardIN3c104HalfES2_fLi1ELb0ELb1ELi64EEEvPT0_PKT_iiiPKbib
; %bb.0:
	s_load_dwordx2 s[0:1], s[4:5], 0x28
	s_load_dword s2, s[4:5], 0x3c
	s_load_dwordx4 s[8:11], s[4:5], 0x10
	v_bfe_u32 v1, v0, 10, 10
	v_and_b32_e32 v4, 0x3ff, v0
	s_waitcnt lgkmcnt(0)
	s_bitcmp1_b32 s1, 0
	s_cselect_b64 s[16:17], -1, 0
	s_lshr_b32 s2, s2, 16
	s_mul_i32 s6, s6, s2
	v_add_lshl_u32 v5, s6, v1, 1
	v_mul_lo_u32 v6, v5, s9
	v_add_u32_e32 v0, v6, v4
	v_ashrrev_i32_e32 v1, 31, v0
	s_bitcmp0_b32 s1, 0
	v_pk_mov_b32 v[2:3], v[0:1], v[0:1] op_sel:[0,1]
	s_cbranch_scc1 .LBB722_2
; %bb.1:
	s_abs_i32 s1, s0
	v_cvt_f32_u32_e32 v2, s1
	v_xor_b32_e32 v3, s0, v6
	v_sub_u32_e32 v7, 0, v6
	s_sub_i32 s0, 0, s1
	v_rcp_iflag_f32_e32 v2, v2
	v_max_i32_e32 v6, v6, v7
	v_ashrrev_i32_e32 v3, 31, v3
	v_mul_f32_e32 v2, 0x4f7ffffe, v2
	v_cvt_u32_f32_e32 v2, v2
	v_mul_lo_u32 v7, s0, v2
	v_mul_hi_u32 v7, v2, v7
	v_add_u32_e32 v2, v2, v7
	v_mul_hi_u32 v2, v6, v2
	v_mul_lo_u32 v7, v2, s1
	v_sub_u32_e32 v6, v6, v7
	v_add_u32_e32 v8, 1, v2
	v_cmp_le_u32_e32 vcc, s1, v6
	v_subrev_u32_e32 v7, s1, v6
	v_cndmask_b32_e32 v2, v2, v8, vcc
	v_cndmask_b32_e32 v6, v6, v7, vcc
	v_add_u32_e32 v7, 1, v2
	v_cmp_le_u32_e32 vcc, s1, v6
	v_cndmask_b32_e32 v2, v2, v7, vcc
	v_xor_b32_e32 v2, v2, v3
	v_sub_u32_e32 v2, v2, v3
	v_mad_u64_u32 v[2:3], s[0:1], v2, s9, v[4:5]
	v_ashrrev_i32_e32 v3, 31, v2
.LBB722_2:
	s_load_dwordx4 s[12:15], s[4:5], 0x0
	v_lshlrev_b64 v[0:1], 1, v[0:1]
	v_sub_u32_e32 v8, s8, v5
	v_cmp_gt_i32_e64 s[0:1], s10, v4
	v_mov_b32_e32 v9, 0xff800000
	s_waitcnt lgkmcnt(0)
	v_mov_b32_e32 v5, s15
	v_add_co_u32_e32 v6, vcc, s14, v0
	v_addc_co_u32_e32 v7, vcc, v5, v1, vcc
	v_cmp_lt_i32_e32 vcc, 0, v8
	s_and_b64 s[8:9], s[0:1], vcc
	v_mov_b32_e32 v10, 0xff800000
	s_and_saveexec_b64 s[2:3], s[8:9]
	s_cbranch_execz .LBB722_4
; %bb.3:
	global_load_ushort v4, v[6:7], off
	s_waitcnt vmcnt(0)
	v_cvt_f32_f16_e32 v10, v4
.LBB722_4:
	s_or_b64 exec, exec, s[2:3]
	v_cmp_lt_i32_e64 s[2:3], 1, v8
	s_and_b64 s[6:7], s[0:1], s[2:3]
	s_and_saveexec_b64 s[14:15], s[6:7]
	s_cbranch_execz .LBB722_6
; %bb.5:
	s_mov_b32 s11, 0
	s_lshl_b64 s[2:3], s[10:11], 1
	v_mov_b32_e32 v5, s3
	v_add_co_u32_e64 v4, s[2:3], s2, v6
	v_addc_co_u32_e64 v5, s[2:3], v7, v5, s[2:3]
	global_load_ushort v4, v[4:5], off
	s_waitcnt vmcnt(0)
	v_cvt_f32_f16_e32 v9, v4
.LBB722_6:
	s_or_b64 exec, exec, s[14:15]
	s_load_dwordx2 s[2:3], s[4:5], 0x20
	s_waitcnt lgkmcnt(0)
	v_mov_b32_e32 v4, s3
	v_add_co_u32_e64 v2, s[2:3], s2, v2
	v_addc_co_u32_e64 v3, s[2:3], v4, v3, s[2:3]
	v_mov_b32_e32 v4, 0xff800000
	s_and_saveexec_b64 s[4:5], s[8:9]
	s_cbranch_execz .LBB722_8
; %bb.7:
	global_load_ubyte v4, v[2:3], off
	v_mov_b32_e32 v5, 0xff800000
	s_waitcnt vmcnt(0)
	v_and_b32_e32 v4, 1, v4
	v_cmp_eq_u32_e64 s[2:3], 1, v4
	v_cndmask_b32_e64 v4, v10, v5, s[2:3]
.LBB722_8:
	s_or_b64 exec, exec, s[4:5]
	s_mov_b64 s[2:3], 0
	s_and_saveexec_b64 s[4:5], s[6:7]
	s_cbranch_execz .LBB722_10
; %bb.9:
	s_and_b64 s[2:3], s[16:17], exec
	s_cselect_b32 s2, 0, 0
	s_cselect_b32 s3, 0, s10
	v_mov_b32_e32 v5, s2
	v_add_co_u32_e64 v6, s[2:3], s3, v2
	v_addc_co_u32_e64 v7, s[2:3], v3, v5, s[2:3]
	global_load_ubyte v5, v[6:7], off
	s_waitcnt vmcnt(0)
	v_and_b32_e32 v5, 1, v5
	v_cmp_eq_u32_e64 s[2:3], 1, v5
	s_xor_b64 s[2:3], s[2:3], -1
	s_and_b64 s[2:3], s[2:3], exec
.LBB722_10:
	s_or_b64 exec, exec, s[4:5]
	v_cndmask_b32_e64 v14, v4, v4, s[2:3]
	v_mbcnt_lo_u32_b32 v4, -1, 0
	v_mbcnt_hi_u32_b32 v4, -1, v4
	v_mov_b32_e32 v5, 0xff800000
	v_and_b32_e32 v6, 0x7e, v4
	v_cndmask_b32_e64 v12, v5, v9, s[2:3]
	v_xor_b32_e32 v5, 1, v4
	v_add_u32_e32 v6, 2, v6
	v_cmp_lt_i32_e64 s[2:3], v5, v6
	v_cndmask_b32_e64 v4, v4, v5, s[2:3]
	v_lshlrev_b32_e32 v11, 2, v4
	ds_bpermute_b32 v15, v11, v14
	ds_bpermute_b32 v13, v11, v12
	s_mov_b32 s14, 0
	s_mov_b32 s15, s14
	v_mov_b32_e32 v6, 0
	v_pk_mov_b32 v[4:5], s[14:15], s[14:15] op_sel:[0,1]
	v_mov_b32_e32 v7, 0
	s_and_saveexec_b64 s[4:5], s[8:9]
	s_cbranch_execz .LBB722_14
; %bb.11:
	global_load_ubyte v7, v[2:3], off
	v_pk_mov_b32 v[4:5], s[14:15], s[14:15] op_sel:[0,1]
	s_waitcnt vmcnt(0)
	v_and_b32_e32 v7, 1, v7
	v_cmp_eq_u32_e64 s[2:3], 1, v7
	s_xor_b64 s[2:3], s[2:3], -1
	v_mov_b32_e32 v7, 0
	s_and_saveexec_b64 s[8:9], s[2:3]
	s_cbranch_execz .LBB722_13
; %bb.12:
	s_waitcnt lgkmcnt(1)
	v_cmp_lt_f32_e64 s[2:3], v14, v15
	v_cndmask_b32_e64 v4, v14, v15, s[2:3]
	v_sub_f32_e32 v4, v10, v4
	s_mov_b32 s2, 0x3fb8aa3b
	v_mul_f32_e32 v5, 0x3fb8aa3b, v4
	v_fma_f32 v7, v4, s2, -v5
	v_rndne_f32_e32 v10, v5
	v_fmac_f32_e32 v7, 0x32a5705f, v4
	v_sub_f32_e32 v5, v5, v10
	v_add_f32_e32 v5, v5, v7
	v_exp_f32_e32 v5, v5
	v_cvt_i32_f32_e32 v7, v10
	s_mov_b32 s2, 0xc2ce8ed0
	v_cmp_ngt_f32_e64 s[2:3], s2, v4
	v_mov_b32_e32 v10, 0x7f800000
	v_ldexp_f32 v7, v5, v7
	v_cndmask_b32_e64 v7, 0, v7, s[2:3]
	s_mov_b32 s2, 0x42b17218
	v_cmp_nlt_f32_e64 s[2:3], s2, v4
	v_cndmask_b32_e64 v4, v10, v7, s[2:3]
	v_mov_b32_e32 v5, 0
	v_mov_b32_e32 v7, v4
.LBB722_13:
	s_or_b64 exec, exec, s[8:9]
.LBB722_14:
	s_or_b64 exec, exec, s[4:5]
	s_and_saveexec_b64 s[4:5], s[6:7]
	s_cbranch_execz .LBB722_18
; %bb.15:
	s_and_b64 s[2:3], s[16:17], exec
	s_cselect_b32 s2, 0, 0
	s_cselect_b32 s3, 0, s10
	v_mov_b32_e32 v6, s2
	v_add_co_u32_e64 v2, s[2:3], s3, v2
	v_addc_co_u32_e64 v3, s[2:3], v3, v6, s[2:3]
	global_load_ubyte v2, v[2:3], off
	v_mov_b32_e32 v6, 0
	s_waitcnt vmcnt(0)
	v_and_b32_e32 v2, 1, v2
	v_cmp_eq_u32_e64 s[2:3], 1, v2
	s_xor_b64 s[2:3], s[2:3], -1
	s_and_saveexec_b64 s[6:7], s[2:3]
	s_cbranch_execz .LBB722_17
; %bb.16:
	s_waitcnt lgkmcnt(0)
	v_cmp_lt_f32_e64 s[2:3], v12, v13
	v_cndmask_b32_e64 v2, v12, v13, s[2:3]
	v_sub_f32_e32 v2, v9, v2
	s_mov_b32 s2, 0x3fb8aa3b
	v_mul_f32_e32 v3, 0x3fb8aa3b, v2
	v_fma_f32 v6, v2, s2, -v3
	v_rndne_f32_e32 v9, v3
	v_fmac_f32_e32 v6, 0x32a5705f, v2
	v_sub_f32_e32 v3, v3, v9
	v_add_f32_e32 v3, v3, v6
	v_exp_f32_e32 v3, v3
	v_cvt_i32_f32_e32 v6, v9
	s_mov_b32 s2, 0xc2ce8ed0
	v_cmp_ngt_f32_e64 s[2:3], s2, v2
	v_ldexp_f32 v3, v3, v6
	v_cndmask_b32_e64 v3, 0, v3, s[2:3]
	s_mov_b32 s2, 0x42b17218
	v_mov_b32_e32 v6, 0x7f800000
	v_cmp_nlt_f32_e64 s[2:3], s2, v2
	v_cndmask_b32_e64 v6, v6, v3, s[2:3]
	v_add_f32_e32 v5, v5, v6
.LBB722_17:
	s_or_b64 exec, exec, s[6:7]
.LBB722_18:
	s_or_b64 exec, exec, s[4:5]
	ds_bpermute_b32 v2, v11, v4
	ds_bpermute_b32 v3, v11, v5
	s_and_saveexec_b64 s[2:3], vcc
	s_cbranch_execz .LBB722_30
; %bb.19:
	s_waitcnt lgkmcnt(0)
	v_pk_add_f32 v[2:3], v[4:5], v[2:3]
	v_mov_b32_e32 v4, s13
	v_add_co_u32_e32 v0, vcc, s12, v0
	v_addc_co_u32_e32 v1, vcc, v4, v1, vcc
	s_and_saveexec_b64 s[2:3], s[0:1]
	s_cbranch_execz .LBB722_24
; %bb.20:
	v_cmp_neq_f32_e32 vcc, 0, v2
	s_and_saveexec_b64 s[4:5], vcc
	s_xor_b64 s[4:5], exec, s[4:5]
	s_cbranch_execz .LBB722_22
; %bb.21:
	v_div_scale_f32 v4, s[6:7], v2, v2, v7
	v_rcp_f32_e32 v5, v4
	v_div_scale_f32 v9, vcc, v7, v2, v7
	v_fma_f32 v10, -v4, v5, 1.0
	v_fmac_f32_e32 v5, v10, v5
	v_mul_f32_e32 v10, v9, v5
	v_fma_f32 v11, -v4, v10, v9
	v_fmac_f32_e32 v10, v11, v5
	v_fma_f32 v4, -v4, v10, v9
	v_div_fmas_f32 v4, v4, v5, v10
	v_div_fixup_f32 v2, v4, v2, v7
	v_cvt_f16_f32_e32 v2, v2
	global_store_short v[0:1], v2, off
.LBB722_22:
	s_andn2_saveexec_b64 s[4:5], s[4:5]
	s_cbranch_execz .LBB722_24
; %bb.23:
	v_mov_b32_e32 v2, 0x7e00
	global_store_short v[0:1], v2, off
.LBB722_24:
	s_or_b64 exec, exec, s[2:3]
	v_cmp_ne_u32_e32 vcc, 1, v8
	s_and_b64 exec, exec, vcc
	s_cbranch_execz .LBB722_30
; %bb.25:
	s_and_b64 exec, exec, s[0:1]
	s_cbranch_execz .LBB722_30
; %bb.26:
	s_mov_b32 s11, 0
	s_lshl_b64 s[0:1], s[10:11], 1
	v_mov_b32_e32 v2, s1
	v_add_co_u32_e64 v0, s[0:1], s0, v0
	v_cmp_neq_f32_e32 vcc, 0, v3
	v_addc_co_u32_e64 v1, s[0:1], v1, v2, s[0:1]
	s_and_saveexec_b64 s[0:1], vcc
	s_xor_b64 s[0:1], exec, s[0:1]
	s_cbranch_execz .LBB722_28
; %bb.27:
	v_div_scale_f32 v2, s[2:3], v3, v3, v6
	v_rcp_f32_e32 v4, v2
	v_div_scale_f32 v5, vcc, v6, v3, v6
	v_fma_f32 v7, -v2, v4, 1.0
	v_fmac_f32_e32 v4, v7, v4
	v_mul_f32_e32 v7, v5, v4
	v_fma_f32 v8, -v2, v7, v5
	v_fmac_f32_e32 v7, v8, v4
	v_fma_f32 v2, -v2, v7, v5
	v_div_fmas_f32 v2, v2, v4, v7
	v_div_fixup_f32 v2, v2, v3, v6
	v_cvt_f16_f32_e32 v2, v2
	global_store_short v[0:1], v2, off
                                        ; implicit-def: $vgpr0_vgpr1
.LBB722_28:
	s_andn2_saveexec_b64 s[0:1], s[0:1]
	s_cbranch_execz .LBB722_30
; %bb.29:
	v_mov_b32_e32 v2, 0x7e00
	global_store_short v[0:1], v2, off
.LBB722_30:
	s_endpgm
	.section	.rodata,"a",@progbits
	.p2align	6, 0x0
	.amdhsa_kernel _ZN12_GLOBAL__N_120softmax_warp_forwardIN3c104HalfES2_fLi1ELb0ELb1ELi64EEEvPT0_PKT_iiiPKbib
		.amdhsa_group_segment_fixed_size 0
		.amdhsa_private_segment_fixed_size 0
		.amdhsa_kernarg_size 304
		.amdhsa_user_sgpr_count 6
		.amdhsa_user_sgpr_private_segment_buffer 1
		.amdhsa_user_sgpr_dispatch_ptr 0
		.amdhsa_user_sgpr_queue_ptr 0
		.amdhsa_user_sgpr_kernarg_segment_ptr 1
		.amdhsa_user_sgpr_dispatch_id 0
		.amdhsa_user_sgpr_flat_scratch_init 0
		.amdhsa_user_sgpr_kernarg_preload_length 0
		.amdhsa_user_sgpr_kernarg_preload_offset 0
		.amdhsa_user_sgpr_private_segment_size 0
		.amdhsa_uses_dynamic_stack 0
		.amdhsa_system_sgpr_private_segment_wavefront_offset 0
		.amdhsa_system_sgpr_workgroup_id_x 1
		.amdhsa_system_sgpr_workgroup_id_y 0
		.amdhsa_system_sgpr_workgroup_id_z 0
		.amdhsa_system_sgpr_workgroup_info 0
		.amdhsa_system_vgpr_workitem_id 1
		.amdhsa_next_free_vgpr 16
		.amdhsa_next_free_sgpr 18
		.amdhsa_accum_offset 16
		.amdhsa_reserve_vcc 1
		.amdhsa_reserve_flat_scratch 0
		.amdhsa_float_round_mode_32 0
		.amdhsa_float_round_mode_16_64 0
		.amdhsa_float_denorm_mode_32 3
		.amdhsa_float_denorm_mode_16_64 3
		.amdhsa_dx10_clamp 1
		.amdhsa_ieee_mode 1
		.amdhsa_fp16_overflow 0
		.amdhsa_tg_split 0
		.amdhsa_exception_fp_ieee_invalid_op 0
		.amdhsa_exception_fp_denorm_src 0
		.amdhsa_exception_fp_ieee_div_zero 0
		.amdhsa_exception_fp_ieee_overflow 0
		.amdhsa_exception_fp_ieee_underflow 0
		.amdhsa_exception_fp_ieee_inexact 0
		.amdhsa_exception_int_div_zero 0
	.end_amdhsa_kernel
	.section	.text._ZN12_GLOBAL__N_120softmax_warp_forwardIN3c104HalfES2_fLi1ELb0ELb1ELi64EEEvPT0_PKT_iiiPKbib,"axG",@progbits,_ZN12_GLOBAL__N_120softmax_warp_forwardIN3c104HalfES2_fLi1ELb0ELb1ELi64EEEvPT0_PKT_iiiPKbib,comdat
.Lfunc_end722:
	.size	_ZN12_GLOBAL__N_120softmax_warp_forwardIN3c104HalfES2_fLi1ELb0ELb1ELi64EEEvPT0_PKT_iiiPKbib, .Lfunc_end722-_ZN12_GLOBAL__N_120softmax_warp_forwardIN3c104HalfES2_fLi1ELb0ELb1ELi64EEEvPT0_PKT_iiiPKbib
                                        ; -- End function
	.section	.AMDGPU.csdata,"",@progbits
; Kernel info:
; codeLenInByte = 1492
; NumSgprs: 22
; NumVgprs: 16
; NumAgprs: 0
; TotalNumVgprs: 16
; ScratchSize: 0
; MemoryBound: 0
; FloatMode: 240
; IeeeMode: 1
; LDSByteSize: 0 bytes/workgroup (compile time only)
; SGPRBlocks: 2
; VGPRBlocks: 1
; NumSGPRsForWavesPerEU: 22
; NumVGPRsForWavesPerEU: 16
; AccumOffset: 16
; Occupancy: 8
; WaveLimiterHint : 0
; COMPUTE_PGM_RSRC2:SCRATCH_EN: 0
; COMPUTE_PGM_RSRC2:USER_SGPR: 6
; COMPUTE_PGM_RSRC2:TRAP_HANDLER: 0
; COMPUTE_PGM_RSRC2:TGID_X_EN: 1
; COMPUTE_PGM_RSRC2:TGID_Y_EN: 0
; COMPUTE_PGM_RSRC2:TGID_Z_EN: 0
; COMPUTE_PGM_RSRC2:TIDIG_COMP_CNT: 1
; COMPUTE_PGM_RSRC3_GFX90A:ACCUM_OFFSET: 3
; COMPUTE_PGM_RSRC3_GFX90A:TG_SPLIT: 0
	.section	.text._ZN12_GLOBAL__N_120softmax_warp_forwardIN3c104HalfES2_fLi1ELb0ELb1ELi32EEEvPT0_PKT_iiiPKbib,"axG",@progbits,_ZN12_GLOBAL__N_120softmax_warp_forwardIN3c104HalfES2_fLi1ELb0ELb1ELi32EEEvPT0_PKT_iiiPKbib,comdat
	.globl	_ZN12_GLOBAL__N_120softmax_warp_forwardIN3c104HalfES2_fLi1ELb0ELb1ELi32EEEvPT0_PKT_iiiPKbib ; -- Begin function _ZN12_GLOBAL__N_120softmax_warp_forwardIN3c104HalfES2_fLi1ELb0ELb1ELi32EEEvPT0_PKT_iiiPKbib
	.p2align	8
	.type	_ZN12_GLOBAL__N_120softmax_warp_forwardIN3c104HalfES2_fLi1ELb0ELb1ELi32EEEvPT0_PKT_iiiPKbib,@function
_ZN12_GLOBAL__N_120softmax_warp_forwardIN3c104HalfES2_fLi1ELb0ELb1ELi32EEEvPT0_PKT_iiiPKbib: ; @_ZN12_GLOBAL__N_120softmax_warp_forwardIN3c104HalfES2_fLi1ELb0ELb1ELi32EEEvPT0_PKT_iiiPKbib
; %bb.0:
	s_load_dwordx2 s[0:1], s[4:5], 0x28
	s_load_dword s2, s[4:5], 0x3c
	s_load_dwordx4 s[8:11], s[4:5], 0x10
	v_bfe_u32 v1, v0, 10, 10
	v_and_b32_e32 v4, 0x3ff, v0
	s_waitcnt lgkmcnt(0)
	s_bitcmp1_b32 s1, 0
	s_cselect_b64 s[16:17], -1, 0
	s_lshr_b32 s2, s2, 16
	s_mul_i32 s6, s6, s2
	v_add_lshl_u32 v5, s6, v1, 1
	v_mul_lo_u32 v6, v5, s9
	v_add_u32_e32 v0, v6, v4
	v_ashrrev_i32_e32 v1, 31, v0
	s_bitcmp0_b32 s1, 0
	v_pk_mov_b32 v[2:3], v[0:1], v[0:1] op_sel:[0,1]
	s_cbranch_scc1 .LBB723_2
; %bb.1:
	s_abs_i32 s1, s0
	v_cvt_f32_u32_e32 v2, s1
	v_xor_b32_e32 v3, s0, v6
	v_sub_u32_e32 v7, 0, v6
	s_sub_i32 s0, 0, s1
	v_rcp_iflag_f32_e32 v2, v2
	v_max_i32_e32 v6, v6, v7
	v_ashrrev_i32_e32 v3, 31, v3
	v_mul_f32_e32 v2, 0x4f7ffffe, v2
	v_cvt_u32_f32_e32 v2, v2
	v_mul_lo_u32 v7, s0, v2
	v_mul_hi_u32 v7, v2, v7
	v_add_u32_e32 v2, v2, v7
	v_mul_hi_u32 v2, v6, v2
	v_mul_lo_u32 v7, v2, s1
	v_sub_u32_e32 v6, v6, v7
	v_add_u32_e32 v8, 1, v2
	v_cmp_le_u32_e32 vcc, s1, v6
	v_subrev_u32_e32 v7, s1, v6
	v_cndmask_b32_e32 v2, v2, v8, vcc
	v_cndmask_b32_e32 v6, v6, v7, vcc
	v_add_u32_e32 v7, 1, v2
	v_cmp_le_u32_e32 vcc, s1, v6
	v_cndmask_b32_e32 v2, v2, v7, vcc
	v_xor_b32_e32 v2, v2, v3
	v_sub_u32_e32 v2, v2, v3
	v_mad_u64_u32 v[2:3], s[0:1], v2, s9, v[4:5]
	v_ashrrev_i32_e32 v3, 31, v2
.LBB723_2:
	s_load_dwordx4 s[12:15], s[4:5], 0x0
	v_lshlrev_b64 v[0:1], 1, v[0:1]
	v_sub_u32_e32 v8, s8, v5
	v_cmp_gt_i32_e64 s[0:1], s10, v4
	v_mov_b32_e32 v9, 0xff800000
	s_waitcnt lgkmcnt(0)
	v_mov_b32_e32 v5, s15
	v_add_co_u32_e32 v6, vcc, s14, v0
	v_addc_co_u32_e32 v7, vcc, v5, v1, vcc
	v_cmp_lt_i32_e32 vcc, 0, v8
	s_and_b64 s[8:9], s[0:1], vcc
	v_mov_b32_e32 v10, 0xff800000
	s_and_saveexec_b64 s[2:3], s[8:9]
	s_cbranch_execz .LBB723_4
; %bb.3:
	global_load_ushort v4, v[6:7], off
	s_waitcnt vmcnt(0)
	v_cvt_f32_f16_e32 v10, v4
.LBB723_4:
	s_or_b64 exec, exec, s[2:3]
	v_cmp_lt_i32_e64 s[2:3], 1, v8
	s_and_b64 s[6:7], s[0:1], s[2:3]
	s_and_saveexec_b64 s[14:15], s[6:7]
	s_cbranch_execz .LBB723_6
; %bb.5:
	s_mov_b32 s11, 0
	s_lshl_b64 s[2:3], s[10:11], 1
	v_mov_b32_e32 v5, s3
	v_add_co_u32_e64 v4, s[2:3], s2, v6
	v_addc_co_u32_e64 v5, s[2:3], v7, v5, s[2:3]
	global_load_ushort v4, v[4:5], off
	s_waitcnt vmcnt(0)
	v_cvt_f32_f16_e32 v9, v4
.LBB723_6:
	s_or_b64 exec, exec, s[14:15]
	s_load_dwordx2 s[2:3], s[4:5], 0x20
	s_waitcnt lgkmcnt(0)
	v_mov_b32_e32 v4, s3
	v_add_co_u32_e64 v2, s[2:3], s2, v2
	v_addc_co_u32_e64 v3, s[2:3], v4, v3, s[2:3]
	v_mov_b32_e32 v4, 0xff800000
	s_and_saveexec_b64 s[4:5], s[8:9]
	s_cbranch_execz .LBB723_8
; %bb.7:
	global_load_ubyte v4, v[2:3], off
	v_mov_b32_e32 v5, 0xff800000
	s_waitcnt vmcnt(0)
	v_and_b32_e32 v4, 1, v4
	v_cmp_eq_u32_e64 s[2:3], 1, v4
	v_cndmask_b32_e64 v4, v10, v5, s[2:3]
.LBB723_8:
	s_or_b64 exec, exec, s[4:5]
	s_mov_b64 s[2:3], 0
	s_and_saveexec_b64 s[4:5], s[6:7]
	s_cbranch_execz .LBB723_10
; %bb.9:
	s_and_b64 s[2:3], s[16:17], exec
	s_cselect_b32 s2, 0, 0
	s_cselect_b32 s3, 0, s10
	v_mov_b32_e32 v5, s2
	v_add_co_u32_e64 v6, s[2:3], s3, v2
	v_addc_co_u32_e64 v7, s[2:3], v3, v5, s[2:3]
	global_load_ubyte v5, v[6:7], off
	s_waitcnt vmcnt(0)
	v_and_b32_e32 v5, 1, v5
	v_cmp_eq_u32_e64 s[2:3], 1, v5
	s_xor_b64 s[2:3], s[2:3], -1
	s_and_b64 s[2:3], s[2:3], exec
.LBB723_10:
	s_or_b64 exec, exec, s[4:5]
	v_cndmask_b32_e64 v14, v4, v4, s[2:3]
	v_mbcnt_lo_u32_b32 v4, -1, 0
	v_mbcnt_hi_u32_b32 v4, -1, v4
	v_mov_b32_e32 v5, 0xff800000
	v_and_b32_e32 v6, 0x7e, v4
	v_cndmask_b32_e64 v12, v5, v9, s[2:3]
	v_xor_b32_e32 v5, 1, v4
	v_add_u32_e32 v6, 2, v6
	v_cmp_lt_i32_e64 s[2:3], v5, v6
	v_cndmask_b32_e64 v4, v4, v5, s[2:3]
	v_lshlrev_b32_e32 v11, 2, v4
	ds_bpermute_b32 v15, v11, v14
	ds_bpermute_b32 v13, v11, v12
	s_mov_b32 s14, 0
	s_mov_b32 s15, s14
	v_mov_b32_e32 v6, 0
	v_pk_mov_b32 v[4:5], s[14:15], s[14:15] op_sel:[0,1]
	v_mov_b32_e32 v7, 0
	s_and_saveexec_b64 s[4:5], s[8:9]
	s_cbranch_execz .LBB723_14
; %bb.11:
	global_load_ubyte v7, v[2:3], off
	v_pk_mov_b32 v[4:5], s[14:15], s[14:15] op_sel:[0,1]
	s_waitcnt vmcnt(0)
	v_and_b32_e32 v7, 1, v7
	v_cmp_eq_u32_e64 s[2:3], 1, v7
	s_xor_b64 s[2:3], s[2:3], -1
	v_mov_b32_e32 v7, 0
	s_and_saveexec_b64 s[8:9], s[2:3]
	s_cbranch_execz .LBB723_13
; %bb.12:
	s_waitcnt lgkmcnt(1)
	v_cmp_lt_f32_e64 s[2:3], v14, v15
	v_cndmask_b32_e64 v4, v14, v15, s[2:3]
	v_sub_f32_e32 v4, v10, v4
	s_mov_b32 s2, 0x3fb8aa3b
	v_mul_f32_e32 v5, 0x3fb8aa3b, v4
	v_fma_f32 v7, v4, s2, -v5
	v_rndne_f32_e32 v10, v5
	v_fmac_f32_e32 v7, 0x32a5705f, v4
	v_sub_f32_e32 v5, v5, v10
	v_add_f32_e32 v5, v5, v7
	v_exp_f32_e32 v5, v5
	v_cvt_i32_f32_e32 v7, v10
	s_mov_b32 s2, 0xc2ce8ed0
	v_cmp_ngt_f32_e64 s[2:3], s2, v4
	v_mov_b32_e32 v10, 0x7f800000
	v_ldexp_f32 v7, v5, v7
	v_cndmask_b32_e64 v7, 0, v7, s[2:3]
	s_mov_b32 s2, 0x42b17218
	v_cmp_nlt_f32_e64 s[2:3], s2, v4
	v_cndmask_b32_e64 v4, v10, v7, s[2:3]
	v_mov_b32_e32 v5, 0
	v_mov_b32_e32 v7, v4
.LBB723_13:
	s_or_b64 exec, exec, s[8:9]
.LBB723_14:
	s_or_b64 exec, exec, s[4:5]
	s_and_saveexec_b64 s[4:5], s[6:7]
	s_cbranch_execz .LBB723_18
; %bb.15:
	s_and_b64 s[2:3], s[16:17], exec
	s_cselect_b32 s2, 0, 0
	s_cselect_b32 s3, 0, s10
	v_mov_b32_e32 v6, s2
	v_add_co_u32_e64 v2, s[2:3], s3, v2
	v_addc_co_u32_e64 v3, s[2:3], v3, v6, s[2:3]
	global_load_ubyte v2, v[2:3], off
	v_mov_b32_e32 v6, 0
	s_waitcnt vmcnt(0)
	v_and_b32_e32 v2, 1, v2
	v_cmp_eq_u32_e64 s[2:3], 1, v2
	s_xor_b64 s[2:3], s[2:3], -1
	s_and_saveexec_b64 s[6:7], s[2:3]
	s_cbranch_execz .LBB723_17
; %bb.16:
	s_waitcnt lgkmcnt(0)
	v_cmp_lt_f32_e64 s[2:3], v12, v13
	v_cndmask_b32_e64 v2, v12, v13, s[2:3]
	v_sub_f32_e32 v2, v9, v2
	s_mov_b32 s2, 0x3fb8aa3b
	v_mul_f32_e32 v3, 0x3fb8aa3b, v2
	v_fma_f32 v6, v2, s2, -v3
	v_rndne_f32_e32 v9, v3
	v_fmac_f32_e32 v6, 0x32a5705f, v2
	v_sub_f32_e32 v3, v3, v9
	v_add_f32_e32 v3, v3, v6
	v_exp_f32_e32 v3, v3
	v_cvt_i32_f32_e32 v6, v9
	s_mov_b32 s2, 0xc2ce8ed0
	v_cmp_ngt_f32_e64 s[2:3], s2, v2
	v_ldexp_f32 v3, v3, v6
	v_cndmask_b32_e64 v3, 0, v3, s[2:3]
	s_mov_b32 s2, 0x42b17218
	v_mov_b32_e32 v6, 0x7f800000
	v_cmp_nlt_f32_e64 s[2:3], s2, v2
	v_cndmask_b32_e64 v6, v6, v3, s[2:3]
	v_add_f32_e32 v5, v5, v6
.LBB723_17:
	s_or_b64 exec, exec, s[6:7]
.LBB723_18:
	s_or_b64 exec, exec, s[4:5]
	ds_bpermute_b32 v2, v11, v4
	ds_bpermute_b32 v3, v11, v5
	s_and_saveexec_b64 s[2:3], vcc
	s_cbranch_execz .LBB723_30
; %bb.19:
	s_waitcnt lgkmcnt(0)
	v_pk_add_f32 v[2:3], v[4:5], v[2:3]
	v_mov_b32_e32 v4, s13
	v_add_co_u32_e32 v0, vcc, s12, v0
	v_addc_co_u32_e32 v1, vcc, v4, v1, vcc
	s_and_saveexec_b64 s[2:3], s[0:1]
	s_cbranch_execz .LBB723_24
; %bb.20:
	v_cmp_neq_f32_e32 vcc, 0, v2
	s_and_saveexec_b64 s[4:5], vcc
	s_xor_b64 s[4:5], exec, s[4:5]
	s_cbranch_execz .LBB723_22
; %bb.21:
	v_div_scale_f32 v4, s[6:7], v2, v2, v7
	v_rcp_f32_e32 v5, v4
	v_div_scale_f32 v9, vcc, v7, v2, v7
	v_fma_f32 v10, -v4, v5, 1.0
	v_fmac_f32_e32 v5, v10, v5
	v_mul_f32_e32 v10, v9, v5
	v_fma_f32 v11, -v4, v10, v9
	v_fmac_f32_e32 v10, v11, v5
	v_fma_f32 v4, -v4, v10, v9
	v_div_fmas_f32 v4, v4, v5, v10
	v_div_fixup_f32 v2, v4, v2, v7
	v_cvt_f16_f32_e32 v2, v2
	global_store_short v[0:1], v2, off
.LBB723_22:
	s_andn2_saveexec_b64 s[4:5], s[4:5]
	s_cbranch_execz .LBB723_24
; %bb.23:
	v_mov_b32_e32 v2, 0x7e00
	global_store_short v[0:1], v2, off
.LBB723_24:
	s_or_b64 exec, exec, s[2:3]
	v_cmp_ne_u32_e32 vcc, 1, v8
	s_and_b64 exec, exec, vcc
	s_cbranch_execz .LBB723_30
; %bb.25:
	s_and_b64 exec, exec, s[0:1]
	s_cbranch_execz .LBB723_30
; %bb.26:
	s_mov_b32 s11, 0
	s_lshl_b64 s[0:1], s[10:11], 1
	v_mov_b32_e32 v2, s1
	v_add_co_u32_e64 v0, s[0:1], s0, v0
	v_cmp_neq_f32_e32 vcc, 0, v3
	v_addc_co_u32_e64 v1, s[0:1], v1, v2, s[0:1]
	s_and_saveexec_b64 s[0:1], vcc
	s_xor_b64 s[0:1], exec, s[0:1]
	s_cbranch_execz .LBB723_28
; %bb.27:
	v_div_scale_f32 v2, s[2:3], v3, v3, v6
	v_rcp_f32_e32 v4, v2
	v_div_scale_f32 v5, vcc, v6, v3, v6
	v_fma_f32 v7, -v2, v4, 1.0
	v_fmac_f32_e32 v4, v7, v4
	v_mul_f32_e32 v7, v5, v4
	v_fma_f32 v8, -v2, v7, v5
	v_fmac_f32_e32 v7, v8, v4
	v_fma_f32 v2, -v2, v7, v5
	v_div_fmas_f32 v2, v2, v4, v7
	v_div_fixup_f32 v2, v2, v3, v6
	v_cvt_f16_f32_e32 v2, v2
	global_store_short v[0:1], v2, off
                                        ; implicit-def: $vgpr0_vgpr1
.LBB723_28:
	s_andn2_saveexec_b64 s[0:1], s[0:1]
	s_cbranch_execz .LBB723_30
; %bb.29:
	v_mov_b32_e32 v2, 0x7e00
	global_store_short v[0:1], v2, off
.LBB723_30:
	s_endpgm
	.section	.rodata,"a",@progbits
	.p2align	6, 0x0
	.amdhsa_kernel _ZN12_GLOBAL__N_120softmax_warp_forwardIN3c104HalfES2_fLi1ELb0ELb1ELi32EEEvPT0_PKT_iiiPKbib
		.amdhsa_group_segment_fixed_size 0
		.amdhsa_private_segment_fixed_size 0
		.amdhsa_kernarg_size 304
		.amdhsa_user_sgpr_count 6
		.amdhsa_user_sgpr_private_segment_buffer 1
		.amdhsa_user_sgpr_dispatch_ptr 0
		.amdhsa_user_sgpr_queue_ptr 0
		.amdhsa_user_sgpr_kernarg_segment_ptr 1
		.amdhsa_user_sgpr_dispatch_id 0
		.amdhsa_user_sgpr_flat_scratch_init 0
		.amdhsa_user_sgpr_kernarg_preload_length 0
		.amdhsa_user_sgpr_kernarg_preload_offset 0
		.amdhsa_user_sgpr_private_segment_size 0
		.amdhsa_uses_dynamic_stack 0
		.amdhsa_system_sgpr_private_segment_wavefront_offset 0
		.amdhsa_system_sgpr_workgroup_id_x 1
		.amdhsa_system_sgpr_workgroup_id_y 0
		.amdhsa_system_sgpr_workgroup_id_z 0
		.amdhsa_system_sgpr_workgroup_info 0
		.amdhsa_system_vgpr_workitem_id 1
		.amdhsa_next_free_vgpr 16
		.amdhsa_next_free_sgpr 18
		.amdhsa_accum_offset 16
		.amdhsa_reserve_vcc 1
		.amdhsa_reserve_flat_scratch 0
		.amdhsa_float_round_mode_32 0
		.amdhsa_float_round_mode_16_64 0
		.amdhsa_float_denorm_mode_32 3
		.amdhsa_float_denorm_mode_16_64 3
		.amdhsa_dx10_clamp 1
		.amdhsa_ieee_mode 1
		.amdhsa_fp16_overflow 0
		.amdhsa_tg_split 0
		.amdhsa_exception_fp_ieee_invalid_op 0
		.amdhsa_exception_fp_denorm_src 0
		.amdhsa_exception_fp_ieee_div_zero 0
		.amdhsa_exception_fp_ieee_overflow 0
		.amdhsa_exception_fp_ieee_underflow 0
		.amdhsa_exception_fp_ieee_inexact 0
		.amdhsa_exception_int_div_zero 0
	.end_amdhsa_kernel
	.section	.text._ZN12_GLOBAL__N_120softmax_warp_forwardIN3c104HalfES2_fLi1ELb0ELb1ELi32EEEvPT0_PKT_iiiPKbib,"axG",@progbits,_ZN12_GLOBAL__N_120softmax_warp_forwardIN3c104HalfES2_fLi1ELb0ELb1ELi32EEEvPT0_PKT_iiiPKbib,comdat
.Lfunc_end723:
	.size	_ZN12_GLOBAL__N_120softmax_warp_forwardIN3c104HalfES2_fLi1ELb0ELb1ELi32EEEvPT0_PKT_iiiPKbib, .Lfunc_end723-_ZN12_GLOBAL__N_120softmax_warp_forwardIN3c104HalfES2_fLi1ELb0ELb1ELi32EEEvPT0_PKT_iiiPKbib
                                        ; -- End function
	.section	.AMDGPU.csdata,"",@progbits
; Kernel info:
; codeLenInByte = 1492
; NumSgprs: 22
; NumVgprs: 16
; NumAgprs: 0
; TotalNumVgprs: 16
; ScratchSize: 0
; MemoryBound: 0
; FloatMode: 240
; IeeeMode: 1
; LDSByteSize: 0 bytes/workgroup (compile time only)
; SGPRBlocks: 2
; VGPRBlocks: 1
; NumSGPRsForWavesPerEU: 22
; NumVGPRsForWavesPerEU: 16
; AccumOffset: 16
; Occupancy: 8
; WaveLimiterHint : 0
; COMPUTE_PGM_RSRC2:SCRATCH_EN: 0
; COMPUTE_PGM_RSRC2:USER_SGPR: 6
; COMPUTE_PGM_RSRC2:TRAP_HANDLER: 0
; COMPUTE_PGM_RSRC2:TGID_X_EN: 1
; COMPUTE_PGM_RSRC2:TGID_Y_EN: 0
; COMPUTE_PGM_RSRC2:TGID_Z_EN: 0
; COMPUTE_PGM_RSRC2:TIDIG_COMP_CNT: 1
; COMPUTE_PGM_RSRC3_GFX90A:ACCUM_OFFSET: 3
; COMPUTE_PGM_RSRC3_GFX90A:TG_SPLIT: 0
	.section	.text._ZN12_GLOBAL__N_120softmax_warp_forwardIN3c104HalfES2_fLi2ELb0ELb1ELi64EEEvPT0_PKT_iiiPKbib,"axG",@progbits,_ZN12_GLOBAL__N_120softmax_warp_forwardIN3c104HalfES2_fLi2ELb0ELb1ELi64EEEvPT0_PKT_iiiPKbib,comdat
	.globl	_ZN12_GLOBAL__N_120softmax_warp_forwardIN3c104HalfES2_fLi2ELb0ELb1ELi64EEEvPT0_PKT_iiiPKbib ; -- Begin function _ZN12_GLOBAL__N_120softmax_warp_forwardIN3c104HalfES2_fLi2ELb0ELb1ELi64EEEvPT0_PKT_iiiPKbib
	.p2align	8
	.type	_ZN12_GLOBAL__N_120softmax_warp_forwardIN3c104HalfES2_fLi2ELb0ELb1ELi64EEEvPT0_PKT_iiiPKbib,@function
_ZN12_GLOBAL__N_120softmax_warp_forwardIN3c104HalfES2_fLi2ELb0ELb1ELi64EEEvPT0_PKT_iiiPKbib: ; @_ZN12_GLOBAL__N_120softmax_warp_forwardIN3c104HalfES2_fLi2ELb0ELb1ELi64EEEvPT0_PKT_iiiPKbib
; %bb.0:
	s_load_dwordx2 s[0:1], s[4:5], 0x28
	s_load_dword s2, s[4:5], 0x3c
	s_load_dwordx4 s[8:11], s[4:5], 0x10
	v_bfe_u32 v1, v0, 10, 10
	v_and_b32_e32 v4, 0x3ff, v0
	s_waitcnt lgkmcnt(0)
	s_bitcmp1_b32 s1, 0
	s_cselect_b64 s[16:17], -1, 0
	s_lshr_b32 s2, s2, 16
	s_mul_i32 s6, s6, s2
	v_add_lshl_u32 v5, s6, v1, 1
	v_mul_lo_u32 v6, v5, s9
	v_add_u32_e32 v0, v6, v4
	v_ashrrev_i32_e32 v1, 31, v0
	s_bitcmp0_b32 s1, 0
	v_pk_mov_b32 v[2:3], v[0:1], v[0:1] op_sel:[0,1]
	s_cbranch_scc1 .LBB724_2
; %bb.1:
	s_abs_i32 s1, s0
	v_cvt_f32_u32_e32 v2, s1
	v_xor_b32_e32 v3, s0, v6
	v_sub_u32_e32 v7, 0, v6
	s_sub_i32 s0, 0, s1
	v_rcp_iflag_f32_e32 v2, v2
	v_max_i32_e32 v6, v6, v7
	v_ashrrev_i32_e32 v3, 31, v3
	v_mul_f32_e32 v2, 0x4f7ffffe, v2
	v_cvt_u32_f32_e32 v2, v2
	v_mul_lo_u32 v7, s0, v2
	v_mul_hi_u32 v7, v2, v7
	v_add_u32_e32 v2, v2, v7
	v_mul_hi_u32 v2, v6, v2
	v_mul_lo_u32 v7, v2, s1
	v_sub_u32_e32 v6, v6, v7
	v_add_u32_e32 v8, 1, v2
	v_cmp_le_u32_e32 vcc, s1, v6
	v_subrev_u32_e32 v7, s1, v6
	v_cndmask_b32_e32 v2, v2, v8, vcc
	v_cndmask_b32_e32 v6, v6, v7, vcc
	v_add_u32_e32 v7, 1, v2
	v_cmp_le_u32_e32 vcc, s1, v6
	v_cndmask_b32_e32 v2, v2, v7, vcc
	v_xor_b32_e32 v2, v2, v3
	v_sub_u32_e32 v2, v2, v3
	v_mad_u64_u32 v[2:3], s[0:1], v2, s9, v[4:5]
	v_ashrrev_i32_e32 v3, 31, v2
.LBB724_2:
	s_load_dwordx4 s[12:15], s[4:5], 0x0
	v_lshlrev_b64 v[0:1], 1, v[0:1]
	v_sub_u32_e32 v8, s8, v5
	v_cmp_gt_i32_e64 s[0:1], s10, v4
	v_mov_b32_e32 v9, 0xff800000
	s_waitcnt lgkmcnt(0)
	v_mov_b32_e32 v5, s15
	v_add_co_u32_e32 v6, vcc, s14, v0
	v_addc_co_u32_e32 v7, vcc, v5, v1, vcc
	v_cmp_lt_i32_e32 vcc, 0, v8
	s_and_b64 s[8:9], s[0:1], vcc
	v_mov_b32_e32 v10, 0xff800000
	s_and_saveexec_b64 s[2:3], s[8:9]
	s_cbranch_execz .LBB724_4
; %bb.3:
	global_load_ushort v4, v[6:7], off
	s_waitcnt vmcnt(0)
	v_cvt_f32_f16_e32 v10, v4
.LBB724_4:
	s_or_b64 exec, exec, s[2:3]
	v_cmp_lt_i32_e64 s[2:3], 1, v8
	s_and_b64 s[6:7], s[0:1], s[2:3]
	s_and_saveexec_b64 s[14:15], s[6:7]
	s_cbranch_execz .LBB724_6
; %bb.5:
	s_mov_b32 s11, 0
	s_lshl_b64 s[2:3], s[10:11], 1
	v_mov_b32_e32 v5, s3
	v_add_co_u32_e64 v4, s[2:3], s2, v6
	v_addc_co_u32_e64 v5, s[2:3], v7, v5, s[2:3]
	global_load_ushort v4, v[4:5], off
	s_waitcnt vmcnt(0)
	v_cvt_f32_f16_e32 v9, v4
.LBB724_6:
	s_or_b64 exec, exec, s[14:15]
	s_load_dwordx2 s[2:3], s[4:5], 0x20
	s_waitcnt lgkmcnt(0)
	v_mov_b32_e32 v4, s3
	v_add_co_u32_e64 v2, s[2:3], s2, v2
	v_addc_co_u32_e64 v3, s[2:3], v4, v3, s[2:3]
	v_mov_b32_e32 v4, 0xff800000
	s_and_saveexec_b64 s[4:5], s[8:9]
	s_cbranch_execz .LBB724_8
; %bb.7:
	global_load_ubyte v4, v[2:3], off
	v_mov_b32_e32 v5, 0xff800000
	s_waitcnt vmcnt(0)
	v_and_b32_e32 v4, 1, v4
	v_cmp_eq_u32_e64 s[2:3], 1, v4
	v_cndmask_b32_e64 v4, v10, v5, s[2:3]
.LBB724_8:
	s_or_b64 exec, exec, s[4:5]
	s_mov_b64 s[4:5], 0
	s_and_saveexec_b64 s[14:15], s[6:7]
	s_cbranch_execz .LBB724_10
; %bb.9:
	s_and_b64 s[2:3], s[16:17], exec
	s_cselect_b32 s2, 0, 0
	s_cselect_b32 s3, 0, s10
	v_mov_b32_e32 v5, s2
	v_add_co_u32_e64 v6, s[2:3], s3, v2
	v_addc_co_u32_e64 v7, s[2:3], v3, v5, s[2:3]
	global_load_ubyte v5, v[6:7], off
	s_waitcnt vmcnt(0)
	v_and_b32_e32 v5, 1, v5
	v_cmp_eq_u32_e64 s[2:3], 1, v5
	s_xor_b64 s[2:3], s[2:3], -1
	s_and_b64 s[4:5], s[2:3], exec
.LBB724_10:
	s_or_b64 exec, exec, s[14:15]
	v_mbcnt_lo_u32_b32 v6, -1, 0
	v_mbcnt_hi_u32_b32 v6, -1, v6
	v_and_b32_e32 v7, 0x7c, v6
	v_add_u32_e32 v11, 4, v7
	v_xor_b32_e32 v7, 2, v6
	v_cmp_lt_i32_e64 s[2:3], v7, v11
	v_cndmask_b32_e64 v7, v6, v7, s[2:3]
	v_mov_b32_e32 v5, 0xff800000
	v_cndmask_b32_e64 v4, v4, v4, s[4:5]
	v_lshlrev_b32_e32 v7, 2, v7
	ds_bpermute_b32 v12, v7, v4
	v_cndmask_b32_e64 v5, v5, v9, s[4:5]
	ds_bpermute_b32 v13, v7, v5
	s_mov_b32 s14, 0
	s_mov_b32 s15, s14
	s_waitcnt lgkmcnt(1)
	v_cmp_lt_f32_e64 s[2:3], v4, v12
	v_cndmask_b32_e64 v15, v4, v12, s[2:3]
	s_waitcnt lgkmcnt(0)
	v_cmp_lt_f32_e64 s[2:3], v5, v13
	v_xor_b32_e32 v4, 1, v6
	v_cndmask_b32_e64 v13, v5, v13, s[2:3]
	v_cmp_lt_i32_e64 s[2:3], v4, v11
	v_cndmask_b32_e64 v4, v6, v4, s[2:3]
	v_lshlrev_b32_e32 v12, 2, v4
	ds_bpermute_b32 v16, v12, v15
	ds_bpermute_b32 v14, v12, v13
	v_mov_b32_e32 v6, 0
	v_pk_mov_b32 v[4:5], s[14:15], s[14:15] op_sel:[0,1]
	v_mov_b32_e32 v11, 0
	s_and_saveexec_b64 s[4:5], s[8:9]
	s_cbranch_execz .LBB724_14
; %bb.11:
	global_load_ubyte v11, v[2:3], off
	v_pk_mov_b32 v[4:5], s[14:15], s[14:15] op_sel:[0,1]
	s_waitcnt vmcnt(0)
	v_and_b32_e32 v11, 1, v11
	v_cmp_eq_u32_e64 s[2:3], 1, v11
	s_xor_b64 s[2:3], s[2:3], -1
	v_mov_b32_e32 v11, 0
	s_and_saveexec_b64 s[8:9], s[2:3]
	s_cbranch_execz .LBB724_13
; %bb.12:
	s_waitcnt lgkmcnt(1)
	v_cmp_lt_f32_e64 s[2:3], v15, v16
	v_cndmask_b32_e64 v4, v15, v16, s[2:3]
	v_sub_f32_e32 v4, v10, v4
	s_mov_b32 s2, 0x3fb8aa3b
	v_mul_f32_e32 v5, 0x3fb8aa3b, v4
	v_fma_f32 v10, v4, s2, -v5
	v_rndne_f32_e32 v11, v5
	v_fmac_f32_e32 v10, 0x32a5705f, v4
	v_sub_f32_e32 v5, v5, v11
	v_add_f32_e32 v5, v5, v10
	v_exp_f32_e32 v5, v5
	v_cvt_i32_f32_e32 v10, v11
	s_mov_b32 s2, 0xc2ce8ed0
	v_cmp_ngt_f32_e64 s[2:3], s2, v4
	v_mov_b32_e32 v11, 0x7f800000
	v_ldexp_f32 v10, v5, v10
	v_cndmask_b32_e64 v10, 0, v10, s[2:3]
	s_mov_b32 s2, 0x42b17218
	v_cmp_nlt_f32_e64 s[2:3], s2, v4
	v_cndmask_b32_e64 v4, v11, v10, s[2:3]
	v_mov_b32_e32 v5, 0
	v_mov_b32_e32 v11, v4
.LBB724_13:
	s_or_b64 exec, exec, s[8:9]
.LBB724_14:
	s_or_b64 exec, exec, s[4:5]
	s_and_saveexec_b64 s[4:5], s[6:7]
	s_cbranch_execz .LBB724_18
; %bb.15:
	s_and_b64 s[2:3], s[16:17], exec
	s_cselect_b32 s2, 0, 0
	s_cselect_b32 s3, 0, s10
	v_mov_b32_e32 v6, s2
	v_add_co_u32_e64 v2, s[2:3], s3, v2
	v_addc_co_u32_e64 v3, s[2:3], v3, v6, s[2:3]
	global_load_ubyte v2, v[2:3], off
	v_mov_b32_e32 v6, 0
	s_waitcnt vmcnt(0)
	v_and_b32_e32 v2, 1, v2
	v_cmp_eq_u32_e64 s[2:3], 1, v2
	s_xor_b64 s[2:3], s[2:3], -1
	s_and_saveexec_b64 s[6:7], s[2:3]
	s_cbranch_execz .LBB724_17
; %bb.16:
	s_waitcnt lgkmcnt(0)
	v_cmp_lt_f32_e64 s[2:3], v13, v14
	v_cndmask_b32_e64 v2, v13, v14, s[2:3]
	v_sub_f32_e32 v2, v9, v2
	s_mov_b32 s2, 0x3fb8aa3b
	v_mul_f32_e32 v3, 0x3fb8aa3b, v2
	v_fma_f32 v6, v2, s2, -v3
	v_rndne_f32_e32 v9, v3
	v_fmac_f32_e32 v6, 0x32a5705f, v2
	v_sub_f32_e32 v3, v3, v9
	v_add_f32_e32 v3, v3, v6
	v_exp_f32_e32 v3, v3
	v_cvt_i32_f32_e32 v6, v9
	s_mov_b32 s2, 0xc2ce8ed0
	v_cmp_ngt_f32_e64 s[2:3], s2, v2
	v_ldexp_f32 v3, v3, v6
	v_cndmask_b32_e64 v3, 0, v3, s[2:3]
	s_mov_b32 s2, 0x42b17218
	v_mov_b32_e32 v6, 0x7f800000
	v_cmp_nlt_f32_e64 s[2:3], s2, v2
	v_cndmask_b32_e64 v6, v6, v3, s[2:3]
	v_add_f32_e32 v5, v5, v6
.LBB724_17:
	s_or_b64 exec, exec, s[6:7]
.LBB724_18:
	s_or_b64 exec, exec, s[4:5]
	ds_bpermute_b32 v2, v7, v4
	ds_bpermute_b32 v3, v7, v5
	s_waitcnt lgkmcnt(0)
	v_pk_add_f32 v[2:3], v[4:5], v[2:3]
	ds_bpermute_b32 v4, v12, v2
	ds_bpermute_b32 v5, v12, v3
	s_and_saveexec_b64 s[2:3], vcc
	s_cbranch_execz .LBB724_30
; %bb.19:
	s_waitcnt lgkmcnt(0)
	v_pk_add_f32 v[2:3], v[2:3], v[4:5]
	v_mov_b32_e32 v4, s13
	v_add_co_u32_e32 v0, vcc, s12, v0
	v_addc_co_u32_e32 v1, vcc, v4, v1, vcc
	s_and_saveexec_b64 s[2:3], s[0:1]
	s_cbranch_execz .LBB724_24
; %bb.20:
	v_cmp_neq_f32_e32 vcc, 0, v2
	s_and_saveexec_b64 s[4:5], vcc
	s_xor_b64 s[4:5], exec, s[4:5]
	s_cbranch_execz .LBB724_22
; %bb.21:
	v_div_scale_f32 v4, s[6:7], v2, v2, v11
	v_rcp_f32_e32 v5, v4
	v_div_scale_f32 v7, vcc, v11, v2, v11
	v_fma_f32 v9, -v4, v5, 1.0
	v_fmac_f32_e32 v5, v9, v5
	v_mul_f32_e32 v9, v7, v5
	v_fma_f32 v10, -v4, v9, v7
	v_fmac_f32_e32 v9, v10, v5
	v_fma_f32 v4, -v4, v9, v7
	v_div_fmas_f32 v4, v4, v5, v9
	v_div_fixup_f32 v2, v4, v2, v11
	v_cvt_f16_f32_e32 v2, v2
	global_store_short v[0:1], v2, off
.LBB724_22:
	s_andn2_saveexec_b64 s[4:5], s[4:5]
	s_cbranch_execz .LBB724_24
; %bb.23:
	v_mov_b32_e32 v2, 0x7e00
	global_store_short v[0:1], v2, off
.LBB724_24:
	s_or_b64 exec, exec, s[2:3]
	v_cmp_ne_u32_e32 vcc, 1, v8
	s_and_b64 exec, exec, vcc
	s_cbranch_execz .LBB724_30
; %bb.25:
	s_and_b64 exec, exec, s[0:1]
	s_cbranch_execz .LBB724_30
; %bb.26:
	s_mov_b32 s11, 0
	s_lshl_b64 s[0:1], s[10:11], 1
	v_mov_b32_e32 v2, s1
	v_add_co_u32_e64 v0, s[0:1], s0, v0
	v_cmp_neq_f32_e32 vcc, 0, v3
	v_addc_co_u32_e64 v1, s[0:1], v1, v2, s[0:1]
	s_and_saveexec_b64 s[0:1], vcc
	s_xor_b64 s[0:1], exec, s[0:1]
	s_cbranch_execz .LBB724_28
; %bb.27:
	v_div_scale_f32 v2, s[2:3], v3, v3, v6
	v_rcp_f32_e32 v4, v2
	v_div_scale_f32 v5, vcc, v6, v3, v6
	v_fma_f32 v7, -v2, v4, 1.0
	v_fmac_f32_e32 v4, v7, v4
	v_mul_f32_e32 v7, v5, v4
	v_fma_f32 v8, -v2, v7, v5
	v_fmac_f32_e32 v7, v8, v4
	v_fma_f32 v2, -v2, v7, v5
	v_div_fmas_f32 v2, v2, v4, v7
	v_div_fixup_f32 v2, v2, v3, v6
	v_cvt_f16_f32_e32 v2, v2
	global_store_short v[0:1], v2, off
                                        ; implicit-def: $vgpr0_vgpr1
.LBB724_28:
	s_andn2_saveexec_b64 s[0:1], s[0:1]
	s_cbranch_execz .LBB724_30
; %bb.29:
	v_mov_b32_e32 v2, 0x7e00
	global_store_short v[0:1], v2, off
.LBB724_30:
	s_endpgm
	.section	.rodata,"a",@progbits
	.p2align	6, 0x0
	.amdhsa_kernel _ZN12_GLOBAL__N_120softmax_warp_forwardIN3c104HalfES2_fLi2ELb0ELb1ELi64EEEvPT0_PKT_iiiPKbib
		.amdhsa_group_segment_fixed_size 0
		.amdhsa_private_segment_fixed_size 0
		.amdhsa_kernarg_size 304
		.amdhsa_user_sgpr_count 6
		.amdhsa_user_sgpr_private_segment_buffer 1
		.amdhsa_user_sgpr_dispatch_ptr 0
		.amdhsa_user_sgpr_queue_ptr 0
		.amdhsa_user_sgpr_kernarg_segment_ptr 1
		.amdhsa_user_sgpr_dispatch_id 0
		.amdhsa_user_sgpr_flat_scratch_init 0
		.amdhsa_user_sgpr_kernarg_preload_length 0
		.amdhsa_user_sgpr_kernarg_preload_offset 0
		.amdhsa_user_sgpr_private_segment_size 0
		.amdhsa_uses_dynamic_stack 0
		.amdhsa_system_sgpr_private_segment_wavefront_offset 0
		.amdhsa_system_sgpr_workgroup_id_x 1
		.amdhsa_system_sgpr_workgroup_id_y 0
		.amdhsa_system_sgpr_workgroup_id_z 0
		.amdhsa_system_sgpr_workgroup_info 0
		.amdhsa_system_vgpr_workitem_id 1
		.amdhsa_next_free_vgpr 17
		.amdhsa_next_free_sgpr 18
		.amdhsa_accum_offset 20
		.amdhsa_reserve_vcc 1
		.amdhsa_reserve_flat_scratch 0
		.amdhsa_float_round_mode_32 0
		.amdhsa_float_round_mode_16_64 0
		.amdhsa_float_denorm_mode_32 3
		.amdhsa_float_denorm_mode_16_64 3
		.amdhsa_dx10_clamp 1
		.amdhsa_ieee_mode 1
		.amdhsa_fp16_overflow 0
		.amdhsa_tg_split 0
		.amdhsa_exception_fp_ieee_invalid_op 0
		.amdhsa_exception_fp_denorm_src 0
		.amdhsa_exception_fp_ieee_div_zero 0
		.amdhsa_exception_fp_ieee_overflow 0
		.amdhsa_exception_fp_ieee_underflow 0
		.amdhsa_exception_fp_ieee_inexact 0
		.amdhsa_exception_int_div_zero 0
	.end_amdhsa_kernel
	.section	.text._ZN12_GLOBAL__N_120softmax_warp_forwardIN3c104HalfES2_fLi2ELb0ELb1ELi64EEEvPT0_PKT_iiiPKbib,"axG",@progbits,_ZN12_GLOBAL__N_120softmax_warp_forwardIN3c104HalfES2_fLi2ELb0ELb1ELi64EEEvPT0_PKT_iiiPKbib,comdat
.Lfunc_end724:
	.size	_ZN12_GLOBAL__N_120softmax_warp_forwardIN3c104HalfES2_fLi2ELb0ELb1ELi64EEEvPT0_PKT_iiiPKbib, .Lfunc_end724-_ZN12_GLOBAL__N_120softmax_warp_forwardIN3c104HalfES2_fLi2ELb0ELb1ELi64EEEvPT0_PKT_iiiPKbib
                                        ; -- End function
	.section	.AMDGPU.csdata,"",@progbits
; Kernel info:
; codeLenInByte = 1600
; NumSgprs: 22
; NumVgprs: 17
; NumAgprs: 0
; TotalNumVgprs: 17
; ScratchSize: 0
; MemoryBound: 0
; FloatMode: 240
; IeeeMode: 1
; LDSByteSize: 0 bytes/workgroup (compile time only)
; SGPRBlocks: 2
; VGPRBlocks: 2
; NumSGPRsForWavesPerEU: 22
; NumVGPRsForWavesPerEU: 17
; AccumOffset: 20
; Occupancy: 8
; WaveLimiterHint : 0
; COMPUTE_PGM_RSRC2:SCRATCH_EN: 0
; COMPUTE_PGM_RSRC2:USER_SGPR: 6
; COMPUTE_PGM_RSRC2:TRAP_HANDLER: 0
; COMPUTE_PGM_RSRC2:TGID_X_EN: 1
; COMPUTE_PGM_RSRC2:TGID_Y_EN: 0
; COMPUTE_PGM_RSRC2:TGID_Z_EN: 0
; COMPUTE_PGM_RSRC2:TIDIG_COMP_CNT: 1
; COMPUTE_PGM_RSRC3_GFX90A:ACCUM_OFFSET: 4
; COMPUTE_PGM_RSRC3_GFX90A:TG_SPLIT: 0
	.section	.text._ZN12_GLOBAL__N_120softmax_warp_forwardIN3c104HalfES2_fLi2ELb0ELb1ELi32EEEvPT0_PKT_iiiPKbib,"axG",@progbits,_ZN12_GLOBAL__N_120softmax_warp_forwardIN3c104HalfES2_fLi2ELb0ELb1ELi32EEEvPT0_PKT_iiiPKbib,comdat
	.globl	_ZN12_GLOBAL__N_120softmax_warp_forwardIN3c104HalfES2_fLi2ELb0ELb1ELi32EEEvPT0_PKT_iiiPKbib ; -- Begin function _ZN12_GLOBAL__N_120softmax_warp_forwardIN3c104HalfES2_fLi2ELb0ELb1ELi32EEEvPT0_PKT_iiiPKbib
	.p2align	8
	.type	_ZN12_GLOBAL__N_120softmax_warp_forwardIN3c104HalfES2_fLi2ELb0ELb1ELi32EEEvPT0_PKT_iiiPKbib,@function
_ZN12_GLOBAL__N_120softmax_warp_forwardIN3c104HalfES2_fLi2ELb0ELb1ELi32EEEvPT0_PKT_iiiPKbib: ; @_ZN12_GLOBAL__N_120softmax_warp_forwardIN3c104HalfES2_fLi2ELb0ELb1ELi32EEEvPT0_PKT_iiiPKbib
; %bb.0:
	s_load_dwordx2 s[0:1], s[4:5], 0x28
	s_load_dword s2, s[4:5], 0x3c
	s_load_dwordx4 s[8:11], s[4:5], 0x10
	v_bfe_u32 v1, v0, 10, 10
	v_and_b32_e32 v4, 0x3ff, v0
	s_waitcnt lgkmcnt(0)
	s_bitcmp1_b32 s1, 0
	s_cselect_b64 s[16:17], -1, 0
	s_lshr_b32 s2, s2, 16
	s_mul_i32 s6, s6, s2
	v_add_lshl_u32 v5, s6, v1, 1
	v_mul_lo_u32 v6, v5, s9
	v_add_u32_e32 v0, v6, v4
	v_ashrrev_i32_e32 v1, 31, v0
	s_bitcmp0_b32 s1, 0
	v_pk_mov_b32 v[2:3], v[0:1], v[0:1] op_sel:[0,1]
	s_cbranch_scc1 .LBB725_2
; %bb.1:
	s_abs_i32 s1, s0
	v_cvt_f32_u32_e32 v2, s1
	v_xor_b32_e32 v3, s0, v6
	v_sub_u32_e32 v7, 0, v6
	s_sub_i32 s0, 0, s1
	v_rcp_iflag_f32_e32 v2, v2
	v_max_i32_e32 v6, v6, v7
	v_ashrrev_i32_e32 v3, 31, v3
	v_mul_f32_e32 v2, 0x4f7ffffe, v2
	v_cvt_u32_f32_e32 v2, v2
	v_mul_lo_u32 v7, s0, v2
	v_mul_hi_u32 v7, v2, v7
	v_add_u32_e32 v2, v2, v7
	v_mul_hi_u32 v2, v6, v2
	v_mul_lo_u32 v7, v2, s1
	v_sub_u32_e32 v6, v6, v7
	v_add_u32_e32 v8, 1, v2
	v_cmp_le_u32_e32 vcc, s1, v6
	v_subrev_u32_e32 v7, s1, v6
	v_cndmask_b32_e32 v2, v2, v8, vcc
	v_cndmask_b32_e32 v6, v6, v7, vcc
	v_add_u32_e32 v7, 1, v2
	v_cmp_le_u32_e32 vcc, s1, v6
	v_cndmask_b32_e32 v2, v2, v7, vcc
	v_xor_b32_e32 v2, v2, v3
	v_sub_u32_e32 v2, v2, v3
	v_mad_u64_u32 v[2:3], s[0:1], v2, s9, v[4:5]
	v_ashrrev_i32_e32 v3, 31, v2
.LBB725_2:
	s_load_dwordx4 s[12:15], s[4:5], 0x0
	v_lshlrev_b64 v[0:1], 1, v[0:1]
	v_sub_u32_e32 v8, s8, v5
	v_cmp_gt_i32_e64 s[0:1], s10, v4
	v_mov_b32_e32 v9, 0xff800000
	s_waitcnt lgkmcnt(0)
	v_mov_b32_e32 v5, s15
	v_add_co_u32_e32 v6, vcc, s14, v0
	v_addc_co_u32_e32 v7, vcc, v5, v1, vcc
	v_cmp_lt_i32_e32 vcc, 0, v8
	s_and_b64 s[8:9], s[0:1], vcc
	v_mov_b32_e32 v10, 0xff800000
	s_and_saveexec_b64 s[2:3], s[8:9]
	s_cbranch_execz .LBB725_4
; %bb.3:
	global_load_ushort v4, v[6:7], off
	s_waitcnt vmcnt(0)
	v_cvt_f32_f16_e32 v10, v4
.LBB725_4:
	s_or_b64 exec, exec, s[2:3]
	v_cmp_lt_i32_e64 s[2:3], 1, v8
	s_and_b64 s[6:7], s[0:1], s[2:3]
	s_and_saveexec_b64 s[14:15], s[6:7]
	s_cbranch_execz .LBB725_6
; %bb.5:
	s_mov_b32 s11, 0
	s_lshl_b64 s[2:3], s[10:11], 1
	v_mov_b32_e32 v5, s3
	v_add_co_u32_e64 v4, s[2:3], s2, v6
	v_addc_co_u32_e64 v5, s[2:3], v7, v5, s[2:3]
	global_load_ushort v4, v[4:5], off
	s_waitcnt vmcnt(0)
	v_cvt_f32_f16_e32 v9, v4
.LBB725_6:
	s_or_b64 exec, exec, s[14:15]
	s_load_dwordx2 s[2:3], s[4:5], 0x20
	s_waitcnt lgkmcnt(0)
	v_mov_b32_e32 v4, s3
	v_add_co_u32_e64 v2, s[2:3], s2, v2
	v_addc_co_u32_e64 v3, s[2:3], v4, v3, s[2:3]
	v_mov_b32_e32 v4, 0xff800000
	s_and_saveexec_b64 s[4:5], s[8:9]
	s_cbranch_execz .LBB725_8
; %bb.7:
	global_load_ubyte v4, v[2:3], off
	v_mov_b32_e32 v5, 0xff800000
	s_waitcnt vmcnt(0)
	v_and_b32_e32 v4, 1, v4
	v_cmp_eq_u32_e64 s[2:3], 1, v4
	v_cndmask_b32_e64 v4, v10, v5, s[2:3]
.LBB725_8:
	s_or_b64 exec, exec, s[4:5]
	s_mov_b64 s[4:5], 0
	s_and_saveexec_b64 s[14:15], s[6:7]
	s_cbranch_execz .LBB725_10
; %bb.9:
	s_and_b64 s[2:3], s[16:17], exec
	s_cselect_b32 s2, 0, 0
	s_cselect_b32 s3, 0, s10
	v_mov_b32_e32 v5, s2
	v_add_co_u32_e64 v6, s[2:3], s3, v2
	v_addc_co_u32_e64 v7, s[2:3], v3, v5, s[2:3]
	global_load_ubyte v5, v[6:7], off
	s_waitcnt vmcnt(0)
	v_and_b32_e32 v5, 1, v5
	v_cmp_eq_u32_e64 s[2:3], 1, v5
	s_xor_b64 s[2:3], s[2:3], -1
	s_and_b64 s[4:5], s[2:3], exec
.LBB725_10:
	s_or_b64 exec, exec, s[14:15]
	v_mbcnt_lo_u32_b32 v6, -1, 0
	v_mbcnt_hi_u32_b32 v6, -1, v6
	v_and_b32_e32 v7, 0x7c, v6
	v_add_u32_e32 v11, 4, v7
	v_xor_b32_e32 v7, 2, v6
	v_cmp_lt_i32_e64 s[2:3], v7, v11
	v_cndmask_b32_e64 v7, v6, v7, s[2:3]
	v_mov_b32_e32 v5, 0xff800000
	v_cndmask_b32_e64 v4, v4, v4, s[4:5]
	v_lshlrev_b32_e32 v7, 2, v7
	ds_bpermute_b32 v12, v7, v4
	v_cndmask_b32_e64 v5, v5, v9, s[4:5]
	ds_bpermute_b32 v13, v7, v5
	s_mov_b32 s14, 0
	s_mov_b32 s15, s14
	s_waitcnt lgkmcnt(1)
	v_cmp_lt_f32_e64 s[2:3], v4, v12
	v_cndmask_b32_e64 v15, v4, v12, s[2:3]
	s_waitcnt lgkmcnt(0)
	v_cmp_lt_f32_e64 s[2:3], v5, v13
	v_xor_b32_e32 v4, 1, v6
	v_cndmask_b32_e64 v13, v5, v13, s[2:3]
	v_cmp_lt_i32_e64 s[2:3], v4, v11
	v_cndmask_b32_e64 v4, v6, v4, s[2:3]
	v_lshlrev_b32_e32 v12, 2, v4
	ds_bpermute_b32 v16, v12, v15
	ds_bpermute_b32 v14, v12, v13
	v_mov_b32_e32 v6, 0
	v_pk_mov_b32 v[4:5], s[14:15], s[14:15] op_sel:[0,1]
	v_mov_b32_e32 v11, 0
	s_and_saveexec_b64 s[4:5], s[8:9]
	s_cbranch_execz .LBB725_14
; %bb.11:
	global_load_ubyte v11, v[2:3], off
	v_pk_mov_b32 v[4:5], s[14:15], s[14:15] op_sel:[0,1]
	s_waitcnt vmcnt(0)
	v_and_b32_e32 v11, 1, v11
	v_cmp_eq_u32_e64 s[2:3], 1, v11
	s_xor_b64 s[2:3], s[2:3], -1
	v_mov_b32_e32 v11, 0
	s_and_saveexec_b64 s[8:9], s[2:3]
	s_cbranch_execz .LBB725_13
; %bb.12:
	s_waitcnt lgkmcnt(1)
	v_cmp_lt_f32_e64 s[2:3], v15, v16
	v_cndmask_b32_e64 v4, v15, v16, s[2:3]
	v_sub_f32_e32 v4, v10, v4
	s_mov_b32 s2, 0x3fb8aa3b
	v_mul_f32_e32 v5, 0x3fb8aa3b, v4
	v_fma_f32 v10, v4, s2, -v5
	v_rndne_f32_e32 v11, v5
	v_fmac_f32_e32 v10, 0x32a5705f, v4
	v_sub_f32_e32 v5, v5, v11
	v_add_f32_e32 v5, v5, v10
	v_exp_f32_e32 v5, v5
	v_cvt_i32_f32_e32 v10, v11
	s_mov_b32 s2, 0xc2ce8ed0
	v_cmp_ngt_f32_e64 s[2:3], s2, v4
	v_mov_b32_e32 v11, 0x7f800000
	v_ldexp_f32 v10, v5, v10
	v_cndmask_b32_e64 v10, 0, v10, s[2:3]
	s_mov_b32 s2, 0x42b17218
	v_cmp_nlt_f32_e64 s[2:3], s2, v4
	v_cndmask_b32_e64 v4, v11, v10, s[2:3]
	v_mov_b32_e32 v5, 0
	v_mov_b32_e32 v11, v4
.LBB725_13:
	s_or_b64 exec, exec, s[8:9]
.LBB725_14:
	s_or_b64 exec, exec, s[4:5]
	s_and_saveexec_b64 s[4:5], s[6:7]
	s_cbranch_execz .LBB725_18
; %bb.15:
	s_and_b64 s[2:3], s[16:17], exec
	s_cselect_b32 s2, 0, 0
	s_cselect_b32 s3, 0, s10
	v_mov_b32_e32 v6, s2
	v_add_co_u32_e64 v2, s[2:3], s3, v2
	v_addc_co_u32_e64 v3, s[2:3], v3, v6, s[2:3]
	global_load_ubyte v2, v[2:3], off
	v_mov_b32_e32 v6, 0
	s_waitcnt vmcnt(0)
	v_and_b32_e32 v2, 1, v2
	v_cmp_eq_u32_e64 s[2:3], 1, v2
	s_xor_b64 s[2:3], s[2:3], -1
	s_and_saveexec_b64 s[6:7], s[2:3]
	s_cbranch_execz .LBB725_17
; %bb.16:
	s_waitcnt lgkmcnt(0)
	v_cmp_lt_f32_e64 s[2:3], v13, v14
	v_cndmask_b32_e64 v2, v13, v14, s[2:3]
	v_sub_f32_e32 v2, v9, v2
	s_mov_b32 s2, 0x3fb8aa3b
	v_mul_f32_e32 v3, 0x3fb8aa3b, v2
	v_fma_f32 v6, v2, s2, -v3
	v_rndne_f32_e32 v9, v3
	v_fmac_f32_e32 v6, 0x32a5705f, v2
	v_sub_f32_e32 v3, v3, v9
	v_add_f32_e32 v3, v3, v6
	v_exp_f32_e32 v3, v3
	v_cvt_i32_f32_e32 v6, v9
	s_mov_b32 s2, 0xc2ce8ed0
	v_cmp_ngt_f32_e64 s[2:3], s2, v2
	v_ldexp_f32 v3, v3, v6
	v_cndmask_b32_e64 v3, 0, v3, s[2:3]
	s_mov_b32 s2, 0x42b17218
	v_mov_b32_e32 v6, 0x7f800000
	v_cmp_nlt_f32_e64 s[2:3], s2, v2
	v_cndmask_b32_e64 v6, v6, v3, s[2:3]
	v_add_f32_e32 v5, v5, v6
.LBB725_17:
	s_or_b64 exec, exec, s[6:7]
.LBB725_18:
	s_or_b64 exec, exec, s[4:5]
	ds_bpermute_b32 v2, v7, v4
	ds_bpermute_b32 v3, v7, v5
	s_waitcnt lgkmcnt(0)
	v_pk_add_f32 v[2:3], v[4:5], v[2:3]
	ds_bpermute_b32 v4, v12, v2
	ds_bpermute_b32 v5, v12, v3
	s_and_saveexec_b64 s[2:3], vcc
	s_cbranch_execz .LBB725_30
; %bb.19:
	s_waitcnt lgkmcnt(0)
	v_pk_add_f32 v[2:3], v[2:3], v[4:5]
	v_mov_b32_e32 v4, s13
	v_add_co_u32_e32 v0, vcc, s12, v0
	v_addc_co_u32_e32 v1, vcc, v4, v1, vcc
	s_and_saveexec_b64 s[2:3], s[0:1]
	s_cbranch_execz .LBB725_24
; %bb.20:
	v_cmp_neq_f32_e32 vcc, 0, v2
	s_and_saveexec_b64 s[4:5], vcc
	s_xor_b64 s[4:5], exec, s[4:5]
	s_cbranch_execz .LBB725_22
; %bb.21:
	v_div_scale_f32 v4, s[6:7], v2, v2, v11
	v_rcp_f32_e32 v5, v4
	v_div_scale_f32 v7, vcc, v11, v2, v11
	v_fma_f32 v9, -v4, v5, 1.0
	v_fmac_f32_e32 v5, v9, v5
	v_mul_f32_e32 v9, v7, v5
	v_fma_f32 v10, -v4, v9, v7
	v_fmac_f32_e32 v9, v10, v5
	v_fma_f32 v4, -v4, v9, v7
	v_div_fmas_f32 v4, v4, v5, v9
	v_div_fixup_f32 v2, v4, v2, v11
	v_cvt_f16_f32_e32 v2, v2
	global_store_short v[0:1], v2, off
.LBB725_22:
	s_andn2_saveexec_b64 s[4:5], s[4:5]
	s_cbranch_execz .LBB725_24
; %bb.23:
	v_mov_b32_e32 v2, 0x7e00
	global_store_short v[0:1], v2, off
.LBB725_24:
	s_or_b64 exec, exec, s[2:3]
	v_cmp_ne_u32_e32 vcc, 1, v8
	s_and_b64 exec, exec, vcc
	s_cbranch_execz .LBB725_30
; %bb.25:
	s_and_b64 exec, exec, s[0:1]
	s_cbranch_execz .LBB725_30
; %bb.26:
	s_mov_b32 s11, 0
	s_lshl_b64 s[0:1], s[10:11], 1
	v_mov_b32_e32 v2, s1
	v_add_co_u32_e64 v0, s[0:1], s0, v0
	v_cmp_neq_f32_e32 vcc, 0, v3
	v_addc_co_u32_e64 v1, s[0:1], v1, v2, s[0:1]
	s_and_saveexec_b64 s[0:1], vcc
	s_xor_b64 s[0:1], exec, s[0:1]
	s_cbranch_execz .LBB725_28
; %bb.27:
	v_div_scale_f32 v2, s[2:3], v3, v3, v6
	v_rcp_f32_e32 v4, v2
	v_div_scale_f32 v5, vcc, v6, v3, v6
	v_fma_f32 v7, -v2, v4, 1.0
	v_fmac_f32_e32 v4, v7, v4
	v_mul_f32_e32 v7, v5, v4
	v_fma_f32 v8, -v2, v7, v5
	v_fmac_f32_e32 v7, v8, v4
	v_fma_f32 v2, -v2, v7, v5
	v_div_fmas_f32 v2, v2, v4, v7
	v_div_fixup_f32 v2, v2, v3, v6
	v_cvt_f16_f32_e32 v2, v2
	global_store_short v[0:1], v2, off
                                        ; implicit-def: $vgpr0_vgpr1
.LBB725_28:
	s_andn2_saveexec_b64 s[0:1], s[0:1]
	s_cbranch_execz .LBB725_30
; %bb.29:
	v_mov_b32_e32 v2, 0x7e00
	global_store_short v[0:1], v2, off
.LBB725_30:
	s_endpgm
	.section	.rodata,"a",@progbits
	.p2align	6, 0x0
	.amdhsa_kernel _ZN12_GLOBAL__N_120softmax_warp_forwardIN3c104HalfES2_fLi2ELb0ELb1ELi32EEEvPT0_PKT_iiiPKbib
		.amdhsa_group_segment_fixed_size 0
		.amdhsa_private_segment_fixed_size 0
		.amdhsa_kernarg_size 304
		.amdhsa_user_sgpr_count 6
		.amdhsa_user_sgpr_private_segment_buffer 1
		.amdhsa_user_sgpr_dispatch_ptr 0
		.amdhsa_user_sgpr_queue_ptr 0
		.amdhsa_user_sgpr_kernarg_segment_ptr 1
		.amdhsa_user_sgpr_dispatch_id 0
		.amdhsa_user_sgpr_flat_scratch_init 0
		.amdhsa_user_sgpr_kernarg_preload_length 0
		.amdhsa_user_sgpr_kernarg_preload_offset 0
		.amdhsa_user_sgpr_private_segment_size 0
		.amdhsa_uses_dynamic_stack 0
		.amdhsa_system_sgpr_private_segment_wavefront_offset 0
		.amdhsa_system_sgpr_workgroup_id_x 1
		.amdhsa_system_sgpr_workgroup_id_y 0
		.amdhsa_system_sgpr_workgroup_id_z 0
		.amdhsa_system_sgpr_workgroup_info 0
		.amdhsa_system_vgpr_workitem_id 1
		.amdhsa_next_free_vgpr 17
		.amdhsa_next_free_sgpr 18
		.amdhsa_accum_offset 20
		.amdhsa_reserve_vcc 1
		.amdhsa_reserve_flat_scratch 0
		.amdhsa_float_round_mode_32 0
		.amdhsa_float_round_mode_16_64 0
		.amdhsa_float_denorm_mode_32 3
		.amdhsa_float_denorm_mode_16_64 3
		.amdhsa_dx10_clamp 1
		.amdhsa_ieee_mode 1
		.amdhsa_fp16_overflow 0
		.amdhsa_tg_split 0
		.amdhsa_exception_fp_ieee_invalid_op 0
		.amdhsa_exception_fp_denorm_src 0
		.amdhsa_exception_fp_ieee_div_zero 0
		.amdhsa_exception_fp_ieee_overflow 0
		.amdhsa_exception_fp_ieee_underflow 0
		.amdhsa_exception_fp_ieee_inexact 0
		.amdhsa_exception_int_div_zero 0
	.end_amdhsa_kernel
	.section	.text._ZN12_GLOBAL__N_120softmax_warp_forwardIN3c104HalfES2_fLi2ELb0ELb1ELi32EEEvPT0_PKT_iiiPKbib,"axG",@progbits,_ZN12_GLOBAL__N_120softmax_warp_forwardIN3c104HalfES2_fLi2ELb0ELb1ELi32EEEvPT0_PKT_iiiPKbib,comdat
.Lfunc_end725:
	.size	_ZN12_GLOBAL__N_120softmax_warp_forwardIN3c104HalfES2_fLi2ELb0ELb1ELi32EEEvPT0_PKT_iiiPKbib, .Lfunc_end725-_ZN12_GLOBAL__N_120softmax_warp_forwardIN3c104HalfES2_fLi2ELb0ELb1ELi32EEEvPT0_PKT_iiiPKbib
                                        ; -- End function
	.section	.AMDGPU.csdata,"",@progbits
; Kernel info:
; codeLenInByte = 1600
; NumSgprs: 22
; NumVgprs: 17
; NumAgprs: 0
; TotalNumVgprs: 17
; ScratchSize: 0
; MemoryBound: 0
; FloatMode: 240
; IeeeMode: 1
; LDSByteSize: 0 bytes/workgroup (compile time only)
; SGPRBlocks: 2
; VGPRBlocks: 2
; NumSGPRsForWavesPerEU: 22
; NumVGPRsForWavesPerEU: 17
; AccumOffset: 20
; Occupancy: 8
; WaveLimiterHint : 0
; COMPUTE_PGM_RSRC2:SCRATCH_EN: 0
; COMPUTE_PGM_RSRC2:USER_SGPR: 6
; COMPUTE_PGM_RSRC2:TRAP_HANDLER: 0
; COMPUTE_PGM_RSRC2:TGID_X_EN: 1
; COMPUTE_PGM_RSRC2:TGID_Y_EN: 0
; COMPUTE_PGM_RSRC2:TGID_Z_EN: 0
; COMPUTE_PGM_RSRC2:TIDIG_COMP_CNT: 1
; COMPUTE_PGM_RSRC3_GFX90A:ACCUM_OFFSET: 4
; COMPUTE_PGM_RSRC3_GFX90A:TG_SPLIT: 0
	.section	.text._ZN12_GLOBAL__N_120softmax_warp_forwardIN3c104HalfES2_fLi3ELb0ELb1ELi64EEEvPT0_PKT_iiiPKbib,"axG",@progbits,_ZN12_GLOBAL__N_120softmax_warp_forwardIN3c104HalfES2_fLi3ELb0ELb1ELi64EEEvPT0_PKT_iiiPKbib,comdat
	.globl	_ZN12_GLOBAL__N_120softmax_warp_forwardIN3c104HalfES2_fLi3ELb0ELb1ELi64EEEvPT0_PKT_iiiPKbib ; -- Begin function _ZN12_GLOBAL__N_120softmax_warp_forwardIN3c104HalfES2_fLi3ELb0ELb1ELi64EEEvPT0_PKT_iiiPKbib
	.p2align	8
	.type	_ZN12_GLOBAL__N_120softmax_warp_forwardIN3c104HalfES2_fLi3ELb0ELb1ELi64EEEvPT0_PKT_iiiPKbib,@function
_ZN12_GLOBAL__N_120softmax_warp_forwardIN3c104HalfES2_fLi3ELb0ELb1ELi64EEEvPT0_PKT_iiiPKbib: ; @_ZN12_GLOBAL__N_120softmax_warp_forwardIN3c104HalfES2_fLi3ELb0ELb1ELi64EEEvPT0_PKT_iiiPKbib
; %bb.0:
	s_load_dwordx2 s[0:1], s[4:5], 0x28
	s_load_dword s2, s[4:5], 0x3c
	s_load_dwordx4 s[8:11], s[4:5], 0x10
	v_bfe_u32 v1, v0, 10, 10
	v_and_b32_e32 v4, 0x3ff, v0
	s_waitcnt lgkmcnt(0)
	s_bitcmp1_b32 s1, 0
	s_cselect_b64 s[16:17], -1, 0
	s_lshr_b32 s2, s2, 16
	s_mul_i32 s6, s6, s2
	v_add_lshl_u32 v5, s6, v1, 1
	v_mul_lo_u32 v6, v5, s9
	v_add_u32_e32 v0, v6, v4
	v_ashrrev_i32_e32 v1, 31, v0
	s_bitcmp0_b32 s1, 0
	v_pk_mov_b32 v[2:3], v[0:1], v[0:1] op_sel:[0,1]
	s_cbranch_scc1 .LBB726_2
; %bb.1:
	s_abs_i32 s1, s0
	v_cvt_f32_u32_e32 v2, s1
	v_xor_b32_e32 v3, s0, v6
	v_sub_u32_e32 v7, 0, v6
	s_sub_i32 s0, 0, s1
	v_rcp_iflag_f32_e32 v2, v2
	v_max_i32_e32 v6, v6, v7
	v_ashrrev_i32_e32 v3, 31, v3
	v_mul_f32_e32 v2, 0x4f7ffffe, v2
	v_cvt_u32_f32_e32 v2, v2
	v_mul_lo_u32 v7, s0, v2
	v_mul_hi_u32 v7, v2, v7
	v_add_u32_e32 v2, v2, v7
	v_mul_hi_u32 v2, v6, v2
	v_mul_lo_u32 v7, v2, s1
	v_sub_u32_e32 v6, v6, v7
	v_add_u32_e32 v8, 1, v2
	v_cmp_le_u32_e32 vcc, s1, v6
	v_subrev_u32_e32 v7, s1, v6
	v_cndmask_b32_e32 v2, v2, v8, vcc
	v_cndmask_b32_e32 v6, v6, v7, vcc
	v_add_u32_e32 v7, 1, v2
	v_cmp_le_u32_e32 vcc, s1, v6
	v_cndmask_b32_e32 v2, v2, v7, vcc
	v_xor_b32_e32 v2, v2, v3
	v_sub_u32_e32 v2, v2, v3
	v_mad_u64_u32 v[2:3], s[0:1], v2, s9, v[4:5]
	v_ashrrev_i32_e32 v3, 31, v2
.LBB726_2:
	s_load_dwordx4 s[12:15], s[4:5], 0x0
	v_lshlrev_b64 v[0:1], 1, v[0:1]
	v_sub_u32_e32 v8, s8, v5
	v_cmp_gt_i32_e64 s[0:1], s10, v4
	v_mov_b32_e32 v9, 0xff800000
	s_waitcnt lgkmcnt(0)
	v_mov_b32_e32 v5, s15
	v_add_co_u32_e32 v6, vcc, s14, v0
	v_addc_co_u32_e32 v7, vcc, v5, v1, vcc
	v_cmp_lt_i32_e32 vcc, 0, v8
	s_and_b64 s[8:9], s[0:1], vcc
	v_mov_b32_e32 v10, 0xff800000
	s_and_saveexec_b64 s[2:3], s[8:9]
	s_cbranch_execz .LBB726_4
; %bb.3:
	global_load_ushort v4, v[6:7], off
	s_waitcnt vmcnt(0)
	v_cvt_f32_f16_e32 v10, v4
.LBB726_4:
	s_or_b64 exec, exec, s[2:3]
	v_cmp_lt_i32_e64 s[2:3], 1, v8
	s_and_b64 s[6:7], s[0:1], s[2:3]
	s_and_saveexec_b64 s[14:15], s[6:7]
	s_cbranch_execz .LBB726_6
; %bb.5:
	s_mov_b32 s11, 0
	s_lshl_b64 s[2:3], s[10:11], 1
	v_mov_b32_e32 v5, s3
	v_add_co_u32_e64 v4, s[2:3], s2, v6
	v_addc_co_u32_e64 v5, s[2:3], v7, v5, s[2:3]
	global_load_ushort v4, v[4:5], off
	s_waitcnt vmcnt(0)
	v_cvt_f32_f16_e32 v9, v4
.LBB726_6:
	s_or_b64 exec, exec, s[14:15]
	s_load_dwordx2 s[2:3], s[4:5], 0x20
	s_waitcnt lgkmcnt(0)
	v_mov_b32_e32 v4, s3
	v_add_co_u32_e64 v2, s[2:3], s2, v2
	v_addc_co_u32_e64 v3, s[2:3], v4, v3, s[2:3]
	v_mov_b32_e32 v4, 0xff800000
	s_and_saveexec_b64 s[4:5], s[8:9]
	s_cbranch_execz .LBB726_8
; %bb.7:
	global_load_ubyte v4, v[2:3], off
	v_mov_b32_e32 v5, 0xff800000
	s_waitcnt vmcnt(0)
	v_and_b32_e32 v4, 1, v4
	v_cmp_eq_u32_e64 s[2:3], 1, v4
	v_cndmask_b32_e64 v4, v10, v5, s[2:3]
.LBB726_8:
	s_or_b64 exec, exec, s[4:5]
	s_mov_b64 s[4:5], 0
	s_and_saveexec_b64 s[14:15], s[6:7]
	s_cbranch_execz .LBB726_10
; %bb.9:
	s_and_b64 s[2:3], s[16:17], exec
	s_cselect_b32 s2, 0, 0
	s_cselect_b32 s3, 0, s10
	v_mov_b32_e32 v5, s2
	v_add_co_u32_e64 v6, s[2:3], s3, v2
	v_addc_co_u32_e64 v7, s[2:3], v3, v5, s[2:3]
	global_load_ubyte v5, v[6:7], off
	s_waitcnt vmcnt(0)
	v_and_b32_e32 v5, 1, v5
	v_cmp_eq_u32_e64 s[2:3], 1, v5
	s_xor_b64 s[2:3], s[2:3], -1
	s_and_b64 s[4:5], s[2:3], exec
.LBB726_10:
	s_or_b64 exec, exec, s[14:15]
	v_mbcnt_lo_u32_b32 v5, -1, 0
	v_mbcnt_hi_u32_b32 v5, -1, v5
	v_and_b32_e32 v6, 0x78, v5
	v_add_u32_e32 v6, 8, v6
	v_xor_b32_e32 v7, 4, v5
	v_cmp_lt_i32_e64 s[2:3], v7, v6
	v_cndmask_b32_e64 v7, v5, v7, s[2:3]
	v_cndmask_b32_e64 v4, v4, v4, s[4:5]
	v_lshlrev_b32_e32 v7, 2, v7
	ds_bpermute_b32 v11, v7, v4
	v_mov_b32_e32 v12, 0xff800000
	v_cndmask_b32_e64 v12, v12, v9, s[4:5]
	ds_bpermute_b32 v13, v7, v12
	s_mov_b32 s14, 0
	s_waitcnt lgkmcnt(1)
	v_cmp_lt_f32_e64 s[2:3], v4, v11
	v_cndmask_b32_e64 v4, v4, v11, s[2:3]
	v_xor_b32_e32 v11, 2, v5
	v_cmp_lt_i32_e64 s[2:3], v11, v6
	v_cndmask_b32_e64 v11, v5, v11, s[2:3]
	v_lshlrev_b32_e32 v11, 2, v11
	s_waitcnt lgkmcnt(0)
	v_cmp_lt_f32_e64 s[2:3], v12, v13
	ds_bpermute_b32 v14, v11, v4
	v_cndmask_b32_e64 v12, v12, v13, s[2:3]
	ds_bpermute_b32 v13, v11, v12
	s_mov_b32 s15, s14
	s_waitcnt lgkmcnt(1)
	v_cmp_lt_f32_e64 s[2:3], v4, v14
	v_cndmask_b32_e64 v16, v4, v14, s[2:3]
	s_waitcnt lgkmcnt(0)
	v_cmp_lt_f32_e64 s[2:3], v12, v13
	v_xor_b32_e32 v4, 1, v5
	v_cndmask_b32_e64 v14, v12, v13, s[2:3]
	v_cmp_lt_i32_e64 s[2:3], v4, v6
	v_cndmask_b32_e64 v4, v5, v4, s[2:3]
	v_lshlrev_b32_e32 v13, 2, v4
	ds_bpermute_b32 v17, v13, v16
	ds_bpermute_b32 v15, v13, v14
	v_mov_b32_e32 v6, 0
	v_pk_mov_b32 v[4:5], s[14:15], s[14:15] op_sel:[0,1]
	v_mov_b32_e32 v12, 0
	s_and_saveexec_b64 s[4:5], s[8:9]
	s_cbranch_execz .LBB726_14
; %bb.11:
	global_load_ubyte v12, v[2:3], off
	v_pk_mov_b32 v[4:5], s[14:15], s[14:15] op_sel:[0,1]
	s_waitcnt vmcnt(0)
	v_and_b32_e32 v12, 1, v12
	v_cmp_eq_u32_e64 s[2:3], 1, v12
	s_xor_b64 s[2:3], s[2:3], -1
	v_mov_b32_e32 v12, 0
	s_and_saveexec_b64 s[8:9], s[2:3]
	s_cbranch_execz .LBB726_13
; %bb.12:
	s_waitcnt lgkmcnt(1)
	v_cmp_lt_f32_e64 s[2:3], v16, v17
	v_cndmask_b32_e64 v4, v16, v17, s[2:3]
	v_sub_f32_e32 v4, v10, v4
	s_mov_b32 s2, 0x3fb8aa3b
	v_mul_f32_e32 v5, 0x3fb8aa3b, v4
	v_fma_f32 v10, v4, s2, -v5
	v_rndne_f32_e32 v12, v5
	v_fmac_f32_e32 v10, 0x32a5705f, v4
	v_sub_f32_e32 v5, v5, v12
	v_add_f32_e32 v5, v5, v10
	v_exp_f32_e32 v5, v5
	v_cvt_i32_f32_e32 v10, v12
	s_mov_b32 s2, 0xc2ce8ed0
	v_cmp_ngt_f32_e64 s[2:3], s2, v4
	v_mov_b32_e32 v12, 0x7f800000
	v_ldexp_f32 v10, v5, v10
	v_cndmask_b32_e64 v10, 0, v10, s[2:3]
	s_mov_b32 s2, 0x42b17218
	v_cmp_nlt_f32_e64 s[2:3], s2, v4
	v_cndmask_b32_e64 v4, v12, v10, s[2:3]
	v_mov_b32_e32 v5, 0
	v_mov_b32_e32 v12, v4
.LBB726_13:
	s_or_b64 exec, exec, s[8:9]
.LBB726_14:
	s_or_b64 exec, exec, s[4:5]
	s_and_saveexec_b64 s[4:5], s[6:7]
	s_cbranch_execz .LBB726_18
; %bb.15:
	s_and_b64 s[2:3], s[16:17], exec
	s_cselect_b32 s2, 0, 0
	s_cselect_b32 s3, 0, s10
	v_mov_b32_e32 v6, s2
	v_add_co_u32_e64 v2, s[2:3], s3, v2
	v_addc_co_u32_e64 v3, s[2:3], v3, v6, s[2:3]
	global_load_ubyte v2, v[2:3], off
	v_mov_b32_e32 v6, 0
	s_waitcnt vmcnt(0)
	v_and_b32_e32 v2, 1, v2
	v_cmp_eq_u32_e64 s[2:3], 1, v2
	s_xor_b64 s[2:3], s[2:3], -1
	s_and_saveexec_b64 s[6:7], s[2:3]
	s_cbranch_execz .LBB726_17
; %bb.16:
	s_waitcnt lgkmcnt(0)
	v_cmp_lt_f32_e64 s[2:3], v14, v15
	v_cndmask_b32_e64 v2, v14, v15, s[2:3]
	v_sub_f32_e32 v2, v9, v2
	s_mov_b32 s2, 0x3fb8aa3b
	v_mul_f32_e32 v3, 0x3fb8aa3b, v2
	v_fma_f32 v6, v2, s2, -v3
	v_rndne_f32_e32 v9, v3
	v_fmac_f32_e32 v6, 0x32a5705f, v2
	v_sub_f32_e32 v3, v3, v9
	v_add_f32_e32 v3, v3, v6
	v_exp_f32_e32 v3, v3
	v_cvt_i32_f32_e32 v6, v9
	s_mov_b32 s2, 0xc2ce8ed0
	v_cmp_ngt_f32_e64 s[2:3], s2, v2
	v_ldexp_f32 v3, v3, v6
	v_cndmask_b32_e64 v3, 0, v3, s[2:3]
	s_mov_b32 s2, 0x42b17218
	v_mov_b32_e32 v6, 0x7f800000
	v_cmp_nlt_f32_e64 s[2:3], s2, v2
	v_cndmask_b32_e64 v6, v6, v3, s[2:3]
	v_add_f32_e32 v5, v5, v6
.LBB726_17:
	s_or_b64 exec, exec, s[6:7]
.LBB726_18:
	s_or_b64 exec, exec, s[4:5]
	ds_bpermute_b32 v2, v7, v4
	ds_bpermute_b32 v3, v7, v5
	s_waitcnt lgkmcnt(0)
	v_pk_add_f32 v[2:3], v[4:5], v[2:3]
	ds_bpermute_b32 v4, v11, v2
	ds_bpermute_b32 v5, v11, v3
	s_waitcnt lgkmcnt(0)
	v_pk_add_f32 v[2:3], v[2:3], v[4:5]
	ds_bpermute_b32 v4, v13, v2
	ds_bpermute_b32 v5, v13, v3
	s_and_saveexec_b64 s[2:3], vcc
	s_cbranch_execz .LBB726_30
; %bb.19:
	s_waitcnt lgkmcnt(0)
	v_pk_add_f32 v[2:3], v[2:3], v[4:5]
	v_mov_b32_e32 v4, s13
	v_add_co_u32_e32 v0, vcc, s12, v0
	v_addc_co_u32_e32 v1, vcc, v4, v1, vcc
	s_and_saveexec_b64 s[2:3], s[0:1]
	s_cbranch_execz .LBB726_24
; %bb.20:
	v_cmp_neq_f32_e32 vcc, 0, v2
	s_and_saveexec_b64 s[4:5], vcc
	s_xor_b64 s[4:5], exec, s[4:5]
	s_cbranch_execz .LBB726_22
; %bb.21:
	v_div_scale_f32 v4, s[6:7], v2, v2, v12
	v_rcp_f32_e32 v5, v4
	v_div_scale_f32 v7, vcc, v12, v2, v12
	v_fma_f32 v9, -v4, v5, 1.0
	v_fmac_f32_e32 v5, v9, v5
	v_mul_f32_e32 v9, v7, v5
	v_fma_f32 v10, -v4, v9, v7
	v_fmac_f32_e32 v9, v10, v5
	v_fma_f32 v4, -v4, v9, v7
	v_div_fmas_f32 v4, v4, v5, v9
	v_div_fixup_f32 v2, v4, v2, v12
	v_cvt_f16_f32_e32 v2, v2
	global_store_short v[0:1], v2, off
.LBB726_22:
	s_andn2_saveexec_b64 s[4:5], s[4:5]
	s_cbranch_execz .LBB726_24
; %bb.23:
	v_mov_b32_e32 v2, 0x7e00
	global_store_short v[0:1], v2, off
.LBB726_24:
	s_or_b64 exec, exec, s[2:3]
	v_cmp_ne_u32_e32 vcc, 1, v8
	s_and_b64 exec, exec, vcc
	s_cbranch_execz .LBB726_30
; %bb.25:
	s_and_b64 exec, exec, s[0:1]
	s_cbranch_execz .LBB726_30
; %bb.26:
	s_mov_b32 s11, 0
	s_lshl_b64 s[0:1], s[10:11], 1
	v_mov_b32_e32 v2, s1
	v_add_co_u32_e64 v0, s[0:1], s0, v0
	v_cmp_neq_f32_e32 vcc, 0, v3
	v_addc_co_u32_e64 v1, s[0:1], v1, v2, s[0:1]
	s_and_saveexec_b64 s[0:1], vcc
	s_xor_b64 s[0:1], exec, s[0:1]
	s_cbranch_execz .LBB726_28
; %bb.27:
	v_div_scale_f32 v2, s[2:3], v3, v3, v6
	v_rcp_f32_e32 v4, v2
	v_div_scale_f32 v5, vcc, v6, v3, v6
	v_fma_f32 v7, -v2, v4, 1.0
	v_fmac_f32_e32 v4, v7, v4
	v_mul_f32_e32 v7, v5, v4
	v_fma_f32 v8, -v2, v7, v5
	v_fmac_f32_e32 v7, v8, v4
	v_fma_f32 v2, -v2, v7, v5
	v_div_fmas_f32 v2, v2, v4, v7
	v_div_fixup_f32 v2, v2, v3, v6
	v_cvt_f16_f32_e32 v2, v2
	global_store_short v[0:1], v2, off
                                        ; implicit-def: $vgpr0_vgpr1
.LBB726_28:
	s_andn2_saveexec_b64 s[0:1], s[0:1]
	s_cbranch_execz .LBB726_30
; %bb.29:
	v_mov_b32_e32 v2, 0x7e00
	global_store_short v[0:1], v2, off
.LBB726_30:
	s_endpgm
	.section	.rodata,"a",@progbits
	.p2align	6, 0x0
	.amdhsa_kernel _ZN12_GLOBAL__N_120softmax_warp_forwardIN3c104HalfES2_fLi3ELb0ELb1ELi64EEEvPT0_PKT_iiiPKbib
		.amdhsa_group_segment_fixed_size 0
		.amdhsa_private_segment_fixed_size 0
		.amdhsa_kernarg_size 304
		.amdhsa_user_sgpr_count 6
		.amdhsa_user_sgpr_private_segment_buffer 1
		.amdhsa_user_sgpr_dispatch_ptr 0
		.amdhsa_user_sgpr_queue_ptr 0
		.amdhsa_user_sgpr_kernarg_segment_ptr 1
		.amdhsa_user_sgpr_dispatch_id 0
		.amdhsa_user_sgpr_flat_scratch_init 0
		.amdhsa_user_sgpr_kernarg_preload_length 0
		.amdhsa_user_sgpr_kernarg_preload_offset 0
		.amdhsa_user_sgpr_private_segment_size 0
		.amdhsa_uses_dynamic_stack 0
		.amdhsa_system_sgpr_private_segment_wavefront_offset 0
		.amdhsa_system_sgpr_workgroup_id_x 1
		.amdhsa_system_sgpr_workgroup_id_y 0
		.amdhsa_system_sgpr_workgroup_id_z 0
		.amdhsa_system_sgpr_workgroup_info 0
		.amdhsa_system_vgpr_workitem_id 1
		.amdhsa_next_free_vgpr 18
		.amdhsa_next_free_sgpr 18
		.amdhsa_accum_offset 20
		.amdhsa_reserve_vcc 1
		.amdhsa_reserve_flat_scratch 0
		.amdhsa_float_round_mode_32 0
		.amdhsa_float_round_mode_16_64 0
		.amdhsa_float_denorm_mode_32 3
		.amdhsa_float_denorm_mode_16_64 3
		.amdhsa_dx10_clamp 1
		.amdhsa_ieee_mode 1
		.amdhsa_fp16_overflow 0
		.amdhsa_tg_split 0
		.amdhsa_exception_fp_ieee_invalid_op 0
		.amdhsa_exception_fp_denorm_src 0
		.amdhsa_exception_fp_ieee_div_zero 0
		.amdhsa_exception_fp_ieee_overflow 0
		.amdhsa_exception_fp_ieee_underflow 0
		.amdhsa_exception_fp_ieee_inexact 0
		.amdhsa_exception_int_div_zero 0
	.end_amdhsa_kernel
	.section	.text._ZN12_GLOBAL__N_120softmax_warp_forwardIN3c104HalfES2_fLi3ELb0ELb1ELi64EEEvPT0_PKT_iiiPKbib,"axG",@progbits,_ZN12_GLOBAL__N_120softmax_warp_forwardIN3c104HalfES2_fLi3ELb0ELb1ELi64EEEvPT0_PKT_iiiPKbib,comdat
.Lfunc_end726:
	.size	_ZN12_GLOBAL__N_120softmax_warp_forwardIN3c104HalfES2_fLi3ELb0ELb1ELi64EEEvPT0_PKT_iiiPKbib, .Lfunc_end726-_ZN12_GLOBAL__N_120softmax_warp_forwardIN3c104HalfES2_fLi3ELb0ELb1ELi64EEEvPT0_PKT_iiiPKbib
                                        ; -- End function
	.section	.AMDGPU.csdata,"",@progbits
; Kernel info:
; codeLenInByte = 1708
; NumSgprs: 22
; NumVgprs: 18
; NumAgprs: 0
; TotalNumVgprs: 18
; ScratchSize: 0
; MemoryBound: 0
; FloatMode: 240
; IeeeMode: 1
; LDSByteSize: 0 bytes/workgroup (compile time only)
; SGPRBlocks: 2
; VGPRBlocks: 2
; NumSGPRsForWavesPerEU: 22
; NumVGPRsForWavesPerEU: 18
; AccumOffset: 20
; Occupancy: 8
; WaveLimiterHint : 0
; COMPUTE_PGM_RSRC2:SCRATCH_EN: 0
; COMPUTE_PGM_RSRC2:USER_SGPR: 6
; COMPUTE_PGM_RSRC2:TRAP_HANDLER: 0
; COMPUTE_PGM_RSRC2:TGID_X_EN: 1
; COMPUTE_PGM_RSRC2:TGID_Y_EN: 0
; COMPUTE_PGM_RSRC2:TGID_Z_EN: 0
; COMPUTE_PGM_RSRC2:TIDIG_COMP_CNT: 1
; COMPUTE_PGM_RSRC3_GFX90A:ACCUM_OFFSET: 4
; COMPUTE_PGM_RSRC3_GFX90A:TG_SPLIT: 0
	.section	.text._ZN12_GLOBAL__N_120softmax_warp_forwardIN3c104HalfES2_fLi3ELb0ELb1ELi32EEEvPT0_PKT_iiiPKbib,"axG",@progbits,_ZN12_GLOBAL__N_120softmax_warp_forwardIN3c104HalfES2_fLi3ELb0ELb1ELi32EEEvPT0_PKT_iiiPKbib,comdat
	.globl	_ZN12_GLOBAL__N_120softmax_warp_forwardIN3c104HalfES2_fLi3ELb0ELb1ELi32EEEvPT0_PKT_iiiPKbib ; -- Begin function _ZN12_GLOBAL__N_120softmax_warp_forwardIN3c104HalfES2_fLi3ELb0ELb1ELi32EEEvPT0_PKT_iiiPKbib
	.p2align	8
	.type	_ZN12_GLOBAL__N_120softmax_warp_forwardIN3c104HalfES2_fLi3ELb0ELb1ELi32EEEvPT0_PKT_iiiPKbib,@function
_ZN12_GLOBAL__N_120softmax_warp_forwardIN3c104HalfES2_fLi3ELb0ELb1ELi32EEEvPT0_PKT_iiiPKbib: ; @_ZN12_GLOBAL__N_120softmax_warp_forwardIN3c104HalfES2_fLi3ELb0ELb1ELi32EEEvPT0_PKT_iiiPKbib
; %bb.0:
	s_load_dwordx2 s[0:1], s[4:5], 0x28
	s_load_dword s2, s[4:5], 0x3c
	s_load_dwordx4 s[8:11], s[4:5], 0x10
	v_bfe_u32 v1, v0, 10, 10
	v_and_b32_e32 v4, 0x3ff, v0
	s_waitcnt lgkmcnt(0)
	s_bitcmp1_b32 s1, 0
	s_cselect_b64 s[16:17], -1, 0
	s_lshr_b32 s2, s2, 16
	s_mul_i32 s6, s6, s2
	v_add_lshl_u32 v5, s6, v1, 1
	v_mul_lo_u32 v6, v5, s9
	v_add_u32_e32 v0, v6, v4
	v_ashrrev_i32_e32 v1, 31, v0
	s_bitcmp0_b32 s1, 0
	v_pk_mov_b32 v[2:3], v[0:1], v[0:1] op_sel:[0,1]
	s_cbranch_scc1 .LBB727_2
; %bb.1:
	s_abs_i32 s1, s0
	v_cvt_f32_u32_e32 v2, s1
	v_xor_b32_e32 v3, s0, v6
	v_sub_u32_e32 v7, 0, v6
	s_sub_i32 s0, 0, s1
	v_rcp_iflag_f32_e32 v2, v2
	v_max_i32_e32 v6, v6, v7
	v_ashrrev_i32_e32 v3, 31, v3
	v_mul_f32_e32 v2, 0x4f7ffffe, v2
	v_cvt_u32_f32_e32 v2, v2
	v_mul_lo_u32 v7, s0, v2
	v_mul_hi_u32 v7, v2, v7
	v_add_u32_e32 v2, v2, v7
	v_mul_hi_u32 v2, v6, v2
	v_mul_lo_u32 v7, v2, s1
	v_sub_u32_e32 v6, v6, v7
	v_add_u32_e32 v8, 1, v2
	v_cmp_le_u32_e32 vcc, s1, v6
	v_subrev_u32_e32 v7, s1, v6
	v_cndmask_b32_e32 v2, v2, v8, vcc
	v_cndmask_b32_e32 v6, v6, v7, vcc
	v_add_u32_e32 v7, 1, v2
	v_cmp_le_u32_e32 vcc, s1, v6
	v_cndmask_b32_e32 v2, v2, v7, vcc
	v_xor_b32_e32 v2, v2, v3
	v_sub_u32_e32 v2, v2, v3
	v_mad_u64_u32 v[2:3], s[0:1], v2, s9, v[4:5]
	v_ashrrev_i32_e32 v3, 31, v2
.LBB727_2:
	s_load_dwordx4 s[12:15], s[4:5], 0x0
	v_lshlrev_b64 v[0:1], 1, v[0:1]
	v_sub_u32_e32 v8, s8, v5
	v_cmp_gt_i32_e64 s[0:1], s10, v4
	v_mov_b32_e32 v9, 0xff800000
	s_waitcnt lgkmcnt(0)
	v_mov_b32_e32 v5, s15
	v_add_co_u32_e32 v6, vcc, s14, v0
	v_addc_co_u32_e32 v7, vcc, v5, v1, vcc
	v_cmp_lt_i32_e32 vcc, 0, v8
	s_and_b64 s[8:9], s[0:1], vcc
	v_mov_b32_e32 v10, 0xff800000
	s_and_saveexec_b64 s[2:3], s[8:9]
	s_cbranch_execz .LBB727_4
; %bb.3:
	global_load_ushort v4, v[6:7], off
	s_waitcnt vmcnt(0)
	v_cvt_f32_f16_e32 v10, v4
.LBB727_4:
	s_or_b64 exec, exec, s[2:3]
	v_cmp_lt_i32_e64 s[2:3], 1, v8
	s_and_b64 s[6:7], s[0:1], s[2:3]
	s_and_saveexec_b64 s[14:15], s[6:7]
	s_cbranch_execz .LBB727_6
; %bb.5:
	s_mov_b32 s11, 0
	s_lshl_b64 s[2:3], s[10:11], 1
	v_mov_b32_e32 v5, s3
	v_add_co_u32_e64 v4, s[2:3], s2, v6
	v_addc_co_u32_e64 v5, s[2:3], v7, v5, s[2:3]
	global_load_ushort v4, v[4:5], off
	s_waitcnt vmcnt(0)
	v_cvt_f32_f16_e32 v9, v4
.LBB727_6:
	s_or_b64 exec, exec, s[14:15]
	s_load_dwordx2 s[2:3], s[4:5], 0x20
	s_waitcnt lgkmcnt(0)
	v_mov_b32_e32 v4, s3
	v_add_co_u32_e64 v2, s[2:3], s2, v2
	v_addc_co_u32_e64 v3, s[2:3], v4, v3, s[2:3]
	v_mov_b32_e32 v4, 0xff800000
	s_and_saveexec_b64 s[4:5], s[8:9]
	s_cbranch_execz .LBB727_8
; %bb.7:
	global_load_ubyte v4, v[2:3], off
	v_mov_b32_e32 v5, 0xff800000
	s_waitcnt vmcnt(0)
	v_and_b32_e32 v4, 1, v4
	v_cmp_eq_u32_e64 s[2:3], 1, v4
	v_cndmask_b32_e64 v4, v10, v5, s[2:3]
.LBB727_8:
	s_or_b64 exec, exec, s[4:5]
	s_mov_b64 s[4:5], 0
	s_and_saveexec_b64 s[14:15], s[6:7]
	s_cbranch_execz .LBB727_10
; %bb.9:
	s_and_b64 s[2:3], s[16:17], exec
	s_cselect_b32 s2, 0, 0
	s_cselect_b32 s3, 0, s10
	v_mov_b32_e32 v5, s2
	v_add_co_u32_e64 v6, s[2:3], s3, v2
	v_addc_co_u32_e64 v7, s[2:3], v3, v5, s[2:3]
	global_load_ubyte v5, v[6:7], off
	s_waitcnt vmcnt(0)
	v_and_b32_e32 v5, 1, v5
	v_cmp_eq_u32_e64 s[2:3], 1, v5
	s_xor_b64 s[2:3], s[2:3], -1
	s_and_b64 s[4:5], s[2:3], exec
.LBB727_10:
	s_or_b64 exec, exec, s[14:15]
	v_mbcnt_lo_u32_b32 v5, -1, 0
	v_mbcnt_hi_u32_b32 v5, -1, v5
	v_and_b32_e32 v6, 0x78, v5
	v_add_u32_e32 v6, 8, v6
	v_xor_b32_e32 v7, 4, v5
	v_cmp_lt_i32_e64 s[2:3], v7, v6
	v_cndmask_b32_e64 v7, v5, v7, s[2:3]
	v_cndmask_b32_e64 v4, v4, v4, s[4:5]
	v_lshlrev_b32_e32 v7, 2, v7
	ds_bpermute_b32 v11, v7, v4
	v_mov_b32_e32 v12, 0xff800000
	v_cndmask_b32_e64 v12, v12, v9, s[4:5]
	ds_bpermute_b32 v13, v7, v12
	s_mov_b32 s14, 0
	s_waitcnt lgkmcnt(1)
	v_cmp_lt_f32_e64 s[2:3], v4, v11
	v_cndmask_b32_e64 v4, v4, v11, s[2:3]
	v_xor_b32_e32 v11, 2, v5
	v_cmp_lt_i32_e64 s[2:3], v11, v6
	v_cndmask_b32_e64 v11, v5, v11, s[2:3]
	v_lshlrev_b32_e32 v11, 2, v11
	s_waitcnt lgkmcnt(0)
	v_cmp_lt_f32_e64 s[2:3], v12, v13
	ds_bpermute_b32 v14, v11, v4
	v_cndmask_b32_e64 v12, v12, v13, s[2:3]
	ds_bpermute_b32 v13, v11, v12
	s_mov_b32 s15, s14
	s_waitcnt lgkmcnt(1)
	v_cmp_lt_f32_e64 s[2:3], v4, v14
	v_cndmask_b32_e64 v16, v4, v14, s[2:3]
	s_waitcnt lgkmcnt(0)
	v_cmp_lt_f32_e64 s[2:3], v12, v13
	v_xor_b32_e32 v4, 1, v5
	v_cndmask_b32_e64 v14, v12, v13, s[2:3]
	v_cmp_lt_i32_e64 s[2:3], v4, v6
	v_cndmask_b32_e64 v4, v5, v4, s[2:3]
	v_lshlrev_b32_e32 v13, 2, v4
	ds_bpermute_b32 v17, v13, v16
	ds_bpermute_b32 v15, v13, v14
	v_mov_b32_e32 v6, 0
	v_pk_mov_b32 v[4:5], s[14:15], s[14:15] op_sel:[0,1]
	v_mov_b32_e32 v12, 0
	s_and_saveexec_b64 s[4:5], s[8:9]
	s_cbranch_execz .LBB727_14
; %bb.11:
	global_load_ubyte v12, v[2:3], off
	v_pk_mov_b32 v[4:5], s[14:15], s[14:15] op_sel:[0,1]
	s_waitcnt vmcnt(0)
	v_and_b32_e32 v12, 1, v12
	v_cmp_eq_u32_e64 s[2:3], 1, v12
	s_xor_b64 s[2:3], s[2:3], -1
	v_mov_b32_e32 v12, 0
	s_and_saveexec_b64 s[8:9], s[2:3]
	s_cbranch_execz .LBB727_13
; %bb.12:
	s_waitcnt lgkmcnt(1)
	v_cmp_lt_f32_e64 s[2:3], v16, v17
	v_cndmask_b32_e64 v4, v16, v17, s[2:3]
	v_sub_f32_e32 v4, v10, v4
	s_mov_b32 s2, 0x3fb8aa3b
	v_mul_f32_e32 v5, 0x3fb8aa3b, v4
	v_fma_f32 v10, v4, s2, -v5
	v_rndne_f32_e32 v12, v5
	v_fmac_f32_e32 v10, 0x32a5705f, v4
	v_sub_f32_e32 v5, v5, v12
	v_add_f32_e32 v5, v5, v10
	v_exp_f32_e32 v5, v5
	v_cvt_i32_f32_e32 v10, v12
	s_mov_b32 s2, 0xc2ce8ed0
	v_cmp_ngt_f32_e64 s[2:3], s2, v4
	v_mov_b32_e32 v12, 0x7f800000
	v_ldexp_f32 v10, v5, v10
	v_cndmask_b32_e64 v10, 0, v10, s[2:3]
	s_mov_b32 s2, 0x42b17218
	v_cmp_nlt_f32_e64 s[2:3], s2, v4
	v_cndmask_b32_e64 v4, v12, v10, s[2:3]
	v_mov_b32_e32 v5, 0
	v_mov_b32_e32 v12, v4
.LBB727_13:
	s_or_b64 exec, exec, s[8:9]
.LBB727_14:
	s_or_b64 exec, exec, s[4:5]
	s_and_saveexec_b64 s[4:5], s[6:7]
	s_cbranch_execz .LBB727_18
; %bb.15:
	s_and_b64 s[2:3], s[16:17], exec
	s_cselect_b32 s2, 0, 0
	s_cselect_b32 s3, 0, s10
	v_mov_b32_e32 v6, s2
	v_add_co_u32_e64 v2, s[2:3], s3, v2
	v_addc_co_u32_e64 v3, s[2:3], v3, v6, s[2:3]
	global_load_ubyte v2, v[2:3], off
	v_mov_b32_e32 v6, 0
	s_waitcnt vmcnt(0)
	v_and_b32_e32 v2, 1, v2
	v_cmp_eq_u32_e64 s[2:3], 1, v2
	s_xor_b64 s[2:3], s[2:3], -1
	s_and_saveexec_b64 s[6:7], s[2:3]
	s_cbranch_execz .LBB727_17
; %bb.16:
	s_waitcnt lgkmcnt(0)
	v_cmp_lt_f32_e64 s[2:3], v14, v15
	v_cndmask_b32_e64 v2, v14, v15, s[2:3]
	v_sub_f32_e32 v2, v9, v2
	s_mov_b32 s2, 0x3fb8aa3b
	v_mul_f32_e32 v3, 0x3fb8aa3b, v2
	v_fma_f32 v6, v2, s2, -v3
	v_rndne_f32_e32 v9, v3
	v_fmac_f32_e32 v6, 0x32a5705f, v2
	v_sub_f32_e32 v3, v3, v9
	v_add_f32_e32 v3, v3, v6
	v_exp_f32_e32 v3, v3
	v_cvt_i32_f32_e32 v6, v9
	s_mov_b32 s2, 0xc2ce8ed0
	v_cmp_ngt_f32_e64 s[2:3], s2, v2
	v_ldexp_f32 v3, v3, v6
	v_cndmask_b32_e64 v3, 0, v3, s[2:3]
	s_mov_b32 s2, 0x42b17218
	v_mov_b32_e32 v6, 0x7f800000
	v_cmp_nlt_f32_e64 s[2:3], s2, v2
	v_cndmask_b32_e64 v6, v6, v3, s[2:3]
	v_add_f32_e32 v5, v5, v6
.LBB727_17:
	s_or_b64 exec, exec, s[6:7]
.LBB727_18:
	s_or_b64 exec, exec, s[4:5]
	ds_bpermute_b32 v2, v7, v4
	ds_bpermute_b32 v3, v7, v5
	s_waitcnt lgkmcnt(0)
	v_pk_add_f32 v[2:3], v[4:5], v[2:3]
	ds_bpermute_b32 v4, v11, v2
	ds_bpermute_b32 v5, v11, v3
	s_waitcnt lgkmcnt(0)
	v_pk_add_f32 v[2:3], v[2:3], v[4:5]
	ds_bpermute_b32 v4, v13, v2
	ds_bpermute_b32 v5, v13, v3
	s_and_saveexec_b64 s[2:3], vcc
	s_cbranch_execz .LBB727_30
; %bb.19:
	s_waitcnt lgkmcnt(0)
	v_pk_add_f32 v[2:3], v[2:3], v[4:5]
	v_mov_b32_e32 v4, s13
	v_add_co_u32_e32 v0, vcc, s12, v0
	v_addc_co_u32_e32 v1, vcc, v4, v1, vcc
	s_and_saveexec_b64 s[2:3], s[0:1]
	s_cbranch_execz .LBB727_24
; %bb.20:
	v_cmp_neq_f32_e32 vcc, 0, v2
	s_and_saveexec_b64 s[4:5], vcc
	s_xor_b64 s[4:5], exec, s[4:5]
	s_cbranch_execz .LBB727_22
; %bb.21:
	v_div_scale_f32 v4, s[6:7], v2, v2, v12
	v_rcp_f32_e32 v5, v4
	v_div_scale_f32 v7, vcc, v12, v2, v12
	v_fma_f32 v9, -v4, v5, 1.0
	v_fmac_f32_e32 v5, v9, v5
	v_mul_f32_e32 v9, v7, v5
	v_fma_f32 v10, -v4, v9, v7
	v_fmac_f32_e32 v9, v10, v5
	v_fma_f32 v4, -v4, v9, v7
	v_div_fmas_f32 v4, v4, v5, v9
	v_div_fixup_f32 v2, v4, v2, v12
	v_cvt_f16_f32_e32 v2, v2
	global_store_short v[0:1], v2, off
.LBB727_22:
	s_andn2_saveexec_b64 s[4:5], s[4:5]
	s_cbranch_execz .LBB727_24
; %bb.23:
	v_mov_b32_e32 v2, 0x7e00
	global_store_short v[0:1], v2, off
.LBB727_24:
	s_or_b64 exec, exec, s[2:3]
	v_cmp_ne_u32_e32 vcc, 1, v8
	s_and_b64 exec, exec, vcc
	s_cbranch_execz .LBB727_30
; %bb.25:
	s_and_b64 exec, exec, s[0:1]
	s_cbranch_execz .LBB727_30
; %bb.26:
	s_mov_b32 s11, 0
	s_lshl_b64 s[0:1], s[10:11], 1
	v_mov_b32_e32 v2, s1
	v_add_co_u32_e64 v0, s[0:1], s0, v0
	v_cmp_neq_f32_e32 vcc, 0, v3
	v_addc_co_u32_e64 v1, s[0:1], v1, v2, s[0:1]
	s_and_saveexec_b64 s[0:1], vcc
	s_xor_b64 s[0:1], exec, s[0:1]
	s_cbranch_execz .LBB727_28
; %bb.27:
	v_div_scale_f32 v2, s[2:3], v3, v3, v6
	v_rcp_f32_e32 v4, v2
	v_div_scale_f32 v5, vcc, v6, v3, v6
	v_fma_f32 v7, -v2, v4, 1.0
	v_fmac_f32_e32 v4, v7, v4
	v_mul_f32_e32 v7, v5, v4
	v_fma_f32 v8, -v2, v7, v5
	v_fmac_f32_e32 v7, v8, v4
	v_fma_f32 v2, -v2, v7, v5
	v_div_fmas_f32 v2, v2, v4, v7
	v_div_fixup_f32 v2, v2, v3, v6
	v_cvt_f16_f32_e32 v2, v2
	global_store_short v[0:1], v2, off
                                        ; implicit-def: $vgpr0_vgpr1
.LBB727_28:
	s_andn2_saveexec_b64 s[0:1], s[0:1]
	s_cbranch_execz .LBB727_30
; %bb.29:
	v_mov_b32_e32 v2, 0x7e00
	global_store_short v[0:1], v2, off
.LBB727_30:
	s_endpgm
	.section	.rodata,"a",@progbits
	.p2align	6, 0x0
	.amdhsa_kernel _ZN12_GLOBAL__N_120softmax_warp_forwardIN3c104HalfES2_fLi3ELb0ELb1ELi32EEEvPT0_PKT_iiiPKbib
		.amdhsa_group_segment_fixed_size 0
		.amdhsa_private_segment_fixed_size 0
		.amdhsa_kernarg_size 304
		.amdhsa_user_sgpr_count 6
		.amdhsa_user_sgpr_private_segment_buffer 1
		.amdhsa_user_sgpr_dispatch_ptr 0
		.amdhsa_user_sgpr_queue_ptr 0
		.amdhsa_user_sgpr_kernarg_segment_ptr 1
		.amdhsa_user_sgpr_dispatch_id 0
		.amdhsa_user_sgpr_flat_scratch_init 0
		.amdhsa_user_sgpr_kernarg_preload_length 0
		.amdhsa_user_sgpr_kernarg_preload_offset 0
		.amdhsa_user_sgpr_private_segment_size 0
		.amdhsa_uses_dynamic_stack 0
		.amdhsa_system_sgpr_private_segment_wavefront_offset 0
		.amdhsa_system_sgpr_workgroup_id_x 1
		.amdhsa_system_sgpr_workgroup_id_y 0
		.amdhsa_system_sgpr_workgroup_id_z 0
		.amdhsa_system_sgpr_workgroup_info 0
		.amdhsa_system_vgpr_workitem_id 1
		.amdhsa_next_free_vgpr 18
		.amdhsa_next_free_sgpr 18
		.amdhsa_accum_offset 20
		.amdhsa_reserve_vcc 1
		.amdhsa_reserve_flat_scratch 0
		.amdhsa_float_round_mode_32 0
		.amdhsa_float_round_mode_16_64 0
		.amdhsa_float_denorm_mode_32 3
		.amdhsa_float_denorm_mode_16_64 3
		.amdhsa_dx10_clamp 1
		.amdhsa_ieee_mode 1
		.amdhsa_fp16_overflow 0
		.amdhsa_tg_split 0
		.amdhsa_exception_fp_ieee_invalid_op 0
		.amdhsa_exception_fp_denorm_src 0
		.amdhsa_exception_fp_ieee_div_zero 0
		.amdhsa_exception_fp_ieee_overflow 0
		.amdhsa_exception_fp_ieee_underflow 0
		.amdhsa_exception_fp_ieee_inexact 0
		.amdhsa_exception_int_div_zero 0
	.end_amdhsa_kernel
	.section	.text._ZN12_GLOBAL__N_120softmax_warp_forwardIN3c104HalfES2_fLi3ELb0ELb1ELi32EEEvPT0_PKT_iiiPKbib,"axG",@progbits,_ZN12_GLOBAL__N_120softmax_warp_forwardIN3c104HalfES2_fLi3ELb0ELb1ELi32EEEvPT0_PKT_iiiPKbib,comdat
.Lfunc_end727:
	.size	_ZN12_GLOBAL__N_120softmax_warp_forwardIN3c104HalfES2_fLi3ELb0ELb1ELi32EEEvPT0_PKT_iiiPKbib, .Lfunc_end727-_ZN12_GLOBAL__N_120softmax_warp_forwardIN3c104HalfES2_fLi3ELb0ELb1ELi32EEEvPT0_PKT_iiiPKbib
                                        ; -- End function
	.section	.AMDGPU.csdata,"",@progbits
; Kernel info:
; codeLenInByte = 1708
; NumSgprs: 22
; NumVgprs: 18
; NumAgprs: 0
; TotalNumVgprs: 18
; ScratchSize: 0
; MemoryBound: 0
; FloatMode: 240
; IeeeMode: 1
; LDSByteSize: 0 bytes/workgroup (compile time only)
; SGPRBlocks: 2
; VGPRBlocks: 2
; NumSGPRsForWavesPerEU: 22
; NumVGPRsForWavesPerEU: 18
; AccumOffset: 20
; Occupancy: 8
; WaveLimiterHint : 0
; COMPUTE_PGM_RSRC2:SCRATCH_EN: 0
; COMPUTE_PGM_RSRC2:USER_SGPR: 6
; COMPUTE_PGM_RSRC2:TRAP_HANDLER: 0
; COMPUTE_PGM_RSRC2:TGID_X_EN: 1
; COMPUTE_PGM_RSRC2:TGID_Y_EN: 0
; COMPUTE_PGM_RSRC2:TGID_Z_EN: 0
; COMPUTE_PGM_RSRC2:TIDIG_COMP_CNT: 1
; COMPUTE_PGM_RSRC3_GFX90A:ACCUM_OFFSET: 4
; COMPUTE_PGM_RSRC3_GFX90A:TG_SPLIT: 0
	.section	.text._ZN12_GLOBAL__N_120softmax_warp_forwardIN3c104HalfES2_fLi4ELb0ELb1ELi64EEEvPT0_PKT_iiiPKbib,"axG",@progbits,_ZN12_GLOBAL__N_120softmax_warp_forwardIN3c104HalfES2_fLi4ELb0ELb1ELi64EEEvPT0_PKT_iiiPKbib,comdat
	.globl	_ZN12_GLOBAL__N_120softmax_warp_forwardIN3c104HalfES2_fLi4ELb0ELb1ELi64EEEvPT0_PKT_iiiPKbib ; -- Begin function _ZN12_GLOBAL__N_120softmax_warp_forwardIN3c104HalfES2_fLi4ELb0ELb1ELi64EEEvPT0_PKT_iiiPKbib
	.p2align	8
	.type	_ZN12_GLOBAL__N_120softmax_warp_forwardIN3c104HalfES2_fLi4ELb0ELb1ELi64EEEvPT0_PKT_iiiPKbib,@function
_ZN12_GLOBAL__N_120softmax_warp_forwardIN3c104HalfES2_fLi4ELb0ELb1ELi64EEEvPT0_PKT_iiiPKbib: ; @_ZN12_GLOBAL__N_120softmax_warp_forwardIN3c104HalfES2_fLi4ELb0ELb1ELi64EEEvPT0_PKT_iiiPKbib
; %bb.0:
	s_load_dwordx2 s[0:1], s[4:5], 0x28
	s_load_dword s2, s[4:5], 0x3c
	s_load_dwordx4 s[8:11], s[4:5], 0x10
	v_bfe_u32 v1, v0, 10, 10
	v_and_b32_e32 v4, 0x3ff, v0
	s_waitcnt lgkmcnt(0)
	s_bitcmp1_b32 s1, 0
	s_cselect_b64 s[16:17], -1, 0
	s_lshr_b32 s2, s2, 16
	s_mul_i32 s6, s6, s2
	v_add_lshl_u32 v5, s6, v1, 1
	v_mul_lo_u32 v6, v5, s9
	v_add_u32_e32 v0, v6, v4
	v_ashrrev_i32_e32 v1, 31, v0
	s_bitcmp0_b32 s1, 0
	v_pk_mov_b32 v[2:3], v[0:1], v[0:1] op_sel:[0,1]
	s_cbranch_scc1 .LBB728_2
; %bb.1:
	s_abs_i32 s1, s0
	v_cvt_f32_u32_e32 v2, s1
	v_xor_b32_e32 v3, s0, v6
	v_sub_u32_e32 v7, 0, v6
	s_sub_i32 s0, 0, s1
	v_rcp_iflag_f32_e32 v2, v2
	v_max_i32_e32 v6, v6, v7
	v_ashrrev_i32_e32 v3, 31, v3
	v_mul_f32_e32 v2, 0x4f7ffffe, v2
	v_cvt_u32_f32_e32 v2, v2
	v_mul_lo_u32 v7, s0, v2
	v_mul_hi_u32 v7, v2, v7
	v_add_u32_e32 v2, v2, v7
	v_mul_hi_u32 v2, v6, v2
	v_mul_lo_u32 v7, v2, s1
	v_sub_u32_e32 v6, v6, v7
	v_add_u32_e32 v8, 1, v2
	v_cmp_le_u32_e32 vcc, s1, v6
	v_subrev_u32_e32 v7, s1, v6
	v_cndmask_b32_e32 v2, v2, v8, vcc
	v_cndmask_b32_e32 v6, v6, v7, vcc
	v_add_u32_e32 v7, 1, v2
	v_cmp_le_u32_e32 vcc, s1, v6
	v_cndmask_b32_e32 v2, v2, v7, vcc
	v_xor_b32_e32 v2, v2, v3
	v_sub_u32_e32 v2, v2, v3
	v_mad_u64_u32 v[2:3], s[0:1], v2, s9, v[4:5]
	v_ashrrev_i32_e32 v3, 31, v2
.LBB728_2:
	s_load_dwordx4 s[12:15], s[4:5], 0x0
	v_lshlrev_b64 v[0:1], 1, v[0:1]
	v_sub_u32_e32 v8, s8, v5
	v_cmp_gt_i32_e64 s[0:1], s10, v4
	v_mov_b32_e32 v9, 0xff800000
	s_waitcnt lgkmcnt(0)
	v_mov_b32_e32 v5, s15
	v_add_co_u32_e32 v6, vcc, s14, v0
	v_addc_co_u32_e32 v7, vcc, v5, v1, vcc
	v_cmp_lt_i32_e32 vcc, 0, v8
	s_and_b64 s[8:9], s[0:1], vcc
	v_mov_b32_e32 v10, 0xff800000
	s_and_saveexec_b64 s[2:3], s[8:9]
	s_cbranch_execz .LBB728_4
; %bb.3:
	global_load_ushort v4, v[6:7], off
	s_waitcnt vmcnt(0)
	v_cvt_f32_f16_e32 v10, v4
.LBB728_4:
	s_or_b64 exec, exec, s[2:3]
	v_cmp_lt_i32_e64 s[2:3], 1, v8
	s_and_b64 s[6:7], s[0:1], s[2:3]
	s_and_saveexec_b64 s[14:15], s[6:7]
	s_cbranch_execz .LBB728_6
; %bb.5:
	s_mov_b32 s11, 0
	s_lshl_b64 s[2:3], s[10:11], 1
	v_mov_b32_e32 v5, s3
	v_add_co_u32_e64 v4, s[2:3], s2, v6
	v_addc_co_u32_e64 v5, s[2:3], v7, v5, s[2:3]
	global_load_ushort v4, v[4:5], off
	s_waitcnt vmcnt(0)
	v_cvt_f32_f16_e32 v9, v4
.LBB728_6:
	s_or_b64 exec, exec, s[14:15]
	s_load_dwordx2 s[2:3], s[4:5], 0x20
	s_waitcnt lgkmcnt(0)
	v_mov_b32_e32 v4, s3
	v_add_co_u32_e64 v2, s[2:3], s2, v2
	v_addc_co_u32_e64 v3, s[2:3], v4, v3, s[2:3]
	v_mov_b32_e32 v4, 0xff800000
	s_and_saveexec_b64 s[4:5], s[8:9]
	s_cbranch_execz .LBB728_8
; %bb.7:
	global_load_ubyte v4, v[2:3], off
	v_mov_b32_e32 v5, 0xff800000
	s_waitcnt vmcnt(0)
	v_and_b32_e32 v4, 1, v4
	v_cmp_eq_u32_e64 s[2:3], 1, v4
	v_cndmask_b32_e64 v4, v10, v5, s[2:3]
.LBB728_8:
	s_or_b64 exec, exec, s[4:5]
	s_mov_b64 s[4:5], 0
	s_and_saveexec_b64 s[14:15], s[6:7]
	s_cbranch_execz .LBB728_10
; %bb.9:
	s_and_b64 s[2:3], s[16:17], exec
	s_cselect_b32 s2, 0, 0
	s_cselect_b32 s3, 0, s10
	v_mov_b32_e32 v5, s2
	v_add_co_u32_e64 v6, s[2:3], s3, v2
	v_addc_co_u32_e64 v7, s[2:3], v3, v5, s[2:3]
	global_load_ubyte v5, v[6:7], off
	s_waitcnt vmcnt(0)
	v_and_b32_e32 v5, 1, v5
	v_cmp_eq_u32_e64 s[2:3], 1, v5
	s_xor_b64 s[2:3], s[2:3], -1
	s_and_b64 s[4:5], s[2:3], exec
.LBB728_10:
	s_or_b64 exec, exec, s[14:15]
	v_mbcnt_lo_u32_b32 v5, -1, 0
	v_mbcnt_hi_u32_b32 v5, -1, v5
	v_and_b32_e32 v6, 0x70, v5
	v_add_u32_e32 v6, 16, v6
	v_xor_b32_e32 v7, 8, v5
	v_cmp_lt_i32_e64 s[2:3], v7, v6
	v_cndmask_b32_e64 v7, v5, v7, s[2:3]
	v_cndmask_b32_e64 v4, v4, v4, s[4:5]
	v_lshlrev_b32_e32 v7, 2, v7
	ds_bpermute_b32 v11, v7, v4
	v_mov_b32_e32 v12, 0xff800000
	v_cndmask_b32_e64 v12, v12, v9, s[4:5]
	ds_bpermute_b32 v13, v7, v12
	s_mov_b32 s14, 0
	s_waitcnt lgkmcnt(1)
	v_cmp_lt_f32_e64 s[2:3], v4, v11
	v_cndmask_b32_e64 v4, v4, v11, s[2:3]
	v_xor_b32_e32 v11, 4, v5
	v_cmp_lt_i32_e64 s[2:3], v11, v6
	v_cndmask_b32_e64 v11, v5, v11, s[2:3]
	v_lshlrev_b32_e32 v11, 2, v11
	ds_bpermute_b32 v14, v11, v4
	s_waitcnt lgkmcnt(1)
	v_cmp_lt_f32_e64 s[2:3], v12, v13
	v_cndmask_b32_e64 v13, v12, v13, s[2:3]
	v_xor_b32_e32 v12, 2, v5
	s_mov_b32 s15, s14
	s_waitcnt lgkmcnt(0)
	v_cmp_lt_f32_e64 s[2:3], v4, v14
	v_cndmask_b32_e64 v4, v4, v14, s[2:3]
	ds_bpermute_b32 v14, v11, v13
	v_cmp_lt_i32_e64 s[2:3], v12, v6
	v_cndmask_b32_e64 v12, v5, v12, s[2:3]
	v_lshlrev_b32_e32 v12, 2, v12
	ds_bpermute_b32 v15, v12, v4
	s_waitcnt lgkmcnt(1)
	v_cmp_lt_f32_e64 s[2:3], v13, v14
	v_cndmask_b32_e64 v13, v13, v14, s[2:3]
	ds_bpermute_b32 v14, v12, v13
	s_waitcnt lgkmcnt(1)
	v_cmp_lt_f32_e64 s[2:3], v4, v15
	v_cndmask_b32_e64 v17, v4, v15, s[2:3]
	v_xor_b32_e32 v4, 1, v5
	s_waitcnt lgkmcnt(0)
	v_cmp_lt_f32_e64 s[2:3], v13, v14
	v_cndmask_b32_e64 v15, v13, v14, s[2:3]
	v_cmp_lt_i32_e64 s[2:3], v4, v6
	v_cndmask_b32_e64 v4, v5, v4, s[2:3]
	v_lshlrev_b32_e32 v14, 2, v4
	ds_bpermute_b32 v18, v14, v17
	ds_bpermute_b32 v16, v14, v15
	v_mov_b32_e32 v6, 0
	v_pk_mov_b32 v[4:5], s[14:15], s[14:15] op_sel:[0,1]
	v_mov_b32_e32 v13, 0
	s_and_saveexec_b64 s[4:5], s[8:9]
	s_cbranch_execz .LBB728_14
; %bb.11:
	global_load_ubyte v13, v[2:3], off
	v_pk_mov_b32 v[4:5], s[14:15], s[14:15] op_sel:[0,1]
	s_waitcnt vmcnt(0)
	v_and_b32_e32 v13, 1, v13
	v_cmp_eq_u32_e64 s[2:3], 1, v13
	s_xor_b64 s[2:3], s[2:3], -1
	v_mov_b32_e32 v13, 0
	s_and_saveexec_b64 s[8:9], s[2:3]
	s_cbranch_execz .LBB728_13
; %bb.12:
	s_waitcnt lgkmcnt(1)
	v_cmp_lt_f32_e64 s[2:3], v17, v18
	v_cndmask_b32_e64 v4, v17, v18, s[2:3]
	v_sub_f32_e32 v4, v10, v4
	s_mov_b32 s2, 0x3fb8aa3b
	v_mul_f32_e32 v5, 0x3fb8aa3b, v4
	v_fma_f32 v10, v4, s2, -v5
	v_rndne_f32_e32 v13, v5
	v_fmac_f32_e32 v10, 0x32a5705f, v4
	v_sub_f32_e32 v5, v5, v13
	v_add_f32_e32 v5, v5, v10
	v_exp_f32_e32 v5, v5
	v_cvt_i32_f32_e32 v10, v13
	s_mov_b32 s2, 0xc2ce8ed0
	v_cmp_ngt_f32_e64 s[2:3], s2, v4
	v_mov_b32_e32 v13, 0x7f800000
	v_ldexp_f32 v10, v5, v10
	v_cndmask_b32_e64 v10, 0, v10, s[2:3]
	s_mov_b32 s2, 0x42b17218
	v_cmp_nlt_f32_e64 s[2:3], s2, v4
	v_cndmask_b32_e64 v4, v13, v10, s[2:3]
	v_mov_b32_e32 v5, 0
	v_mov_b32_e32 v13, v4
.LBB728_13:
	s_or_b64 exec, exec, s[8:9]
.LBB728_14:
	s_or_b64 exec, exec, s[4:5]
	s_and_saveexec_b64 s[4:5], s[6:7]
	s_cbranch_execz .LBB728_18
; %bb.15:
	s_and_b64 s[2:3], s[16:17], exec
	s_cselect_b32 s2, 0, 0
	s_cselect_b32 s3, 0, s10
	v_mov_b32_e32 v6, s2
	v_add_co_u32_e64 v2, s[2:3], s3, v2
	v_addc_co_u32_e64 v3, s[2:3], v3, v6, s[2:3]
	global_load_ubyte v2, v[2:3], off
	v_mov_b32_e32 v6, 0
	s_waitcnt vmcnt(0)
	v_and_b32_e32 v2, 1, v2
	v_cmp_eq_u32_e64 s[2:3], 1, v2
	s_xor_b64 s[2:3], s[2:3], -1
	s_and_saveexec_b64 s[6:7], s[2:3]
	s_cbranch_execz .LBB728_17
; %bb.16:
	s_waitcnt lgkmcnt(0)
	v_cmp_lt_f32_e64 s[2:3], v15, v16
	v_cndmask_b32_e64 v2, v15, v16, s[2:3]
	v_sub_f32_e32 v2, v9, v2
	s_mov_b32 s2, 0x3fb8aa3b
	v_mul_f32_e32 v3, 0x3fb8aa3b, v2
	v_fma_f32 v6, v2, s2, -v3
	v_rndne_f32_e32 v9, v3
	v_fmac_f32_e32 v6, 0x32a5705f, v2
	v_sub_f32_e32 v3, v3, v9
	v_add_f32_e32 v3, v3, v6
	v_exp_f32_e32 v3, v3
	v_cvt_i32_f32_e32 v6, v9
	s_mov_b32 s2, 0xc2ce8ed0
	v_cmp_ngt_f32_e64 s[2:3], s2, v2
	v_ldexp_f32 v3, v3, v6
	v_cndmask_b32_e64 v3, 0, v3, s[2:3]
	s_mov_b32 s2, 0x42b17218
	v_mov_b32_e32 v6, 0x7f800000
	v_cmp_nlt_f32_e64 s[2:3], s2, v2
	v_cndmask_b32_e64 v6, v6, v3, s[2:3]
	v_add_f32_e32 v5, v5, v6
.LBB728_17:
	s_or_b64 exec, exec, s[6:7]
.LBB728_18:
	s_or_b64 exec, exec, s[4:5]
	ds_bpermute_b32 v2, v7, v4
	ds_bpermute_b32 v3, v7, v5
	s_waitcnt lgkmcnt(0)
	v_pk_add_f32 v[2:3], v[4:5], v[2:3]
	ds_bpermute_b32 v4, v11, v2
	ds_bpermute_b32 v5, v11, v3
	s_waitcnt lgkmcnt(0)
	v_pk_add_f32 v[2:3], v[2:3], v[4:5]
	;; [unrolled: 4-line block ×3, first 2 shown]
	ds_bpermute_b32 v4, v14, v2
	ds_bpermute_b32 v5, v14, v3
	s_and_saveexec_b64 s[2:3], vcc
	s_cbranch_execz .LBB728_30
; %bb.19:
	s_waitcnt lgkmcnt(0)
	v_pk_add_f32 v[2:3], v[2:3], v[4:5]
	v_mov_b32_e32 v4, s13
	v_add_co_u32_e32 v0, vcc, s12, v0
	v_addc_co_u32_e32 v1, vcc, v4, v1, vcc
	s_and_saveexec_b64 s[2:3], s[0:1]
	s_cbranch_execz .LBB728_24
; %bb.20:
	v_cmp_neq_f32_e32 vcc, 0, v2
	s_and_saveexec_b64 s[4:5], vcc
	s_xor_b64 s[4:5], exec, s[4:5]
	s_cbranch_execz .LBB728_22
; %bb.21:
	v_div_scale_f32 v4, s[6:7], v2, v2, v13
	v_rcp_f32_e32 v5, v4
	v_div_scale_f32 v7, vcc, v13, v2, v13
	v_fma_f32 v9, -v4, v5, 1.0
	v_fmac_f32_e32 v5, v9, v5
	v_mul_f32_e32 v9, v7, v5
	v_fma_f32 v10, -v4, v9, v7
	v_fmac_f32_e32 v9, v10, v5
	v_fma_f32 v4, -v4, v9, v7
	v_div_fmas_f32 v4, v4, v5, v9
	v_div_fixup_f32 v2, v4, v2, v13
	v_cvt_f16_f32_e32 v2, v2
	global_store_short v[0:1], v2, off
.LBB728_22:
	s_andn2_saveexec_b64 s[4:5], s[4:5]
	s_cbranch_execz .LBB728_24
; %bb.23:
	v_mov_b32_e32 v2, 0x7e00
	global_store_short v[0:1], v2, off
.LBB728_24:
	s_or_b64 exec, exec, s[2:3]
	v_cmp_ne_u32_e32 vcc, 1, v8
	s_and_b64 exec, exec, vcc
	s_cbranch_execz .LBB728_30
; %bb.25:
	s_and_b64 exec, exec, s[0:1]
	s_cbranch_execz .LBB728_30
; %bb.26:
	s_mov_b32 s11, 0
	s_lshl_b64 s[0:1], s[10:11], 1
	v_mov_b32_e32 v2, s1
	v_add_co_u32_e64 v0, s[0:1], s0, v0
	v_cmp_neq_f32_e32 vcc, 0, v3
	v_addc_co_u32_e64 v1, s[0:1], v1, v2, s[0:1]
	s_and_saveexec_b64 s[0:1], vcc
	s_xor_b64 s[0:1], exec, s[0:1]
	s_cbranch_execz .LBB728_28
; %bb.27:
	v_div_scale_f32 v2, s[2:3], v3, v3, v6
	v_rcp_f32_e32 v4, v2
	v_div_scale_f32 v5, vcc, v6, v3, v6
	v_fma_f32 v7, -v2, v4, 1.0
	v_fmac_f32_e32 v4, v7, v4
	v_mul_f32_e32 v7, v5, v4
	v_fma_f32 v8, -v2, v7, v5
	v_fmac_f32_e32 v7, v8, v4
	v_fma_f32 v2, -v2, v7, v5
	v_div_fmas_f32 v2, v2, v4, v7
	v_div_fixup_f32 v2, v2, v3, v6
	v_cvt_f16_f32_e32 v2, v2
	global_store_short v[0:1], v2, off
                                        ; implicit-def: $vgpr0_vgpr1
.LBB728_28:
	s_andn2_saveexec_b64 s[0:1], s[0:1]
	s_cbranch_execz .LBB728_30
; %bb.29:
	v_mov_b32_e32 v2, 0x7e00
	global_store_short v[0:1], v2, off
.LBB728_30:
	s_endpgm
	.section	.rodata,"a",@progbits
	.p2align	6, 0x0
	.amdhsa_kernel _ZN12_GLOBAL__N_120softmax_warp_forwardIN3c104HalfES2_fLi4ELb0ELb1ELi64EEEvPT0_PKT_iiiPKbib
		.amdhsa_group_segment_fixed_size 0
		.amdhsa_private_segment_fixed_size 0
		.amdhsa_kernarg_size 304
		.amdhsa_user_sgpr_count 6
		.amdhsa_user_sgpr_private_segment_buffer 1
		.amdhsa_user_sgpr_dispatch_ptr 0
		.amdhsa_user_sgpr_queue_ptr 0
		.amdhsa_user_sgpr_kernarg_segment_ptr 1
		.amdhsa_user_sgpr_dispatch_id 0
		.amdhsa_user_sgpr_flat_scratch_init 0
		.amdhsa_user_sgpr_kernarg_preload_length 0
		.amdhsa_user_sgpr_kernarg_preload_offset 0
		.amdhsa_user_sgpr_private_segment_size 0
		.amdhsa_uses_dynamic_stack 0
		.amdhsa_system_sgpr_private_segment_wavefront_offset 0
		.amdhsa_system_sgpr_workgroup_id_x 1
		.amdhsa_system_sgpr_workgroup_id_y 0
		.amdhsa_system_sgpr_workgroup_id_z 0
		.amdhsa_system_sgpr_workgroup_info 0
		.amdhsa_system_vgpr_workitem_id 1
		.amdhsa_next_free_vgpr 19
		.amdhsa_next_free_sgpr 18
		.amdhsa_accum_offset 20
		.amdhsa_reserve_vcc 1
		.amdhsa_reserve_flat_scratch 0
		.amdhsa_float_round_mode_32 0
		.amdhsa_float_round_mode_16_64 0
		.amdhsa_float_denorm_mode_32 3
		.amdhsa_float_denorm_mode_16_64 3
		.amdhsa_dx10_clamp 1
		.amdhsa_ieee_mode 1
		.amdhsa_fp16_overflow 0
		.amdhsa_tg_split 0
		.amdhsa_exception_fp_ieee_invalid_op 0
		.amdhsa_exception_fp_denorm_src 0
		.amdhsa_exception_fp_ieee_div_zero 0
		.amdhsa_exception_fp_ieee_overflow 0
		.amdhsa_exception_fp_ieee_underflow 0
		.amdhsa_exception_fp_ieee_inexact 0
		.amdhsa_exception_int_div_zero 0
	.end_amdhsa_kernel
	.section	.text._ZN12_GLOBAL__N_120softmax_warp_forwardIN3c104HalfES2_fLi4ELb0ELb1ELi64EEEvPT0_PKT_iiiPKbib,"axG",@progbits,_ZN12_GLOBAL__N_120softmax_warp_forwardIN3c104HalfES2_fLi4ELb0ELb1ELi64EEEvPT0_PKT_iiiPKbib,comdat
.Lfunc_end728:
	.size	_ZN12_GLOBAL__N_120softmax_warp_forwardIN3c104HalfES2_fLi4ELb0ELb1ELi64EEEvPT0_PKT_iiiPKbib, .Lfunc_end728-_ZN12_GLOBAL__N_120softmax_warp_forwardIN3c104HalfES2_fLi4ELb0ELb1ELi64EEEvPT0_PKT_iiiPKbib
                                        ; -- End function
	.section	.AMDGPU.csdata,"",@progbits
; Kernel info:
; codeLenInByte = 1816
; NumSgprs: 22
; NumVgprs: 19
; NumAgprs: 0
; TotalNumVgprs: 19
; ScratchSize: 0
; MemoryBound: 0
; FloatMode: 240
; IeeeMode: 1
; LDSByteSize: 0 bytes/workgroup (compile time only)
; SGPRBlocks: 2
; VGPRBlocks: 2
; NumSGPRsForWavesPerEU: 22
; NumVGPRsForWavesPerEU: 19
; AccumOffset: 20
; Occupancy: 8
; WaveLimiterHint : 0
; COMPUTE_PGM_RSRC2:SCRATCH_EN: 0
; COMPUTE_PGM_RSRC2:USER_SGPR: 6
; COMPUTE_PGM_RSRC2:TRAP_HANDLER: 0
; COMPUTE_PGM_RSRC2:TGID_X_EN: 1
; COMPUTE_PGM_RSRC2:TGID_Y_EN: 0
; COMPUTE_PGM_RSRC2:TGID_Z_EN: 0
; COMPUTE_PGM_RSRC2:TIDIG_COMP_CNT: 1
; COMPUTE_PGM_RSRC3_GFX90A:ACCUM_OFFSET: 4
; COMPUTE_PGM_RSRC3_GFX90A:TG_SPLIT: 0
	.section	.text._ZN12_GLOBAL__N_120softmax_warp_forwardIN3c104HalfES2_fLi4ELb0ELb1ELi32EEEvPT0_PKT_iiiPKbib,"axG",@progbits,_ZN12_GLOBAL__N_120softmax_warp_forwardIN3c104HalfES2_fLi4ELb0ELb1ELi32EEEvPT0_PKT_iiiPKbib,comdat
	.globl	_ZN12_GLOBAL__N_120softmax_warp_forwardIN3c104HalfES2_fLi4ELb0ELb1ELi32EEEvPT0_PKT_iiiPKbib ; -- Begin function _ZN12_GLOBAL__N_120softmax_warp_forwardIN3c104HalfES2_fLi4ELb0ELb1ELi32EEEvPT0_PKT_iiiPKbib
	.p2align	8
	.type	_ZN12_GLOBAL__N_120softmax_warp_forwardIN3c104HalfES2_fLi4ELb0ELb1ELi32EEEvPT0_PKT_iiiPKbib,@function
_ZN12_GLOBAL__N_120softmax_warp_forwardIN3c104HalfES2_fLi4ELb0ELb1ELi32EEEvPT0_PKT_iiiPKbib: ; @_ZN12_GLOBAL__N_120softmax_warp_forwardIN3c104HalfES2_fLi4ELb0ELb1ELi32EEEvPT0_PKT_iiiPKbib
; %bb.0:
	s_load_dwordx2 s[0:1], s[4:5], 0x28
	s_load_dword s2, s[4:5], 0x3c
	s_load_dwordx4 s[8:11], s[4:5], 0x10
	v_bfe_u32 v1, v0, 10, 10
	v_and_b32_e32 v4, 0x3ff, v0
	s_waitcnt lgkmcnt(0)
	s_bitcmp1_b32 s1, 0
	s_cselect_b64 s[16:17], -1, 0
	s_lshr_b32 s2, s2, 16
	s_mul_i32 s6, s6, s2
	v_add_lshl_u32 v5, s6, v1, 1
	v_mul_lo_u32 v6, v5, s9
	v_add_u32_e32 v0, v6, v4
	v_ashrrev_i32_e32 v1, 31, v0
	s_bitcmp0_b32 s1, 0
	v_pk_mov_b32 v[2:3], v[0:1], v[0:1] op_sel:[0,1]
	s_cbranch_scc1 .LBB729_2
; %bb.1:
	s_abs_i32 s1, s0
	v_cvt_f32_u32_e32 v2, s1
	v_xor_b32_e32 v3, s0, v6
	v_sub_u32_e32 v7, 0, v6
	s_sub_i32 s0, 0, s1
	v_rcp_iflag_f32_e32 v2, v2
	v_max_i32_e32 v6, v6, v7
	v_ashrrev_i32_e32 v3, 31, v3
	v_mul_f32_e32 v2, 0x4f7ffffe, v2
	v_cvt_u32_f32_e32 v2, v2
	v_mul_lo_u32 v7, s0, v2
	v_mul_hi_u32 v7, v2, v7
	v_add_u32_e32 v2, v2, v7
	v_mul_hi_u32 v2, v6, v2
	v_mul_lo_u32 v7, v2, s1
	v_sub_u32_e32 v6, v6, v7
	v_add_u32_e32 v8, 1, v2
	v_cmp_le_u32_e32 vcc, s1, v6
	v_subrev_u32_e32 v7, s1, v6
	v_cndmask_b32_e32 v2, v2, v8, vcc
	v_cndmask_b32_e32 v6, v6, v7, vcc
	v_add_u32_e32 v7, 1, v2
	v_cmp_le_u32_e32 vcc, s1, v6
	v_cndmask_b32_e32 v2, v2, v7, vcc
	v_xor_b32_e32 v2, v2, v3
	v_sub_u32_e32 v2, v2, v3
	v_mad_u64_u32 v[2:3], s[0:1], v2, s9, v[4:5]
	v_ashrrev_i32_e32 v3, 31, v2
.LBB729_2:
	s_load_dwordx4 s[12:15], s[4:5], 0x0
	v_lshlrev_b64 v[0:1], 1, v[0:1]
	v_sub_u32_e32 v8, s8, v5
	v_cmp_gt_i32_e64 s[0:1], s10, v4
	v_mov_b32_e32 v9, 0xff800000
	s_waitcnt lgkmcnt(0)
	v_mov_b32_e32 v5, s15
	v_add_co_u32_e32 v6, vcc, s14, v0
	v_addc_co_u32_e32 v7, vcc, v5, v1, vcc
	v_cmp_lt_i32_e32 vcc, 0, v8
	s_and_b64 s[8:9], s[0:1], vcc
	v_mov_b32_e32 v10, 0xff800000
	s_and_saveexec_b64 s[2:3], s[8:9]
	s_cbranch_execz .LBB729_4
; %bb.3:
	global_load_ushort v4, v[6:7], off
	s_waitcnt vmcnt(0)
	v_cvt_f32_f16_e32 v10, v4
.LBB729_4:
	s_or_b64 exec, exec, s[2:3]
	v_cmp_lt_i32_e64 s[2:3], 1, v8
	s_and_b64 s[6:7], s[0:1], s[2:3]
	s_and_saveexec_b64 s[14:15], s[6:7]
	s_cbranch_execz .LBB729_6
; %bb.5:
	s_mov_b32 s11, 0
	s_lshl_b64 s[2:3], s[10:11], 1
	v_mov_b32_e32 v5, s3
	v_add_co_u32_e64 v4, s[2:3], s2, v6
	v_addc_co_u32_e64 v5, s[2:3], v7, v5, s[2:3]
	global_load_ushort v4, v[4:5], off
	s_waitcnt vmcnt(0)
	v_cvt_f32_f16_e32 v9, v4
.LBB729_6:
	s_or_b64 exec, exec, s[14:15]
	s_load_dwordx2 s[2:3], s[4:5], 0x20
	s_waitcnt lgkmcnt(0)
	v_mov_b32_e32 v4, s3
	v_add_co_u32_e64 v2, s[2:3], s2, v2
	v_addc_co_u32_e64 v3, s[2:3], v4, v3, s[2:3]
	v_mov_b32_e32 v4, 0xff800000
	s_and_saveexec_b64 s[4:5], s[8:9]
	s_cbranch_execz .LBB729_8
; %bb.7:
	global_load_ubyte v4, v[2:3], off
	v_mov_b32_e32 v5, 0xff800000
	s_waitcnt vmcnt(0)
	v_and_b32_e32 v4, 1, v4
	v_cmp_eq_u32_e64 s[2:3], 1, v4
	v_cndmask_b32_e64 v4, v10, v5, s[2:3]
.LBB729_8:
	s_or_b64 exec, exec, s[4:5]
	s_mov_b64 s[4:5], 0
	s_and_saveexec_b64 s[14:15], s[6:7]
	s_cbranch_execz .LBB729_10
; %bb.9:
	s_and_b64 s[2:3], s[16:17], exec
	s_cselect_b32 s2, 0, 0
	s_cselect_b32 s3, 0, s10
	v_mov_b32_e32 v5, s2
	v_add_co_u32_e64 v6, s[2:3], s3, v2
	v_addc_co_u32_e64 v7, s[2:3], v3, v5, s[2:3]
	global_load_ubyte v5, v[6:7], off
	s_waitcnt vmcnt(0)
	v_and_b32_e32 v5, 1, v5
	v_cmp_eq_u32_e64 s[2:3], 1, v5
	s_xor_b64 s[2:3], s[2:3], -1
	s_and_b64 s[4:5], s[2:3], exec
.LBB729_10:
	s_or_b64 exec, exec, s[14:15]
	v_mbcnt_lo_u32_b32 v5, -1, 0
	v_mbcnt_hi_u32_b32 v5, -1, v5
	v_and_b32_e32 v6, 0x70, v5
	v_add_u32_e32 v6, 16, v6
	v_xor_b32_e32 v7, 8, v5
	v_cmp_lt_i32_e64 s[2:3], v7, v6
	v_cndmask_b32_e64 v7, v5, v7, s[2:3]
	v_cndmask_b32_e64 v4, v4, v4, s[4:5]
	v_lshlrev_b32_e32 v7, 2, v7
	ds_bpermute_b32 v11, v7, v4
	v_mov_b32_e32 v12, 0xff800000
	v_cndmask_b32_e64 v12, v12, v9, s[4:5]
	ds_bpermute_b32 v13, v7, v12
	s_mov_b32 s14, 0
	s_waitcnt lgkmcnt(1)
	v_cmp_lt_f32_e64 s[2:3], v4, v11
	v_cndmask_b32_e64 v4, v4, v11, s[2:3]
	v_xor_b32_e32 v11, 4, v5
	v_cmp_lt_i32_e64 s[2:3], v11, v6
	v_cndmask_b32_e64 v11, v5, v11, s[2:3]
	v_lshlrev_b32_e32 v11, 2, v11
	ds_bpermute_b32 v14, v11, v4
	s_waitcnt lgkmcnt(1)
	v_cmp_lt_f32_e64 s[2:3], v12, v13
	v_cndmask_b32_e64 v13, v12, v13, s[2:3]
	v_xor_b32_e32 v12, 2, v5
	s_mov_b32 s15, s14
	s_waitcnt lgkmcnt(0)
	v_cmp_lt_f32_e64 s[2:3], v4, v14
	v_cndmask_b32_e64 v4, v4, v14, s[2:3]
	ds_bpermute_b32 v14, v11, v13
	v_cmp_lt_i32_e64 s[2:3], v12, v6
	v_cndmask_b32_e64 v12, v5, v12, s[2:3]
	v_lshlrev_b32_e32 v12, 2, v12
	ds_bpermute_b32 v15, v12, v4
	s_waitcnt lgkmcnt(1)
	v_cmp_lt_f32_e64 s[2:3], v13, v14
	v_cndmask_b32_e64 v13, v13, v14, s[2:3]
	ds_bpermute_b32 v14, v12, v13
	s_waitcnt lgkmcnt(1)
	v_cmp_lt_f32_e64 s[2:3], v4, v15
	v_cndmask_b32_e64 v17, v4, v15, s[2:3]
	v_xor_b32_e32 v4, 1, v5
	s_waitcnt lgkmcnt(0)
	v_cmp_lt_f32_e64 s[2:3], v13, v14
	v_cndmask_b32_e64 v15, v13, v14, s[2:3]
	v_cmp_lt_i32_e64 s[2:3], v4, v6
	v_cndmask_b32_e64 v4, v5, v4, s[2:3]
	v_lshlrev_b32_e32 v14, 2, v4
	ds_bpermute_b32 v18, v14, v17
	ds_bpermute_b32 v16, v14, v15
	v_mov_b32_e32 v6, 0
	v_pk_mov_b32 v[4:5], s[14:15], s[14:15] op_sel:[0,1]
	v_mov_b32_e32 v13, 0
	s_and_saveexec_b64 s[4:5], s[8:9]
	s_cbranch_execz .LBB729_14
; %bb.11:
	global_load_ubyte v13, v[2:3], off
	v_pk_mov_b32 v[4:5], s[14:15], s[14:15] op_sel:[0,1]
	s_waitcnt vmcnt(0)
	v_and_b32_e32 v13, 1, v13
	v_cmp_eq_u32_e64 s[2:3], 1, v13
	s_xor_b64 s[2:3], s[2:3], -1
	v_mov_b32_e32 v13, 0
	s_and_saveexec_b64 s[8:9], s[2:3]
	s_cbranch_execz .LBB729_13
; %bb.12:
	s_waitcnt lgkmcnt(1)
	v_cmp_lt_f32_e64 s[2:3], v17, v18
	v_cndmask_b32_e64 v4, v17, v18, s[2:3]
	v_sub_f32_e32 v4, v10, v4
	s_mov_b32 s2, 0x3fb8aa3b
	v_mul_f32_e32 v5, 0x3fb8aa3b, v4
	v_fma_f32 v10, v4, s2, -v5
	v_rndne_f32_e32 v13, v5
	v_fmac_f32_e32 v10, 0x32a5705f, v4
	v_sub_f32_e32 v5, v5, v13
	v_add_f32_e32 v5, v5, v10
	v_exp_f32_e32 v5, v5
	v_cvt_i32_f32_e32 v10, v13
	s_mov_b32 s2, 0xc2ce8ed0
	v_cmp_ngt_f32_e64 s[2:3], s2, v4
	v_mov_b32_e32 v13, 0x7f800000
	v_ldexp_f32 v10, v5, v10
	v_cndmask_b32_e64 v10, 0, v10, s[2:3]
	s_mov_b32 s2, 0x42b17218
	v_cmp_nlt_f32_e64 s[2:3], s2, v4
	v_cndmask_b32_e64 v4, v13, v10, s[2:3]
	v_mov_b32_e32 v5, 0
	v_mov_b32_e32 v13, v4
.LBB729_13:
	s_or_b64 exec, exec, s[8:9]
.LBB729_14:
	s_or_b64 exec, exec, s[4:5]
	s_and_saveexec_b64 s[4:5], s[6:7]
	s_cbranch_execz .LBB729_18
; %bb.15:
	s_and_b64 s[2:3], s[16:17], exec
	s_cselect_b32 s2, 0, 0
	s_cselect_b32 s3, 0, s10
	v_mov_b32_e32 v6, s2
	v_add_co_u32_e64 v2, s[2:3], s3, v2
	v_addc_co_u32_e64 v3, s[2:3], v3, v6, s[2:3]
	global_load_ubyte v2, v[2:3], off
	v_mov_b32_e32 v6, 0
	s_waitcnt vmcnt(0)
	v_and_b32_e32 v2, 1, v2
	v_cmp_eq_u32_e64 s[2:3], 1, v2
	s_xor_b64 s[2:3], s[2:3], -1
	s_and_saveexec_b64 s[6:7], s[2:3]
	s_cbranch_execz .LBB729_17
; %bb.16:
	s_waitcnt lgkmcnt(0)
	v_cmp_lt_f32_e64 s[2:3], v15, v16
	v_cndmask_b32_e64 v2, v15, v16, s[2:3]
	v_sub_f32_e32 v2, v9, v2
	s_mov_b32 s2, 0x3fb8aa3b
	v_mul_f32_e32 v3, 0x3fb8aa3b, v2
	v_fma_f32 v6, v2, s2, -v3
	v_rndne_f32_e32 v9, v3
	v_fmac_f32_e32 v6, 0x32a5705f, v2
	v_sub_f32_e32 v3, v3, v9
	v_add_f32_e32 v3, v3, v6
	v_exp_f32_e32 v3, v3
	v_cvt_i32_f32_e32 v6, v9
	s_mov_b32 s2, 0xc2ce8ed0
	v_cmp_ngt_f32_e64 s[2:3], s2, v2
	v_ldexp_f32 v3, v3, v6
	v_cndmask_b32_e64 v3, 0, v3, s[2:3]
	s_mov_b32 s2, 0x42b17218
	v_mov_b32_e32 v6, 0x7f800000
	v_cmp_nlt_f32_e64 s[2:3], s2, v2
	v_cndmask_b32_e64 v6, v6, v3, s[2:3]
	v_add_f32_e32 v5, v5, v6
.LBB729_17:
	s_or_b64 exec, exec, s[6:7]
.LBB729_18:
	s_or_b64 exec, exec, s[4:5]
	ds_bpermute_b32 v2, v7, v4
	ds_bpermute_b32 v3, v7, v5
	s_waitcnt lgkmcnt(0)
	v_pk_add_f32 v[2:3], v[4:5], v[2:3]
	ds_bpermute_b32 v4, v11, v2
	ds_bpermute_b32 v5, v11, v3
	s_waitcnt lgkmcnt(0)
	v_pk_add_f32 v[2:3], v[2:3], v[4:5]
	;; [unrolled: 4-line block ×3, first 2 shown]
	ds_bpermute_b32 v4, v14, v2
	ds_bpermute_b32 v5, v14, v3
	s_and_saveexec_b64 s[2:3], vcc
	s_cbranch_execz .LBB729_30
; %bb.19:
	s_waitcnt lgkmcnt(0)
	v_pk_add_f32 v[2:3], v[2:3], v[4:5]
	v_mov_b32_e32 v4, s13
	v_add_co_u32_e32 v0, vcc, s12, v0
	v_addc_co_u32_e32 v1, vcc, v4, v1, vcc
	s_and_saveexec_b64 s[2:3], s[0:1]
	s_cbranch_execz .LBB729_24
; %bb.20:
	v_cmp_neq_f32_e32 vcc, 0, v2
	s_and_saveexec_b64 s[4:5], vcc
	s_xor_b64 s[4:5], exec, s[4:5]
	s_cbranch_execz .LBB729_22
; %bb.21:
	v_div_scale_f32 v4, s[6:7], v2, v2, v13
	v_rcp_f32_e32 v5, v4
	v_div_scale_f32 v7, vcc, v13, v2, v13
	v_fma_f32 v9, -v4, v5, 1.0
	v_fmac_f32_e32 v5, v9, v5
	v_mul_f32_e32 v9, v7, v5
	v_fma_f32 v10, -v4, v9, v7
	v_fmac_f32_e32 v9, v10, v5
	v_fma_f32 v4, -v4, v9, v7
	v_div_fmas_f32 v4, v4, v5, v9
	v_div_fixup_f32 v2, v4, v2, v13
	v_cvt_f16_f32_e32 v2, v2
	global_store_short v[0:1], v2, off
.LBB729_22:
	s_andn2_saveexec_b64 s[4:5], s[4:5]
	s_cbranch_execz .LBB729_24
; %bb.23:
	v_mov_b32_e32 v2, 0x7e00
	global_store_short v[0:1], v2, off
.LBB729_24:
	s_or_b64 exec, exec, s[2:3]
	v_cmp_ne_u32_e32 vcc, 1, v8
	s_and_b64 exec, exec, vcc
	s_cbranch_execz .LBB729_30
; %bb.25:
	s_and_b64 exec, exec, s[0:1]
	s_cbranch_execz .LBB729_30
; %bb.26:
	s_mov_b32 s11, 0
	s_lshl_b64 s[0:1], s[10:11], 1
	v_mov_b32_e32 v2, s1
	v_add_co_u32_e64 v0, s[0:1], s0, v0
	v_cmp_neq_f32_e32 vcc, 0, v3
	v_addc_co_u32_e64 v1, s[0:1], v1, v2, s[0:1]
	s_and_saveexec_b64 s[0:1], vcc
	s_xor_b64 s[0:1], exec, s[0:1]
	s_cbranch_execz .LBB729_28
; %bb.27:
	v_div_scale_f32 v2, s[2:3], v3, v3, v6
	v_rcp_f32_e32 v4, v2
	v_div_scale_f32 v5, vcc, v6, v3, v6
	v_fma_f32 v7, -v2, v4, 1.0
	v_fmac_f32_e32 v4, v7, v4
	v_mul_f32_e32 v7, v5, v4
	v_fma_f32 v8, -v2, v7, v5
	v_fmac_f32_e32 v7, v8, v4
	v_fma_f32 v2, -v2, v7, v5
	v_div_fmas_f32 v2, v2, v4, v7
	v_div_fixup_f32 v2, v2, v3, v6
	v_cvt_f16_f32_e32 v2, v2
	global_store_short v[0:1], v2, off
                                        ; implicit-def: $vgpr0_vgpr1
.LBB729_28:
	s_andn2_saveexec_b64 s[0:1], s[0:1]
	s_cbranch_execz .LBB729_30
; %bb.29:
	v_mov_b32_e32 v2, 0x7e00
	global_store_short v[0:1], v2, off
.LBB729_30:
	s_endpgm
	.section	.rodata,"a",@progbits
	.p2align	6, 0x0
	.amdhsa_kernel _ZN12_GLOBAL__N_120softmax_warp_forwardIN3c104HalfES2_fLi4ELb0ELb1ELi32EEEvPT0_PKT_iiiPKbib
		.amdhsa_group_segment_fixed_size 0
		.amdhsa_private_segment_fixed_size 0
		.amdhsa_kernarg_size 304
		.amdhsa_user_sgpr_count 6
		.amdhsa_user_sgpr_private_segment_buffer 1
		.amdhsa_user_sgpr_dispatch_ptr 0
		.amdhsa_user_sgpr_queue_ptr 0
		.amdhsa_user_sgpr_kernarg_segment_ptr 1
		.amdhsa_user_sgpr_dispatch_id 0
		.amdhsa_user_sgpr_flat_scratch_init 0
		.amdhsa_user_sgpr_kernarg_preload_length 0
		.amdhsa_user_sgpr_kernarg_preload_offset 0
		.amdhsa_user_sgpr_private_segment_size 0
		.amdhsa_uses_dynamic_stack 0
		.amdhsa_system_sgpr_private_segment_wavefront_offset 0
		.amdhsa_system_sgpr_workgroup_id_x 1
		.amdhsa_system_sgpr_workgroup_id_y 0
		.amdhsa_system_sgpr_workgroup_id_z 0
		.amdhsa_system_sgpr_workgroup_info 0
		.amdhsa_system_vgpr_workitem_id 1
		.amdhsa_next_free_vgpr 19
		.amdhsa_next_free_sgpr 18
		.amdhsa_accum_offset 20
		.amdhsa_reserve_vcc 1
		.amdhsa_reserve_flat_scratch 0
		.amdhsa_float_round_mode_32 0
		.amdhsa_float_round_mode_16_64 0
		.amdhsa_float_denorm_mode_32 3
		.amdhsa_float_denorm_mode_16_64 3
		.amdhsa_dx10_clamp 1
		.amdhsa_ieee_mode 1
		.amdhsa_fp16_overflow 0
		.amdhsa_tg_split 0
		.amdhsa_exception_fp_ieee_invalid_op 0
		.amdhsa_exception_fp_denorm_src 0
		.amdhsa_exception_fp_ieee_div_zero 0
		.amdhsa_exception_fp_ieee_overflow 0
		.amdhsa_exception_fp_ieee_underflow 0
		.amdhsa_exception_fp_ieee_inexact 0
		.amdhsa_exception_int_div_zero 0
	.end_amdhsa_kernel
	.section	.text._ZN12_GLOBAL__N_120softmax_warp_forwardIN3c104HalfES2_fLi4ELb0ELb1ELi32EEEvPT0_PKT_iiiPKbib,"axG",@progbits,_ZN12_GLOBAL__N_120softmax_warp_forwardIN3c104HalfES2_fLi4ELb0ELb1ELi32EEEvPT0_PKT_iiiPKbib,comdat
.Lfunc_end729:
	.size	_ZN12_GLOBAL__N_120softmax_warp_forwardIN3c104HalfES2_fLi4ELb0ELb1ELi32EEEvPT0_PKT_iiiPKbib, .Lfunc_end729-_ZN12_GLOBAL__N_120softmax_warp_forwardIN3c104HalfES2_fLi4ELb0ELb1ELi32EEEvPT0_PKT_iiiPKbib
                                        ; -- End function
	.section	.AMDGPU.csdata,"",@progbits
; Kernel info:
; codeLenInByte = 1816
; NumSgprs: 22
; NumVgprs: 19
; NumAgprs: 0
; TotalNumVgprs: 19
; ScratchSize: 0
; MemoryBound: 0
; FloatMode: 240
; IeeeMode: 1
; LDSByteSize: 0 bytes/workgroup (compile time only)
; SGPRBlocks: 2
; VGPRBlocks: 2
; NumSGPRsForWavesPerEU: 22
; NumVGPRsForWavesPerEU: 19
; AccumOffset: 20
; Occupancy: 8
; WaveLimiterHint : 0
; COMPUTE_PGM_RSRC2:SCRATCH_EN: 0
; COMPUTE_PGM_RSRC2:USER_SGPR: 6
; COMPUTE_PGM_RSRC2:TRAP_HANDLER: 0
; COMPUTE_PGM_RSRC2:TGID_X_EN: 1
; COMPUTE_PGM_RSRC2:TGID_Y_EN: 0
; COMPUTE_PGM_RSRC2:TGID_Z_EN: 0
; COMPUTE_PGM_RSRC2:TIDIG_COMP_CNT: 1
; COMPUTE_PGM_RSRC3_GFX90A:ACCUM_OFFSET: 4
; COMPUTE_PGM_RSRC3_GFX90A:TG_SPLIT: 0
	.section	.text._ZN12_GLOBAL__N_120softmax_warp_forwardIN3c104HalfES2_fLi5ELb0ELb1ELi64EEEvPT0_PKT_iiiPKbib,"axG",@progbits,_ZN12_GLOBAL__N_120softmax_warp_forwardIN3c104HalfES2_fLi5ELb0ELb1ELi64EEEvPT0_PKT_iiiPKbib,comdat
	.globl	_ZN12_GLOBAL__N_120softmax_warp_forwardIN3c104HalfES2_fLi5ELb0ELb1ELi64EEEvPT0_PKT_iiiPKbib ; -- Begin function _ZN12_GLOBAL__N_120softmax_warp_forwardIN3c104HalfES2_fLi5ELb0ELb1ELi64EEEvPT0_PKT_iiiPKbib
	.p2align	8
	.type	_ZN12_GLOBAL__N_120softmax_warp_forwardIN3c104HalfES2_fLi5ELb0ELb1ELi64EEEvPT0_PKT_iiiPKbib,@function
_ZN12_GLOBAL__N_120softmax_warp_forwardIN3c104HalfES2_fLi5ELb0ELb1ELi64EEEvPT0_PKT_iiiPKbib: ; @_ZN12_GLOBAL__N_120softmax_warp_forwardIN3c104HalfES2_fLi5ELb0ELb1ELi64EEEvPT0_PKT_iiiPKbib
; %bb.0:
	s_load_dwordx2 s[0:1], s[4:5], 0x28
	s_load_dword s2, s[4:5], 0x3c
	s_load_dwordx4 s[8:11], s[4:5], 0x10
	v_bfe_u32 v1, v0, 10, 10
	v_and_b32_e32 v4, 0x3ff, v0
	s_waitcnt lgkmcnt(0)
	s_bitcmp1_b32 s1, 0
	s_cselect_b64 s[16:17], -1, 0
	s_lshr_b32 s2, s2, 16
	s_mul_i32 s6, s6, s2
	v_add_lshl_u32 v5, s6, v1, 1
	v_mul_lo_u32 v6, v5, s9
	v_add_u32_e32 v0, v6, v4
	v_ashrrev_i32_e32 v1, 31, v0
	s_bitcmp0_b32 s1, 0
	v_pk_mov_b32 v[2:3], v[0:1], v[0:1] op_sel:[0,1]
	s_cbranch_scc1 .LBB730_2
; %bb.1:
	s_abs_i32 s1, s0
	v_cvt_f32_u32_e32 v2, s1
	v_xor_b32_e32 v3, s0, v6
	v_sub_u32_e32 v7, 0, v6
	s_sub_i32 s0, 0, s1
	v_rcp_iflag_f32_e32 v2, v2
	v_max_i32_e32 v6, v6, v7
	v_ashrrev_i32_e32 v3, 31, v3
	v_mul_f32_e32 v2, 0x4f7ffffe, v2
	v_cvt_u32_f32_e32 v2, v2
	v_mul_lo_u32 v7, s0, v2
	v_mul_hi_u32 v7, v2, v7
	v_add_u32_e32 v2, v2, v7
	v_mul_hi_u32 v2, v6, v2
	v_mul_lo_u32 v7, v2, s1
	v_sub_u32_e32 v6, v6, v7
	v_add_u32_e32 v8, 1, v2
	v_cmp_le_u32_e32 vcc, s1, v6
	v_subrev_u32_e32 v7, s1, v6
	v_cndmask_b32_e32 v2, v2, v8, vcc
	v_cndmask_b32_e32 v6, v6, v7, vcc
	v_add_u32_e32 v7, 1, v2
	v_cmp_le_u32_e32 vcc, s1, v6
	v_cndmask_b32_e32 v2, v2, v7, vcc
	v_xor_b32_e32 v2, v2, v3
	v_sub_u32_e32 v2, v2, v3
	v_mad_u64_u32 v[2:3], s[0:1], v2, s9, v[4:5]
	v_ashrrev_i32_e32 v3, 31, v2
.LBB730_2:
	s_load_dwordx4 s[12:15], s[4:5], 0x0
	v_lshlrev_b64 v[0:1], 1, v[0:1]
	v_sub_u32_e32 v8, s8, v5
	v_cmp_gt_i32_e64 s[0:1], s10, v4
	v_mov_b32_e32 v9, 0xff800000
	s_waitcnt lgkmcnt(0)
	v_mov_b32_e32 v5, s15
	v_add_co_u32_e32 v6, vcc, s14, v0
	v_addc_co_u32_e32 v7, vcc, v5, v1, vcc
	v_cmp_lt_i32_e32 vcc, 0, v8
	s_and_b64 s[8:9], s[0:1], vcc
	v_mov_b32_e32 v10, 0xff800000
	s_and_saveexec_b64 s[2:3], s[8:9]
	s_cbranch_execz .LBB730_4
; %bb.3:
	global_load_ushort v4, v[6:7], off
	s_waitcnt vmcnt(0)
	v_cvt_f32_f16_e32 v10, v4
.LBB730_4:
	s_or_b64 exec, exec, s[2:3]
	v_cmp_lt_i32_e64 s[2:3], 1, v8
	s_and_b64 s[6:7], s[0:1], s[2:3]
	s_and_saveexec_b64 s[14:15], s[6:7]
	s_cbranch_execz .LBB730_6
; %bb.5:
	s_mov_b32 s11, 0
	s_lshl_b64 s[2:3], s[10:11], 1
	v_mov_b32_e32 v5, s3
	v_add_co_u32_e64 v4, s[2:3], s2, v6
	v_addc_co_u32_e64 v5, s[2:3], v7, v5, s[2:3]
	global_load_ushort v4, v[4:5], off
	s_waitcnt vmcnt(0)
	v_cvt_f32_f16_e32 v9, v4
.LBB730_6:
	s_or_b64 exec, exec, s[14:15]
	s_load_dwordx2 s[2:3], s[4:5], 0x20
	s_waitcnt lgkmcnt(0)
	v_mov_b32_e32 v4, s3
	v_add_co_u32_e64 v2, s[2:3], s2, v2
	v_addc_co_u32_e64 v3, s[2:3], v4, v3, s[2:3]
	v_mov_b32_e32 v4, 0xff800000
	s_and_saveexec_b64 s[4:5], s[8:9]
	s_cbranch_execz .LBB730_8
; %bb.7:
	global_load_ubyte v4, v[2:3], off
	v_mov_b32_e32 v5, 0xff800000
	s_waitcnt vmcnt(0)
	v_and_b32_e32 v4, 1, v4
	v_cmp_eq_u32_e64 s[2:3], 1, v4
	v_cndmask_b32_e64 v4, v10, v5, s[2:3]
.LBB730_8:
	s_or_b64 exec, exec, s[4:5]
	s_mov_b64 s[4:5], 0
	s_and_saveexec_b64 s[14:15], s[6:7]
	s_cbranch_execz .LBB730_10
; %bb.9:
	s_and_b64 s[2:3], s[16:17], exec
	s_cselect_b32 s2, 0, 0
	s_cselect_b32 s3, 0, s10
	v_mov_b32_e32 v5, s2
	v_add_co_u32_e64 v6, s[2:3], s3, v2
	v_addc_co_u32_e64 v7, s[2:3], v3, v5, s[2:3]
	global_load_ubyte v5, v[6:7], off
	s_waitcnt vmcnt(0)
	v_and_b32_e32 v5, 1, v5
	v_cmp_eq_u32_e64 s[2:3], 1, v5
	s_xor_b64 s[2:3], s[2:3], -1
	s_and_b64 s[4:5], s[2:3], exec
.LBB730_10:
	s_or_b64 exec, exec, s[14:15]
	v_mbcnt_lo_u32_b32 v5, -1, 0
	v_mbcnt_hi_u32_b32 v5, -1, v5
	v_and_b32_e32 v6, 0x60, v5
	v_add_u32_e32 v6, 32, v6
	v_xor_b32_e32 v7, 16, v5
	v_cmp_lt_i32_e64 s[2:3], v7, v6
	v_cndmask_b32_e64 v7, v5, v7, s[2:3]
	v_cndmask_b32_e64 v4, v4, v4, s[4:5]
	v_lshlrev_b32_e32 v7, 2, v7
	ds_bpermute_b32 v11, v7, v4
	v_mov_b32_e32 v12, 0xff800000
	v_cndmask_b32_e64 v12, v12, v9, s[4:5]
	ds_bpermute_b32 v13, v7, v12
	s_mov_b32 s14, 0
	s_waitcnt lgkmcnt(1)
	v_cmp_lt_f32_e64 s[2:3], v4, v11
	v_cndmask_b32_e64 v4, v4, v11, s[2:3]
	v_xor_b32_e32 v11, 8, v5
	v_cmp_lt_i32_e64 s[2:3], v11, v6
	v_cndmask_b32_e64 v11, v5, v11, s[2:3]
	v_lshlrev_b32_e32 v11, 2, v11
	ds_bpermute_b32 v14, v11, v4
	s_waitcnt lgkmcnt(1)
	v_cmp_lt_f32_e64 s[2:3], v12, v13
	v_cndmask_b32_e64 v13, v12, v13, s[2:3]
	v_xor_b32_e32 v12, 4, v5
	s_mov_b32 s15, s14
	s_waitcnt lgkmcnt(0)
	v_cmp_lt_f32_e64 s[2:3], v4, v14
	v_cndmask_b32_e64 v4, v4, v14, s[2:3]
	v_cmp_lt_i32_e64 s[2:3], v12, v6
	v_cndmask_b32_e64 v12, v5, v12, s[2:3]
	ds_bpermute_b32 v14, v11, v13
	v_lshlrev_b32_e32 v12, 2, v12
	ds_bpermute_b32 v15, v12, v4
	s_waitcnt lgkmcnt(1)
	v_cmp_lt_f32_e64 s[2:3], v13, v14
	v_cndmask_b32_e64 v14, v13, v14, s[2:3]
	s_waitcnt lgkmcnt(0)
	v_cmp_lt_f32_e64 s[2:3], v4, v15
	v_cndmask_b32_e64 v4, v4, v15, s[2:3]
	ds_bpermute_b32 v15, v12, v14
	v_xor_b32_e32 v13, 2, v5
	v_cmp_lt_i32_e64 s[2:3], v13, v6
	v_cndmask_b32_e64 v13, v5, v13, s[2:3]
	v_lshlrev_b32_e32 v13, 2, v13
	s_waitcnt lgkmcnt(0)
	v_cmp_lt_f32_e64 s[2:3], v14, v15
	ds_bpermute_b32 v16, v13, v4
	v_cndmask_b32_e64 v14, v14, v15, s[2:3]
	ds_bpermute_b32 v15, v13, v14
	s_waitcnt lgkmcnt(1)
	v_cmp_lt_f32_e64 s[2:3], v4, v16
	v_cndmask_b32_e64 v18, v4, v16, s[2:3]
	s_waitcnt lgkmcnt(0)
	v_cmp_lt_f32_e64 s[2:3], v14, v15
	v_xor_b32_e32 v4, 1, v5
	v_cndmask_b32_e64 v16, v14, v15, s[2:3]
	v_cmp_lt_i32_e64 s[2:3], v4, v6
	v_cndmask_b32_e64 v4, v5, v4, s[2:3]
	v_lshlrev_b32_e32 v15, 2, v4
	ds_bpermute_b32 v19, v15, v18
	ds_bpermute_b32 v17, v15, v16
	v_mov_b32_e32 v6, 0
	v_pk_mov_b32 v[4:5], s[14:15], s[14:15] op_sel:[0,1]
	v_mov_b32_e32 v14, 0
	s_and_saveexec_b64 s[4:5], s[8:9]
	s_cbranch_execz .LBB730_14
; %bb.11:
	global_load_ubyte v14, v[2:3], off
	v_pk_mov_b32 v[4:5], s[14:15], s[14:15] op_sel:[0,1]
	s_waitcnt vmcnt(0)
	v_and_b32_e32 v14, 1, v14
	v_cmp_eq_u32_e64 s[2:3], 1, v14
	s_xor_b64 s[2:3], s[2:3], -1
	v_mov_b32_e32 v14, 0
	s_and_saveexec_b64 s[8:9], s[2:3]
	s_cbranch_execz .LBB730_13
; %bb.12:
	s_waitcnt lgkmcnt(1)
	v_cmp_lt_f32_e64 s[2:3], v18, v19
	v_cndmask_b32_e64 v4, v18, v19, s[2:3]
	v_sub_f32_e32 v4, v10, v4
	s_mov_b32 s2, 0x3fb8aa3b
	v_mul_f32_e32 v5, 0x3fb8aa3b, v4
	v_fma_f32 v10, v4, s2, -v5
	v_rndne_f32_e32 v14, v5
	v_fmac_f32_e32 v10, 0x32a5705f, v4
	v_sub_f32_e32 v5, v5, v14
	v_add_f32_e32 v5, v5, v10
	v_exp_f32_e32 v5, v5
	v_cvt_i32_f32_e32 v10, v14
	s_mov_b32 s2, 0xc2ce8ed0
	v_cmp_ngt_f32_e64 s[2:3], s2, v4
	v_mov_b32_e32 v14, 0x7f800000
	v_ldexp_f32 v10, v5, v10
	v_cndmask_b32_e64 v10, 0, v10, s[2:3]
	s_mov_b32 s2, 0x42b17218
	v_cmp_nlt_f32_e64 s[2:3], s2, v4
	v_cndmask_b32_e64 v4, v14, v10, s[2:3]
	v_mov_b32_e32 v5, 0
	v_mov_b32_e32 v14, v4
.LBB730_13:
	s_or_b64 exec, exec, s[8:9]
.LBB730_14:
	s_or_b64 exec, exec, s[4:5]
	s_and_saveexec_b64 s[4:5], s[6:7]
	s_cbranch_execz .LBB730_18
; %bb.15:
	s_and_b64 s[2:3], s[16:17], exec
	s_cselect_b32 s2, 0, 0
	s_cselect_b32 s3, 0, s10
	v_mov_b32_e32 v6, s2
	v_add_co_u32_e64 v2, s[2:3], s3, v2
	v_addc_co_u32_e64 v3, s[2:3], v3, v6, s[2:3]
	global_load_ubyte v2, v[2:3], off
	v_mov_b32_e32 v6, 0
	s_waitcnt vmcnt(0)
	v_and_b32_e32 v2, 1, v2
	v_cmp_eq_u32_e64 s[2:3], 1, v2
	s_xor_b64 s[2:3], s[2:3], -1
	s_and_saveexec_b64 s[6:7], s[2:3]
	s_cbranch_execz .LBB730_17
; %bb.16:
	s_waitcnt lgkmcnt(0)
	v_cmp_lt_f32_e64 s[2:3], v16, v17
	v_cndmask_b32_e64 v2, v16, v17, s[2:3]
	v_sub_f32_e32 v2, v9, v2
	s_mov_b32 s2, 0x3fb8aa3b
	v_mul_f32_e32 v3, 0x3fb8aa3b, v2
	v_fma_f32 v6, v2, s2, -v3
	v_rndne_f32_e32 v9, v3
	v_fmac_f32_e32 v6, 0x32a5705f, v2
	v_sub_f32_e32 v3, v3, v9
	v_add_f32_e32 v3, v3, v6
	v_exp_f32_e32 v3, v3
	v_cvt_i32_f32_e32 v6, v9
	s_mov_b32 s2, 0xc2ce8ed0
	v_cmp_ngt_f32_e64 s[2:3], s2, v2
	v_ldexp_f32 v3, v3, v6
	v_cndmask_b32_e64 v3, 0, v3, s[2:3]
	s_mov_b32 s2, 0x42b17218
	v_mov_b32_e32 v6, 0x7f800000
	v_cmp_nlt_f32_e64 s[2:3], s2, v2
	v_cndmask_b32_e64 v6, v6, v3, s[2:3]
	v_add_f32_e32 v5, v5, v6
.LBB730_17:
	s_or_b64 exec, exec, s[6:7]
.LBB730_18:
	s_or_b64 exec, exec, s[4:5]
	ds_bpermute_b32 v2, v7, v4
	ds_bpermute_b32 v3, v7, v5
	s_waitcnt lgkmcnt(0)
	v_pk_add_f32 v[2:3], v[4:5], v[2:3]
	ds_bpermute_b32 v4, v11, v2
	ds_bpermute_b32 v5, v11, v3
	s_waitcnt lgkmcnt(0)
	v_pk_add_f32 v[2:3], v[2:3], v[4:5]
	;; [unrolled: 4-line block ×4, first 2 shown]
	ds_bpermute_b32 v4, v15, v2
	ds_bpermute_b32 v5, v15, v3
	s_and_saveexec_b64 s[2:3], vcc
	s_cbranch_execz .LBB730_30
; %bb.19:
	s_waitcnt lgkmcnt(0)
	v_pk_add_f32 v[2:3], v[2:3], v[4:5]
	v_mov_b32_e32 v4, s13
	v_add_co_u32_e32 v0, vcc, s12, v0
	v_addc_co_u32_e32 v1, vcc, v4, v1, vcc
	s_and_saveexec_b64 s[2:3], s[0:1]
	s_cbranch_execz .LBB730_24
; %bb.20:
	v_cmp_neq_f32_e32 vcc, 0, v2
	s_and_saveexec_b64 s[4:5], vcc
	s_xor_b64 s[4:5], exec, s[4:5]
	s_cbranch_execz .LBB730_22
; %bb.21:
	v_div_scale_f32 v4, s[6:7], v2, v2, v14
	v_rcp_f32_e32 v5, v4
	v_div_scale_f32 v7, vcc, v14, v2, v14
	v_fma_f32 v9, -v4, v5, 1.0
	v_fmac_f32_e32 v5, v9, v5
	v_mul_f32_e32 v9, v7, v5
	v_fma_f32 v10, -v4, v9, v7
	v_fmac_f32_e32 v9, v10, v5
	v_fma_f32 v4, -v4, v9, v7
	v_div_fmas_f32 v4, v4, v5, v9
	v_div_fixup_f32 v2, v4, v2, v14
	v_cvt_f16_f32_e32 v2, v2
	global_store_short v[0:1], v2, off
.LBB730_22:
	s_andn2_saveexec_b64 s[4:5], s[4:5]
	s_cbranch_execz .LBB730_24
; %bb.23:
	v_mov_b32_e32 v2, 0x7e00
	global_store_short v[0:1], v2, off
.LBB730_24:
	s_or_b64 exec, exec, s[2:3]
	v_cmp_ne_u32_e32 vcc, 1, v8
	s_and_b64 exec, exec, vcc
	s_cbranch_execz .LBB730_30
; %bb.25:
	s_and_b64 exec, exec, s[0:1]
	s_cbranch_execz .LBB730_30
; %bb.26:
	s_mov_b32 s11, 0
	s_lshl_b64 s[0:1], s[10:11], 1
	v_mov_b32_e32 v2, s1
	v_add_co_u32_e64 v0, s[0:1], s0, v0
	v_cmp_neq_f32_e32 vcc, 0, v3
	v_addc_co_u32_e64 v1, s[0:1], v1, v2, s[0:1]
	s_and_saveexec_b64 s[0:1], vcc
	s_xor_b64 s[0:1], exec, s[0:1]
	s_cbranch_execz .LBB730_28
; %bb.27:
	v_div_scale_f32 v2, s[2:3], v3, v3, v6
	v_rcp_f32_e32 v4, v2
	v_div_scale_f32 v5, vcc, v6, v3, v6
	v_fma_f32 v7, -v2, v4, 1.0
	v_fmac_f32_e32 v4, v7, v4
	v_mul_f32_e32 v7, v5, v4
	v_fma_f32 v8, -v2, v7, v5
	v_fmac_f32_e32 v7, v8, v4
	v_fma_f32 v2, -v2, v7, v5
	v_div_fmas_f32 v2, v2, v4, v7
	v_div_fixup_f32 v2, v2, v3, v6
	v_cvt_f16_f32_e32 v2, v2
	global_store_short v[0:1], v2, off
                                        ; implicit-def: $vgpr0_vgpr1
.LBB730_28:
	s_andn2_saveexec_b64 s[0:1], s[0:1]
	s_cbranch_execz .LBB730_30
; %bb.29:
	v_mov_b32_e32 v2, 0x7e00
	global_store_short v[0:1], v2, off
.LBB730_30:
	s_endpgm
	.section	.rodata,"a",@progbits
	.p2align	6, 0x0
	.amdhsa_kernel _ZN12_GLOBAL__N_120softmax_warp_forwardIN3c104HalfES2_fLi5ELb0ELb1ELi64EEEvPT0_PKT_iiiPKbib
		.amdhsa_group_segment_fixed_size 0
		.amdhsa_private_segment_fixed_size 0
		.amdhsa_kernarg_size 304
		.amdhsa_user_sgpr_count 6
		.amdhsa_user_sgpr_private_segment_buffer 1
		.amdhsa_user_sgpr_dispatch_ptr 0
		.amdhsa_user_sgpr_queue_ptr 0
		.amdhsa_user_sgpr_kernarg_segment_ptr 1
		.amdhsa_user_sgpr_dispatch_id 0
		.amdhsa_user_sgpr_flat_scratch_init 0
		.amdhsa_user_sgpr_kernarg_preload_length 0
		.amdhsa_user_sgpr_kernarg_preload_offset 0
		.amdhsa_user_sgpr_private_segment_size 0
		.amdhsa_uses_dynamic_stack 0
		.amdhsa_system_sgpr_private_segment_wavefront_offset 0
		.amdhsa_system_sgpr_workgroup_id_x 1
		.amdhsa_system_sgpr_workgroup_id_y 0
		.amdhsa_system_sgpr_workgroup_id_z 0
		.amdhsa_system_sgpr_workgroup_info 0
		.amdhsa_system_vgpr_workitem_id 1
		.amdhsa_next_free_vgpr 20
		.amdhsa_next_free_sgpr 18
		.amdhsa_accum_offset 20
		.amdhsa_reserve_vcc 1
		.amdhsa_reserve_flat_scratch 0
		.amdhsa_float_round_mode_32 0
		.amdhsa_float_round_mode_16_64 0
		.amdhsa_float_denorm_mode_32 3
		.amdhsa_float_denorm_mode_16_64 3
		.amdhsa_dx10_clamp 1
		.amdhsa_ieee_mode 1
		.amdhsa_fp16_overflow 0
		.amdhsa_tg_split 0
		.amdhsa_exception_fp_ieee_invalid_op 0
		.amdhsa_exception_fp_denorm_src 0
		.amdhsa_exception_fp_ieee_div_zero 0
		.amdhsa_exception_fp_ieee_overflow 0
		.amdhsa_exception_fp_ieee_underflow 0
		.amdhsa_exception_fp_ieee_inexact 0
		.amdhsa_exception_int_div_zero 0
	.end_amdhsa_kernel
	.section	.text._ZN12_GLOBAL__N_120softmax_warp_forwardIN3c104HalfES2_fLi5ELb0ELb1ELi64EEEvPT0_PKT_iiiPKbib,"axG",@progbits,_ZN12_GLOBAL__N_120softmax_warp_forwardIN3c104HalfES2_fLi5ELb0ELb1ELi64EEEvPT0_PKT_iiiPKbib,comdat
.Lfunc_end730:
	.size	_ZN12_GLOBAL__N_120softmax_warp_forwardIN3c104HalfES2_fLi5ELb0ELb1ELi64EEEvPT0_PKT_iiiPKbib, .Lfunc_end730-_ZN12_GLOBAL__N_120softmax_warp_forwardIN3c104HalfES2_fLi5ELb0ELb1ELi64EEEvPT0_PKT_iiiPKbib
                                        ; -- End function
	.section	.AMDGPU.csdata,"",@progbits
; Kernel info:
; codeLenInByte = 1924
; NumSgprs: 22
; NumVgprs: 20
; NumAgprs: 0
; TotalNumVgprs: 20
; ScratchSize: 0
; MemoryBound: 0
; FloatMode: 240
; IeeeMode: 1
; LDSByteSize: 0 bytes/workgroup (compile time only)
; SGPRBlocks: 2
; VGPRBlocks: 2
; NumSGPRsForWavesPerEU: 22
; NumVGPRsForWavesPerEU: 20
; AccumOffset: 20
; Occupancy: 8
; WaveLimiterHint : 0
; COMPUTE_PGM_RSRC2:SCRATCH_EN: 0
; COMPUTE_PGM_RSRC2:USER_SGPR: 6
; COMPUTE_PGM_RSRC2:TRAP_HANDLER: 0
; COMPUTE_PGM_RSRC2:TGID_X_EN: 1
; COMPUTE_PGM_RSRC2:TGID_Y_EN: 0
; COMPUTE_PGM_RSRC2:TGID_Z_EN: 0
; COMPUTE_PGM_RSRC2:TIDIG_COMP_CNT: 1
; COMPUTE_PGM_RSRC3_GFX90A:ACCUM_OFFSET: 4
; COMPUTE_PGM_RSRC3_GFX90A:TG_SPLIT: 0
	.section	.text._ZN12_GLOBAL__N_120softmax_warp_forwardIN3c104HalfES2_fLi5ELb0ELb1ELi32EEEvPT0_PKT_iiiPKbib,"axG",@progbits,_ZN12_GLOBAL__N_120softmax_warp_forwardIN3c104HalfES2_fLi5ELb0ELb1ELi32EEEvPT0_PKT_iiiPKbib,comdat
	.globl	_ZN12_GLOBAL__N_120softmax_warp_forwardIN3c104HalfES2_fLi5ELb0ELb1ELi32EEEvPT0_PKT_iiiPKbib ; -- Begin function _ZN12_GLOBAL__N_120softmax_warp_forwardIN3c104HalfES2_fLi5ELb0ELb1ELi32EEEvPT0_PKT_iiiPKbib
	.p2align	8
	.type	_ZN12_GLOBAL__N_120softmax_warp_forwardIN3c104HalfES2_fLi5ELb0ELb1ELi32EEEvPT0_PKT_iiiPKbib,@function
_ZN12_GLOBAL__N_120softmax_warp_forwardIN3c104HalfES2_fLi5ELb0ELb1ELi32EEEvPT0_PKT_iiiPKbib: ; @_ZN12_GLOBAL__N_120softmax_warp_forwardIN3c104HalfES2_fLi5ELb0ELb1ELi32EEEvPT0_PKT_iiiPKbib
; %bb.0:
	s_load_dwordx2 s[0:1], s[4:5], 0x28
	s_load_dword s2, s[4:5], 0x3c
	s_load_dwordx4 s[8:11], s[4:5], 0x10
	v_bfe_u32 v1, v0, 10, 10
	v_and_b32_e32 v4, 0x3ff, v0
	s_waitcnt lgkmcnt(0)
	s_bitcmp1_b32 s1, 0
	s_cselect_b64 s[16:17], -1, 0
	s_lshr_b32 s2, s2, 16
	s_mul_i32 s6, s6, s2
	v_add_lshl_u32 v5, s6, v1, 1
	v_mul_lo_u32 v6, v5, s9
	v_add_u32_e32 v0, v6, v4
	v_ashrrev_i32_e32 v1, 31, v0
	s_bitcmp0_b32 s1, 0
	v_pk_mov_b32 v[2:3], v[0:1], v[0:1] op_sel:[0,1]
	s_cbranch_scc1 .LBB731_2
; %bb.1:
	s_abs_i32 s1, s0
	v_cvt_f32_u32_e32 v2, s1
	v_xor_b32_e32 v3, s0, v6
	v_sub_u32_e32 v7, 0, v6
	s_sub_i32 s0, 0, s1
	v_rcp_iflag_f32_e32 v2, v2
	v_max_i32_e32 v6, v6, v7
	v_ashrrev_i32_e32 v3, 31, v3
	v_mul_f32_e32 v2, 0x4f7ffffe, v2
	v_cvt_u32_f32_e32 v2, v2
	v_mul_lo_u32 v7, s0, v2
	v_mul_hi_u32 v7, v2, v7
	v_add_u32_e32 v2, v2, v7
	v_mul_hi_u32 v2, v6, v2
	v_mul_lo_u32 v7, v2, s1
	v_sub_u32_e32 v6, v6, v7
	v_add_u32_e32 v8, 1, v2
	v_cmp_le_u32_e32 vcc, s1, v6
	v_subrev_u32_e32 v7, s1, v6
	v_cndmask_b32_e32 v2, v2, v8, vcc
	v_cndmask_b32_e32 v6, v6, v7, vcc
	v_add_u32_e32 v7, 1, v2
	v_cmp_le_u32_e32 vcc, s1, v6
	v_cndmask_b32_e32 v2, v2, v7, vcc
	v_xor_b32_e32 v2, v2, v3
	v_sub_u32_e32 v2, v2, v3
	v_mad_u64_u32 v[2:3], s[0:1], v2, s9, v[4:5]
	v_ashrrev_i32_e32 v3, 31, v2
.LBB731_2:
	s_load_dwordx4 s[12:15], s[4:5], 0x0
	v_lshlrev_b64 v[0:1], 1, v[0:1]
	v_sub_u32_e32 v8, s8, v5
	v_cmp_gt_i32_e64 s[0:1], s10, v4
	v_mov_b32_e32 v9, 0xff800000
	s_waitcnt lgkmcnt(0)
	v_mov_b32_e32 v5, s15
	v_add_co_u32_e32 v6, vcc, s14, v0
	v_addc_co_u32_e32 v7, vcc, v5, v1, vcc
	v_cmp_lt_i32_e32 vcc, 0, v8
	s_and_b64 s[8:9], s[0:1], vcc
	v_mov_b32_e32 v10, 0xff800000
	s_and_saveexec_b64 s[2:3], s[8:9]
	s_cbranch_execz .LBB731_4
; %bb.3:
	global_load_ushort v4, v[6:7], off
	s_waitcnt vmcnt(0)
	v_cvt_f32_f16_e32 v10, v4
.LBB731_4:
	s_or_b64 exec, exec, s[2:3]
	v_cmp_lt_i32_e64 s[2:3], 1, v8
	s_and_b64 s[6:7], s[0:1], s[2:3]
	s_and_saveexec_b64 s[14:15], s[6:7]
	s_cbranch_execz .LBB731_6
; %bb.5:
	s_mov_b32 s11, 0
	s_lshl_b64 s[2:3], s[10:11], 1
	v_mov_b32_e32 v5, s3
	v_add_co_u32_e64 v4, s[2:3], s2, v6
	v_addc_co_u32_e64 v5, s[2:3], v7, v5, s[2:3]
	global_load_ushort v4, v[4:5], off
	s_waitcnt vmcnt(0)
	v_cvt_f32_f16_e32 v9, v4
.LBB731_6:
	s_or_b64 exec, exec, s[14:15]
	s_load_dwordx2 s[2:3], s[4:5], 0x20
	s_waitcnt lgkmcnt(0)
	v_mov_b32_e32 v4, s3
	v_add_co_u32_e64 v2, s[2:3], s2, v2
	v_addc_co_u32_e64 v3, s[2:3], v4, v3, s[2:3]
	v_mov_b32_e32 v4, 0xff800000
	s_and_saveexec_b64 s[4:5], s[8:9]
	s_cbranch_execz .LBB731_8
; %bb.7:
	global_load_ubyte v4, v[2:3], off
	v_mov_b32_e32 v5, 0xff800000
	s_waitcnt vmcnt(0)
	v_and_b32_e32 v4, 1, v4
	v_cmp_eq_u32_e64 s[2:3], 1, v4
	v_cndmask_b32_e64 v4, v10, v5, s[2:3]
.LBB731_8:
	s_or_b64 exec, exec, s[4:5]
	s_mov_b64 s[4:5], 0
	s_and_saveexec_b64 s[14:15], s[6:7]
	s_cbranch_execz .LBB731_10
; %bb.9:
	s_and_b64 s[2:3], s[16:17], exec
	s_cselect_b32 s2, 0, 0
	s_cselect_b32 s3, 0, s10
	v_mov_b32_e32 v5, s2
	v_add_co_u32_e64 v6, s[2:3], s3, v2
	v_addc_co_u32_e64 v7, s[2:3], v3, v5, s[2:3]
	global_load_ubyte v5, v[6:7], off
	s_waitcnt vmcnt(0)
	v_and_b32_e32 v5, 1, v5
	v_cmp_eq_u32_e64 s[2:3], 1, v5
	s_xor_b64 s[2:3], s[2:3], -1
	s_and_b64 s[4:5], s[2:3], exec
.LBB731_10:
	s_or_b64 exec, exec, s[14:15]
	v_mbcnt_lo_u32_b32 v5, -1, 0
	v_mbcnt_hi_u32_b32 v5, -1, v5
	v_and_b32_e32 v6, 0x60, v5
	v_add_u32_e32 v6, 32, v6
	v_xor_b32_e32 v7, 16, v5
	v_cmp_lt_i32_e64 s[2:3], v7, v6
	v_cndmask_b32_e64 v7, v5, v7, s[2:3]
	v_cndmask_b32_e64 v4, v4, v4, s[4:5]
	v_lshlrev_b32_e32 v7, 2, v7
	ds_bpermute_b32 v11, v7, v4
	v_mov_b32_e32 v12, 0xff800000
	v_cndmask_b32_e64 v12, v12, v9, s[4:5]
	ds_bpermute_b32 v13, v7, v12
	s_mov_b32 s14, 0
	s_waitcnt lgkmcnt(1)
	v_cmp_lt_f32_e64 s[2:3], v4, v11
	v_cndmask_b32_e64 v4, v4, v11, s[2:3]
	v_xor_b32_e32 v11, 8, v5
	v_cmp_lt_i32_e64 s[2:3], v11, v6
	v_cndmask_b32_e64 v11, v5, v11, s[2:3]
	v_lshlrev_b32_e32 v11, 2, v11
	ds_bpermute_b32 v14, v11, v4
	s_waitcnt lgkmcnt(1)
	v_cmp_lt_f32_e64 s[2:3], v12, v13
	v_cndmask_b32_e64 v13, v12, v13, s[2:3]
	v_xor_b32_e32 v12, 4, v5
	s_mov_b32 s15, s14
	s_waitcnt lgkmcnt(0)
	v_cmp_lt_f32_e64 s[2:3], v4, v14
	v_cndmask_b32_e64 v4, v4, v14, s[2:3]
	v_cmp_lt_i32_e64 s[2:3], v12, v6
	v_cndmask_b32_e64 v12, v5, v12, s[2:3]
	ds_bpermute_b32 v14, v11, v13
	v_lshlrev_b32_e32 v12, 2, v12
	ds_bpermute_b32 v15, v12, v4
	s_waitcnt lgkmcnt(1)
	v_cmp_lt_f32_e64 s[2:3], v13, v14
	v_cndmask_b32_e64 v14, v13, v14, s[2:3]
	s_waitcnt lgkmcnt(0)
	v_cmp_lt_f32_e64 s[2:3], v4, v15
	v_cndmask_b32_e64 v4, v4, v15, s[2:3]
	ds_bpermute_b32 v15, v12, v14
	v_xor_b32_e32 v13, 2, v5
	v_cmp_lt_i32_e64 s[2:3], v13, v6
	v_cndmask_b32_e64 v13, v5, v13, s[2:3]
	v_lshlrev_b32_e32 v13, 2, v13
	s_waitcnt lgkmcnt(0)
	v_cmp_lt_f32_e64 s[2:3], v14, v15
	ds_bpermute_b32 v16, v13, v4
	v_cndmask_b32_e64 v14, v14, v15, s[2:3]
	ds_bpermute_b32 v15, v13, v14
	s_waitcnt lgkmcnt(1)
	v_cmp_lt_f32_e64 s[2:3], v4, v16
	v_cndmask_b32_e64 v18, v4, v16, s[2:3]
	s_waitcnt lgkmcnt(0)
	v_cmp_lt_f32_e64 s[2:3], v14, v15
	v_xor_b32_e32 v4, 1, v5
	v_cndmask_b32_e64 v16, v14, v15, s[2:3]
	v_cmp_lt_i32_e64 s[2:3], v4, v6
	v_cndmask_b32_e64 v4, v5, v4, s[2:3]
	v_lshlrev_b32_e32 v15, 2, v4
	ds_bpermute_b32 v19, v15, v18
	ds_bpermute_b32 v17, v15, v16
	v_mov_b32_e32 v6, 0
	v_pk_mov_b32 v[4:5], s[14:15], s[14:15] op_sel:[0,1]
	v_mov_b32_e32 v14, 0
	s_and_saveexec_b64 s[4:5], s[8:9]
	s_cbranch_execz .LBB731_14
; %bb.11:
	global_load_ubyte v14, v[2:3], off
	v_pk_mov_b32 v[4:5], s[14:15], s[14:15] op_sel:[0,1]
	s_waitcnt vmcnt(0)
	v_and_b32_e32 v14, 1, v14
	v_cmp_eq_u32_e64 s[2:3], 1, v14
	s_xor_b64 s[2:3], s[2:3], -1
	v_mov_b32_e32 v14, 0
	s_and_saveexec_b64 s[8:9], s[2:3]
	s_cbranch_execz .LBB731_13
; %bb.12:
	s_waitcnt lgkmcnt(1)
	v_cmp_lt_f32_e64 s[2:3], v18, v19
	v_cndmask_b32_e64 v4, v18, v19, s[2:3]
	v_sub_f32_e32 v4, v10, v4
	s_mov_b32 s2, 0x3fb8aa3b
	v_mul_f32_e32 v5, 0x3fb8aa3b, v4
	v_fma_f32 v10, v4, s2, -v5
	v_rndne_f32_e32 v14, v5
	v_fmac_f32_e32 v10, 0x32a5705f, v4
	v_sub_f32_e32 v5, v5, v14
	v_add_f32_e32 v5, v5, v10
	v_exp_f32_e32 v5, v5
	v_cvt_i32_f32_e32 v10, v14
	s_mov_b32 s2, 0xc2ce8ed0
	v_cmp_ngt_f32_e64 s[2:3], s2, v4
	v_mov_b32_e32 v14, 0x7f800000
	v_ldexp_f32 v10, v5, v10
	v_cndmask_b32_e64 v10, 0, v10, s[2:3]
	s_mov_b32 s2, 0x42b17218
	v_cmp_nlt_f32_e64 s[2:3], s2, v4
	v_cndmask_b32_e64 v4, v14, v10, s[2:3]
	v_mov_b32_e32 v5, 0
	v_mov_b32_e32 v14, v4
.LBB731_13:
	s_or_b64 exec, exec, s[8:9]
.LBB731_14:
	s_or_b64 exec, exec, s[4:5]
	s_and_saveexec_b64 s[4:5], s[6:7]
	s_cbranch_execz .LBB731_18
; %bb.15:
	s_and_b64 s[2:3], s[16:17], exec
	s_cselect_b32 s2, 0, 0
	s_cselect_b32 s3, 0, s10
	v_mov_b32_e32 v6, s2
	v_add_co_u32_e64 v2, s[2:3], s3, v2
	v_addc_co_u32_e64 v3, s[2:3], v3, v6, s[2:3]
	global_load_ubyte v2, v[2:3], off
	v_mov_b32_e32 v6, 0
	s_waitcnt vmcnt(0)
	v_and_b32_e32 v2, 1, v2
	v_cmp_eq_u32_e64 s[2:3], 1, v2
	s_xor_b64 s[2:3], s[2:3], -1
	s_and_saveexec_b64 s[6:7], s[2:3]
	s_cbranch_execz .LBB731_17
; %bb.16:
	s_waitcnt lgkmcnt(0)
	v_cmp_lt_f32_e64 s[2:3], v16, v17
	v_cndmask_b32_e64 v2, v16, v17, s[2:3]
	v_sub_f32_e32 v2, v9, v2
	s_mov_b32 s2, 0x3fb8aa3b
	v_mul_f32_e32 v3, 0x3fb8aa3b, v2
	v_fma_f32 v6, v2, s2, -v3
	v_rndne_f32_e32 v9, v3
	v_fmac_f32_e32 v6, 0x32a5705f, v2
	v_sub_f32_e32 v3, v3, v9
	v_add_f32_e32 v3, v3, v6
	v_exp_f32_e32 v3, v3
	v_cvt_i32_f32_e32 v6, v9
	s_mov_b32 s2, 0xc2ce8ed0
	v_cmp_ngt_f32_e64 s[2:3], s2, v2
	v_ldexp_f32 v3, v3, v6
	v_cndmask_b32_e64 v3, 0, v3, s[2:3]
	s_mov_b32 s2, 0x42b17218
	v_mov_b32_e32 v6, 0x7f800000
	v_cmp_nlt_f32_e64 s[2:3], s2, v2
	v_cndmask_b32_e64 v6, v6, v3, s[2:3]
	v_add_f32_e32 v5, v5, v6
.LBB731_17:
	s_or_b64 exec, exec, s[6:7]
.LBB731_18:
	s_or_b64 exec, exec, s[4:5]
	ds_bpermute_b32 v2, v7, v4
	ds_bpermute_b32 v3, v7, v5
	s_waitcnt lgkmcnt(0)
	v_pk_add_f32 v[2:3], v[4:5], v[2:3]
	ds_bpermute_b32 v4, v11, v2
	ds_bpermute_b32 v5, v11, v3
	s_waitcnt lgkmcnt(0)
	v_pk_add_f32 v[2:3], v[2:3], v[4:5]
	;; [unrolled: 4-line block ×4, first 2 shown]
	ds_bpermute_b32 v4, v15, v2
	ds_bpermute_b32 v5, v15, v3
	s_and_saveexec_b64 s[2:3], vcc
	s_cbranch_execz .LBB731_30
; %bb.19:
	s_waitcnt lgkmcnt(0)
	v_pk_add_f32 v[2:3], v[2:3], v[4:5]
	v_mov_b32_e32 v4, s13
	v_add_co_u32_e32 v0, vcc, s12, v0
	v_addc_co_u32_e32 v1, vcc, v4, v1, vcc
	s_and_saveexec_b64 s[2:3], s[0:1]
	s_cbranch_execz .LBB731_24
; %bb.20:
	v_cmp_neq_f32_e32 vcc, 0, v2
	s_and_saveexec_b64 s[4:5], vcc
	s_xor_b64 s[4:5], exec, s[4:5]
	s_cbranch_execz .LBB731_22
; %bb.21:
	v_div_scale_f32 v4, s[6:7], v2, v2, v14
	v_rcp_f32_e32 v5, v4
	v_div_scale_f32 v7, vcc, v14, v2, v14
	v_fma_f32 v9, -v4, v5, 1.0
	v_fmac_f32_e32 v5, v9, v5
	v_mul_f32_e32 v9, v7, v5
	v_fma_f32 v10, -v4, v9, v7
	v_fmac_f32_e32 v9, v10, v5
	v_fma_f32 v4, -v4, v9, v7
	v_div_fmas_f32 v4, v4, v5, v9
	v_div_fixup_f32 v2, v4, v2, v14
	v_cvt_f16_f32_e32 v2, v2
	global_store_short v[0:1], v2, off
.LBB731_22:
	s_andn2_saveexec_b64 s[4:5], s[4:5]
	s_cbranch_execz .LBB731_24
; %bb.23:
	v_mov_b32_e32 v2, 0x7e00
	global_store_short v[0:1], v2, off
.LBB731_24:
	s_or_b64 exec, exec, s[2:3]
	v_cmp_ne_u32_e32 vcc, 1, v8
	s_and_b64 exec, exec, vcc
	s_cbranch_execz .LBB731_30
; %bb.25:
	s_and_b64 exec, exec, s[0:1]
	s_cbranch_execz .LBB731_30
; %bb.26:
	s_mov_b32 s11, 0
	s_lshl_b64 s[0:1], s[10:11], 1
	v_mov_b32_e32 v2, s1
	v_add_co_u32_e64 v0, s[0:1], s0, v0
	v_cmp_neq_f32_e32 vcc, 0, v3
	v_addc_co_u32_e64 v1, s[0:1], v1, v2, s[0:1]
	s_and_saveexec_b64 s[0:1], vcc
	s_xor_b64 s[0:1], exec, s[0:1]
	s_cbranch_execz .LBB731_28
; %bb.27:
	v_div_scale_f32 v2, s[2:3], v3, v3, v6
	v_rcp_f32_e32 v4, v2
	v_div_scale_f32 v5, vcc, v6, v3, v6
	v_fma_f32 v7, -v2, v4, 1.0
	v_fmac_f32_e32 v4, v7, v4
	v_mul_f32_e32 v7, v5, v4
	v_fma_f32 v8, -v2, v7, v5
	v_fmac_f32_e32 v7, v8, v4
	v_fma_f32 v2, -v2, v7, v5
	v_div_fmas_f32 v2, v2, v4, v7
	v_div_fixup_f32 v2, v2, v3, v6
	v_cvt_f16_f32_e32 v2, v2
	global_store_short v[0:1], v2, off
                                        ; implicit-def: $vgpr0_vgpr1
.LBB731_28:
	s_andn2_saveexec_b64 s[0:1], s[0:1]
	s_cbranch_execz .LBB731_30
; %bb.29:
	v_mov_b32_e32 v2, 0x7e00
	global_store_short v[0:1], v2, off
.LBB731_30:
	s_endpgm
	.section	.rodata,"a",@progbits
	.p2align	6, 0x0
	.amdhsa_kernel _ZN12_GLOBAL__N_120softmax_warp_forwardIN3c104HalfES2_fLi5ELb0ELb1ELi32EEEvPT0_PKT_iiiPKbib
		.amdhsa_group_segment_fixed_size 0
		.amdhsa_private_segment_fixed_size 0
		.amdhsa_kernarg_size 304
		.amdhsa_user_sgpr_count 6
		.amdhsa_user_sgpr_private_segment_buffer 1
		.amdhsa_user_sgpr_dispatch_ptr 0
		.amdhsa_user_sgpr_queue_ptr 0
		.amdhsa_user_sgpr_kernarg_segment_ptr 1
		.amdhsa_user_sgpr_dispatch_id 0
		.amdhsa_user_sgpr_flat_scratch_init 0
		.amdhsa_user_sgpr_kernarg_preload_length 0
		.amdhsa_user_sgpr_kernarg_preload_offset 0
		.amdhsa_user_sgpr_private_segment_size 0
		.amdhsa_uses_dynamic_stack 0
		.amdhsa_system_sgpr_private_segment_wavefront_offset 0
		.amdhsa_system_sgpr_workgroup_id_x 1
		.amdhsa_system_sgpr_workgroup_id_y 0
		.amdhsa_system_sgpr_workgroup_id_z 0
		.amdhsa_system_sgpr_workgroup_info 0
		.amdhsa_system_vgpr_workitem_id 1
		.amdhsa_next_free_vgpr 20
		.amdhsa_next_free_sgpr 18
		.amdhsa_accum_offset 20
		.amdhsa_reserve_vcc 1
		.amdhsa_reserve_flat_scratch 0
		.amdhsa_float_round_mode_32 0
		.amdhsa_float_round_mode_16_64 0
		.amdhsa_float_denorm_mode_32 3
		.amdhsa_float_denorm_mode_16_64 3
		.amdhsa_dx10_clamp 1
		.amdhsa_ieee_mode 1
		.amdhsa_fp16_overflow 0
		.amdhsa_tg_split 0
		.amdhsa_exception_fp_ieee_invalid_op 0
		.amdhsa_exception_fp_denorm_src 0
		.amdhsa_exception_fp_ieee_div_zero 0
		.amdhsa_exception_fp_ieee_overflow 0
		.amdhsa_exception_fp_ieee_underflow 0
		.amdhsa_exception_fp_ieee_inexact 0
		.amdhsa_exception_int_div_zero 0
	.end_amdhsa_kernel
	.section	.text._ZN12_GLOBAL__N_120softmax_warp_forwardIN3c104HalfES2_fLi5ELb0ELb1ELi32EEEvPT0_PKT_iiiPKbib,"axG",@progbits,_ZN12_GLOBAL__N_120softmax_warp_forwardIN3c104HalfES2_fLi5ELb0ELb1ELi32EEEvPT0_PKT_iiiPKbib,comdat
.Lfunc_end731:
	.size	_ZN12_GLOBAL__N_120softmax_warp_forwardIN3c104HalfES2_fLi5ELb0ELb1ELi32EEEvPT0_PKT_iiiPKbib, .Lfunc_end731-_ZN12_GLOBAL__N_120softmax_warp_forwardIN3c104HalfES2_fLi5ELb0ELb1ELi32EEEvPT0_PKT_iiiPKbib
                                        ; -- End function
	.section	.AMDGPU.csdata,"",@progbits
; Kernel info:
; codeLenInByte = 1924
; NumSgprs: 22
; NumVgprs: 20
; NumAgprs: 0
; TotalNumVgprs: 20
; ScratchSize: 0
; MemoryBound: 0
; FloatMode: 240
; IeeeMode: 1
; LDSByteSize: 0 bytes/workgroup (compile time only)
; SGPRBlocks: 2
; VGPRBlocks: 2
; NumSGPRsForWavesPerEU: 22
; NumVGPRsForWavesPerEU: 20
; AccumOffset: 20
; Occupancy: 8
; WaveLimiterHint : 0
; COMPUTE_PGM_RSRC2:SCRATCH_EN: 0
; COMPUTE_PGM_RSRC2:USER_SGPR: 6
; COMPUTE_PGM_RSRC2:TRAP_HANDLER: 0
; COMPUTE_PGM_RSRC2:TGID_X_EN: 1
; COMPUTE_PGM_RSRC2:TGID_Y_EN: 0
; COMPUTE_PGM_RSRC2:TGID_Z_EN: 0
; COMPUTE_PGM_RSRC2:TIDIG_COMP_CNT: 1
; COMPUTE_PGM_RSRC3_GFX90A:ACCUM_OFFSET: 4
; COMPUTE_PGM_RSRC3_GFX90A:TG_SPLIT: 0
	.section	.text._ZN12_GLOBAL__N_120softmax_warp_forwardIN3c104HalfES2_fLi6ELb0ELb1ELi64EEEvPT0_PKT_iiiPKbib,"axG",@progbits,_ZN12_GLOBAL__N_120softmax_warp_forwardIN3c104HalfES2_fLi6ELb0ELb1ELi64EEEvPT0_PKT_iiiPKbib,comdat
	.globl	_ZN12_GLOBAL__N_120softmax_warp_forwardIN3c104HalfES2_fLi6ELb0ELb1ELi64EEEvPT0_PKT_iiiPKbib ; -- Begin function _ZN12_GLOBAL__N_120softmax_warp_forwardIN3c104HalfES2_fLi6ELb0ELb1ELi64EEEvPT0_PKT_iiiPKbib
	.p2align	8
	.type	_ZN12_GLOBAL__N_120softmax_warp_forwardIN3c104HalfES2_fLi6ELb0ELb1ELi64EEEvPT0_PKT_iiiPKbib,@function
_ZN12_GLOBAL__N_120softmax_warp_forwardIN3c104HalfES2_fLi6ELb0ELb1ELi64EEEvPT0_PKT_iiiPKbib: ; @_ZN12_GLOBAL__N_120softmax_warp_forwardIN3c104HalfES2_fLi6ELb0ELb1ELi64EEEvPT0_PKT_iiiPKbib
; %bb.0:
	s_load_dwordx2 s[0:1], s[4:5], 0x28
	s_load_dword s2, s[4:5], 0x3c
	s_load_dwordx4 s[8:11], s[4:5], 0x10
	v_bfe_u32 v1, v0, 10, 10
	v_and_b32_e32 v4, 0x3ff, v0
	s_waitcnt lgkmcnt(0)
	s_bitcmp1_b32 s1, 0
	s_cselect_b64 s[16:17], -1, 0
	s_lshr_b32 s2, s2, 16
	s_mul_i32 s6, s6, s2
	v_add_lshl_u32 v5, s6, v1, 1
	v_mul_lo_u32 v6, v5, s9
	v_add_u32_e32 v0, v6, v4
	v_ashrrev_i32_e32 v1, 31, v0
	s_bitcmp0_b32 s1, 0
	v_pk_mov_b32 v[2:3], v[0:1], v[0:1] op_sel:[0,1]
	s_cbranch_scc1 .LBB732_2
; %bb.1:
	s_abs_i32 s1, s0
	v_cvt_f32_u32_e32 v2, s1
	v_xor_b32_e32 v3, s0, v6
	v_sub_u32_e32 v7, 0, v6
	s_sub_i32 s0, 0, s1
	v_rcp_iflag_f32_e32 v2, v2
	v_max_i32_e32 v6, v6, v7
	v_ashrrev_i32_e32 v3, 31, v3
	v_mul_f32_e32 v2, 0x4f7ffffe, v2
	v_cvt_u32_f32_e32 v2, v2
	v_mul_lo_u32 v7, s0, v2
	v_mul_hi_u32 v7, v2, v7
	v_add_u32_e32 v2, v2, v7
	v_mul_hi_u32 v2, v6, v2
	v_mul_lo_u32 v7, v2, s1
	v_sub_u32_e32 v6, v6, v7
	v_add_u32_e32 v8, 1, v2
	v_cmp_le_u32_e32 vcc, s1, v6
	v_subrev_u32_e32 v7, s1, v6
	v_cndmask_b32_e32 v2, v2, v8, vcc
	v_cndmask_b32_e32 v6, v6, v7, vcc
	v_add_u32_e32 v7, 1, v2
	v_cmp_le_u32_e32 vcc, s1, v6
	v_cndmask_b32_e32 v2, v2, v7, vcc
	v_xor_b32_e32 v2, v2, v3
	v_sub_u32_e32 v2, v2, v3
	v_mad_u64_u32 v[2:3], s[0:1], v2, s9, v[4:5]
	v_ashrrev_i32_e32 v3, 31, v2
.LBB732_2:
	s_load_dwordx4 s[12:15], s[4:5], 0x0
	v_lshlrev_b64 v[0:1], 1, v[0:1]
	v_sub_u32_e32 v8, s8, v5
	v_cmp_gt_i32_e64 s[0:1], s10, v4
	v_mov_b32_e32 v9, 0xff800000
	s_waitcnt lgkmcnt(0)
	v_mov_b32_e32 v5, s15
	v_add_co_u32_e32 v6, vcc, s14, v0
	v_addc_co_u32_e32 v7, vcc, v5, v1, vcc
	v_cmp_lt_i32_e32 vcc, 0, v8
	s_and_b64 s[8:9], s[0:1], vcc
	v_mov_b32_e32 v10, 0xff800000
	s_and_saveexec_b64 s[2:3], s[8:9]
	s_cbranch_execz .LBB732_4
; %bb.3:
	global_load_ushort v4, v[6:7], off
	s_waitcnt vmcnt(0)
	v_cvt_f32_f16_e32 v10, v4
.LBB732_4:
	s_or_b64 exec, exec, s[2:3]
	v_cmp_lt_i32_e64 s[2:3], 1, v8
	s_and_b64 s[6:7], s[0:1], s[2:3]
	s_and_saveexec_b64 s[14:15], s[6:7]
	s_cbranch_execz .LBB732_6
; %bb.5:
	s_mov_b32 s11, 0
	s_lshl_b64 s[2:3], s[10:11], 1
	v_mov_b32_e32 v5, s3
	v_add_co_u32_e64 v4, s[2:3], s2, v6
	v_addc_co_u32_e64 v5, s[2:3], v7, v5, s[2:3]
	global_load_ushort v4, v[4:5], off
	s_waitcnt vmcnt(0)
	v_cvt_f32_f16_e32 v9, v4
.LBB732_6:
	s_or_b64 exec, exec, s[14:15]
	s_load_dwordx2 s[2:3], s[4:5], 0x20
	s_waitcnt lgkmcnt(0)
	v_mov_b32_e32 v4, s3
	v_add_co_u32_e64 v2, s[2:3], s2, v2
	v_addc_co_u32_e64 v3, s[2:3], v4, v3, s[2:3]
	v_mov_b32_e32 v4, 0xff800000
	s_and_saveexec_b64 s[4:5], s[8:9]
	s_cbranch_execz .LBB732_8
; %bb.7:
	global_load_ubyte v4, v[2:3], off
	v_mov_b32_e32 v5, 0xff800000
	s_waitcnt vmcnt(0)
	v_and_b32_e32 v4, 1, v4
	v_cmp_eq_u32_e64 s[2:3], 1, v4
	v_cndmask_b32_e64 v4, v10, v5, s[2:3]
.LBB732_8:
	s_or_b64 exec, exec, s[4:5]
	s_mov_b64 s[4:5], 0
	s_and_saveexec_b64 s[14:15], s[6:7]
	s_cbranch_execz .LBB732_10
; %bb.9:
	s_and_b64 s[2:3], s[16:17], exec
	s_cselect_b32 s2, 0, 0
	s_cselect_b32 s3, 0, s10
	v_mov_b32_e32 v5, s2
	v_add_co_u32_e64 v6, s[2:3], s3, v2
	v_addc_co_u32_e64 v7, s[2:3], v3, v5, s[2:3]
	global_load_ubyte v5, v[6:7], off
	s_waitcnt vmcnt(0)
	v_and_b32_e32 v5, 1, v5
	v_cmp_eq_u32_e64 s[2:3], 1, v5
	s_xor_b64 s[2:3], s[2:3], -1
	s_and_b64 s[4:5], s[2:3], exec
.LBB732_10:
	s_or_b64 exec, exec, s[14:15]
	v_mbcnt_lo_u32_b32 v5, -1, 0
	v_mbcnt_hi_u32_b32 v5, -1, v5
	v_and_b32_e32 v6, 64, v5
	v_add_u32_e32 v6, 64, v6
	v_xor_b32_e32 v7, 32, v5
	v_cmp_lt_i32_e64 s[2:3], v7, v6
	v_cndmask_b32_e64 v7, v5, v7, s[2:3]
	v_cndmask_b32_e64 v4, v4, v4, s[4:5]
	v_lshlrev_b32_e32 v7, 2, v7
	ds_bpermute_b32 v11, v7, v4
	v_mov_b32_e32 v12, 0xff800000
	v_cndmask_b32_e64 v12, v12, v9, s[4:5]
	ds_bpermute_b32 v13, v7, v12
	s_mov_b32 s14, 0
	s_waitcnt lgkmcnt(1)
	v_cmp_lt_f32_e64 s[2:3], v4, v11
	v_cndmask_b32_e64 v4, v4, v11, s[2:3]
	v_xor_b32_e32 v11, 16, v5
	v_cmp_lt_i32_e64 s[2:3], v11, v6
	v_cndmask_b32_e64 v11, v5, v11, s[2:3]
	v_lshlrev_b32_e32 v11, 2, v11
	ds_bpermute_b32 v14, v11, v4
	s_waitcnt lgkmcnt(1)
	v_cmp_lt_f32_e64 s[2:3], v12, v13
	v_cndmask_b32_e64 v13, v12, v13, s[2:3]
	v_xor_b32_e32 v12, 8, v5
	s_mov_b32 s15, s14
	s_waitcnt lgkmcnt(0)
	v_cmp_lt_f32_e64 s[2:3], v4, v14
	v_cndmask_b32_e64 v4, v4, v14, s[2:3]
	v_cmp_lt_i32_e64 s[2:3], v12, v6
	v_cndmask_b32_e64 v12, v5, v12, s[2:3]
	ds_bpermute_b32 v14, v11, v13
	v_lshlrev_b32_e32 v12, 2, v12
	ds_bpermute_b32 v15, v12, v4
	s_waitcnt lgkmcnt(1)
	v_cmp_lt_f32_e64 s[2:3], v13, v14
	v_cndmask_b32_e64 v14, v13, v14, s[2:3]
	s_waitcnt lgkmcnt(0)
	v_cmp_lt_f32_e64 s[2:3], v4, v15
	v_xor_b32_e32 v13, 4, v5
	v_cndmask_b32_e64 v4, v4, v15, s[2:3]
	v_cmp_lt_i32_e64 s[2:3], v13, v6
	v_cndmask_b32_e64 v13, v5, v13, s[2:3]
	ds_bpermute_b32 v15, v12, v14
	v_lshlrev_b32_e32 v13, 2, v13
	ds_bpermute_b32 v16, v13, v4
	s_waitcnt lgkmcnt(1)
	v_cmp_lt_f32_e64 s[2:3], v14, v15
	v_cndmask_b32_e64 v15, v14, v15, s[2:3]
	s_waitcnt lgkmcnt(0)
	v_cmp_lt_f32_e64 s[2:3], v4, v16
	v_cndmask_b32_e64 v4, v4, v16, s[2:3]
	ds_bpermute_b32 v16, v13, v15
	v_xor_b32_e32 v14, 2, v5
	v_cmp_lt_i32_e64 s[2:3], v14, v6
	v_cndmask_b32_e64 v14, v5, v14, s[2:3]
	v_lshlrev_b32_e32 v14, 2, v14
	s_waitcnt lgkmcnt(0)
	v_cmp_lt_f32_e64 s[2:3], v15, v16
	ds_bpermute_b32 v17, v14, v4
	v_cndmask_b32_e64 v15, v15, v16, s[2:3]
	ds_bpermute_b32 v16, v14, v15
	s_waitcnt lgkmcnt(1)
	v_cmp_lt_f32_e64 s[2:3], v4, v17
	v_cndmask_b32_e64 v19, v4, v17, s[2:3]
	s_waitcnt lgkmcnt(0)
	v_cmp_lt_f32_e64 s[2:3], v15, v16
	v_xor_b32_e32 v4, 1, v5
	v_cndmask_b32_e64 v17, v15, v16, s[2:3]
	v_cmp_lt_i32_e64 s[2:3], v4, v6
	v_cndmask_b32_e64 v4, v5, v4, s[2:3]
	v_lshlrev_b32_e32 v16, 2, v4
	ds_bpermute_b32 v20, v16, v19
	ds_bpermute_b32 v18, v16, v17
	v_mov_b32_e32 v6, 0
	v_pk_mov_b32 v[4:5], s[14:15], s[14:15] op_sel:[0,1]
	v_mov_b32_e32 v15, 0
	s_and_saveexec_b64 s[4:5], s[8:9]
	s_cbranch_execz .LBB732_14
; %bb.11:
	global_load_ubyte v15, v[2:3], off
	v_pk_mov_b32 v[4:5], s[14:15], s[14:15] op_sel:[0,1]
	s_waitcnt vmcnt(0)
	v_and_b32_e32 v15, 1, v15
	v_cmp_eq_u32_e64 s[2:3], 1, v15
	s_xor_b64 s[2:3], s[2:3], -1
	v_mov_b32_e32 v15, 0
	s_and_saveexec_b64 s[8:9], s[2:3]
	s_cbranch_execz .LBB732_13
; %bb.12:
	s_waitcnt lgkmcnt(1)
	v_cmp_lt_f32_e64 s[2:3], v19, v20
	v_cndmask_b32_e64 v4, v19, v20, s[2:3]
	v_sub_f32_e32 v4, v10, v4
	s_mov_b32 s2, 0x3fb8aa3b
	v_mul_f32_e32 v5, 0x3fb8aa3b, v4
	v_fma_f32 v10, v4, s2, -v5
	v_rndne_f32_e32 v15, v5
	v_fmac_f32_e32 v10, 0x32a5705f, v4
	v_sub_f32_e32 v5, v5, v15
	v_add_f32_e32 v5, v5, v10
	v_exp_f32_e32 v5, v5
	v_cvt_i32_f32_e32 v10, v15
	s_mov_b32 s2, 0xc2ce8ed0
	v_cmp_ngt_f32_e64 s[2:3], s2, v4
	v_mov_b32_e32 v15, 0x7f800000
	v_ldexp_f32 v10, v5, v10
	v_cndmask_b32_e64 v10, 0, v10, s[2:3]
	s_mov_b32 s2, 0x42b17218
	v_cmp_nlt_f32_e64 s[2:3], s2, v4
	v_cndmask_b32_e64 v4, v15, v10, s[2:3]
	v_mov_b32_e32 v5, 0
	v_mov_b32_e32 v15, v4
.LBB732_13:
	s_or_b64 exec, exec, s[8:9]
.LBB732_14:
	s_or_b64 exec, exec, s[4:5]
	s_and_saveexec_b64 s[4:5], s[6:7]
	s_cbranch_execz .LBB732_18
; %bb.15:
	s_and_b64 s[2:3], s[16:17], exec
	s_cselect_b32 s2, 0, 0
	s_cselect_b32 s3, 0, s10
	v_mov_b32_e32 v6, s2
	v_add_co_u32_e64 v2, s[2:3], s3, v2
	v_addc_co_u32_e64 v3, s[2:3], v3, v6, s[2:3]
	global_load_ubyte v2, v[2:3], off
	v_mov_b32_e32 v6, 0
	s_waitcnt vmcnt(0)
	v_and_b32_e32 v2, 1, v2
	v_cmp_eq_u32_e64 s[2:3], 1, v2
	s_xor_b64 s[2:3], s[2:3], -1
	s_and_saveexec_b64 s[6:7], s[2:3]
	s_cbranch_execz .LBB732_17
; %bb.16:
	s_waitcnt lgkmcnt(0)
	v_cmp_lt_f32_e64 s[2:3], v17, v18
	v_cndmask_b32_e64 v2, v17, v18, s[2:3]
	v_sub_f32_e32 v2, v9, v2
	s_mov_b32 s2, 0x3fb8aa3b
	v_mul_f32_e32 v3, 0x3fb8aa3b, v2
	v_fma_f32 v6, v2, s2, -v3
	v_rndne_f32_e32 v9, v3
	v_fmac_f32_e32 v6, 0x32a5705f, v2
	v_sub_f32_e32 v3, v3, v9
	v_add_f32_e32 v3, v3, v6
	v_exp_f32_e32 v3, v3
	v_cvt_i32_f32_e32 v6, v9
	s_mov_b32 s2, 0xc2ce8ed0
	v_cmp_ngt_f32_e64 s[2:3], s2, v2
	v_ldexp_f32 v3, v3, v6
	v_cndmask_b32_e64 v3, 0, v3, s[2:3]
	s_mov_b32 s2, 0x42b17218
	v_mov_b32_e32 v6, 0x7f800000
	v_cmp_nlt_f32_e64 s[2:3], s2, v2
	v_cndmask_b32_e64 v6, v6, v3, s[2:3]
	v_add_f32_e32 v5, v5, v6
.LBB732_17:
	s_or_b64 exec, exec, s[6:7]
.LBB732_18:
	s_or_b64 exec, exec, s[4:5]
	ds_bpermute_b32 v2, v7, v4
	ds_bpermute_b32 v3, v7, v5
	s_waitcnt lgkmcnt(0)
	v_pk_add_f32 v[2:3], v[4:5], v[2:3]
	ds_bpermute_b32 v4, v11, v2
	ds_bpermute_b32 v5, v11, v3
	s_waitcnt lgkmcnt(0)
	v_pk_add_f32 v[2:3], v[2:3], v[4:5]
	;; [unrolled: 4-line block ×5, first 2 shown]
	ds_bpermute_b32 v4, v16, v2
	ds_bpermute_b32 v5, v16, v3
	s_and_saveexec_b64 s[2:3], vcc
	s_cbranch_execz .LBB732_30
; %bb.19:
	s_waitcnt lgkmcnt(0)
	v_pk_add_f32 v[2:3], v[2:3], v[4:5]
	v_mov_b32_e32 v4, s13
	v_add_co_u32_e32 v0, vcc, s12, v0
	v_addc_co_u32_e32 v1, vcc, v4, v1, vcc
	s_and_saveexec_b64 s[2:3], s[0:1]
	s_cbranch_execz .LBB732_24
; %bb.20:
	v_cmp_neq_f32_e32 vcc, 0, v2
	s_and_saveexec_b64 s[4:5], vcc
	s_xor_b64 s[4:5], exec, s[4:5]
	s_cbranch_execz .LBB732_22
; %bb.21:
	v_div_scale_f32 v4, s[6:7], v2, v2, v15
	v_rcp_f32_e32 v5, v4
	v_div_scale_f32 v7, vcc, v15, v2, v15
	v_fma_f32 v9, -v4, v5, 1.0
	v_fmac_f32_e32 v5, v9, v5
	v_mul_f32_e32 v9, v7, v5
	v_fma_f32 v10, -v4, v9, v7
	v_fmac_f32_e32 v9, v10, v5
	v_fma_f32 v4, -v4, v9, v7
	v_div_fmas_f32 v4, v4, v5, v9
	v_div_fixup_f32 v2, v4, v2, v15
	v_cvt_f16_f32_e32 v2, v2
	global_store_short v[0:1], v2, off
.LBB732_22:
	s_andn2_saveexec_b64 s[4:5], s[4:5]
	s_cbranch_execz .LBB732_24
; %bb.23:
	v_mov_b32_e32 v2, 0x7e00
	global_store_short v[0:1], v2, off
.LBB732_24:
	s_or_b64 exec, exec, s[2:3]
	v_cmp_ne_u32_e32 vcc, 1, v8
	s_and_b64 exec, exec, vcc
	s_cbranch_execz .LBB732_30
; %bb.25:
	s_and_b64 exec, exec, s[0:1]
	s_cbranch_execz .LBB732_30
; %bb.26:
	s_mov_b32 s11, 0
	s_lshl_b64 s[0:1], s[10:11], 1
	v_mov_b32_e32 v2, s1
	v_add_co_u32_e64 v0, s[0:1], s0, v0
	v_cmp_neq_f32_e32 vcc, 0, v3
	v_addc_co_u32_e64 v1, s[0:1], v1, v2, s[0:1]
	s_and_saveexec_b64 s[0:1], vcc
	s_xor_b64 s[0:1], exec, s[0:1]
	s_cbranch_execz .LBB732_28
; %bb.27:
	v_div_scale_f32 v2, s[2:3], v3, v3, v6
	v_rcp_f32_e32 v4, v2
	v_div_scale_f32 v5, vcc, v6, v3, v6
	v_fma_f32 v7, -v2, v4, 1.0
	v_fmac_f32_e32 v4, v7, v4
	v_mul_f32_e32 v7, v5, v4
	v_fma_f32 v8, -v2, v7, v5
	v_fmac_f32_e32 v7, v8, v4
	v_fma_f32 v2, -v2, v7, v5
	v_div_fmas_f32 v2, v2, v4, v7
	v_div_fixup_f32 v2, v2, v3, v6
	v_cvt_f16_f32_e32 v2, v2
	global_store_short v[0:1], v2, off
                                        ; implicit-def: $vgpr0_vgpr1
.LBB732_28:
	s_andn2_saveexec_b64 s[0:1], s[0:1]
	s_cbranch_execz .LBB732_30
; %bb.29:
	v_mov_b32_e32 v2, 0x7e00
	global_store_short v[0:1], v2, off
.LBB732_30:
	s_endpgm
	.section	.rodata,"a",@progbits
	.p2align	6, 0x0
	.amdhsa_kernel _ZN12_GLOBAL__N_120softmax_warp_forwardIN3c104HalfES2_fLi6ELb0ELb1ELi64EEEvPT0_PKT_iiiPKbib
		.amdhsa_group_segment_fixed_size 0
		.amdhsa_private_segment_fixed_size 0
		.amdhsa_kernarg_size 304
		.amdhsa_user_sgpr_count 6
		.amdhsa_user_sgpr_private_segment_buffer 1
		.amdhsa_user_sgpr_dispatch_ptr 0
		.amdhsa_user_sgpr_queue_ptr 0
		.amdhsa_user_sgpr_kernarg_segment_ptr 1
		.amdhsa_user_sgpr_dispatch_id 0
		.amdhsa_user_sgpr_flat_scratch_init 0
		.amdhsa_user_sgpr_kernarg_preload_length 0
		.amdhsa_user_sgpr_kernarg_preload_offset 0
		.amdhsa_user_sgpr_private_segment_size 0
		.amdhsa_uses_dynamic_stack 0
		.amdhsa_system_sgpr_private_segment_wavefront_offset 0
		.amdhsa_system_sgpr_workgroup_id_x 1
		.amdhsa_system_sgpr_workgroup_id_y 0
		.amdhsa_system_sgpr_workgroup_id_z 0
		.amdhsa_system_sgpr_workgroup_info 0
		.amdhsa_system_vgpr_workitem_id 1
		.amdhsa_next_free_vgpr 21
		.amdhsa_next_free_sgpr 18
		.amdhsa_accum_offset 24
		.amdhsa_reserve_vcc 1
		.amdhsa_reserve_flat_scratch 0
		.amdhsa_float_round_mode_32 0
		.amdhsa_float_round_mode_16_64 0
		.amdhsa_float_denorm_mode_32 3
		.amdhsa_float_denorm_mode_16_64 3
		.amdhsa_dx10_clamp 1
		.amdhsa_ieee_mode 1
		.amdhsa_fp16_overflow 0
		.amdhsa_tg_split 0
		.amdhsa_exception_fp_ieee_invalid_op 0
		.amdhsa_exception_fp_denorm_src 0
		.amdhsa_exception_fp_ieee_div_zero 0
		.amdhsa_exception_fp_ieee_overflow 0
		.amdhsa_exception_fp_ieee_underflow 0
		.amdhsa_exception_fp_ieee_inexact 0
		.amdhsa_exception_int_div_zero 0
	.end_amdhsa_kernel
	.section	.text._ZN12_GLOBAL__N_120softmax_warp_forwardIN3c104HalfES2_fLi6ELb0ELb1ELi64EEEvPT0_PKT_iiiPKbib,"axG",@progbits,_ZN12_GLOBAL__N_120softmax_warp_forwardIN3c104HalfES2_fLi6ELb0ELb1ELi64EEEvPT0_PKT_iiiPKbib,comdat
.Lfunc_end732:
	.size	_ZN12_GLOBAL__N_120softmax_warp_forwardIN3c104HalfES2_fLi6ELb0ELb1ELi64EEEvPT0_PKT_iiiPKbib, .Lfunc_end732-_ZN12_GLOBAL__N_120softmax_warp_forwardIN3c104HalfES2_fLi6ELb0ELb1ELi64EEEvPT0_PKT_iiiPKbib
                                        ; -- End function
	.section	.AMDGPU.csdata,"",@progbits
; Kernel info:
; codeLenInByte = 2028
; NumSgprs: 22
; NumVgprs: 21
; NumAgprs: 0
; TotalNumVgprs: 21
; ScratchSize: 0
; MemoryBound: 0
; FloatMode: 240
; IeeeMode: 1
; LDSByteSize: 0 bytes/workgroup (compile time only)
; SGPRBlocks: 2
; VGPRBlocks: 2
; NumSGPRsForWavesPerEU: 22
; NumVGPRsForWavesPerEU: 21
; AccumOffset: 24
; Occupancy: 8
; WaveLimiterHint : 0
; COMPUTE_PGM_RSRC2:SCRATCH_EN: 0
; COMPUTE_PGM_RSRC2:USER_SGPR: 6
; COMPUTE_PGM_RSRC2:TRAP_HANDLER: 0
; COMPUTE_PGM_RSRC2:TGID_X_EN: 1
; COMPUTE_PGM_RSRC2:TGID_Y_EN: 0
; COMPUTE_PGM_RSRC2:TGID_Z_EN: 0
; COMPUTE_PGM_RSRC2:TIDIG_COMP_CNT: 1
; COMPUTE_PGM_RSRC3_GFX90A:ACCUM_OFFSET: 5
; COMPUTE_PGM_RSRC3_GFX90A:TG_SPLIT: 0
	.section	.text._ZN12_GLOBAL__N_120softmax_warp_forwardIN3c104HalfES2_fLi6ELb0ELb1ELi32EEEvPT0_PKT_iiiPKbib,"axG",@progbits,_ZN12_GLOBAL__N_120softmax_warp_forwardIN3c104HalfES2_fLi6ELb0ELb1ELi32EEEvPT0_PKT_iiiPKbib,comdat
	.globl	_ZN12_GLOBAL__N_120softmax_warp_forwardIN3c104HalfES2_fLi6ELb0ELb1ELi32EEEvPT0_PKT_iiiPKbib ; -- Begin function _ZN12_GLOBAL__N_120softmax_warp_forwardIN3c104HalfES2_fLi6ELb0ELb1ELi32EEEvPT0_PKT_iiiPKbib
	.p2align	8
	.type	_ZN12_GLOBAL__N_120softmax_warp_forwardIN3c104HalfES2_fLi6ELb0ELb1ELi32EEEvPT0_PKT_iiiPKbib,@function
_ZN12_GLOBAL__N_120softmax_warp_forwardIN3c104HalfES2_fLi6ELb0ELb1ELi32EEEvPT0_PKT_iiiPKbib: ; @_ZN12_GLOBAL__N_120softmax_warp_forwardIN3c104HalfES2_fLi6ELb0ELb1ELi32EEEvPT0_PKT_iiiPKbib
; %bb.0:
	s_load_dwordx2 s[0:1], s[4:5], 0x28
	s_load_dword s2, s[4:5], 0x3c
	s_load_dwordx4 s[8:11], s[4:5], 0x10
	v_bfe_u32 v1, v0, 10, 10
	v_and_b32_e32 v4, 0x3ff, v0
	s_waitcnt lgkmcnt(0)
	s_bitcmp1_b32 s1, 0
	s_cselect_b64 s[20:21], -1, 0
	s_lshr_b32 s2, s2, 16
	s_mul_i32 s6, s6, s2
	v_add_lshl_u32 v5, s6, v1, 1
	v_mul_lo_u32 v6, v5, s9
	v_add_u32_e32 v0, v6, v4
	v_ashrrev_i32_e32 v1, 31, v0
	s_bitcmp0_b32 s1, 0
	v_pk_mov_b32 v[2:3], v[0:1], v[0:1] op_sel:[0,1]
	s_cbranch_scc1 .LBB733_2
; %bb.1:
	s_abs_i32 s1, s0
	v_cvt_f32_u32_e32 v2, s1
	v_xor_b32_e32 v3, s0, v6
	v_sub_u32_e32 v7, 0, v6
	s_sub_i32 s0, 0, s1
	v_rcp_iflag_f32_e32 v2, v2
	v_max_i32_e32 v6, v6, v7
	v_ashrrev_i32_e32 v3, 31, v3
	v_mul_f32_e32 v2, 0x4f7ffffe, v2
	v_cvt_u32_f32_e32 v2, v2
	v_mul_lo_u32 v7, s0, v2
	v_mul_hi_u32 v7, v2, v7
	v_add_u32_e32 v2, v2, v7
	v_mul_hi_u32 v2, v6, v2
	v_mul_lo_u32 v7, v2, s1
	v_sub_u32_e32 v6, v6, v7
	v_add_u32_e32 v8, 1, v2
	v_cmp_le_u32_e32 vcc, s1, v6
	v_subrev_u32_e32 v7, s1, v6
	v_cndmask_b32_e32 v2, v2, v8, vcc
	v_cndmask_b32_e32 v6, v6, v7, vcc
	v_add_u32_e32 v7, 1, v2
	v_cmp_le_u32_e32 vcc, s1, v6
	v_cndmask_b32_e32 v2, v2, v7, vcc
	v_xor_b32_e32 v2, v2, v3
	v_sub_u32_e32 v2, v2, v3
	v_mad_u64_u32 v[2:3], s[0:1], v2, s9, v[4:5]
	v_ashrrev_i32_e32 v3, 31, v2
.LBB733_2:
	s_load_dwordx4 s[12:15], s[4:5], 0x0
	v_lshlrev_b64 v[0:1], 1, v[0:1]
	v_sub_u32_e32 v7, s8, v5
	v_cmp_gt_i32_e64 s[2:3], s10, v4
	v_mov_b32_e32 v12, 0xff800000
	s_waitcnt lgkmcnt(0)
	v_mov_b32_e32 v5, s15
	v_add_co_u32_e32 v8, vcc, s14, v0
	v_addc_co_u32_e32 v9, vcc, v5, v1, vcc
	v_cmp_lt_i32_e32 vcc, 0, v7
	s_and_b64 s[18:19], vcc, s[2:3]
	v_mov_b32_e32 v6, 0xff800000
	s_and_saveexec_b64 s[0:1], s[18:19]
	s_cbranch_execz .LBB733_4
; %bb.3:
	global_load_ushort v5, v[8:9], off
	s_waitcnt vmcnt(0)
	v_cvt_f32_f16_e32 v6, v5
.LBB733_4:
	s_or_b64 exec, exec, s[0:1]
	v_add_u32_e32 v4, 32, v4
	v_cmp_gt_i32_e64 s[0:1], s10, v4
	s_and_b64 s[16:17], vcc, s[0:1]
	s_and_saveexec_b64 s[6:7], s[16:17]
	s_cbranch_execz .LBB733_6
; %bb.5:
	global_load_ushort v4, v[8:9], off offset:64
	s_waitcnt vmcnt(0)
	v_cvt_f32_f16_e32 v12, v4
.LBB733_6:
	s_or_b64 exec, exec, s[6:7]
	v_cmp_lt_i32_e64 s[6:7], 1, v7
	s_and_b64 s[14:15], s[6:7], s[2:3]
	v_mov_b32_e32 v10, 0xff800000
	v_mov_b32_e32 v5, 0xff800000
	s_and_saveexec_b64 s[22:23], s[14:15]
	s_cbranch_execz .LBB733_8
; %bb.7:
	s_mov_b32 s11, 0
	s_lshl_b64 s[8:9], s[10:11], 1
	v_mov_b32_e32 v5, s9
	v_add_co_u32_e64 v4, s[8:9], s8, v8
	v_addc_co_u32_e64 v5, s[8:9], v9, v5, s[8:9]
	global_load_ushort v4, v[4:5], off
	s_waitcnt vmcnt(0)
	v_cvt_f32_f16_e32 v5, v4
.LBB733_8:
	s_or_b64 exec, exec, s[22:23]
	s_and_b64 s[8:9], s[6:7], s[0:1]
	s_and_saveexec_b64 s[22:23], s[8:9]
	s_cbranch_execz .LBB733_10
; %bb.9:
	s_mov_b32 s11, 0
	s_lshl_b64 s[6:7], s[10:11], 1
	v_mov_b32_e32 v4, s7
	v_add_co_u32_e64 v8, s[6:7], s6, v8
	v_addc_co_u32_e64 v9, s[6:7], v9, v4, s[6:7]
	global_load_ushort v4, v[8:9], off offset:64
	s_waitcnt vmcnt(0)
	v_cvt_f32_f16_e32 v10, v4
.LBB733_10:
	s_or_b64 exec, exec, s[22:23]
	s_load_dwordx2 s[4:5], s[4:5], 0x20
	s_mov_b64 s[6:7], 0
	v_pk_mov_b32 v[8:9], v[6:7], v[6:7] op_sel:[0,1]
	s_waitcnt lgkmcnt(0)
	v_mov_b32_e32 v4, s5
	v_add_co_u32_e64 v2, s[4:5], s4, v2
	v_addc_co_u32_e64 v3, s[4:5], v4, v3, s[4:5]
	s_and_saveexec_b64 s[22:23], s[18:19]
	s_cbranch_execz .LBB733_12
; %bb.11:
	global_load_ubyte v4, v[2:3], off
	v_pk_mov_b32 v[8:9], v[6:7], v[6:7] op_sel:[0,1]
	s_waitcnt vmcnt(0)
	v_and_b32_e32 v4, 1, v4
	v_cmp_eq_u32_e64 s[4:5], 1, v4
	s_xor_b64 s[4:5], s[4:5], -1
	s_and_b64 s[6:7], s[4:5], exec
.LBB733_12:
	s_or_b64 exec, exec, s[22:23]
	s_and_saveexec_b64 s[22:23], s[16:17]
	s_cbranch_execz .LBB733_16
; %bb.13:
	global_load_ubyte v4, v[2:3], off offset:32
	s_waitcnt vmcnt(0)
	v_and_b32_e32 v4, 1, v4
	v_cmp_eq_u32_e64 s[4:5], 1, v4
	s_xor_b64 s[26:27], s[4:5], -1
	s_mov_b64 s[4:5], s[6:7]
	s_and_saveexec_b64 s[24:25], s[26:27]
; %bb.14:
	v_cmp_gt_f32_e64 s[4:5], v8, v12
	s_and_b64 s[4:5], s[6:7], s[4:5]
	v_cndmask_b32_e64 v8, v12, v8, s[4:5]
	s_or_b64 s[4:5], s[6:7], exec
; %bb.15:
	s_or_b64 exec, exec, s[24:25]
	s_andn2_b64 s[6:7], s[6:7], exec
	s_and_b64 s[4:5], s[4:5], exec
	s_or_b64 s[6:7], s[6:7], s[4:5]
.LBB733_16:
	s_or_b64 exec, exec, s[22:23]
	v_mov_b32_e32 v4, 0xff800000
	v_cndmask_b32_e64 v4, v4, v8, s[6:7]
	s_and_b64 s[4:5], s[20:21], exec
	s_cselect_b32 s11, 0, s10
	s_mov_b64 s[6:7], 0
	v_pk_mov_b32 v[8:9], v[4:5], v[4:5] op_sel:[0,1]
	s_and_saveexec_b64 s[20:21], s[14:15]
	s_cbranch_execz .LBB733_18
; %bb.17:
	s_ashr_i32 s4, s11, 31
	v_mov_b32_e32 v9, s4
	v_add_co_u32_e64 v8, s[4:5], s11, v2
	v_addc_co_u32_e64 v9, s[4:5], v3, v9, s[4:5]
	global_load_ubyte v8, v[8:9], off
	s_waitcnt vmcnt(0)
	v_and_b32_e32 v8, 1, v8
	v_cmp_eq_u32_e64 s[4:5], 1, v8
	s_xor_b64 s[4:5], s[4:5], -1
	s_and_b64 s[6:7], s[4:5], exec
	v_pk_mov_b32 v[8:9], v[4:5], v[4:5] op_sel:[0,1]
.LBB733_18:
	s_or_b64 exec, exec, s[20:21]
	s_and_saveexec_b64 s[20:21], s[8:9]
	s_cbranch_execz .LBB733_22
; %bb.19:
	s_ashr_i32 s4, s11, 31
	v_mov_b32_e32 v4, s4
	v_add_co_u32_e64 v14, s[4:5], s11, v2
	v_addc_co_u32_e64 v15, s[4:5], v3, v4, s[4:5]
	global_load_ubyte v4, v[14:15], off offset:32
	s_waitcnt vmcnt(0)
	v_and_b32_e32 v4, 1, v4
	v_cmp_eq_u32_e64 s[4:5], 1, v4
	s_xor_b64 s[24:25], s[4:5], -1
	s_mov_b64 s[4:5], s[6:7]
	s_and_saveexec_b64 s[22:23], s[24:25]
; %bb.20:
	v_cmp_gt_f32_e64 s[4:5], v9, v10
	s_and_b64 s[4:5], s[6:7], s[4:5]
	v_cndmask_b32_e64 v9, v10, v9, s[4:5]
	s_or_b64 s[4:5], s[6:7], exec
; %bb.21:
	s_or_b64 exec, exec, s[22:23]
	s_andn2_b64 s[6:7], s[6:7], exec
	s_and_b64 s[4:5], s[4:5], exec
	s_or_b64 s[6:7], s[6:7], s[4:5]
.LBB733_22:
	s_or_b64 exec, exec, s[20:21]
	v_mbcnt_lo_u32_b32 v4, -1, 0
	v_mbcnt_hi_u32_b32 v11, -1, v4
	v_and_b32_e32 v4, 0x60, v11
	v_add_u32_e32 v16, 32, v4
	v_xor_b32_e32 v4, 16, v11
	v_cmp_lt_i32_e64 s[4:5], v4, v16
	v_cndmask_b32_e64 v4, v11, v4, s[4:5]
	v_cndmask_b32_e64 v8, v8, v8, s[6:7]
	v_lshlrev_b32_e32 v4, 2, v4
	ds_bpermute_b32 v13, v4, v8
	v_mov_b32_e32 v14, 0xff800000
	v_cndmask_b32_e64 v9, v14, v9, s[6:7]
	ds_bpermute_b32 v14, v4, v9
	s_mov_b32 s20, 0
	s_waitcnt lgkmcnt(1)
	v_cmp_lt_f32_e64 s[4:5], v8, v13
	v_cndmask_b32_e64 v8, v8, v13, s[4:5]
	v_xor_b32_e32 v13, 8, v11
	v_cmp_lt_i32_e64 s[4:5], v13, v16
	v_cndmask_b32_e64 v13, v11, v13, s[4:5]
	v_lshlrev_b32_e32 v13, 2, v13
	ds_bpermute_b32 v15, v13, v8
	s_waitcnt lgkmcnt(1)
	v_cmp_lt_f32_e64 s[4:5], v9, v14
	v_cndmask_b32_e64 v9, v9, v14, s[4:5]
	v_xor_b32_e32 v14, 4, v11
	s_mov_b32 s21, s20
	s_waitcnt lgkmcnt(0)
	v_cmp_lt_f32_e64 s[4:5], v8, v15
	v_cndmask_b32_e64 v8, v8, v15, s[4:5]
	v_cmp_lt_i32_e64 s[4:5], v14, v16
	v_cndmask_b32_e64 v14, v11, v14, s[4:5]
	ds_bpermute_b32 v15, v13, v9
	v_lshlrev_b32_e32 v14, 2, v14
	ds_bpermute_b32 v17, v14, v8
	s_waitcnt lgkmcnt(1)
	v_cmp_lt_f32_e64 s[4:5], v9, v15
	v_cndmask_b32_e64 v9, v9, v15, s[4:5]
	s_waitcnt lgkmcnt(0)
	v_cmp_lt_f32_e64 s[4:5], v8, v17
	v_xor_b32_e32 v15, 2, v11
	v_cndmask_b32_e64 v8, v8, v17, s[4:5]
	v_cmp_lt_i32_e64 s[4:5], v15, v16
	ds_bpermute_b32 v17, v14, v9
	v_cndmask_b32_e64 v15, v11, v15, s[4:5]
	v_lshlrev_b32_e32 v15, 2, v15
	ds_bpermute_b32 v18, v15, v8
	s_waitcnt lgkmcnt(1)
	v_cmp_lt_f32_e64 s[4:5], v9, v17
	v_cndmask_b32_e64 v9, v9, v17, s[4:5]
	ds_bpermute_b32 v17, v15, v9
	s_waitcnt lgkmcnt(1)
	v_cmp_lt_f32_e64 s[4:5], v8, v18
	v_cndmask_b32_e64 v8, v8, v18, s[4:5]
	v_xor_b32_e32 v18, 1, v11
	v_cmp_lt_i32_e64 s[4:5], v18, v16
	v_cndmask_b32_e64 v11, v11, v18, s[4:5]
	v_lshlrev_b32_e32 v16, 2, v11
	ds_bpermute_b32 v20, v16, v8
	s_waitcnt lgkmcnt(1)
	v_cmp_lt_f32_e64 s[4:5], v9, v17
	v_cndmask_b32_e64 v18, v9, v17, s[4:5]
	ds_bpermute_b32 v19, v16, v18
	v_mov_b32_e32 v11, 0
	s_waitcnt lgkmcnt(1)
	v_cmp_lt_f32_e64 s[4:5], v8, v20
	v_cndmask_b32_e64 v20, v8, v20, s[4:5]
	v_pk_mov_b32 v[8:9], s[20:21], s[20:21] op_sel:[0,1]
	v_mov_b32_e32 v17, 0
	s_and_saveexec_b64 s[6:7], s[18:19]
	s_cbranch_execz .LBB733_26
; %bb.23:
	global_load_ubyte v17, v[2:3], off
	v_pk_mov_b32 v[8:9], s[20:21], s[20:21] op_sel:[0,1]
	s_waitcnt vmcnt(0)
	v_and_b32_e32 v17, 1, v17
	v_cmp_eq_u32_e64 s[4:5], 1, v17
	s_xor_b64 s[4:5], s[4:5], -1
	v_mov_b32_e32 v17, 0
	s_and_saveexec_b64 s[18:19], s[4:5]
	s_cbranch_execz .LBB733_25
; %bb.24:
	v_sub_f32_e32 v6, v6, v20
	s_mov_b32 s4, 0x3fb8aa3b
	v_mul_f32_e32 v8, 0x3fb8aa3b, v6
	v_fma_f32 v9, v6, s4, -v8
	v_rndne_f32_e32 v17, v8
	v_fmac_f32_e32 v9, 0x32a5705f, v6
	v_sub_f32_e32 v8, v8, v17
	v_add_f32_e32 v8, v8, v9
	v_exp_f32_e32 v8, v8
	v_cvt_i32_f32_e32 v9, v17
	s_mov_b32 s4, 0xc2ce8ed0
	v_cmp_ngt_f32_e64 s[4:5], s4, v6
	v_mov_b32_e32 v17, 0x7f800000
	v_ldexp_f32 v8, v8, v9
	v_cndmask_b32_e64 v8, 0, v8, s[4:5]
	s_mov_b32 s4, 0x42b17218
	v_cmp_nlt_f32_e64 s[4:5], s4, v6
	v_cndmask_b32_e64 v8, v17, v8, s[4:5]
	v_mov_b32_e32 v9, 0
	v_mov_b32_e32 v17, v8
.LBB733_25:
	s_or_b64 exec, exec, s[18:19]
.LBB733_26:
	s_or_b64 exec, exec, s[6:7]
	v_mov_b32_e32 v6, 0
	s_and_saveexec_b64 s[6:7], s[16:17]
	s_cbranch_execz .LBB733_30
; %bb.27:
	global_load_ubyte v6, v[2:3], off offset:32
	s_waitcnt vmcnt(0)
	v_and_b32_e32 v6, 1, v6
	v_cmp_eq_u32_e64 s[4:5], 1, v6
	s_xor_b64 s[4:5], s[4:5], -1
	v_mov_b32_e32 v6, 0
	s_and_saveexec_b64 s[16:17], s[4:5]
	s_cbranch_execz .LBB733_29
; %bb.28:
	v_sub_f32_e32 v6, v12, v20
	s_mov_b32 s4, 0x3fb8aa3b
	v_mul_f32_e32 v12, 0x3fb8aa3b, v6
	v_fma_f32 v20, v6, s4, -v12
	v_rndne_f32_e32 v21, v12
	v_fmac_f32_e32 v20, 0x32a5705f, v6
	v_sub_f32_e32 v12, v12, v21
	v_add_f32_e32 v12, v12, v20
	v_exp_f32_e32 v12, v12
	v_cvt_i32_f32_e32 v20, v21
	s_mov_b32 s4, 0xc2ce8ed0
	v_cmp_ngt_f32_e64 s[4:5], s4, v6
	v_ldexp_f32 v12, v12, v20
	v_cndmask_b32_e64 v12, 0, v12, s[4:5]
	s_mov_b32 s4, 0x42b17218
	v_mov_b32_e32 v20, 0x7f800000
	v_cmp_nlt_f32_e64 s[4:5], s4, v6
	v_cndmask_b32_e64 v6, v20, v12, s[4:5]
	v_add_f32_e32 v8, v8, v6
.LBB733_29:
	s_or_b64 exec, exec, s[16:17]
.LBB733_30:
	s_or_b64 exec, exec, s[6:7]
	s_waitcnt lgkmcnt(0)
	v_cmp_lt_f32_e64 s[4:5], v18, v19
	v_cndmask_b32_e64 v18, v18, v19, s[4:5]
	s_and_saveexec_b64 s[6:7], s[14:15]
	s_cbranch_execz .LBB733_34
; %bb.31:
	s_ashr_i32 s4, s11, 31
	v_mov_b32_e32 v11, s4
	v_add_co_u32_e64 v20, s[4:5], s11, v2
	v_addc_co_u32_e64 v21, s[4:5], v3, v11, s[4:5]
	global_load_ubyte v11, v[20:21], off
	s_waitcnt vmcnt(0)
	v_and_b32_e32 v11, 1, v11
	v_cmp_eq_u32_e64 s[4:5], 1, v11
	s_xor_b64 s[4:5], s[4:5], -1
	v_mov_b32_e32 v11, 0
	s_and_saveexec_b64 s[14:15], s[4:5]
	s_cbranch_execz .LBB733_33
; %bb.32:
	v_sub_f32_e32 v5, v5, v18
	s_mov_b32 s4, 0x3fb8aa3b
	v_mul_f32_e32 v11, 0x3fb8aa3b, v5
	v_fma_f32 v12, v5, s4, -v11
	v_rndne_f32_e32 v19, v11
	v_fmac_f32_e32 v12, 0x32a5705f, v5
	v_sub_f32_e32 v11, v11, v19
	v_add_f32_e32 v11, v11, v12
	v_exp_f32_e32 v11, v11
	v_cvt_i32_f32_e32 v12, v19
	s_mov_b32 s4, 0xc2ce8ed0
	v_cmp_ngt_f32_e64 s[4:5], s4, v5
	v_ldexp_f32 v11, v11, v12
	v_cndmask_b32_e64 v11, 0, v11, s[4:5]
	s_mov_b32 s4, 0x42b17218
	v_mov_b32_e32 v12, 0x7f800000
	v_cmp_nlt_f32_e64 s[4:5], s4, v5
	v_cndmask_b32_e64 v11, v12, v11, s[4:5]
	v_add_f32_e32 v9, v9, v11
.LBB733_33:
	s_or_b64 exec, exec, s[14:15]
.LBB733_34:
	s_or_b64 exec, exec, s[6:7]
	v_mov_b32_e32 v12, 0
	s_and_saveexec_b64 s[6:7], s[8:9]
	s_cbranch_execz .LBB733_38
; %bb.35:
	s_ashr_i32 s4, s11, 31
	v_mov_b32_e32 v5, s4
	v_add_co_u32_e64 v2, s[4:5], s11, v2
	v_addc_co_u32_e64 v3, s[4:5], v3, v5, s[4:5]
	global_load_ubyte v2, v[2:3], off offset:32
	v_mov_b32_e32 v12, 0
	s_waitcnt vmcnt(0)
	v_and_b32_e32 v2, 1, v2
	v_cmp_eq_u32_e64 s[4:5], 1, v2
	s_xor_b64 s[4:5], s[4:5], -1
	s_and_saveexec_b64 s[8:9], s[4:5]
	s_cbranch_execz .LBB733_37
; %bb.36:
	v_sub_f32_e32 v2, v10, v18
	s_mov_b32 s4, 0x3fb8aa3b
	v_mul_f32_e32 v3, 0x3fb8aa3b, v2
	v_fma_f32 v5, v2, s4, -v3
	v_rndne_f32_e32 v10, v3
	v_fmac_f32_e32 v5, 0x32a5705f, v2
	v_sub_f32_e32 v3, v3, v10
	v_add_f32_e32 v3, v3, v5
	v_exp_f32_e32 v3, v3
	v_cvt_i32_f32_e32 v5, v10
	s_mov_b32 s4, 0xc2ce8ed0
	v_cmp_ngt_f32_e64 s[4:5], s4, v2
	v_ldexp_f32 v3, v3, v5
	v_cndmask_b32_e64 v3, 0, v3, s[4:5]
	s_mov_b32 s4, 0x42b17218
	v_mov_b32_e32 v5, 0x7f800000
	v_cmp_nlt_f32_e64 s[4:5], s4, v2
	v_cndmask_b32_e64 v12, v5, v3, s[4:5]
	v_add_f32_e32 v9, v9, v12
.LBB733_37:
	s_or_b64 exec, exec, s[8:9]
.LBB733_38:
	s_or_b64 exec, exec, s[6:7]
	ds_bpermute_b32 v2, v4, v8
	ds_bpermute_b32 v3, v4, v9
	s_waitcnt lgkmcnt(0)
	v_pk_add_f32 v[2:3], v[8:9], v[2:3]
	ds_bpermute_b32 v4, v13, v2
	ds_bpermute_b32 v5, v13, v3
	s_waitcnt lgkmcnt(0)
	v_pk_add_f32 v[2:3], v[2:3], v[4:5]
	;; [unrolled: 4-line block ×4, first 2 shown]
	ds_bpermute_b32 v4, v16, v2
	ds_bpermute_b32 v5, v16, v3
	s_and_saveexec_b64 s[4:5], vcc
	s_xor_b64 s[4:5], exec, s[4:5]
	s_cbranch_execz .LBB733_52
; %bb.39:
	s_waitcnt lgkmcnt(0)
	v_pk_add_f32 v[2:3], v[2:3], v[4:5]
	v_mov_b32_e32 v4, s13
	v_add_co_u32_e32 v0, vcc, s12, v0
	v_addc_co_u32_e32 v1, vcc, v4, v1, vcc
	s_and_saveexec_b64 s[6:7], s[2:3]
	s_cbranch_execz .LBB733_47
; %bb.40:
	v_cmp_neq_f32_e64 s[4:5], 0, v2
	v_mov_b32_e32 v4, 0x7e00
	s_and_saveexec_b64 s[8:9], s[4:5]
	s_cbranch_execz .LBB733_42
; %bb.41:
	v_div_scale_f32 v4, s[12:13], v2, v2, v17
	v_rcp_f32_e32 v5, v4
	v_div_scale_f32 v8, vcc, v17, v2, v17
	v_fma_f32 v9, -v4, v5, 1.0
	v_fmac_f32_e32 v5, v9, v5
	v_mul_f32_e32 v9, v8, v5
	v_fma_f32 v10, -v4, v9, v8
	v_fmac_f32_e32 v9, v10, v5
	v_fma_f32 v4, -v4, v9, v8
	v_div_fmas_f32 v4, v4, v5, v9
	v_div_fixup_f32 v4, v4, v2, v17
	v_cvt_f16_f32_e32 v4, v4
.LBB733_42:
	s_or_b64 exec, exec, s[8:9]
	global_store_short v[0:1], v4, off
	s_and_b64 exec, exec, s[0:1]
	s_cbranch_execz .LBB733_47
; %bb.43:
	s_and_saveexec_b64 s[8:9], s[4:5]
	s_xor_b64 s[4:5], exec, s[8:9]
	s_cbranch_execz .LBB733_45
; %bb.44:
	v_div_scale_f32 v4, s[8:9], v2, v2, v6
	v_rcp_f32_e32 v5, v4
	v_div_scale_f32 v8, vcc, v6, v2, v6
	v_fma_f32 v9, -v4, v5, 1.0
	v_fmac_f32_e32 v5, v9, v5
	v_mul_f32_e32 v9, v8, v5
	v_fma_f32 v10, -v4, v9, v8
	v_fmac_f32_e32 v9, v10, v5
	v_fma_f32 v4, -v4, v9, v8
	v_div_fmas_f32 v4, v4, v5, v9
	v_div_fixup_f32 v2, v4, v2, v6
	v_cvt_f16_f32_e32 v2, v2
	global_store_short v[0:1], v2, off offset:64
.LBB733_45:
	s_andn2_saveexec_b64 s[4:5], s[4:5]
	s_cbranch_execz .LBB733_47
; %bb.46:
	v_mov_b32_e32 v2, 0x7e00
	global_store_short v[0:1], v2, off offset:64
.LBB733_47:
	s_or_b64 exec, exec, s[6:7]
	v_cmp_ne_u32_e32 vcc, 1, v7
	s_and_saveexec_b64 s[4:5], vcc
	s_cbranch_execz .LBB733_52
; %bb.48:
	s_and_b64 exec, exec, s[2:3]
	s_cbranch_execz .LBB733_52
; %bb.49:
	s_mov_b32 s11, 0
	s_lshl_b64 s[4:5], s[10:11], 1
	v_mov_b32_e32 v2, s5
	v_add_co_u32_e32 v4, vcc, s4, v0
	v_cmp_neq_f32_e64 s[2:3], 0, v3
	v_addc_co_u32_e32 v5, vcc, v1, v2, vcc
	s_and_saveexec_b64 s[4:5], s[2:3]
	s_xor_b64 s[4:5], exec, s[4:5]
	s_cbranch_execnz .LBB733_53
; %bb.50:
	s_andn2_saveexec_b64 s[4:5], s[4:5]
	s_cbranch_execnz .LBB733_54
.LBB733_51:
	s_or_b64 exec, exec, s[4:5]
	s_and_b64 exec, exec, s[0:1]
	s_cbranch_execnz .LBB733_55
.LBB733_52:
	s_endpgm
.LBB733_53:
	v_div_scale_f32 v2, s[6:7], v3, v3, v11
	v_rcp_f32_e32 v6, v2
	v_div_scale_f32 v7, vcc, v11, v3, v11
	v_fma_f32 v8, -v2, v6, 1.0
	v_fmac_f32_e32 v6, v8, v6
	v_mul_f32_e32 v8, v7, v6
	v_fma_f32 v9, -v2, v8, v7
	v_fmac_f32_e32 v8, v9, v6
	v_fma_f32 v2, -v2, v8, v7
	v_div_fmas_f32 v2, v2, v6, v8
	v_div_fixup_f32 v2, v2, v3, v11
	v_cvt_f16_f32_e32 v2, v2
	global_store_short v[4:5], v2, off
                                        ; implicit-def: $vgpr4_vgpr5
	s_andn2_saveexec_b64 s[4:5], s[4:5]
	s_cbranch_execz .LBB733_51
.LBB733_54:
	v_mov_b32_e32 v2, 0x7e00
	global_store_short v[4:5], v2, off
	s_or_b64 exec, exec, s[4:5]
	s_and_b64 exec, exec, s[0:1]
	s_cbranch_execz .LBB733_52
.LBB733_55:
	s_ashr_i32 s11, s10, 31
	s_lshl_b64 s[0:1], s[10:11], 1
	v_mov_b32_e32 v2, s1
	v_add_co_u32_e32 v0, vcc, s0, v0
	v_addc_co_u32_e32 v1, vcc, v1, v2, vcc
	s_and_saveexec_b64 s[0:1], s[2:3]
	s_xor_b64 s[0:1], exec, s[0:1]
	s_cbranch_execz .LBB733_57
; %bb.56:
	v_div_scale_f32 v2, s[2:3], v3, v3, v12
	v_rcp_f32_e32 v4, v2
	v_div_scale_f32 v5, vcc, v12, v3, v12
	v_fma_f32 v6, -v2, v4, 1.0
	v_fmac_f32_e32 v4, v6, v4
	v_mul_f32_e32 v6, v5, v4
	v_fma_f32 v7, -v2, v6, v5
	v_fmac_f32_e32 v6, v7, v4
	v_fma_f32 v2, -v2, v6, v5
	v_div_fmas_f32 v2, v2, v4, v6
	v_div_fixup_f32 v2, v2, v3, v12
	v_cvt_f16_f32_e32 v2, v2
	global_store_short v[0:1], v2, off offset:64
                                        ; implicit-def: $vgpr0_vgpr1
.LBB733_57:
	s_andn2_saveexec_b64 s[0:1], s[0:1]
	s_cbranch_execz .LBB733_52
; %bb.58:
	v_mov_b32_e32 v2, 0x7e00
	global_store_short v[0:1], v2, off offset:64
	s_endpgm
	.section	.rodata,"a",@progbits
	.p2align	6, 0x0
	.amdhsa_kernel _ZN12_GLOBAL__N_120softmax_warp_forwardIN3c104HalfES2_fLi6ELb0ELb1ELi32EEEvPT0_PKT_iiiPKbib
		.amdhsa_group_segment_fixed_size 0
		.amdhsa_private_segment_fixed_size 0
		.amdhsa_kernarg_size 304
		.amdhsa_user_sgpr_count 6
		.amdhsa_user_sgpr_private_segment_buffer 1
		.amdhsa_user_sgpr_dispatch_ptr 0
		.amdhsa_user_sgpr_queue_ptr 0
		.amdhsa_user_sgpr_kernarg_segment_ptr 1
		.amdhsa_user_sgpr_dispatch_id 0
		.amdhsa_user_sgpr_flat_scratch_init 0
		.amdhsa_user_sgpr_kernarg_preload_length 0
		.amdhsa_user_sgpr_kernarg_preload_offset 0
		.amdhsa_user_sgpr_private_segment_size 0
		.amdhsa_uses_dynamic_stack 0
		.amdhsa_system_sgpr_private_segment_wavefront_offset 0
		.amdhsa_system_sgpr_workgroup_id_x 1
		.amdhsa_system_sgpr_workgroup_id_y 0
		.amdhsa_system_sgpr_workgroup_id_z 0
		.amdhsa_system_sgpr_workgroup_info 0
		.amdhsa_system_vgpr_workitem_id 1
		.amdhsa_next_free_vgpr 22
		.amdhsa_next_free_sgpr 28
		.amdhsa_accum_offset 24
		.amdhsa_reserve_vcc 1
		.amdhsa_reserve_flat_scratch 0
		.amdhsa_float_round_mode_32 0
		.amdhsa_float_round_mode_16_64 0
		.amdhsa_float_denorm_mode_32 3
		.amdhsa_float_denorm_mode_16_64 3
		.amdhsa_dx10_clamp 1
		.amdhsa_ieee_mode 1
		.amdhsa_fp16_overflow 0
		.amdhsa_tg_split 0
		.amdhsa_exception_fp_ieee_invalid_op 0
		.amdhsa_exception_fp_denorm_src 0
		.amdhsa_exception_fp_ieee_div_zero 0
		.amdhsa_exception_fp_ieee_overflow 0
		.amdhsa_exception_fp_ieee_underflow 0
		.amdhsa_exception_fp_ieee_inexact 0
		.amdhsa_exception_int_div_zero 0
	.end_amdhsa_kernel
	.section	.text._ZN12_GLOBAL__N_120softmax_warp_forwardIN3c104HalfES2_fLi6ELb0ELb1ELi32EEEvPT0_PKT_iiiPKbib,"axG",@progbits,_ZN12_GLOBAL__N_120softmax_warp_forwardIN3c104HalfES2_fLi6ELb0ELb1ELi32EEEvPT0_PKT_iiiPKbib,comdat
.Lfunc_end733:
	.size	_ZN12_GLOBAL__N_120softmax_warp_forwardIN3c104HalfES2_fLi6ELb0ELb1ELi32EEEvPT0_PKT_iiiPKbib, .Lfunc_end733-_ZN12_GLOBAL__N_120softmax_warp_forwardIN3c104HalfES2_fLi6ELb0ELb1ELi32EEEvPT0_PKT_iiiPKbib
                                        ; -- End function
	.section	.AMDGPU.csdata,"",@progbits
; Kernel info:
; codeLenInByte = 2956
; NumSgprs: 32
; NumVgprs: 22
; NumAgprs: 0
; TotalNumVgprs: 22
; ScratchSize: 0
; MemoryBound: 0
; FloatMode: 240
; IeeeMode: 1
; LDSByteSize: 0 bytes/workgroup (compile time only)
; SGPRBlocks: 3
; VGPRBlocks: 2
; NumSGPRsForWavesPerEU: 32
; NumVGPRsForWavesPerEU: 22
; AccumOffset: 24
; Occupancy: 8
; WaveLimiterHint : 0
; COMPUTE_PGM_RSRC2:SCRATCH_EN: 0
; COMPUTE_PGM_RSRC2:USER_SGPR: 6
; COMPUTE_PGM_RSRC2:TRAP_HANDLER: 0
; COMPUTE_PGM_RSRC2:TGID_X_EN: 1
; COMPUTE_PGM_RSRC2:TGID_Y_EN: 0
; COMPUTE_PGM_RSRC2:TGID_Z_EN: 0
; COMPUTE_PGM_RSRC2:TIDIG_COMP_CNT: 1
; COMPUTE_PGM_RSRC3_GFX90A:ACCUM_OFFSET: 5
; COMPUTE_PGM_RSRC3_GFX90A:TG_SPLIT: 0
	.section	.text._ZN12_GLOBAL__N_120softmax_warp_forwardIN3c104HalfES2_fLi7ELb0ELb1ELi64EEEvPT0_PKT_iiiPKbib,"axG",@progbits,_ZN12_GLOBAL__N_120softmax_warp_forwardIN3c104HalfES2_fLi7ELb0ELb1ELi64EEEvPT0_PKT_iiiPKbib,comdat
	.globl	_ZN12_GLOBAL__N_120softmax_warp_forwardIN3c104HalfES2_fLi7ELb0ELb1ELi64EEEvPT0_PKT_iiiPKbib ; -- Begin function _ZN12_GLOBAL__N_120softmax_warp_forwardIN3c104HalfES2_fLi7ELb0ELb1ELi64EEEvPT0_PKT_iiiPKbib
	.p2align	8
	.type	_ZN12_GLOBAL__N_120softmax_warp_forwardIN3c104HalfES2_fLi7ELb0ELb1ELi64EEEvPT0_PKT_iiiPKbib,@function
_ZN12_GLOBAL__N_120softmax_warp_forwardIN3c104HalfES2_fLi7ELb0ELb1ELi64EEEvPT0_PKT_iiiPKbib: ; @_ZN12_GLOBAL__N_120softmax_warp_forwardIN3c104HalfES2_fLi7ELb0ELb1ELi64EEEvPT0_PKT_iiiPKbib
; %bb.0:
	s_load_dwordx2 s[0:1], s[4:5], 0x28
	s_load_dword s2, s[4:5], 0x3c
	s_load_dwordx4 s[8:11], s[4:5], 0x10
	v_bfe_u32 v1, v0, 10, 10
	v_and_b32_e32 v4, 0x3ff, v0
	s_waitcnt lgkmcnt(0)
	s_bitcmp1_b32 s1, 0
	s_cselect_b64 s[20:21], -1, 0
	s_lshr_b32 s2, s2, 16
	s_mul_i32 s6, s6, s2
	v_add_lshl_u32 v5, s6, v1, 1
	v_mul_lo_u32 v6, v5, s9
	v_add_u32_e32 v0, v6, v4
	v_ashrrev_i32_e32 v1, 31, v0
	s_bitcmp0_b32 s1, 0
	v_pk_mov_b32 v[2:3], v[0:1], v[0:1] op_sel:[0,1]
	s_cbranch_scc1 .LBB734_2
; %bb.1:
	s_abs_i32 s1, s0
	v_cvt_f32_u32_e32 v2, s1
	v_xor_b32_e32 v3, s0, v6
	v_sub_u32_e32 v7, 0, v6
	s_sub_i32 s0, 0, s1
	v_rcp_iflag_f32_e32 v2, v2
	v_max_i32_e32 v6, v6, v7
	v_ashrrev_i32_e32 v3, 31, v3
	v_mul_f32_e32 v2, 0x4f7ffffe, v2
	v_cvt_u32_f32_e32 v2, v2
	v_mul_lo_u32 v7, s0, v2
	v_mul_hi_u32 v7, v2, v7
	v_add_u32_e32 v2, v2, v7
	v_mul_hi_u32 v2, v6, v2
	v_mul_lo_u32 v7, v2, s1
	v_sub_u32_e32 v6, v6, v7
	v_add_u32_e32 v8, 1, v2
	v_cmp_le_u32_e32 vcc, s1, v6
	v_subrev_u32_e32 v7, s1, v6
	v_cndmask_b32_e32 v2, v2, v8, vcc
	v_cndmask_b32_e32 v6, v6, v7, vcc
	v_add_u32_e32 v7, 1, v2
	v_cmp_le_u32_e32 vcc, s1, v6
	v_cndmask_b32_e32 v2, v2, v7, vcc
	v_xor_b32_e32 v2, v2, v3
	v_sub_u32_e32 v2, v2, v3
	v_mad_u64_u32 v[2:3], s[0:1], v2, s9, v[4:5]
	v_ashrrev_i32_e32 v3, 31, v2
.LBB734_2:
	s_load_dwordx4 s[12:15], s[4:5], 0x0
	v_lshlrev_b64 v[0:1], 1, v[0:1]
	v_sub_u32_e32 v7, s8, v5
	v_cmp_gt_i32_e64 s[2:3], s10, v4
	v_mov_b32_e32 v11, 0xff800000
	s_waitcnt lgkmcnt(0)
	v_mov_b32_e32 v5, s15
	v_add_co_u32_e32 v8, vcc, s14, v0
	v_addc_co_u32_e32 v9, vcc, v5, v1, vcc
	v_cmp_lt_i32_e32 vcc, 0, v7
	s_and_b64 s[18:19], vcc, s[2:3]
	v_mov_b32_e32 v6, 0xff800000
	s_and_saveexec_b64 s[0:1], s[18:19]
	s_cbranch_execz .LBB734_4
; %bb.3:
	global_load_ushort v5, v[8:9], off
	s_waitcnt vmcnt(0)
	v_cvt_f32_f16_e32 v6, v5
.LBB734_4:
	s_or_b64 exec, exec, s[0:1]
	v_add_u32_e32 v4, 64, v4
	v_cmp_gt_i32_e64 s[0:1], s10, v4
	s_and_b64 s[16:17], vcc, s[0:1]
	s_and_saveexec_b64 s[6:7], s[16:17]
	s_cbranch_execz .LBB734_6
; %bb.5:
	global_load_ushort v4, v[8:9], off offset:128
	s_waitcnt vmcnt(0)
	v_cvt_f32_f16_e32 v11, v4
.LBB734_6:
	s_or_b64 exec, exec, s[6:7]
	v_cmp_lt_i32_e64 s[6:7], 1, v7
	s_and_b64 s[14:15], s[6:7], s[2:3]
	v_mov_b32_e32 v10, 0xff800000
	v_mov_b32_e32 v5, 0xff800000
	s_and_saveexec_b64 s[22:23], s[14:15]
	s_cbranch_execz .LBB734_8
; %bb.7:
	s_mov_b32 s11, 0
	s_lshl_b64 s[8:9], s[10:11], 1
	v_mov_b32_e32 v5, s9
	v_add_co_u32_e64 v4, s[8:9], s8, v8
	v_addc_co_u32_e64 v5, s[8:9], v9, v5, s[8:9]
	global_load_ushort v4, v[4:5], off
	s_waitcnt vmcnt(0)
	v_cvt_f32_f16_e32 v5, v4
.LBB734_8:
	s_or_b64 exec, exec, s[22:23]
	s_and_b64 s[8:9], s[6:7], s[0:1]
	s_and_saveexec_b64 s[22:23], s[8:9]
	s_cbranch_execz .LBB734_10
; %bb.9:
	s_mov_b32 s11, 0
	s_lshl_b64 s[6:7], s[10:11], 1
	v_mov_b32_e32 v4, s7
	v_add_co_u32_e64 v8, s[6:7], s6, v8
	v_addc_co_u32_e64 v9, s[6:7], v9, v4, s[6:7]
	global_load_ushort v4, v[8:9], off offset:128
	s_waitcnt vmcnt(0)
	v_cvt_f32_f16_e32 v10, v4
.LBB734_10:
	s_or_b64 exec, exec, s[22:23]
	s_load_dwordx2 s[4:5], s[4:5], 0x20
	s_mov_b64 s[6:7], 0
	v_pk_mov_b32 v[8:9], v[6:7], v[6:7] op_sel:[0,1]
	s_waitcnt lgkmcnt(0)
	v_mov_b32_e32 v4, s5
	v_add_co_u32_e64 v2, s[4:5], s4, v2
	v_addc_co_u32_e64 v3, s[4:5], v4, v3, s[4:5]
	s_and_saveexec_b64 s[22:23], s[18:19]
	s_cbranch_execz .LBB734_12
; %bb.11:
	global_load_ubyte v4, v[2:3], off
	v_pk_mov_b32 v[8:9], v[6:7], v[6:7] op_sel:[0,1]
	s_waitcnt vmcnt(0)
	v_and_b32_e32 v4, 1, v4
	v_cmp_eq_u32_e64 s[4:5], 1, v4
	s_xor_b64 s[4:5], s[4:5], -1
	s_and_b64 s[6:7], s[4:5], exec
.LBB734_12:
	s_or_b64 exec, exec, s[22:23]
	s_and_saveexec_b64 s[22:23], s[16:17]
	s_cbranch_execz .LBB734_16
; %bb.13:
	global_load_ubyte v4, v[2:3], off offset:64
	s_waitcnt vmcnt(0)
	v_and_b32_e32 v4, 1, v4
	v_cmp_eq_u32_e64 s[4:5], 1, v4
	s_xor_b64 s[26:27], s[4:5], -1
	s_mov_b64 s[4:5], s[6:7]
	s_and_saveexec_b64 s[24:25], s[26:27]
; %bb.14:
	v_cmp_gt_f32_e64 s[4:5], v8, v11
	s_and_b64 s[4:5], s[6:7], s[4:5]
	v_cndmask_b32_e64 v8, v11, v8, s[4:5]
	s_or_b64 s[4:5], s[6:7], exec
; %bb.15:
	s_or_b64 exec, exec, s[24:25]
	s_andn2_b64 s[6:7], s[6:7], exec
	s_and_b64 s[4:5], s[4:5], exec
	s_or_b64 s[6:7], s[6:7], s[4:5]
.LBB734_16:
	s_or_b64 exec, exec, s[22:23]
	v_mov_b32_e32 v4, 0xff800000
	v_cndmask_b32_e64 v4, v4, v8, s[6:7]
	s_and_b64 s[4:5], s[20:21], exec
	s_cselect_b32 s11, 0, s10
	s_mov_b64 s[6:7], 0
	v_pk_mov_b32 v[8:9], v[4:5], v[4:5] op_sel:[0,1]
	s_and_saveexec_b64 s[20:21], s[14:15]
	s_cbranch_execz .LBB734_18
; %bb.17:
	s_ashr_i32 s4, s11, 31
	v_mov_b32_e32 v9, s4
	v_add_co_u32_e64 v8, s[4:5], s11, v2
	v_addc_co_u32_e64 v9, s[4:5], v3, v9, s[4:5]
	global_load_ubyte v8, v[8:9], off
	s_waitcnt vmcnt(0)
	v_and_b32_e32 v8, 1, v8
	v_cmp_eq_u32_e64 s[4:5], 1, v8
	s_xor_b64 s[4:5], s[4:5], -1
	s_and_b64 s[6:7], s[4:5], exec
	v_pk_mov_b32 v[8:9], v[4:5], v[4:5] op_sel:[0,1]
.LBB734_18:
	s_or_b64 exec, exec, s[20:21]
	s_and_saveexec_b64 s[20:21], s[8:9]
	s_cbranch_execz .LBB734_22
; %bb.19:
	s_ashr_i32 s4, s11, 31
	v_mov_b32_e32 v4, s4
	v_add_co_u32_e64 v12, s[4:5], s11, v2
	v_addc_co_u32_e64 v13, s[4:5], v3, v4, s[4:5]
	global_load_ubyte v4, v[12:13], off offset:64
	s_waitcnt vmcnt(0)
	v_and_b32_e32 v4, 1, v4
	v_cmp_eq_u32_e64 s[4:5], 1, v4
	s_xor_b64 s[24:25], s[4:5], -1
	s_mov_b64 s[4:5], s[6:7]
	s_and_saveexec_b64 s[22:23], s[24:25]
; %bb.20:
	v_cmp_gt_f32_e64 s[4:5], v9, v10
	s_and_b64 s[4:5], s[6:7], s[4:5]
	v_cndmask_b32_e64 v9, v10, v9, s[4:5]
	s_or_b64 s[4:5], s[6:7], exec
; %bb.21:
	s_or_b64 exec, exec, s[22:23]
	s_andn2_b64 s[6:7], s[6:7], exec
	s_and_b64 s[4:5], s[4:5], exec
	s_or_b64 s[6:7], s[6:7], s[4:5]
.LBB734_22:
	s_or_b64 exec, exec, s[20:21]
	v_mbcnt_lo_u32_b32 v4, -1, 0
	v_mbcnt_hi_u32_b32 v12, -1, v4
	v_and_b32_e32 v4, 64, v12
	v_add_u32_e32 v17, 64, v4
	v_xor_b32_e32 v4, 32, v12
	v_cmp_lt_i32_e64 s[4:5], v4, v17
	v_cndmask_b32_e64 v4, v12, v4, s[4:5]
	v_cndmask_b32_e64 v8, v8, v8, s[6:7]
	v_lshlrev_b32_e32 v4, 2, v4
	ds_bpermute_b32 v13, v4, v8
	v_mov_b32_e32 v14, 0xff800000
	v_cndmask_b32_e64 v9, v14, v9, s[6:7]
	ds_bpermute_b32 v14, v4, v9
	s_mov_b32 s20, 0
	s_waitcnt lgkmcnt(1)
	v_cmp_lt_f32_e64 s[4:5], v8, v13
	v_cndmask_b32_e64 v8, v8, v13, s[4:5]
	v_xor_b32_e32 v13, 16, v12
	v_cmp_lt_i32_e64 s[4:5], v13, v17
	v_cndmask_b32_e64 v13, v12, v13, s[4:5]
	v_lshlrev_b32_e32 v13, 2, v13
	ds_bpermute_b32 v15, v13, v8
	s_waitcnt lgkmcnt(1)
	v_cmp_lt_f32_e64 s[4:5], v9, v14
	v_cndmask_b32_e64 v9, v9, v14, s[4:5]
	v_xor_b32_e32 v14, 8, v12
	s_mov_b32 s21, s20
	s_waitcnt lgkmcnt(0)
	v_cmp_lt_f32_e64 s[4:5], v8, v15
	v_cndmask_b32_e64 v8, v8, v15, s[4:5]
	v_cmp_lt_i32_e64 s[4:5], v14, v17
	v_cndmask_b32_e64 v14, v12, v14, s[4:5]
	ds_bpermute_b32 v15, v13, v9
	v_lshlrev_b32_e32 v14, 2, v14
	ds_bpermute_b32 v16, v14, v8
	s_waitcnt lgkmcnt(1)
	v_cmp_lt_f32_e64 s[4:5], v9, v15
	v_cndmask_b32_e64 v9, v9, v15, s[4:5]
	s_waitcnt lgkmcnt(0)
	v_cmp_lt_f32_e64 s[4:5], v8, v16
	v_xor_b32_e32 v15, 4, v12
	v_cndmask_b32_e64 v8, v8, v16, s[4:5]
	v_cmp_lt_i32_e64 s[4:5], v15, v17
	v_cndmask_b32_e64 v15, v12, v15, s[4:5]
	ds_bpermute_b32 v16, v14, v9
	v_lshlrev_b32_e32 v15, 2, v15
	ds_bpermute_b32 v18, v15, v8
	s_waitcnt lgkmcnt(1)
	v_cmp_lt_f32_e64 s[4:5], v9, v16
	v_cndmask_b32_e64 v9, v9, v16, s[4:5]
	s_waitcnt lgkmcnt(0)
	v_cmp_lt_f32_e64 s[4:5], v8, v18
	v_xor_b32_e32 v16, 2, v12
	v_cndmask_b32_e64 v8, v8, v18, s[4:5]
	v_cmp_lt_i32_e64 s[4:5], v16, v17
	ds_bpermute_b32 v18, v15, v9
	v_cndmask_b32_e64 v16, v12, v16, s[4:5]
	v_lshlrev_b32_e32 v16, 2, v16
	ds_bpermute_b32 v19, v16, v8
	s_waitcnt lgkmcnt(1)
	v_cmp_lt_f32_e64 s[4:5], v9, v18
	v_cndmask_b32_e64 v9, v9, v18, s[4:5]
	ds_bpermute_b32 v18, v16, v9
	s_waitcnt lgkmcnt(1)
	v_cmp_lt_f32_e64 s[4:5], v8, v19
	v_cndmask_b32_e64 v8, v8, v19, s[4:5]
	v_xor_b32_e32 v19, 1, v12
	v_cmp_lt_i32_e64 s[4:5], v19, v17
	v_cndmask_b32_e64 v12, v12, v19, s[4:5]
	v_lshlrev_b32_e32 v17, 2, v12
	ds_bpermute_b32 v21, v17, v8
	s_waitcnt lgkmcnt(1)
	v_cmp_lt_f32_e64 s[4:5], v9, v18
	v_cndmask_b32_e64 v19, v9, v18, s[4:5]
	ds_bpermute_b32 v20, v17, v19
	v_mov_b32_e32 v12, 0
	s_waitcnt lgkmcnt(1)
	v_cmp_lt_f32_e64 s[4:5], v8, v21
	v_cndmask_b32_e64 v21, v8, v21, s[4:5]
	v_pk_mov_b32 v[8:9], s[20:21], s[20:21] op_sel:[0,1]
	v_mov_b32_e32 v18, 0
	s_and_saveexec_b64 s[6:7], s[18:19]
	s_cbranch_execz .LBB734_26
; %bb.23:
	global_load_ubyte v18, v[2:3], off
	v_pk_mov_b32 v[8:9], s[20:21], s[20:21] op_sel:[0,1]
	s_waitcnt vmcnt(0)
	v_and_b32_e32 v18, 1, v18
	v_cmp_eq_u32_e64 s[4:5], 1, v18
	s_xor_b64 s[4:5], s[4:5], -1
	v_mov_b32_e32 v18, 0
	s_and_saveexec_b64 s[18:19], s[4:5]
	s_cbranch_execz .LBB734_25
; %bb.24:
	v_sub_f32_e32 v6, v6, v21
	s_mov_b32 s4, 0x3fb8aa3b
	v_mul_f32_e32 v8, 0x3fb8aa3b, v6
	v_fma_f32 v9, v6, s4, -v8
	v_rndne_f32_e32 v18, v8
	v_fmac_f32_e32 v9, 0x32a5705f, v6
	v_sub_f32_e32 v8, v8, v18
	v_add_f32_e32 v8, v8, v9
	v_exp_f32_e32 v8, v8
	v_cvt_i32_f32_e32 v9, v18
	s_mov_b32 s4, 0xc2ce8ed0
	v_cmp_ngt_f32_e64 s[4:5], s4, v6
	v_mov_b32_e32 v18, 0x7f800000
	v_ldexp_f32 v8, v8, v9
	v_cndmask_b32_e64 v8, 0, v8, s[4:5]
	s_mov_b32 s4, 0x42b17218
	v_cmp_nlt_f32_e64 s[4:5], s4, v6
	v_cndmask_b32_e64 v8, v18, v8, s[4:5]
	v_mov_b32_e32 v9, 0
	v_mov_b32_e32 v18, v8
.LBB734_25:
	s_or_b64 exec, exec, s[18:19]
.LBB734_26:
	s_or_b64 exec, exec, s[6:7]
	v_mov_b32_e32 v6, 0
	s_and_saveexec_b64 s[6:7], s[16:17]
	s_cbranch_execz .LBB734_30
; %bb.27:
	global_load_ubyte v6, v[2:3], off offset:64
	s_waitcnt vmcnt(0)
	v_and_b32_e32 v6, 1, v6
	v_cmp_eq_u32_e64 s[4:5], 1, v6
	s_xor_b64 s[4:5], s[4:5], -1
	v_mov_b32_e32 v6, 0
	s_and_saveexec_b64 s[16:17], s[4:5]
	s_cbranch_execz .LBB734_29
; %bb.28:
	v_sub_f32_e32 v6, v11, v21
	s_mov_b32 s4, 0x3fb8aa3b
	v_mul_f32_e32 v11, 0x3fb8aa3b, v6
	v_fma_f32 v21, v6, s4, -v11
	v_rndne_f32_e32 v22, v11
	v_fmac_f32_e32 v21, 0x32a5705f, v6
	v_sub_f32_e32 v11, v11, v22
	v_add_f32_e32 v11, v11, v21
	v_exp_f32_e32 v11, v11
	v_cvt_i32_f32_e32 v21, v22
	s_mov_b32 s4, 0xc2ce8ed0
	v_cmp_ngt_f32_e64 s[4:5], s4, v6
	v_ldexp_f32 v11, v11, v21
	v_cndmask_b32_e64 v11, 0, v11, s[4:5]
	s_mov_b32 s4, 0x42b17218
	v_mov_b32_e32 v21, 0x7f800000
	v_cmp_nlt_f32_e64 s[4:5], s4, v6
	v_cndmask_b32_e64 v6, v21, v11, s[4:5]
	v_add_f32_e32 v8, v8, v6
.LBB734_29:
	s_or_b64 exec, exec, s[16:17]
.LBB734_30:
	s_or_b64 exec, exec, s[6:7]
	s_waitcnt lgkmcnt(0)
	v_cmp_lt_f32_e64 s[4:5], v19, v20
	v_cndmask_b32_e64 v19, v19, v20, s[4:5]
	s_and_saveexec_b64 s[6:7], s[14:15]
	s_cbranch_execz .LBB734_34
; %bb.31:
	s_ashr_i32 s4, s11, 31
	v_mov_b32_e32 v11, s4
	v_add_co_u32_e64 v20, s[4:5], s11, v2
	v_addc_co_u32_e64 v21, s[4:5], v3, v11, s[4:5]
	global_load_ubyte v11, v[20:21], off
	v_mov_b32_e32 v12, 0
	s_waitcnt vmcnt(0)
	v_and_b32_e32 v11, 1, v11
	v_cmp_eq_u32_e64 s[4:5], 1, v11
	s_xor_b64 s[4:5], s[4:5], -1
	s_and_saveexec_b64 s[14:15], s[4:5]
	s_cbranch_execz .LBB734_33
; %bb.32:
	v_sub_f32_e32 v5, v5, v19
	s_mov_b32 s4, 0x3fb8aa3b
	v_mul_f32_e32 v11, 0x3fb8aa3b, v5
	v_fma_f32 v12, v5, s4, -v11
	v_rndne_f32_e32 v20, v11
	v_fmac_f32_e32 v12, 0x32a5705f, v5
	v_sub_f32_e32 v11, v11, v20
	v_add_f32_e32 v11, v11, v12
	v_exp_f32_e32 v11, v11
	v_cvt_i32_f32_e32 v12, v20
	s_mov_b32 s4, 0xc2ce8ed0
	v_cmp_ngt_f32_e64 s[4:5], s4, v5
	v_ldexp_f32 v11, v11, v12
	v_cndmask_b32_e64 v11, 0, v11, s[4:5]
	s_mov_b32 s4, 0x42b17218
	v_mov_b32_e32 v12, 0x7f800000
	v_cmp_nlt_f32_e64 s[4:5], s4, v5
	v_cndmask_b32_e64 v12, v12, v11, s[4:5]
	v_add_f32_e32 v9, v9, v12
.LBB734_33:
	s_or_b64 exec, exec, s[14:15]
.LBB734_34:
	s_or_b64 exec, exec, s[6:7]
	v_mov_b32_e32 v11, 0
	s_and_saveexec_b64 s[6:7], s[8:9]
	s_cbranch_execz .LBB734_38
; %bb.35:
	s_ashr_i32 s4, s11, 31
	v_mov_b32_e32 v5, s4
	v_add_co_u32_e64 v2, s[4:5], s11, v2
	v_addc_co_u32_e64 v3, s[4:5], v3, v5, s[4:5]
	global_load_ubyte v2, v[2:3], off offset:64
	v_mov_b32_e32 v11, 0
	s_waitcnt vmcnt(0)
	v_and_b32_e32 v2, 1, v2
	v_cmp_eq_u32_e64 s[4:5], 1, v2
	s_xor_b64 s[4:5], s[4:5], -1
	s_and_saveexec_b64 s[8:9], s[4:5]
	s_cbranch_execz .LBB734_37
; %bb.36:
	v_sub_f32_e32 v2, v10, v19
	s_mov_b32 s4, 0x3fb8aa3b
	v_mul_f32_e32 v3, 0x3fb8aa3b, v2
	v_fma_f32 v5, v2, s4, -v3
	v_rndne_f32_e32 v10, v3
	v_fmac_f32_e32 v5, 0x32a5705f, v2
	v_sub_f32_e32 v3, v3, v10
	v_add_f32_e32 v3, v3, v5
	v_exp_f32_e32 v3, v3
	v_cvt_i32_f32_e32 v5, v10
	s_mov_b32 s4, 0xc2ce8ed0
	v_cmp_ngt_f32_e64 s[4:5], s4, v2
	v_ldexp_f32 v3, v3, v5
	v_cndmask_b32_e64 v3, 0, v3, s[4:5]
	s_mov_b32 s4, 0x42b17218
	v_mov_b32_e32 v5, 0x7f800000
	v_cmp_nlt_f32_e64 s[4:5], s4, v2
	v_cndmask_b32_e64 v11, v5, v3, s[4:5]
	v_add_f32_e32 v9, v9, v11
.LBB734_37:
	s_or_b64 exec, exec, s[8:9]
.LBB734_38:
	s_or_b64 exec, exec, s[6:7]
	ds_bpermute_b32 v2, v4, v8
	ds_bpermute_b32 v3, v4, v9
	s_waitcnt lgkmcnt(0)
	v_pk_add_f32 v[2:3], v[8:9], v[2:3]
	ds_bpermute_b32 v4, v13, v2
	ds_bpermute_b32 v5, v13, v3
	s_waitcnt lgkmcnt(0)
	v_pk_add_f32 v[2:3], v[2:3], v[4:5]
	;; [unrolled: 4-line block ×5, first 2 shown]
	ds_bpermute_b32 v4, v17, v2
	ds_bpermute_b32 v5, v17, v3
	s_and_saveexec_b64 s[4:5], vcc
	s_xor_b64 s[4:5], exec, s[4:5]
	s_cbranch_execz .LBB734_52
; %bb.39:
	s_waitcnt lgkmcnt(0)
	v_pk_add_f32 v[2:3], v[2:3], v[4:5]
	v_mov_b32_e32 v4, s13
	v_add_co_u32_e32 v0, vcc, s12, v0
	v_addc_co_u32_e32 v1, vcc, v4, v1, vcc
	s_and_saveexec_b64 s[6:7], s[2:3]
	s_cbranch_execz .LBB734_47
; %bb.40:
	v_cmp_neq_f32_e64 s[4:5], 0, v2
	v_mov_b32_e32 v4, 0x7e00
	s_and_saveexec_b64 s[8:9], s[4:5]
	s_cbranch_execz .LBB734_42
; %bb.41:
	v_div_scale_f32 v4, s[12:13], v2, v2, v18
	v_rcp_f32_e32 v5, v4
	v_div_scale_f32 v8, vcc, v18, v2, v18
	v_fma_f32 v9, -v4, v5, 1.0
	v_fmac_f32_e32 v5, v9, v5
	v_mul_f32_e32 v9, v8, v5
	v_fma_f32 v10, -v4, v9, v8
	v_fmac_f32_e32 v9, v10, v5
	v_fma_f32 v4, -v4, v9, v8
	v_div_fmas_f32 v4, v4, v5, v9
	v_div_fixup_f32 v4, v4, v2, v18
	v_cvt_f16_f32_e32 v4, v4
.LBB734_42:
	s_or_b64 exec, exec, s[8:9]
	global_store_short v[0:1], v4, off
	s_and_b64 exec, exec, s[0:1]
	s_cbranch_execz .LBB734_47
; %bb.43:
	s_and_saveexec_b64 s[8:9], s[4:5]
	s_xor_b64 s[4:5], exec, s[8:9]
	s_cbranch_execz .LBB734_45
; %bb.44:
	v_div_scale_f32 v4, s[8:9], v2, v2, v6
	v_rcp_f32_e32 v5, v4
	v_div_scale_f32 v8, vcc, v6, v2, v6
	v_fma_f32 v9, -v4, v5, 1.0
	v_fmac_f32_e32 v5, v9, v5
	v_mul_f32_e32 v9, v8, v5
	v_fma_f32 v10, -v4, v9, v8
	v_fmac_f32_e32 v9, v10, v5
	v_fma_f32 v4, -v4, v9, v8
	v_div_fmas_f32 v4, v4, v5, v9
	v_div_fixup_f32 v2, v4, v2, v6
	v_cvt_f16_f32_e32 v2, v2
	global_store_short v[0:1], v2, off offset:128
.LBB734_45:
	s_andn2_saveexec_b64 s[4:5], s[4:5]
	s_cbranch_execz .LBB734_47
; %bb.46:
	v_mov_b32_e32 v2, 0x7e00
	global_store_short v[0:1], v2, off offset:128
.LBB734_47:
	s_or_b64 exec, exec, s[6:7]
	v_cmp_ne_u32_e32 vcc, 1, v7
	s_and_saveexec_b64 s[4:5], vcc
	s_cbranch_execz .LBB734_52
; %bb.48:
	s_and_b64 exec, exec, s[2:3]
	s_cbranch_execz .LBB734_52
; %bb.49:
	s_mov_b32 s11, 0
	s_lshl_b64 s[4:5], s[10:11], 1
	v_mov_b32_e32 v2, s5
	v_add_co_u32_e32 v4, vcc, s4, v0
	v_cmp_neq_f32_e64 s[2:3], 0, v3
	v_addc_co_u32_e32 v5, vcc, v1, v2, vcc
	s_and_saveexec_b64 s[4:5], s[2:3]
	s_xor_b64 s[4:5], exec, s[4:5]
	s_cbranch_execnz .LBB734_53
; %bb.50:
	s_andn2_saveexec_b64 s[4:5], s[4:5]
	s_cbranch_execnz .LBB734_54
.LBB734_51:
	s_or_b64 exec, exec, s[4:5]
	s_and_b64 exec, exec, s[0:1]
	s_cbranch_execnz .LBB734_55
.LBB734_52:
	s_endpgm
.LBB734_53:
	v_div_scale_f32 v2, s[6:7], v3, v3, v12
	v_rcp_f32_e32 v6, v2
	v_div_scale_f32 v7, vcc, v12, v3, v12
	v_fma_f32 v8, -v2, v6, 1.0
	v_fmac_f32_e32 v6, v8, v6
	v_mul_f32_e32 v8, v7, v6
	v_fma_f32 v9, -v2, v8, v7
	v_fmac_f32_e32 v8, v9, v6
	v_fma_f32 v2, -v2, v8, v7
	v_div_fmas_f32 v2, v2, v6, v8
	v_div_fixup_f32 v2, v2, v3, v12
	v_cvt_f16_f32_e32 v2, v2
	global_store_short v[4:5], v2, off
                                        ; implicit-def: $vgpr4_vgpr5
	s_andn2_saveexec_b64 s[4:5], s[4:5]
	s_cbranch_execz .LBB734_51
.LBB734_54:
	v_mov_b32_e32 v2, 0x7e00
	global_store_short v[4:5], v2, off
	s_or_b64 exec, exec, s[4:5]
	s_and_b64 exec, exec, s[0:1]
	s_cbranch_execz .LBB734_52
.LBB734_55:
	s_ashr_i32 s11, s10, 31
	s_lshl_b64 s[0:1], s[10:11], 1
	v_mov_b32_e32 v2, s1
	v_add_co_u32_e32 v0, vcc, s0, v0
	v_addc_co_u32_e32 v1, vcc, v1, v2, vcc
	s_and_saveexec_b64 s[0:1], s[2:3]
	s_xor_b64 s[0:1], exec, s[0:1]
	s_cbranch_execz .LBB734_57
; %bb.56:
	v_div_scale_f32 v2, s[2:3], v3, v3, v11
	v_rcp_f32_e32 v4, v2
	v_div_scale_f32 v5, vcc, v11, v3, v11
	v_fma_f32 v6, -v2, v4, 1.0
	v_fmac_f32_e32 v4, v6, v4
	v_mul_f32_e32 v6, v5, v4
	v_fma_f32 v7, -v2, v6, v5
	v_fmac_f32_e32 v6, v7, v4
	v_fma_f32 v2, -v2, v6, v5
	v_div_fmas_f32 v2, v2, v4, v6
	v_div_fixup_f32 v2, v2, v3, v11
	v_cvt_f16_f32_e32 v2, v2
	global_store_short v[0:1], v2, off offset:128
                                        ; implicit-def: $vgpr0_vgpr1
.LBB734_57:
	s_andn2_saveexec_b64 s[0:1], s[0:1]
	s_cbranch_execz .LBB734_52
; %bb.58:
	v_mov_b32_e32 v2, 0x7e00
	global_store_short v[0:1], v2, off offset:128
	s_endpgm
	.section	.rodata,"a",@progbits
	.p2align	6, 0x0
	.amdhsa_kernel _ZN12_GLOBAL__N_120softmax_warp_forwardIN3c104HalfES2_fLi7ELb0ELb1ELi64EEEvPT0_PKT_iiiPKbib
		.amdhsa_group_segment_fixed_size 0
		.amdhsa_private_segment_fixed_size 0
		.amdhsa_kernarg_size 304
		.amdhsa_user_sgpr_count 6
		.amdhsa_user_sgpr_private_segment_buffer 1
		.amdhsa_user_sgpr_dispatch_ptr 0
		.amdhsa_user_sgpr_queue_ptr 0
		.amdhsa_user_sgpr_kernarg_segment_ptr 1
		.amdhsa_user_sgpr_dispatch_id 0
		.amdhsa_user_sgpr_flat_scratch_init 0
		.amdhsa_user_sgpr_kernarg_preload_length 0
		.amdhsa_user_sgpr_kernarg_preload_offset 0
		.amdhsa_user_sgpr_private_segment_size 0
		.amdhsa_uses_dynamic_stack 0
		.amdhsa_system_sgpr_private_segment_wavefront_offset 0
		.amdhsa_system_sgpr_workgroup_id_x 1
		.amdhsa_system_sgpr_workgroup_id_y 0
		.amdhsa_system_sgpr_workgroup_id_z 0
		.amdhsa_system_sgpr_workgroup_info 0
		.amdhsa_system_vgpr_workitem_id 1
		.amdhsa_next_free_vgpr 23
		.amdhsa_next_free_sgpr 28
		.amdhsa_accum_offset 24
		.amdhsa_reserve_vcc 1
		.amdhsa_reserve_flat_scratch 0
		.amdhsa_float_round_mode_32 0
		.amdhsa_float_round_mode_16_64 0
		.amdhsa_float_denorm_mode_32 3
		.amdhsa_float_denorm_mode_16_64 3
		.amdhsa_dx10_clamp 1
		.amdhsa_ieee_mode 1
		.amdhsa_fp16_overflow 0
		.amdhsa_tg_split 0
		.amdhsa_exception_fp_ieee_invalid_op 0
		.amdhsa_exception_fp_denorm_src 0
		.amdhsa_exception_fp_ieee_div_zero 0
		.amdhsa_exception_fp_ieee_overflow 0
		.amdhsa_exception_fp_ieee_underflow 0
		.amdhsa_exception_fp_ieee_inexact 0
		.amdhsa_exception_int_div_zero 0
	.end_amdhsa_kernel
	.section	.text._ZN12_GLOBAL__N_120softmax_warp_forwardIN3c104HalfES2_fLi7ELb0ELb1ELi64EEEvPT0_PKT_iiiPKbib,"axG",@progbits,_ZN12_GLOBAL__N_120softmax_warp_forwardIN3c104HalfES2_fLi7ELb0ELb1ELi64EEEvPT0_PKT_iiiPKbib,comdat
.Lfunc_end734:
	.size	_ZN12_GLOBAL__N_120softmax_warp_forwardIN3c104HalfES2_fLi7ELb0ELb1ELi64EEEvPT0_PKT_iiiPKbib, .Lfunc_end734-_ZN12_GLOBAL__N_120softmax_warp_forwardIN3c104HalfES2_fLi7ELb0ELb1ELi64EEEvPT0_PKT_iiiPKbib
                                        ; -- End function
	.section	.AMDGPU.csdata,"",@progbits
; Kernel info:
; codeLenInByte = 3060
; NumSgprs: 32
; NumVgprs: 23
; NumAgprs: 0
; TotalNumVgprs: 23
; ScratchSize: 0
; MemoryBound: 0
; FloatMode: 240
; IeeeMode: 1
; LDSByteSize: 0 bytes/workgroup (compile time only)
; SGPRBlocks: 3
; VGPRBlocks: 2
; NumSGPRsForWavesPerEU: 32
; NumVGPRsForWavesPerEU: 23
; AccumOffset: 24
; Occupancy: 8
; WaveLimiterHint : 0
; COMPUTE_PGM_RSRC2:SCRATCH_EN: 0
; COMPUTE_PGM_RSRC2:USER_SGPR: 6
; COMPUTE_PGM_RSRC2:TRAP_HANDLER: 0
; COMPUTE_PGM_RSRC2:TGID_X_EN: 1
; COMPUTE_PGM_RSRC2:TGID_Y_EN: 0
; COMPUTE_PGM_RSRC2:TGID_Z_EN: 0
; COMPUTE_PGM_RSRC2:TIDIG_COMP_CNT: 1
; COMPUTE_PGM_RSRC3_GFX90A:ACCUM_OFFSET: 5
; COMPUTE_PGM_RSRC3_GFX90A:TG_SPLIT: 0
	.section	.text._ZN12_GLOBAL__N_120softmax_warp_forwardIN3c104HalfES2_fLi7ELb0ELb1ELi32EEEvPT0_PKT_iiiPKbib,"axG",@progbits,_ZN12_GLOBAL__N_120softmax_warp_forwardIN3c104HalfES2_fLi7ELb0ELb1ELi32EEEvPT0_PKT_iiiPKbib,comdat
	.globl	_ZN12_GLOBAL__N_120softmax_warp_forwardIN3c104HalfES2_fLi7ELb0ELb1ELi32EEEvPT0_PKT_iiiPKbib ; -- Begin function _ZN12_GLOBAL__N_120softmax_warp_forwardIN3c104HalfES2_fLi7ELb0ELb1ELi32EEEvPT0_PKT_iiiPKbib
	.p2align	8
	.type	_ZN12_GLOBAL__N_120softmax_warp_forwardIN3c104HalfES2_fLi7ELb0ELb1ELi32EEEvPT0_PKT_iiiPKbib,@function
_ZN12_GLOBAL__N_120softmax_warp_forwardIN3c104HalfES2_fLi7ELb0ELb1ELi32EEEvPT0_PKT_iiiPKbib: ; @_ZN12_GLOBAL__N_120softmax_warp_forwardIN3c104HalfES2_fLi7ELb0ELb1ELi32EEEvPT0_PKT_iiiPKbib
; %bb.0:
	s_load_dwordx2 s[0:1], s[4:5], 0x28
	s_load_dword s2, s[4:5], 0x3c
	s_load_dwordx4 s[12:15], s[4:5], 0x10
	v_bfe_u32 v1, v0, 10, 10
	v_and_b32_e32 v4, 0x3ff, v0
	s_waitcnt lgkmcnt(0)
	s_bitcmp1_b32 s1, 0
	s_cselect_b64 s[34:35], -1, 0
	s_lshr_b32 s2, s2, 16
	s_mul_i32 s6, s6, s2
	v_add_lshl_u32 v5, s6, v1, 1
	v_mul_lo_u32 v6, v5, s13
	v_add_u32_e32 v0, v6, v4
	v_ashrrev_i32_e32 v1, 31, v0
	s_bitcmp0_b32 s1, 0
	v_pk_mov_b32 v[2:3], v[0:1], v[0:1] op_sel:[0,1]
	s_cbranch_scc1 .LBB735_2
; %bb.1:
	s_abs_i32 s1, s0
	v_cvt_f32_u32_e32 v2, s1
	v_xor_b32_e32 v3, s0, v6
	v_sub_u32_e32 v7, 0, v6
	s_sub_i32 s0, 0, s1
	v_rcp_iflag_f32_e32 v2, v2
	v_max_i32_e32 v6, v6, v7
	v_ashrrev_i32_e32 v3, 31, v3
	v_mul_f32_e32 v2, 0x4f7ffffe, v2
	v_cvt_u32_f32_e32 v2, v2
	v_mul_lo_u32 v7, s0, v2
	v_mul_hi_u32 v7, v2, v7
	v_add_u32_e32 v2, v2, v7
	v_mul_hi_u32 v2, v6, v2
	v_mul_lo_u32 v7, v2, s1
	v_sub_u32_e32 v6, v6, v7
	v_add_u32_e32 v8, 1, v2
	v_cmp_le_u32_e32 vcc, s1, v6
	v_subrev_u32_e32 v7, s1, v6
	v_cndmask_b32_e32 v2, v2, v8, vcc
	v_cndmask_b32_e32 v6, v6, v7, vcc
	v_add_u32_e32 v7, 1, v2
	v_cmp_le_u32_e32 vcc, s1, v6
	v_cndmask_b32_e32 v2, v2, v7, vcc
	v_xor_b32_e32 v2, v2, v3
	v_sub_u32_e32 v2, v2, v3
	v_mad_u64_u32 v[2:3], s[0:1], v2, s13, v[4:5]
	v_ashrrev_i32_e32 v3, 31, v2
.LBB735_2:
	s_load_dwordx4 s[16:19], s[4:5], 0x0
	v_lshlrev_b64 v[0:1], 1, v[0:1]
	v_sub_u32_e32 v7, s12, v5
	v_cmp_gt_i32_e64 s[6:7], s14, v4
	v_mov_b32_e32 v15, 0xff800000
	s_waitcnt lgkmcnt(0)
	v_mov_b32_e32 v5, s19
	v_add_co_u32_e32 v8, vcc, s18, v0
	v_addc_co_u32_e32 v9, vcc, v5, v1, vcc
	v_cmp_lt_i32_e32 vcc, 0, v7
	s_and_b64 s[30:31], vcc, s[6:7]
	v_mov_b32_e32 v6, 0xff800000
	s_and_saveexec_b64 s[0:1], s[30:31]
	s_cbranch_execz .LBB735_4
; %bb.3:
	global_load_ushort v5, v[8:9], off
	s_waitcnt vmcnt(0)
	v_cvt_f32_f16_e32 v6, v5
.LBB735_4:
	s_or_b64 exec, exec, s[0:1]
	v_add_u32_e32 v5, 32, v4
	v_cmp_gt_i32_e64 s[8:9], s14, v5
	s_and_b64 s[28:29], vcc, s[8:9]
	s_and_saveexec_b64 s[0:1], s[28:29]
	s_cbranch_execz .LBB735_6
; %bb.5:
	global_load_ushort v5, v[8:9], off offset:64
	s_waitcnt vmcnt(0)
	v_cvt_f32_f16_e32 v15, v5
.LBB735_6:
	s_or_b64 exec, exec, s[0:1]
	v_add_u32_e32 v5, 64, v4
	v_cmp_gt_i32_e64 s[2:3], s14, v5
	s_and_b64 s[26:27], vcc, s[2:3]
	v_mov_b32_e32 v13, 0xff800000
	v_mov_b32_e32 v14, 0xff800000
	s_and_saveexec_b64 s[0:1], s[26:27]
	s_cbranch_execz .LBB735_8
; %bb.7:
	global_load_ushort v5, v[8:9], off offset:128
	s_waitcnt vmcnt(0)
	v_cvt_f32_f16_e32 v14, v5
.LBB735_8:
	s_or_b64 exec, exec, s[0:1]
	v_add_u32_e32 v4, 0x60, v4
	v_cmp_gt_i32_e64 s[0:1], s14, v4
	s_and_b64 s[24:25], vcc, s[0:1]
	s_and_saveexec_b64 s[10:11], s[24:25]
	s_cbranch_execz .LBB735_10
; %bb.9:
	global_load_ushort v4, v[8:9], off offset:192
	s_waitcnt vmcnt(0)
	v_cvt_f32_f16_e32 v13, v4
.LBB735_10:
	s_or_b64 exec, exec, s[10:11]
	v_cmp_lt_i32_e64 s[10:11], 1, v7
	s_and_b64 s[22:23], s[10:11], s[6:7]
	v_mov_b32_e32 v12, 0xff800000
	v_mov_b32_e32 v5, 0xff800000
	s_and_saveexec_b64 s[18:19], s[22:23]
	s_cbranch_execz .LBB735_12
; %bb.11:
	s_mov_b32 s15, 0
	s_lshl_b64 s[12:13], s[14:15], 1
	v_mov_b32_e32 v5, s13
	v_add_co_u32_e64 v4, s[12:13], s12, v8
	v_addc_co_u32_e64 v5, s[12:13], v9, v5, s[12:13]
	global_load_ushort v4, v[4:5], off
	s_waitcnt vmcnt(0)
	v_cvt_f32_f16_e32 v5, v4
.LBB735_12:
	s_or_b64 exec, exec, s[18:19]
	s_and_b64 s[20:21], s[10:11], s[8:9]
	s_and_saveexec_b64 s[18:19], s[20:21]
	s_cbranch_execz .LBB735_14
; %bb.13:
	s_mov_b32 s15, 0
	s_lshl_b64 s[12:13], s[14:15], 1
	v_mov_b32_e32 v4, s13
	v_add_co_u32_e64 v10, s[12:13], s12, v8
	v_addc_co_u32_e64 v11, s[12:13], v9, v4, s[12:13]
	global_load_ushort v4, v[10:11], off offset:64
	s_waitcnt vmcnt(0)
	v_cvt_f32_f16_e32 v12, v4
.LBB735_14:
	s_or_b64 exec, exec, s[18:19]
	s_and_b64 s[18:19], s[10:11], s[2:3]
	v_mov_b32_e32 v10, 0xff800000
	v_mov_b32_e32 v11, 0xff800000
	s_and_saveexec_b64 s[36:37], s[18:19]
	s_cbranch_execz .LBB735_16
; %bb.15:
	s_mov_b32 s15, 0
	s_lshl_b64 s[12:13], s[14:15], 1
	v_mov_b32_e32 v4, s13
	v_add_co_u32_e64 v16, s[12:13], s12, v8
	v_addc_co_u32_e64 v17, s[12:13], v9, v4, s[12:13]
	global_load_ushort v4, v[16:17], off offset:128
	s_waitcnt vmcnt(0)
	v_cvt_f32_f16_e32 v11, v4
.LBB735_16:
	s_or_b64 exec, exec, s[36:37]
	s_and_b64 s[12:13], s[10:11], s[0:1]
	s_and_saveexec_b64 s[36:37], s[12:13]
	s_cbranch_execz .LBB735_18
; %bb.17:
	s_mov_b32 s15, 0
	s_lshl_b64 s[10:11], s[14:15], 1
	v_mov_b32_e32 v4, s11
	v_add_co_u32_e64 v8, s[10:11], s10, v8
	v_addc_co_u32_e64 v9, s[10:11], v9, v4, s[10:11]
	global_load_ushort v4, v[8:9], off offset:192
	s_waitcnt vmcnt(0)
	v_cvt_f32_f16_e32 v10, v4
.LBB735_18:
	s_or_b64 exec, exec, s[36:37]
	s_load_dwordx2 s[4:5], s[4:5], 0x20
	s_mov_b64 s[10:11], 0
	v_pk_mov_b32 v[8:9], v[6:7], v[6:7] op_sel:[0,1]
	s_waitcnt lgkmcnt(0)
	v_mov_b32_e32 v4, s5
	v_add_co_u32_e64 v2, s[4:5], s4, v2
	v_addc_co_u32_e64 v3, s[4:5], v4, v3, s[4:5]
	s_and_saveexec_b64 s[36:37], s[30:31]
	s_cbranch_execnz .LBB735_22
; %bb.19:
	s_or_b64 exec, exec, s[36:37]
	s_and_saveexec_b64 s[36:37], s[28:29]
	s_cbranch_execnz .LBB735_23
.LBB735_20:
	s_or_b64 exec, exec, s[36:37]
	s_and_saveexec_b64 s[36:37], s[26:27]
	s_cbranch_execnz .LBB735_26
.LBB735_21:
	s_or_b64 exec, exec, s[36:37]
	s_and_saveexec_b64 s[36:37], s[24:25]
	s_cbranch_execnz .LBB735_29
	s_branch .LBB735_32
.LBB735_22:
	global_load_ubyte v4, v[2:3], off
	v_pk_mov_b32 v[8:9], v[6:7], v[6:7] op_sel:[0,1]
	s_waitcnt vmcnt(0)
	v_and_b32_e32 v4, 1, v4
	v_cmp_eq_u32_e64 s[4:5], 1, v4
	s_xor_b64 s[4:5], s[4:5], -1
	s_and_b64 s[10:11], s[4:5], exec
	s_or_b64 exec, exec, s[36:37]
	s_and_saveexec_b64 s[36:37], s[28:29]
	s_cbranch_execz .LBB735_20
.LBB735_23:
	global_load_ubyte v4, v[2:3], off offset:32
	s_waitcnt vmcnt(0)
	v_and_b32_e32 v4, 1, v4
	v_cmp_eq_u32_e64 s[4:5], 1, v4
	s_xor_b64 s[40:41], s[4:5], -1
	s_mov_b64 s[4:5], s[10:11]
	s_and_saveexec_b64 s[38:39], s[40:41]
; %bb.24:
	v_cmp_gt_f32_e64 s[4:5], v8, v15
	s_and_b64 s[4:5], s[10:11], s[4:5]
	v_cndmask_b32_e64 v8, v15, v8, s[4:5]
	s_or_b64 s[4:5], s[10:11], exec
; %bb.25:
	s_or_b64 exec, exec, s[38:39]
	s_andn2_b64 s[10:11], s[10:11], exec
	s_and_b64 s[4:5], s[4:5], exec
	s_or_b64 s[10:11], s[10:11], s[4:5]
	s_or_b64 exec, exec, s[36:37]
	s_and_saveexec_b64 s[36:37], s[26:27]
	s_cbranch_execz .LBB735_21
.LBB735_26:
	global_load_ubyte v4, v[2:3], off offset:64
	s_waitcnt vmcnt(0)
	v_and_b32_e32 v4, 1, v4
	v_cmp_eq_u32_e64 s[4:5], 1, v4
	s_xor_b64 s[40:41], s[4:5], -1
	s_mov_b64 s[4:5], s[10:11]
	s_and_saveexec_b64 s[38:39], s[40:41]
; %bb.27:
	v_cmp_gt_f32_e64 s[4:5], v8, v14
	s_and_b64 s[4:5], s[10:11], s[4:5]
	v_cndmask_b32_e64 v8, v14, v8, s[4:5]
	s_or_b64 s[4:5], s[10:11], exec
; %bb.28:
	s_or_b64 exec, exec, s[38:39]
	s_andn2_b64 s[10:11], s[10:11], exec
	s_and_b64 s[4:5], s[4:5], exec
	s_or_b64 s[10:11], s[10:11], s[4:5]
	s_or_b64 exec, exec, s[36:37]
	s_and_saveexec_b64 s[36:37], s[24:25]
	s_cbranch_execz .LBB735_32
.LBB735_29:
	global_load_ubyte v4, v[2:3], off offset:96
	s_waitcnt vmcnt(0)
	v_and_b32_e32 v4, 1, v4
	v_cmp_eq_u32_e64 s[4:5], 1, v4
	s_xor_b64 s[40:41], s[4:5], -1
	s_mov_b64 s[4:5], s[10:11]
	s_and_saveexec_b64 s[38:39], s[40:41]
; %bb.30:
	v_cmp_gt_f32_e64 s[4:5], v8, v13
	s_and_b64 s[4:5], s[10:11], s[4:5]
	v_cndmask_b32_e64 v8, v13, v8, s[4:5]
	s_or_b64 s[4:5], s[10:11], exec
; %bb.31:
	s_or_b64 exec, exec, s[38:39]
	s_andn2_b64 s[10:11], s[10:11], exec
	s_and_b64 s[4:5], s[4:5], exec
	s_or_b64 s[10:11], s[10:11], s[4:5]
.LBB735_32:
	s_or_b64 exec, exec, s[36:37]
	v_mov_b32_e32 v4, 0xff800000
	v_cndmask_b32_e64 v4, v4, v8, s[10:11]
	s_and_b64 s[4:5], s[34:35], exec
	s_cselect_b32 s15, 0, s14
	s_mov_b64 s[10:11], 0
	v_pk_mov_b32 v[8:9], v[4:5], v[4:5] op_sel:[0,1]
	s_and_saveexec_b64 s[34:35], s[22:23]
	s_cbranch_execnz .LBB735_36
; %bb.33:
	s_or_b64 exec, exec, s[34:35]
	s_and_saveexec_b64 s[34:35], s[20:21]
	s_cbranch_execnz .LBB735_37
.LBB735_34:
	s_or_b64 exec, exec, s[34:35]
	s_and_saveexec_b64 s[34:35], s[18:19]
	s_cbranch_execnz .LBB735_40
.LBB735_35:
	s_or_b64 exec, exec, s[34:35]
	s_and_saveexec_b64 s[34:35], s[12:13]
	s_cbranch_execnz .LBB735_43
	s_branch .LBB735_46
.LBB735_36:
	s_ashr_i32 s4, s15, 31
	v_mov_b32_e32 v9, s4
	v_add_co_u32_e64 v8, s[4:5], s15, v2
	v_addc_co_u32_e64 v9, s[4:5], v3, v9, s[4:5]
	global_load_ubyte v8, v[8:9], off
	s_waitcnt vmcnt(0)
	v_and_b32_e32 v8, 1, v8
	v_cmp_eq_u32_e64 s[4:5], 1, v8
	s_xor_b64 s[4:5], s[4:5], -1
	s_and_b64 s[10:11], s[4:5], exec
	v_pk_mov_b32 v[8:9], v[4:5], v[4:5] op_sel:[0,1]
	s_or_b64 exec, exec, s[34:35]
	s_and_saveexec_b64 s[34:35], s[20:21]
	s_cbranch_execz .LBB735_34
.LBB735_37:
	s_ashr_i32 s4, s15, 31
	v_mov_b32_e32 v4, s4
	v_add_co_u32_e64 v16, s[4:5], s15, v2
	v_addc_co_u32_e64 v17, s[4:5], v3, v4, s[4:5]
	global_load_ubyte v4, v[16:17], off offset:32
	s_waitcnt vmcnt(0)
	v_and_b32_e32 v4, 1, v4
	v_cmp_eq_u32_e64 s[4:5], 1, v4
	s_xor_b64 s[38:39], s[4:5], -1
	s_mov_b64 s[4:5], s[10:11]
	s_and_saveexec_b64 s[36:37], s[38:39]
; %bb.38:
	v_cmp_gt_f32_e64 s[4:5], v9, v12
	s_and_b64 s[4:5], s[10:11], s[4:5]
	v_cndmask_b32_e64 v9, v12, v9, s[4:5]
	s_or_b64 s[4:5], s[10:11], exec
; %bb.39:
	s_or_b64 exec, exec, s[36:37]
	s_andn2_b64 s[10:11], s[10:11], exec
	s_and_b64 s[4:5], s[4:5], exec
	s_or_b64 s[10:11], s[10:11], s[4:5]
	s_or_b64 exec, exec, s[34:35]
	s_and_saveexec_b64 s[34:35], s[18:19]
	s_cbranch_execz .LBB735_35
.LBB735_40:
	s_ashr_i32 s4, s15, 31
	v_mov_b32_e32 v4, s4
	v_add_co_u32_e64 v16, s[4:5], s15, v2
	v_addc_co_u32_e64 v17, s[4:5], v3, v4, s[4:5]
	global_load_ubyte v4, v[16:17], off offset:64
	s_waitcnt vmcnt(0)
	v_and_b32_e32 v4, 1, v4
	v_cmp_eq_u32_e64 s[4:5], 1, v4
	s_xor_b64 s[38:39], s[4:5], -1
	s_mov_b64 s[4:5], s[10:11]
	s_and_saveexec_b64 s[36:37], s[38:39]
; %bb.41:
	v_cmp_gt_f32_e64 s[4:5], v9, v11
	s_and_b64 s[4:5], s[10:11], s[4:5]
	v_cndmask_b32_e64 v9, v11, v9, s[4:5]
	s_or_b64 s[4:5], s[10:11], exec
; %bb.42:
	s_or_b64 exec, exec, s[36:37]
	s_andn2_b64 s[10:11], s[10:11], exec
	s_and_b64 s[4:5], s[4:5], exec
	s_or_b64 s[10:11], s[10:11], s[4:5]
	s_or_b64 exec, exec, s[34:35]
	s_and_saveexec_b64 s[34:35], s[12:13]
	s_cbranch_execz .LBB735_46
.LBB735_43:
	s_ashr_i32 s4, s15, 31
	v_mov_b32_e32 v4, s4
	v_add_co_u32_e64 v16, s[4:5], s15, v2
	v_addc_co_u32_e64 v17, s[4:5], v3, v4, s[4:5]
	global_load_ubyte v4, v[16:17], off offset:96
	s_waitcnt vmcnt(0)
	v_and_b32_e32 v4, 1, v4
	v_cmp_eq_u32_e64 s[4:5], 1, v4
	s_xor_b64 s[38:39], s[4:5], -1
	s_mov_b64 s[4:5], s[10:11]
	s_and_saveexec_b64 s[36:37], s[38:39]
; %bb.44:
	v_cmp_gt_f32_e64 s[4:5], v9, v10
	s_and_b64 s[4:5], s[10:11], s[4:5]
	v_cndmask_b32_e64 v9, v10, v9, s[4:5]
	s_or_b64 s[4:5], s[10:11], exec
; %bb.45:
	s_or_b64 exec, exec, s[36:37]
	s_andn2_b64 s[10:11], s[10:11], exec
	s_and_b64 s[4:5], s[4:5], exec
	s_or_b64 s[10:11], s[10:11], s[4:5]
.LBB735_46:
	s_or_b64 exec, exec, s[34:35]
	v_mbcnt_lo_u32_b32 v4, -1, 0
	v_mbcnt_hi_u32_b32 v16, -1, v4
	v_and_b32_e32 v4, 0x60, v16
	v_add_u32_e32 v20, 32, v4
	v_xor_b32_e32 v4, 16, v16
	v_cmp_lt_i32_e64 s[4:5], v4, v20
	v_cndmask_b32_e64 v4, v16, v4, s[4:5]
	v_cndmask_b32_e64 v8, v8, v8, s[10:11]
	v_lshlrev_b32_e32 v4, 2, v4
	ds_bpermute_b32 v17, v4, v8
	v_mov_b32_e32 v18, 0xff800000
	v_cndmask_b32_e64 v9, v18, v9, s[10:11]
	ds_bpermute_b32 v18, v4, v9
	s_mov_b32 s34, 0
	s_waitcnt lgkmcnt(1)
	v_cmp_lt_f32_e64 s[4:5], v8, v17
	v_cndmask_b32_e64 v8, v8, v17, s[4:5]
	v_xor_b32_e32 v17, 8, v16
	v_cmp_lt_i32_e64 s[4:5], v17, v20
	v_cndmask_b32_e64 v17, v16, v17, s[4:5]
	v_lshlrev_b32_e32 v17, 2, v17
	ds_bpermute_b32 v19, v17, v8
	s_waitcnt lgkmcnt(1)
	v_cmp_lt_f32_e64 s[4:5], v9, v18
	v_cndmask_b32_e64 v9, v9, v18, s[4:5]
	v_xor_b32_e32 v18, 4, v16
	s_mov_b32 s35, s34
	s_waitcnt lgkmcnt(0)
	v_cmp_lt_f32_e64 s[4:5], v8, v19
	v_cndmask_b32_e64 v8, v8, v19, s[4:5]
	v_cmp_lt_i32_e64 s[4:5], v18, v20
	v_cndmask_b32_e64 v18, v16, v18, s[4:5]
	ds_bpermute_b32 v19, v17, v9
	v_lshlrev_b32_e32 v18, 2, v18
	ds_bpermute_b32 v21, v18, v8
	s_waitcnt lgkmcnt(1)
	v_cmp_lt_f32_e64 s[4:5], v9, v19
	v_cndmask_b32_e64 v9, v9, v19, s[4:5]
	s_waitcnt lgkmcnt(0)
	v_cmp_lt_f32_e64 s[4:5], v8, v21
	v_xor_b32_e32 v19, 2, v16
	v_cndmask_b32_e64 v8, v8, v21, s[4:5]
	v_cmp_lt_i32_e64 s[4:5], v19, v20
	ds_bpermute_b32 v21, v18, v9
	v_cndmask_b32_e64 v19, v16, v19, s[4:5]
	v_lshlrev_b32_e32 v19, 2, v19
	ds_bpermute_b32 v22, v19, v8
	s_waitcnt lgkmcnt(1)
	v_cmp_lt_f32_e64 s[4:5], v9, v21
	v_cndmask_b32_e64 v9, v9, v21, s[4:5]
	ds_bpermute_b32 v21, v19, v9
	s_waitcnt lgkmcnt(1)
	v_cmp_lt_f32_e64 s[4:5], v8, v22
	v_cndmask_b32_e64 v8, v8, v22, s[4:5]
	v_xor_b32_e32 v22, 1, v16
	v_cmp_lt_i32_e64 s[4:5], v22, v20
	v_cndmask_b32_e64 v16, v16, v22, s[4:5]
	v_lshlrev_b32_e32 v20, 2, v16
	ds_bpermute_b32 v22, v20, v8
	s_waitcnt lgkmcnt(1)
	v_cmp_lt_f32_e64 s[4:5], v9, v21
	v_cndmask_b32_e64 v23, v9, v21, s[4:5]
	ds_bpermute_b32 v24, v20, v23
	v_mov_b32_e32 v16, 0
	s_waitcnt lgkmcnt(1)
	v_cmp_lt_f32_e64 s[4:5], v8, v22
	v_cndmask_b32_e64 v25, v8, v22, s[4:5]
	v_pk_mov_b32 v[8:9], s[34:35], s[34:35] op_sel:[0,1]
	v_mov_b32_e32 v21, 0
	s_and_saveexec_b64 s[10:11], s[30:31]
	s_cbranch_execnz .LBB735_49
; %bb.47:
	s_or_b64 exec, exec, s[10:11]
	v_mov_b32_e32 v22, 0
	s_and_saveexec_b64 s[10:11], s[28:29]
	s_cbranch_execnz .LBB735_52
.LBB735_48:
	s_or_b64 exec, exec, s[10:11]
	s_and_saveexec_b64 s[10:11], s[26:27]
	s_cbranch_execnz .LBB735_55
	s_branch .LBB735_58
.LBB735_49:
	global_load_ubyte v21, v[2:3], off
	v_pk_mov_b32 v[8:9], s[34:35], s[34:35] op_sel:[0,1]
	s_waitcnt vmcnt(0)
	v_and_b32_e32 v21, 1, v21
	v_cmp_eq_u32_e64 s[4:5], 1, v21
	s_xor_b64 s[4:5], s[4:5], -1
	v_mov_b32_e32 v21, 0
	s_and_saveexec_b64 s[30:31], s[4:5]
	s_cbranch_execz .LBB735_51
; %bb.50:
	v_sub_f32_e32 v6, v6, v25
	s_mov_b32 s4, 0x3fb8aa3b
	v_mul_f32_e32 v8, 0x3fb8aa3b, v6
	v_fma_f32 v9, v6, s4, -v8
	v_rndne_f32_e32 v21, v8
	v_fmac_f32_e32 v9, 0x32a5705f, v6
	v_sub_f32_e32 v8, v8, v21
	v_add_f32_e32 v8, v8, v9
	v_exp_f32_e32 v8, v8
	v_cvt_i32_f32_e32 v9, v21
	s_mov_b32 s4, 0xc2ce8ed0
	v_cmp_ngt_f32_e64 s[4:5], s4, v6
	v_mov_b32_e32 v21, 0x7f800000
	v_ldexp_f32 v8, v8, v9
	v_cndmask_b32_e64 v8, 0, v8, s[4:5]
	s_mov_b32 s4, 0x42b17218
	v_cmp_nlt_f32_e64 s[4:5], s4, v6
	v_cndmask_b32_e64 v8, v21, v8, s[4:5]
	v_mov_b32_e32 v9, 0
	v_mov_b32_e32 v21, v8
.LBB735_51:
	s_or_b64 exec, exec, s[30:31]
	s_or_b64 exec, exec, s[10:11]
	v_mov_b32_e32 v22, 0
	s_and_saveexec_b64 s[10:11], s[28:29]
	s_cbranch_execz .LBB735_48
.LBB735_52:
	global_load_ubyte v6, v[2:3], off offset:32
	v_mov_b32_e32 v22, 0
	s_waitcnt vmcnt(0)
	v_and_b32_e32 v6, 1, v6
	v_cmp_eq_u32_e64 s[4:5], 1, v6
	s_xor_b64 s[4:5], s[4:5], -1
	s_and_saveexec_b64 s[28:29], s[4:5]
	s_cbranch_execz .LBB735_54
; %bb.53:
	v_sub_f32_e32 v6, v15, v25
	s_mov_b32 s4, 0x3fb8aa3b
	v_mul_f32_e32 v15, 0x3fb8aa3b, v6
	v_fma_f32 v22, v6, s4, -v15
	v_rndne_f32_e32 v26, v15
	v_fmac_f32_e32 v22, 0x32a5705f, v6
	v_sub_f32_e32 v15, v15, v26
	v_add_f32_e32 v15, v15, v22
	v_exp_f32_e32 v15, v15
	v_cvt_i32_f32_e32 v22, v26
	s_mov_b32 s4, 0xc2ce8ed0
	v_cmp_ngt_f32_e64 s[4:5], s4, v6
	v_ldexp_f32 v15, v15, v22
	v_cndmask_b32_e64 v15, 0, v15, s[4:5]
	s_mov_b32 s4, 0x42b17218
	v_mov_b32_e32 v22, 0x7f800000
	v_cmp_nlt_f32_e64 s[4:5], s4, v6
	v_cndmask_b32_e64 v22, v22, v15, s[4:5]
	v_add_f32_e32 v8, v8, v22
.LBB735_54:
	s_or_b64 exec, exec, s[28:29]
	s_or_b64 exec, exec, s[10:11]
	s_and_saveexec_b64 s[10:11], s[26:27]
	s_cbranch_execz .LBB735_58
.LBB735_55:
	global_load_ubyte v6, v[2:3], off offset:64
	v_mov_b32_e32 v16, 0
	s_waitcnt vmcnt(0)
	v_and_b32_e32 v6, 1, v6
	v_cmp_eq_u32_e64 s[4:5], 1, v6
	s_xor_b64 s[4:5], s[4:5], -1
	s_and_saveexec_b64 s[26:27], s[4:5]
	s_cbranch_execz .LBB735_57
; %bb.56:
	v_sub_f32_e32 v6, v14, v25
	s_mov_b32 s4, 0x3fb8aa3b
	v_mul_f32_e32 v14, 0x3fb8aa3b, v6
	v_fma_f32 v15, v6, s4, -v14
	v_rndne_f32_e32 v16, v14
	v_fmac_f32_e32 v15, 0x32a5705f, v6
	v_sub_f32_e32 v14, v14, v16
	v_add_f32_e32 v14, v14, v15
	v_exp_f32_e32 v14, v14
	v_cvt_i32_f32_e32 v15, v16
	s_mov_b32 s4, 0xc2ce8ed0
	v_cmp_ngt_f32_e64 s[4:5], s4, v6
	v_ldexp_f32 v14, v14, v15
	v_cndmask_b32_e64 v14, 0, v14, s[4:5]
	s_mov_b32 s4, 0x42b17218
	v_mov_b32_e32 v15, 0x7f800000
	v_cmp_nlt_f32_e64 s[4:5], s4, v6
	v_cndmask_b32_e64 v16, v15, v14, s[4:5]
	v_add_f32_e32 v8, v8, v16
.LBB735_57:
	s_or_b64 exec, exec, s[26:27]
.LBB735_58:
	s_or_b64 exec, exec, s[10:11]
	v_mov_b32_e32 v6, 0
	v_mov_b32_e32 v14, 0
	s_and_saveexec_b64 s[10:11], s[24:25]
	s_cbranch_execz .LBB735_62
; %bb.59:
	global_load_ubyte v14, v[2:3], off offset:96
	s_waitcnt vmcnt(0)
	v_and_b32_e32 v14, 1, v14
	v_cmp_eq_u32_e64 s[4:5], 1, v14
	s_xor_b64 s[4:5], s[4:5], -1
	v_mov_b32_e32 v14, 0
	s_and_saveexec_b64 s[24:25], s[4:5]
	s_cbranch_execz .LBB735_61
; %bb.60:
	v_sub_f32_e32 v13, v13, v25
	s_mov_b32 s4, 0x3fb8aa3b
	v_mul_f32_e32 v14, 0x3fb8aa3b, v13
	v_fma_f32 v15, v13, s4, -v14
	v_rndne_f32_e32 v25, v14
	v_fmac_f32_e32 v15, 0x32a5705f, v13
	v_sub_f32_e32 v14, v14, v25
	v_add_f32_e32 v14, v14, v15
	v_exp_f32_e32 v14, v14
	v_cvt_i32_f32_e32 v15, v25
	s_mov_b32 s4, 0xc2ce8ed0
	v_cmp_ngt_f32_e64 s[4:5], s4, v13
	v_ldexp_f32 v14, v14, v15
	v_cndmask_b32_e64 v14, 0, v14, s[4:5]
	s_mov_b32 s4, 0x42b17218
	v_mov_b32_e32 v15, 0x7f800000
	v_cmp_nlt_f32_e64 s[4:5], s4, v13
	v_cndmask_b32_e64 v14, v15, v14, s[4:5]
	v_add_f32_e32 v8, v8, v14
.LBB735_61:
	s_or_b64 exec, exec, s[24:25]
.LBB735_62:
	s_or_b64 exec, exec, s[10:11]
	s_waitcnt lgkmcnt(0)
	v_cmp_lt_f32_e64 s[4:5], v23, v24
	v_cndmask_b32_e64 v23, v23, v24, s[4:5]
	s_and_saveexec_b64 s[10:11], s[22:23]
	s_cbranch_execz .LBB735_66
; %bb.63:
	s_ashr_i32 s4, s15, 31
	v_mov_b32_e32 v6, s4
	v_add_co_u32_e64 v24, s[4:5], s15, v2
	v_addc_co_u32_e64 v25, s[4:5], v3, v6, s[4:5]
	global_load_ubyte v6, v[24:25], off
	s_waitcnt vmcnt(0)
	v_and_b32_e32 v6, 1, v6
	v_cmp_eq_u32_e64 s[4:5], 1, v6
	s_xor_b64 s[4:5], s[4:5], -1
	v_mov_b32_e32 v6, 0
	s_and_saveexec_b64 s[22:23], s[4:5]
	s_cbranch_execz .LBB735_65
; %bb.64:
	v_sub_f32_e32 v5, v5, v23
	s_mov_b32 s4, 0x3fb8aa3b
	v_mul_f32_e32 v6, 0x3fb8aa3b, v5
	v_fma_f32 v13, v5, s4, -v6
	v_rndne_f32_e32 v15, v6
	v_fmac_f32_e32 v13, 0x32a5705f, v5
	v_sub_f32_e32 v6, v6, v15
	v_add_f32_e32 v6, v6, v13
	v_exp_f32_e32 v6, v6
	v_cvt_i32_f32_e32 v13, v15
	s_mov_b32 s4, 0xc2ce8ed0
	v_cmp_ngt_f32_e64 s[4:5], s4, v5
	v_ldexp_f32 v6, v6, v13
	v_cndmask_b32_e64 v6, 0, v6, s[4:5]
	s_mov_b32 s4, 0x42b17218
	v_mov_b32_e32 v13, 0x7f800000
	v_cmp_nlt_f32_e64 s[4:5], s4, v5
	v_cndmask_b32_e64 v6, v13, v6, s[4:5]
	v_add_f32_e32 v9, v9, v6
.LBB735_65:
	s_or_b64 exec, exec, s[22:23]
.LBB735_66:
	s_or_b64 exec, exec, s[10:11]
	v_mov_b32_e32 v13, 0
	v_mov_b32_e32 v15, 0
	s_and_saveexec_b64 s[10:11], s[20:21]
	s_cbranch_execnz .LBB735_69
; %bb.67:
	s_or_b64 exec, exec, s[10:11]
	s_and_saveexec_b64 s[10:11], s[18:19]
	s_cbranch_execnz .LBB735_72
.LBB735_68:
	s_or_b64 exec, exec, s[10:11]
	v_mov_b32_e32 v11, 0
	s_and_saveexec_b64 s[10:11], s[12:13]
	s_cbranch_execnz .LBB735_75
	s_branch .LBB735_78
.LBB735_69:
	s_ashr_i32 s4, s15, 31
	v_mov_b32_e32 v5, s4
	v_add_co_u32_e64 v24, s[4:5], s15, v2
	v_addc_co_u32_e64 v25, s[4:5], v3, v5, s[4:5]
	global_load_ubyte v5, v[24:25], off offset:32
	v_mov_b32_e32 v15, 0
	s_waitcnt vmcnt(0)
	v_and_b32_e32 v5, 1, v5
	v_cmp_eq_u32_e64 s[4:5], 1, v5
	s_xor_b64 s[4:5], s[4:5], -1
	s_and_saveexec_b64 s[20:21], s[4:5]
	s_cbranch_execz .LBB735_71
; %bb.70:
	v_sub_f32_e32 v5, v12, v23
	s_mov_b32 s4, 0x3fb8aa3b
	v_mul_f32_e32 v12, 0x3fb8aa3b, v5
	v_fma_f32 v15, v5, s4, -v12
	v_rndne_f32_e32 v24, v12
	v_fmac_f32_e32 v15, 0x32a5705f, v5
	v_sub_f32_e32 v12, v12, v24
	v_add_f32_e32 v12, v12, v15
	v_exp_f32_e32 v12, v12
	v_cvt_i32_f32_e32 v15, v24
	s_mov_b32 s4, 0xc2ce8ed0
	v_cmp_ngt_f32_e64 s[4:5], s4, v5
	v_ldexp_f32 v12, v12, v15
	v_cndmask_b32_e64 v12, 0, v12, s[4:5]
	s_mov_b32 s4, 0x42b17218
	v_mov_b32_e32 v15, 0x7f800000
	v_cmp_nlt_f32_e64 s[4:5], s4, v5
	v_cndmask_b32_e64 v15, v15, v12, s[4:5]
	v_add_f32_e32 v9, v9, v15
.LBB735_71:
	s_or_b64 exec, exec, s[20:21]
	s_or_b64 exec, exec, s[10:11]
	s_and_saveexec_b64 s[10:11], s[18:19]
	s_cbranch_execz .LBB735_68
.LBB735_72:
	s_ashr_i32 s4, s15, 31
	v_mov_b32_e32 v5, s4
	v_add_co_u32_e64 v12, s[4:5], s15, v2
	v_addc_co_u32_e64 v13, s[4:5], v3, v5, s[4:5]
	global_load_ubyte v5, v[12:13], off offset:64
	v_mov_b32_e32 v13, 0
	s_waitcnt vmcnt(0)
	v_and_b32_e32 v5, 1, v5
	v_cmp_eq_u32_e64 s[4:5], 1, v5
	s_xor_b64 s[4:5], s[4:5], -1
	s_and_saveexec_b64 s[18:19], s[4:5]
	s_cbranch_execz .LBB735_74
; %bb.73:
	v_sub_f32_e32 v5, v11, v23
	s_mov_b32 s4, 0x3fb8aa3b
	v_mul_f32_e32 v11, 0x3fb8aa3b, v5
	v_fma_f32 v12, v5, s4, -v11
	v_rndne_f32_e32 v13, v11
	v_fmac_f32_e32 v12, 0x32a5705f, v5
	v_sub_f32_e32 v11, v11, v13
	v_add_f32_e32 v11, v11, v12
	v_exp_f32_e32 v11, v11
	v_cvt_i32_f32_e32 v12, v13
	s_mov_b32 s4, 0xc2ce8ed0
	v_cmp_ngt_f32_e64 s[4:5], s4, v5
	v_ldexp_f32 v11, v11, v12
	v_cndmask_b32_e64 v11, 0, v11, s[4:5]
	s_mov_b32 s4, 0x42b17218
	v_mov_b32_e32 v12, 0x7f800000
	v_cmp_nlt_f32_e64 s[4:5], s4, v5
	v_cndmask_b32_e64 v13, v12, v11, s[4:5]
	v_add_f32_e32 v9, v9, v13
.LBB735_74:
	s_or_b64 exec, exec, s[18:19]
	s_or_b64 exec, exec, s[10:11]
	v_mov_b32_e32 v11, 0
	s_and_saveexec_b64 s[10:11], s[12:13]
	s_cbranch_execz .LBB735_78
.LBB735_75:
	s_ashr_i32 s4, s15, 31
	v_mov_b32_e32 v5, s4
	v_add_co_u32_e64 v2, s[4:5], s15, v2
	v_addc_co_u32_e64 v3, s[4:5], v3, v5, s[4:5]
	global_load_ubyte v2, v[2:3], off offset:96
	v_mov_b32_e32 v11, 0
	s_waitcnt vmcnt(0)
	v_and_b32_e32 v2, 1, v2
	v_cmp_eq_u32_e64 s[4:5], 1, v2
	s_xor_b64 s[4:5], s[4:5], -1
	s_and_saveexec_b64 s[12:13], s[4:5]
	s_cbranch_execz .LBB735_77
; %bb.76:
	v_sub_f32_e32 v2, v10, v23
	s_mov_b32 s4, 0x3fb8aa3b
	v_mul_f32_e32 v3, 0x3fb8aa3b, v2
	v_fma_f32 v5, v2, s4, -v3
	v_rndne_f32_e32 v10, v3
	v_fmac_f32_e32 v5, 0x32a5705f, v2
	v_sub_f32_e32 v3, v3, v10
	v_add_f32_e32 v3, v3, v5
	v_exp_f32_e32 v3, v3
	v_cvt_i32_f32_e32 v5, v10
	s_mov_b32 s4, 0xc2ce8ed0
	v_cmp_ngt_f32_e64 s[4:5], s4, v2
	v_ldexp_f32 v3, v3, v5
	v_cndmask_b32_e64 v3, 0, v3, s[4:5]
	s_mov_b32 s4, 0x42b17218
	v_mov_b32_e32 v5, 0x7f800000
	v_cmp_nlt_f32_e64 s[4:5], s4, v2
	v_cndmask_b32_e64 v11, v5, v3, s[4:5]
	v_add_f32_e32 v9, v9, v11
.LBB735_77:
	s_or_b64 exec, exec, s[12:13]
.LBB735_78:
	s_or_b64 exec, exec, s[10:11]
	ds_bpermute_b32 v2, v4, v8
	ds_bpermute_b32 v3, v4, v9
	s_waitcnt lgkmcnt(0)
	v_pk_add_f32 v[2:3], v[8:9], v[2:3]
	ds_bpermute_b32 v4, v17, v2
	ds_bpermute_b32 v5, v17, v3
	s_waitcnt lgkmcnt(0)
	v_pk_add_f32 v[2:3], v[2:3], v[4:5]
	;; [unrolled: 4-line block ×4, first 2 shown]
	ds_bpermute_b32 v4, v20, v2
	ds_bpermute_b32 v5, v20, v3
	s_and_saveexec_b64 s[4:5], vcc
	s_xor_b64 s[4:5], exec, s[4:5]
	s_cbranch_execz .LBB735_102
; %bb.79:
	s_waitcnt lgkmcnt(0)
	v_pk_add_f32 v[2:3], v[2:3], v[4:5]
	v_mov_b32_e32 v4, s17
	v_add_co_u32_e32 v0, vcc, s16, v0
	v_addc_co_u32_e32 v1, vcc, v4, v1, vcc
	s_and_saveexec_b64 s[10:11], s[6:7]
	s_cbranch_execz .LBB735_97
; %bb.80:
	v_cmp_neq_f32_e64 s[4:5], 0, v2
	v_mov_b32_e32 v4, 0x7e00
	s_and_saveexec_b64 s[12:13], s[4:5]
	s_cbranch_execz .LBB735_82
; %bb.81:
	v_div_scale_f32 v4, s[16:17], v2, v2, v21
	v_rcp_f32_e32 v5, v4
	v_div_scale_f32 v8, vcc, v21, v2, v21
	v_fma_f32 v9, -v4, v5, 1.0
	v_fmac_f32_e32 v5, v9, v5
	v_mul_f32_e32 v9, v8, v5
	v_fma_f32 v10, -v4, v9, v8
	v_fmac_f32_e32 v9, v10, v5
	v_fma_f32 v4, -v4, v9, v8
	v_div_fmas_f32 v4, v4, v5, v9
	v_div_fixup_f32 v4, v4, v2, v21
	v_cvt_f16_f32_e32 v4, v4
.LBB735_82:
	s_or_b64 exec, exec, s[12:13]
	global_store_short v[0:1], v4, off
	s_and_b64 exec, exec, s[8:9]
	s_cbranch_execz .LBB735_97
; %bb.83:
	s_and_saveexec_b64 s[12:13], s[4:5]
	s_xor_b64 s[12:13], exec, s[12:13]
	s_cbranch_execnz .LBB735_86
; %bb.84:
	s_andn2_saveexec_b64 s[12:13], s[12:13]
	s_cbranch_execnz .LBB735_87
.LBB735_85:
	s_or_b64 exec, exec, s[12:13]
	s_and_b64 exec, exec, s[2:3]
	s_cbranch_execnz .LBB735_88
	s_branch .LBB735_97
.LBB735_86:
	v_div_scale_f32 v4, s[16:17], v2, v2, v22
	v_rcp_f32_e32 v5, v4
	v_div_scale_f32 v8, vcc, v22, v2, v22
	v_fma_f32 v9, -v4, v5, 1.0
	v_fmac_f32_e32 v5, v9, v5
	v_mul_f32_e32 v9, v8, v5
	v_fma_f32 v10, -v4, v9, v8
	v_fmac_f32_e32 v9, v10, v5
	v_fma_f32 v4, -v4, v9, v8
	v_div_fmas_f32 v4, v4, v5, v9
	v_div_fixup_f32 v4, v4, v2, v22
	v_cvt_f16_f32_e32 v4, v4
	global_store_short v[0:1], v4, off offset:64
	s_andn2_saveexec_b64 s[12:13], s[12:13]
	s_cbranch_execz .LBB735_85
.LBB735_87:
	v_mov_b32_e32 v4, 0x7e00
	global_store_short v[0:1], v4, off offset:64
	s_or_b64 exec, exec, s[12:13]
	s_and_b64 exec, exec, s[2:3]
	s_cbranch_execz .LBB735_97
.LBB735_88:
	s_and_saveexec_b64 s[12:13], s[4:5]
	s_xor_b64 s[12:13], exec, s[12:13]
	s_cbranch_execnz .LBB735_91
; %bb.89:
	s_andn2_saveexec_b64 s[12:13], s[12:13]
	s_cbranch_execnz .LBB735_92
.LBB735_90:
	s_or_b64 exec, exec, s[12:13]
	s_and_b64 exec, exec, s[0:1]
	s_cbranch_execnz .LBB735_93
	s_branch .LBB735_97
.LBB735_91:
	v_div_scale_f32 v4, s[16:17], v2, v2, v16
	v_rcp_f32_e32 v5, v4
	v_div_scale_f32 v8, vcc, v16, v2, v16
	v_fma_f32 v9, -v4, v5, 1.0
	v_fmac_f32_e32 v5, v9, v5
	v_mul_f32_e32 v9, v8, v5
	v_fma_f32 v10, -v4, v9, v8
	v_fmac_f32_e32 v9, v10, v5
	v_fma_f32 v4, -v4, v9, v8
	v_div_fmas_f32 v4, v4, v5, v9
	v_div_fixup_f32 v4, v4, v2, v16
	v_cvt_f16_f32_e32 v4, v4
	global_store_short v[0:1], v4, off offset:128
	s_andn2_saveexec_b64 s[12:13], s[12:13]
	s_cbranch_execz .LBB735_90
.LBB735_92:
	v_mov_b32_e32 v4, 0x7e00
	global_store_short v[0:1], v4, off offset:128
	s_or_b64 exec, exec, s[12:13]
	s_and_b64 exec, exec, s[0:1]
	s_cbranch_execz .LBB735_97
.LBB735_93:
	s_and_saveexec_b64 s[12:13], s[4:5]
	s_xor_b64 s[4:5], exec, s[12:13]
	s_cbranch_execz .LBB735_95
; %bb.94:
	v_div_scale_f32 v4, s[12:13], v2, v2, v14
	v_rcp_f32_e32 v5, v4
	v_div_scale_f32 v8, vcc, v14, v2, v14
	v_fma_f32 v9, -v4, v5, 1.0
	v_fmac_f32_e32 v5, v9, v5
	v_mul_f32_e32 v9, v8, v5
	v_fma_f32 v10, -v4, v9, v8
	v_fmac_f32_e32 v9, v10, v5
	v_fma_f32 v4, -v4, v9, v8
	v_div_fmas_f32 v4, v4, v5, v9
	v_div_fixup_f32 v2, v4, v2, v14
	v_cvt_f16_f32_e32 v2, v2
	global_store_short v[0:1], v2, off offset:192
.LBB735_95:
	s_andn2_saveexec_b64 s[4:5], s[4:5]
	s_cbranch_execz .LBB735_97
; %bb.96:
	v_mov_b32_e32 v2, 0x7e00
	global_store_short v[0:1], v2, off offset:192
.LBB735_97:
	s_or_b64 exec, exec, s[10:11]
	v_cmp_ne_u32_e32 vcc, 1, v7
	s_and_saveexec_b64 s[4:5], vcc
	s_cbranch_execz .LBB735_102
; %bb.98:
	s_and_b64 exec, exec, s[6:7]
	s_cbranch_execz .LBB735_102
; %bb.99:
	s_ashr_i32 s15, s14, 31
	s_lshl_b64 s[6:7], s[14:15], 1
	v_mov_b32_e32 v2, s7
	v_add_co_u32_e32 v0, vcc, s6, v0
	v_cmp_neq_f32_e64 s[4:5], 0, v3
	v_addc_co_u32_e32 v1, vcc, v1, v2, vcc
	s_and_saveexec_b64 s[6:7], s[4:5]
	s_xor_b64 s[6:7], exec, s[6:7]
	s_cbranch_execnz .LBB735_103
; %bb.100:
	s_andn2_saveexec_b64 s[6:7], s[6:7]
	s_cbranch_execnz .LBB735_104
.LBB735_101:
	s_or_b64 exec, exec, s[6:7]
	s_and_b64 exec, exec, s[8:9]
	s_cbranch_execnz .LBB735_105
.LBB735_102:
	s_endpgm
.LBB735_103:
	v_div_scale_f32 v2, s[10:11], v3, v3, v6
	v_rcp_f32_e32 v4, v2
	v_div_scale_f32 v5, vcc, v6, v3, v6
	v_fma_f32 v7, -v2, v4, 1.0
	v_fmac_f32_e32 v4, v7, v4
	v_mul_f32_e32 v7, v5, v4
	v_fma_f32 v8, -v2, v7, v5
	v_fmac_f32_e32 v7, v8, v4
	v_fma_f32 v2, -v2, v7, v5
	v_div_fmas_f32 v2, v2, v4, v7
	v_div_fixup_f32 v2, v2, v3, v6
	v_cvt_f16_f32_e32 v2, v2
	global_store_short v[0:1], v2, off
	s_andn2_saveexec_b64 s[6:7], s[6:7]
	s_cbranch_execz .LBB735_101
.LBB735_104:
	v_mov_b32_e32 v2, 0x7e00
	global_store_short v[0:1], v2, off
	s_or_b64 exec, exec, s[6:7]
	s_and_b64 exec, exec, s[8:9]
	s_cbranch_execz .LBB735_102
.LBB735_105:
	s_and_saveexec_b64 s[6:7], s[4:5]
	s_xor_b64 s[6:7], exec, s[6:7]
	s_cbranch_execnz .LBB735_108
; %bb.106:
	s_andn2_saveexec_b64 s[6:7], s[6:7]
	s_cbranch_execnz .LBB735_109
.LBB735_107:
	s_or_b64 exec, exec, s[6:7]
	s_and_b64 exec, exec, s[2:3]
	s_cbranch_execz .LBB735_102
	s_branch .LBB735_110
.LBB735_108:
	v_div_scale_f32 v2, s[8:9], v3, v3, v15
	v_rcp_f32_e32 v4, v2
	v_div_scale_f32 v5, vcc, v15, v3, v15
	v_fma_f32 v6, -v2, v4, 1.0
	v_fmac_f32_e32 v4, v6, v4
	v_mul_f32_e32 v6, v5, v4
	v_fma_f32 v7, -v2, v6, v5
	v_fmac_f32_e32 v6, v7, v4
	v_fma_f32 v2, -v2, v6, v5
	v_div_fmas_f32 v2, v2, v4, v6
	v_div_fixup_f32 v2, v2, v3, v15
	v_cvt_f16_f32_e32 v2, v2
	global_store_short v[0:1], v2, off offset:64
	s_andn2_saveexec_b64 s[6:7], s[6:7]
	s_cbranch_execz .LBB735_107
.LBB735_109:
	v_mov_b32_e32 v2, 0x7e00
	global_store_short v[0:1], v2, off offset:64
	s_or_b64 exec, exec, s[6:7]
	s_and_b64 exec, exec, s[2:3]
	s_cbranch_execz .LBB735_102
.LBB735_110:
	s_and_saveexec_b64 s[2:3], s[4:5]
	s_xor_b64 s[2:3], exec, s[2:3]
	s_cbranch_execnz .LBB735_113
; %bb.111:
	s_andn2_saveexec_b64 s[2:3], s[2:3]
	s_cbranch_execnz .LBB735_114
.LBB735_112:
	s_or_b64 exec, exec, s[2:3]
	s_and_b64 exec, exec, s[0:1]
	s_cbranch_execz .LBB735_102
	s_branch .LBB735_115
.LBB735_113:
	v_div_scale_f32 v2, s[6:7], v3, v3, v13
	v_rcp_f32_e32 v4, v2
	v_div_scale_f32 v5, vcc, v13, v3, v13
	v_fma_f32 v6, -v2, v4, 1.0
	v_fmac_f32_e32 v4, v6, v4
	v_mul_f32_e32 v6, v5, v4
	v_fma_f32 v7, -v2, v6, v5
	v_fmac_f32_e32 v6, v7, v4
	v_fma_f32 v2, -v2, v6, v5
	v_div_fmas_f32 v2, v2, v4, v6
	v_div_fixup_f32 v2, v2, v3, v13
	v_cvt_f16_f32_e32 v2, v2
	global_store_short v[0:1], v2, off offset:128
	s_andn2_saveexec_b64 s[2:3], s[2:3]
	s_cbranch_execz .LBB735_112
.LBB735_114:
	v_mov_b32_e32 v2, 0x7e00
	global_store_short v[0:1], v2, off offset:128
	s_or_b64 exec, exec, s[2:3]
	s_and_b64 exec, exec, s[0:1]
	s_cbranch_execz .LBB735_102
.LBB735_115:
	s_and_saveexec_b64 s[0:1], s[4:5]
	s_xor_b64 s[0:1], exec, s[0:1]
	s_cbranch_execz .LBB735_117
; %bb.116:
	v_div_scale_f32 v2, s[2:3], v3, v3, v11
	v_rcp_f32_e32 v4, v2
	v_div_scale_f32 v5, vcc, v11, v3, v11
	v_fma_f32 v6, -v2, v4, 1.0
	v_fmac_f32_e32 v4, v6, v4
	v_mul_f32_e32 v6, v5, v4
	v_fma_f32 v7, -v2, v6, v5
	v_fmac_f32_e32 v6, v7, v4
	v_fma_f32 v2, -v2, v6, v5
	v_div_fmas_f32 v2, v2, v4, v6
	v_div_fixup_f32 v2, v2, v3, v11
	v_cvt_f16_f32_e32 v2, v2
	global_store_short v[0:1], v2, off offset:192
                                        ; implicit-def: $vgpr0_vgpr1
.LBB735_117:
	s_andn2_saveexec_b64 s[0:1], s[0:1]
	s_cbranch_execz .LBB735_102
; %bb.118:
	v_mov_b32_e32 v2, 0x7e00
	global_store_short v[0:1], v2, off offset:192
	s_endpgm
	.section	.rodata,"a",@progbits
	.p2align	6, 0x0
	.amdhsa_kernel _ZN12_GLOBAL__N_120softmax_warp_forwardIN3c104HalfES2_fLi7ELb0ELb1ELi32EEEvPT0_PKT_iiiPKbib
		.amdhsa_group_segment_fixed_size 0
		.amdhsa_private_segment_fixed_size 0
		.amdhsa_kernarg_size 304
		.amdhsa_user_sgpr_count 6
		.amdhsa_user_sgpr_private_segment_buffer 1
		.amdhsa_user_sgpr_dispatch_ptr 0
		.amdhsa_user_sgpr_queue_ptr 0
		.amdhsa_user_sgpr_kernarg_segment_ptr 1
		.amdhsa_user_sgpr_dispatch_id 0
		.amdhsa_user_sgpr_flat_scratch_init 0
		.amdhsa_user_sgpr_kernarg_preload_length 0
		.amdhsa_user_sgpr_kernarg_preload_offset 0
		.amdhsa_user_sgpr_private_segment_size 0
		.amdhsa_uses_dynamic_stack 0
		.amdhsa_system_sgpr_private_segment_wavefront_offset 0
		.amdhsa_system_sgpr_workgroup_id_x 1
		.amdhsa_system_sgpr_workgroup_id_y 0
		.amdhsa_system_sgpr_workgroup_id_z 0
		.amdhsa_system_sgpr_workgroup_info 0
		.amdhsa_system_vgpr_workitem_id 1
		.amdhsa_next_free_vgpr 27
		.amdhsa_next_free_sgpr 42
		.amdhsa_accum_offset 28
		.amdhsa_reserve_vcc 1
		.amdhsa_reserve_flat_scratch 0
		.amdhsa_float_round_mode_32 0
		.amdhsa_float_round_mode_16_64 0
		.amdhsa_float_denorm_mode_32 3
		.amdhsa_float_denorm_mode_16_64 3
		.amdhsa_dx10_clamp 1
		.amdhsa_ieee_mode 1
		.amdhsa_fp16_overflow 0
		.amdhsa_tg_split 0
		.amdhsa_exception_fp_ieee_invalid_op 0
		.amdhsa_exception_fp_denorm_src 0
		.amdhsa_exception_fp_ieee_div_zero 0
		.amdhsa_exception_fp_ieee_overflow 0
		.amdhsa_exception_fp_ieee_underflow 0
		.amdhsa_exception_fp_ieee_inexact 0
		.amdhsa_exception_int_div_zero 0
	.end_amdhsa_kernel
	.section	.text._ZN12_GLOBAL__N_120softmax_warp_forwardIN3c104HalfES2_fLi7ELb0ELb1ELi32EEEvPT0_PKT_iiiPKbib,"axG",@progbits,_ZN12_GLOBAL__N_120softmax_warp_forwardIN3c104HalfES2_fLi7ELb0ELb1ELi32EEEvPT0_PKT_iiiPKbib,comdat
.Lfunc_end735:
	.size	_ZN12_GLOBAL__N_120softmax_warp_forwardIN3c104HalfES2_fLi7ELb0ELb1ELi32EEEvPT0_PKT_iiiPKbib, .Lfunc_end735-_ZN12_GLOBAL__N_120softmax_warp_forwardIN3c104HalfES2_fLi7ELb0ELb1ELi32EEEvPT0_PKT_iiiPKbib
                                        ; -- End function
	.section	.AMDGPU.csdata,"",@progbits
; Kernel info:
; codeLenInByte = 5132
; NumSgprs: 46
; NumVgprs: 27
; NumAgprs: 0
; TotalNumVgprs: 27
; ScratchSize: 0
; MemoryBound: 0
; FloatMode: 240
; IeeeMode: 1
; LDSByteSize: 0 bytes/workgroup (compile time only)
; SGPRBlocks: 5
; VGPRBlocks: 3
; NumSGPRsForWavesPerEU: 46
; NumVGPRsForWavesPerEU: 27
; AccumOffset: 28
; Occupancy: 8
; WaveLimiterHint : 0
; COMPUTE_PGM_RSRC2:SCRATCH_EN: 0
; COMPUTE_PGM_RSRC2:USER_SGPR: 6
; COMPUTE_PGM_RSRC2:TRAP_HANDLER: 0
; COMPUTE_PGM_RSRC2:TGID_X_EN: 1
; COMPUTE_PGM_RSRC2:TGID_Y_EN: 0
; COMPUTE_PGM_RSRC2:TGID_Z_EN: 0
; COMPUTE_PGM_RSRC2:TIDIG_COMP_CNT: 1
; COMPUTE_PGM_RSRC3_GFX90A:ACCUM_OFFSET: 6
; COMPUTE_PGM_RSRC3_GFX90A:TG_SPLIT: 0
	.section	.text._ZN12_GLOBAL__N_120softmax_warp_forwardIN3c104HalfES2_fLi8ELb0ELb1ELi64EEEvPT0_PKT_iiiPKbib,"axG",@progbits,_ZN12_GLOBAL__N_120softmax_warp_forwardIN3c104HalfES2_fLi8ELb0ELb1ELi64EEEvPT0_PKT_iiiPKbib,comdat
	.globl	_ZN12_GLOBAL__N_120softmax_warp_forwardIN3c104HalfES2_fLi8ELb0ELb1ELi64EEEvPT0_PKT_iiiPKbib ; -- Begin function _ZN12_GLOBAL__N_120softmax_warp_forwardIN3c104HalfES2_fLi8ELb0ELb1ELi64EEEvPT0_PKT_iiiPKbib
	.p2align	8
	.type	_ZN12_GLOBAL__N_120softmax_warp_forwardIN3c104HalfES2_fLi8ELb0ELb1ELi64EEEvPT0_PKT_iiiPKbib,@function
_ZN12_GLOBAL__N_120softmax_warp_forwardIN3c104HalfES2_fLi8ELb0ELb1ELi64EEEvPT0_PKT_iiiPKbib: ; @_ZN12_GLOBAL__N_120softmax_warp_forwardIN3c104HalfES2_fLi8ELb0ELb1ELi64EEEvPT0_PKT_iiiPKbib
; %bb.0:
	s_load_dword s2, s[4:5], 0x3c
	s_load_dwordx4 s[8:11], s[4:5], 0x10
	s_load_dwordx2 s[0:1], s[4:5], 0x28
	v_bfe_u32 v1, v0, 10, 10
	v_and_b32_e32 v2, 0x3ff, v0
	s_waitcnt lgkmcnt(0)
	s_lshr_b32 s2, s2, 16
	s_mul_i32 s6, s6, s2
	v_add_u32_e32 v3, s6, v1
	v_mul_lo_u32 v6, v3, s9
	v_add_u32_e32 v0, v6, v2
	v_ashrrev_i32_e32 v1, 31, v0
	s_bitcmp0_b32 s1, 0
	v_pk_mov_b32 v[4:5], v[0:1], v[0:1] op_sel:[0,1]
	s_cbranch_scc1 .LBB736_2
; %bb.1:
	s_abs_i32 s1, s0
	v_cvt_f32_u32_e32 v4, s1
	v_xor_b32_e32 v5, s0, v6
	v_sub_u32_e32 v7, 0, v6
	s_sub_i32 s0, 0, s1
	v_rcp_iflag_f32_e32 v4, v4
	v_max_i32_e32 v6, v6, v7
	v_ashrrev_i32_e32 v5, 31, v5
	v_mul_f32_e32 v4, 0x4f7ffffe, v4
	v_cvt_u32_f32_e32 v4, v4
	v_mul_lo_u32 v7, s0, v4
	v_mul_hi_u32 v7, v4, v7
	v_add_u32_e32 v4, v4, v7
	v_mul_hi_u32 v4, v6, v4
	v_mul_lo_u32 v7, v4, s1
	v_sub_u32_e32 v6, v6, v7
	v_add_u32_e32 v8, 1, v4
	v_cmp_le_u32_e32 vcc, s1, v6
	v_subrev_u32_e32 v7, s1, v6
	v_cndmask_b32_e32 v4, v4, v8, vcc
	v_cndmask_b32_e32 v6, v6, v7, vcc
	v_add_u32_e32 v7, 1, v4
	v_cmp_le_u32_e32 vcc, s1, v6
	v_cndmask_b32_e32 v4, v4, v7, vcc
	v_xor_b32_e32 v4, v4, v5
	v_sub_u32_e32 v4, v4, v5
	v_mad_u64_u32 v[4:5], s[0:1], v4, s9, v[2:3]
	v_ashrrev_i32_e32 v5, 31, v4
.LBB736_2:
	s_load_dwordx4 s[12:15], s[4:5], 0x0
	v_lshlrev_b64 v[0:1], 1, v[0:1]
	v_sub_u32_e32 v8, s8, v3
	v_cmp_lt_i32_e64 s[8:9], 0, v8
	v_mov_b32_e32 v11, 0xff800000
	s_waitcnt lgkmcnt(0)
	v_mov_b32_e32 v3, s15
	v_add_co_u32_e32 v6, vcc, s14, v0
	v_addc_co_u32_e32 v7, vcc, v3, v1, vcc
	v_cmp_gt_i32_e32 vcc, s10, v2
	s_and_b64 s[18:19], s[8:9], vcc
	v_mov_b32_e32 v12, 0xff800000
	s_and_saveexec_b64 s[0:1], s[18:19]
	s_cbranch_execz .LBB736_4
; %bb.3:
	global_load_ushort v3, v[6:7], off
	s_waitcnt vmcnt(0)
	v_cvt_f32_f16_e32 v12, v3
.LBB736_4:
	s_or_b64 exec, exec, s[0:1]
	v_add_u32_e32 v3, 64, v2
	v_cmp_gt_i32_e64 s[6:7], s10, v3
	s_and_b64 s[16:17], s[8:9], s[6:7]
	s_and_saveexec_b64 s[0:1], s[16:17]
	s_cbranch_execz .LBB736_6
; %bb.5:
	global_load_ushort v3, v[6:7], off offset:128
	s_waitcnt vmcnt(0)
	v_cvt_f32_f16_e32 v11, v3
.LBB736_6:
	s_or_b64 exec, exec, s[0:1]
	v_add_u32_e32 v3, 0x80, v2
	v_cmp_gt_i32_e64 s[2:3], s10, v3
	s_and_b64 s[14:15], s[8:9], s[2:3]
	v_mov_b32_e32 v9, 0xff800000
	v_mov_b32_e32 v10, 0xff800000
	s_and_saveexec_b64 s[0:1], s[14:15]
	s_cbranch_execz .LBB736_8
; %bb.7:
	global_load_ushort v3, v[6:7], off offset:256
	s_waitcnt vmcnt(0)
	v_cvt_f32_f16_e32 v10, v3
.LBB736_8:
	s_or_b64 exec, exec, s[0:1]
	v_add_u32_e32 v2, 0xc0, v2
	v_cmp_gt_i32_e64 s[0:1], s10, v2
	s_and_b64 s[8:9], s[8:9], s[0:1]
	s_and_saveexec_b64 s[10:11], s[8:9]
	s_cbranch_execz .LBB736_10
; %bb.9:
	global_load_ushort v2, v[6:7], off offset:384
	s_waitcnt vmcnt(0)
	v_cvt_f32_f16_e32 v9, v2
.LBB736_10:
	s_or_b64 exec, exec, s[10:11]
	s_load_dwordx2 s[4:5], s[4:5], 0x20
	s_mov_b64 s[10:11], 0
	s_waitcnt lgkmcnt(0)
	v_mov_b32_e32 v3, s5
	v_add_co_u32_e64 v2, s[4:5], s4, v4
	v_addc_co_u32_e64 v3, s[4:5], v3, v5, s[4:5]
	s_and_saveexec_b64 s[20:21], s[18:19]
	s_cbranch_execnz .LBB736_14
; %bb.11:
	s_or_b64 exec, exec, s[20:21]
	v_mov_b32_e32 v4, v12
	s_and_saveexec_b64 s[20:21], s[16:17]
	s_cbranch_execnz .LBB736_15
.LBB736_12:
	s_or_b64 exec, exec, s[20:21]
	s_and_saveexec_b64 s[20:21], s[14:15]
	s_cbranch_execnz .LBB736_18
.LBB736_13:
	s_or_b64 exec, exec, s[20:21]
	s_and_saveexec_b64 s[20:21], s[8:9]
	s_cbranch_execnz .LBB736_21
	s_branch .LBB736_24
.LBB736_14:
	global_load_ubyte v4, v[2:3], off
	s_waitcnt vmcnt(0)
	v_and_b32_e32 v4, 1, v4
	v_cmp_eq_u32_e64 s[4:5], 1, v4
	s_xor_b64 s[4:5], s[4:5], -1
	s_and_b64 s[10:11], s[4:5], exec
	s_or_b64 exec, exec, s[20:21]
	v_mov_b32_e32 v4, v12
	s_and_saveexec_b64 s[20:21], s[16:17]
	s_cbranch_execz .LBB736_12
.LBB736_15:
	global_load_ubyte v4, v[2:3], off offset:64
	s_mov_b64 s[22:23], s[10:11]
	s_waitcnt vmcnt(0)
	v_and_b32_e32 v4, 1, v4
	v_cmp_eq_u32_e64 s[4:5], 1, v4
	s_xor_b64 s[4:5], s[4:5], -1
	v_mov_b32_e32 v4, v12
	s_and_saveexec_b64 s[24:25], s[4:5]
; %bb.16:
	v_cmp_gt_f32_e64 s[4:5], v12, v11
	s_and_b64 s[4:5], s[10:11], s[4:5]
	v_cndmask_b32_e64 v4, v11, v12, s[4:5]
	s_or_b64 s[22:23], s[10:11], exec
; %bb.17:
	s_or_b64 exec, exec, s[24:25]
	s_andn2_b64 s[4:5], s[10:11], exec
	s_and_b64 s[10:11], s[22:23], exec
	s_or_b64 s[10:11], s[4:5], s[10:11]
	s_or_b64 exec, exec, s[20:21]
	s_and_saveexec_b64 s[20:21], s[14:15]
	s_cbranch_execz .LBB736_13
.LBB736_18:
	global_load_ubyte v5, v[2:3], off offset:128
	s_waitcnt vmcnt(0)
	v_and_b32_e32 v5, 1, v5
	v_cmp_eq_u32_e64 s[4:5], 1, v5
	s_xor_b64 s[24:25], s[4:5], -1
	s_mov_b64 s[4:5], s[10:11]
	s_and_saveexec_b64 s[22:23], s[24:25]
; %bb.19:
	v_cmp_gt_f32_e64 s[4:5], v4, v10
	s_and_b64 s[4:5], s[10:11], s[4:5]
	v_cndmask_b32_e64 v4, v10, v4, s[4:5]
	s_or_b64 s[4:5], s[10:11], exec
; %bb.20:
	s_or_b64 exec, exec, s[22:23]
	s_andn2_b64 s[10:11], s[10:11], exec
	s_and_b64 s[4:5], s[4:5], exec
	s_or_b64 s[10:11], s[10:11], s[4:5]
	s_or_b64 exec, exec, s[20:21]
	s_and_saveexec_b64 s[20:21], s[8:9]
	s_cbranch_execz .LBB736_24
.LBB736_21:
	global_load_ubyte v5, v[2:3], off offset:192
	s_waitcnt vmcnt(0)
	v_and_b32_e32 v5, 1, v5
	v_cmp_eq_u32_e64 s[4:5], 1, v5
	s_xor_b64 s[24:25], s[4:5], -1
	s_mov_b64 s[4:5], s[10:11]
	s_and_saveexec_b64 s[22:23], s[24:25]
; %bb.22:
	v_cmp_gt_f32_e64 s[4:5], v4, v9
	s_and_b64 s[4:5], s[10:11], s[4:5]
	v_cndmask_b32_e64 v4, v9, v4, s[4:5]
	s_or_b64 s[4:5], s[10:11], exec
; %bb.23:
	s_or_b64 exec, exec, s[22:23]
	s_andn2_b64 s[10:11], s[10:11], exec
	s_and_b64 s[4:5], s[4:5], exec
	s_or_b64 s[10:11], s[10:11], s[4:5]
.LBB736_24:
	s_or_b64 exec, exec, s[20:21]
	v_mov_b32_e32 v5, 0xff800000
	v_cndmask_b32_e64 v4, v5, v4, s[10:11]
	v_mbcnt_lo_u32_b32 v5, -1, 0
	v_mbcnt_hi_u32_b32 v6, -1, v5
	v_and_b32_e32 v5, 64, v6
	v_add_u32_e32 v15, 64, v5
	v_xor_b32_e32 v5, 32, v6
	v_cmp_lt_i32_e64 s[4:5], v5, v15
	v_cndmask_b32_e64 v5, v6, v5, s[4:5]
	v_lshlrev_b32_e32 v5, 2, v5
	ds_bpermute_b32 v7, v5, v4
	s_waitcnt lgkmcnt(0)
	v_cmp_lt_f32_e64 s[4:5], v4, v7
	v_cndmask_b32_e64 v4, v4, v7, s[4:5]
	v_xor_b32_e32 v7, 16, v6
	v_cmp_lt_i32_e64 s[4:5], v7, v15
	v_cndmask_b32_e64 v7, v6, v7, s[4:5]
	v_lshlrev_b32_e32 v7, 2, v7
	ds_bpermute_b32 v13, v7, v4
	s_waitcnt lgkmcnt(0)
	v_cmp_lt_f32_e64 s[4:5], v4, v13
	v_cndmask_b32_e64 v4, v4, v13, s[4:5]
	;; [unrolled: 8-line block ×5, first 2 shown]
	v_xor_b32_e32 v17, 1, v6
	v_cmp_lt_i32_e64 s[4:5], v17, v15
	v_cndmask_b32_e64 v6, v6, v17, s[4:5]
	v_lshlrev_b32_e32 v17, 2, v6
	ds_bpermute_b32 v6, v17, v4
	v_mov_b32_e32 v15, 0
	s_waitcnt lgkmcnt(0)
	v_cmp_lt_f32_e64 s[4:5], v4, v6
	v_cndmask_b32_e64 v18, v4, v6, s[4:5]
	v_mov_b32_e32 v4, 0
	s_and_saveexec_b64 s[10:11], s[18:19]
	s_cbranch_execz .LBB736_28
; %bb.25:
	global_load_ubyte v6, v[2:3], off
	v_mov_b32_e32 v15, 0
	s_waitcnt vmcnt(0)
	v_and_b32_e32 v6, 1, v6
	v_cmp_eq_u32_e64 s[4:5], 1, v6
	s_xor_b64 s[4:5], s[4:5], -1
	s_and_saveexec_b64 s[18:19], s[4:5]
	s_cbranch_execz .LBB736_27
; %bb.26:
	v_sub_f32_e32 v6, v12, v18
	s_mov_b32 s4, 0x3fb8aa3b
	v_mul_f32_e32 v12, 0x3fb8aa3b, v6
	v_fma_f32 v15, v6, s4, -v12
	v_rndne_f32_e32 v19, v12
	v_fmac_f32_e32 v15, 0x32a5705f, v6
	v_sub_f32_e32 v12, v12, v19
	v_add_f32_e32 v12, v12, v15
	v_exp_f32_e32 v12, v12
	v_cvt_i32_f32_e32 v15, v19
	s_mov_b32 s4, 0xc2ce8ed0
	v_cmp_ngt_f32_e64 s[4:5], s4, v6
	v_ldexp_f32 v12, v12, v15
	v_cndmask_b32_e64 v12, 0, v12, s[4:5]
	s_mov_b32 s4, 0x42b17218
	v_mov_b32_e32 v15, 0x7f800000
	v_cmp_nlt_f32_e64 s[4:5], s4, v6
	v_cndmask_b32_e64 v15, v15, v12, s[4:5]
.LBB736_27:
	s_or_b64 exec, exec, s[18:19]
.LBB736_28:
	s_or_b64 exec, exec, s[10:11]
	v_mov_b32_e32 v12, v15
	s_and_saveexec_b64 s[10:11], s[16:17]
	s_cbranch_execz .LBB736_32
; %bb.29:
	global_load_ubyte v6, v[2:3], off offset:64
	v_mov_b32_e32 v4, 0
	v_mov_b32_e32 v12, v15
	s_waitcnt vmcnt(0)
	v_and_b32_e32 v6, 1, v6
	v_cmp_eq_u32_e64 s[4:5], 1, v6
	s_xor_b64 s[4:5], s[4:5], -1
	s_and_saveexec_b64 s[16:17], s[4:5]
	s_cbranch_execz .LBB736_31
; %bb.30:
	v_sub_f32_e32 v4, v11, v18
	s_mov_b32 s4, 0x3fb8aa3b
	v_mul_f32_e32 v6, 0x3fb8aa3b, v4
	v_fma_f32 v11, v4, s4, -v6
	v_rndne_f32_e32 v12, v6
	v_fmac_f32_e32 v11, 0x32a5705f, v4
	v_sub_f32_e32 v6, v6, v12
	v_add_f32_e32 v6, v6, v11
	v_exp_f32_e32 v6, v6
	v_cvt_i32_f32_e32 v11, v12
	s_mov_b32 s4, 0xc2ce8ed0
	v_cmp_ngt_f32_e64 s[4:5], s4, v4
	v_ldexp_f32 v6, v6, v11
	v_cndmask_b32_e64 v6, 0, v6, s[4:5]
	s_mov_b32 s4, 0x42b17218
	v_mov_b32_e32 v11, 0x7f800000
	v_cmp_nlt_f32_e64 s[4:5], s4, v4
	v_cndmask_b32_e64 v4, v11, v6, s[4:5]
	v_add_f32_e32 v12, v15, v4
.LBB736_31:
	s_or_b64 exec, exec, s[16:17]
.LBB736_32:
	s_or_b64 exec, exec, s[10:11]
	v_mov_b32_e32 v6, 0
	v_mov_b32_e32 v11, 0
	s_and_saveexec_b64 s[10:11], s[14:15]
	s_cbranch_execz .LBB736_36
; %bb.33:
	global_load_ubyte v11, v[2:3], off offset:128
	s_waitcnt vmcnt(0)
	v_and_b32_e32 v11, 1, v11
	v_cmp_eq_u32_e64 s[4:5], 1, v11
	s_xor_b64 s[4:5], s[4:5], -1
	v_mov_b32_e32 v11, 0
	s_and_saveexec_b64 s[14:15], s[4:5]
	s_cbranch_execz .LBB736_35
; %bb.34:
	v_sub_f32_e32 v10, v10, v18
	s_mov_b32 s4, 0x3fb8aa3b
	v_mul_f32_e32 v11, 0x3fb8aa3b, v10
	v_fma_f32 v19, v10, s4, -v11
	v_rndne_f32_e32 v20, v11
	v_fmac_f32_e32 v19, 0x32a5705f, v10
	v_sub_f32_e32 v11, v11, v20
	v_add_f32_e32 v11, v11, v19
	v_exp_f32_e32 v11, v11
	v_cvt_i32_f32_e32 v19, v20
	s_mov_b32 s4, 0xc2ce8ed0
	v_cmp_ngt_f32_e64 s[4:5], s4, v10
	v_ldexp_f32 v11, v11, v19
	v_cndmask_b32_e64 v11, 0, v11, s[4:5]
	s_mov_b32 s4, 0x42b17218
	v_mov_b32_e32 v19, 0x7f800000
	v_cmp_nlt_f32_e64 s[4:5], s4, v10
	v_cndmask_b32_e64 v11, v19, v11, s[4:5]
	v_add_f32_e32 v12, v12, v11
.LBB736_35:
	s_or_b64 exec, exec, s[14:15]
.LBB736_36:
	s_or_b64 exec, exec, s[10:11]
	s_and_saveexec_b64 s[10:11], s[8:9]
	s_cbranch_execz .LBB736_40
; %bb.37:
	global_load_ubyte v2, v[2:3], off offset:192
	v_mov_b32_e32 v6, 0
	s_waitcnt vmcnt(0)
	v_and_b32_e32 v2, 1, v2
	v_cmp_eq_u32_e64 s[4:5], 1, v2
	s_xor_b64 s[4:5], s[4:5], -1
	s_and_saveexec_b64 s[8:9], s[4:5]
	s_cbranch_execz .LBB736_39
; %bb.38:
	v_sub_f32_e32 v2, v9, v18
	s_mov_b32 s4, 0x3fb8aa3b
	v_mul_f32_e32 v3, 0x3fb8aa3b, v2
	v_fma_f32 v6, v2, s4, -v3
	v_rndne_f32_e32 v9, v3
	v_fmac_f32_e32 v6, 0x32a5705f, v2
	v_sub_f32_e32 v3, v3, v9
	v_add_f32_e32 v3, v3, v6
	v_exp_f32_e32 v3, v3
	v_cvt_i32_f32_e32 v6, v9
	s_mov_b32 s4, 0xc2ce8ed0
	v_cmp_ngt_f32_e64 s[4:5], s4, v2
	v_ldexp_f32 v3, v3, v6
	v_cndmask_b32_e64 v3, 0, v3, s[4:5]
	s_mov_b32 s4, 0x42b17218
	v_mov_b32_e32 v6, 0x7f800000
	v_cmp_nlt_f32_e64 s[4:5], s4, v2
	v_cndmask_b32_e64 v6, v6, v3, s[4:5]
	v_add_f32_e32 v12, v12, v6
.LBB736_39:
	s_or_b64 exec, exec, s[8:9]
.LBB736_40:
	s_or_b64 exec, exec, s[10:11]
	ds_bpermute_b32 v2, v5, v12
	v_cmp_lt_i32_e64 s[4:5], 0, v8
	s_waitcnt lgkmcnt(0)
	v_add_f32_e32 v2, v12, v2
	ds_bpermute_b32 v3, v7, v2
	s_waitcnt lgkmcnt(0)
	v_add_f32_e32 v2, v2, v3
	ds_bpermute_b32 v3, v13, v2
	s_waitcnt lgkmcnt(0)
	v_add_f32_e32 v2, v2, v3
	ds_bpermute_b32 v3, v14, v2
	s_waitcnt lgkmcnt(0)
	v_add_f32_e32 v2, v2, v3
	ds_bpermute_b32 v3, v16, v2
	s_waitcnt lgkmcnt(0)
	v_add_f32_e32 v2, v2, v3
	ds_bpermute_b32 v3, v17, v2
	s_and_saveexec_b64 s[8:9], s[4:5]
	s_cbranch_execz .LBB736_54
; %bb.41:
	s_and_b64 exec, exec, vcc
	s_cbranch_execz .LBB736_54
; %bb.42:
	s_waitcnt lgkmcnt(0)
	v_add_f32_e32 v2, v2, v3
	v_cmp_neq_f32_e64 s[4:5], 0, v2
	v_mov_b32_e32 v3, 0x7e00
	s_and_saveexec_b64 s[8:9], s[4:5]
	s_cbranch_execz .LBB736_44
; %bb.43:
	v_div_scale_f32 v3, s[10:11], v2, v2, v15
	v_rcp_f32_e32 v5, v3
	v_div_scale_f32 v7, vcc, v15, v2, v15
	v_fma_f32 v8, -v3, v5, 1.0
	v_fmac_f32_e32 v5, v8, v5
	v_mul_f32_e32 v8, v7, v5
	v_fma_f32 v9, -v3, v8, v7
	v_fmac_f32_e32 v8, v9, v5
	v_fma_f32 v3, -v3, v8, v7
	v_div_fmas_f32 v3, v3, v5, v8
	v_div_fixup_f32 v3, v3, v2, v15
	v_cvt_f16_f32_e32 v3, v3
.LBB736_44:
	s_or_b64 exec, exec, s[8:9]
	v_mov_b32_e32 v5, s13
	v_add_co_u32_e32 v0, vcc, s12, v0
	v_addc_co_u32_e32 v1, vcc, v5, v1, vcc
	global_store_short v[0:1], v3, off
	s_and_b64 exec, exec, s[6:7]
	s_cbranch_execz .LBB736_54
; %bb.45:
	v_mov_b32_e32 v3, 0x7e00
	s_and_saveexec_b64 s[6:7], s[4:5]
	s_cbranch_execz .LBB736_47
; %bb.46:
	v_div_scale_f32 v3, s[8:9], v2, v2, v4
	v_rcp_f32_e32 v5, v3
	v_div_scale_f32 v7, vcc, v4, v2, v4
	v_fma_f32 v8, -v3, v5, 1.0
	v_fmac_f32_e32 v5, v8, v5
	v_mul_f32_e32 v8, v7, v5
	v_fma_f32 v9, -v3, v8, v7
	v_fmac_f32_e32 v8, v9, v5
	v_fma_f32 v3, -v3, v8, v7
	v_div_fmas_f32 v3, v3, v5, v8
	v_div_fixup_f32 v3, v3, v2, v4
	v_cvt_f16_f32_e32 v3, v3
.LBB736_47:
	s_or_b64 exec, exec, s[6:7]
	global_store_short v[0:1], v3, off offset:128
	s_and_b64 exec, exec, s[2:3]
	s_cbranch_execz .LBB736_54
; %bb.48:
	v_mov_b32_e32 v3, 0x7e00
	s_and_saveexec_b64 s[2:3], s[4:5]
	s_cbranch_execz .LBB736_50
; %bb.49:
	v_div_scale_f32 v3, s[6:7], v2, v2, v11
	v_rcp_f32_e32 v4, v3
	v_div_scale_f32 v5, vcc, v11, v2, v11
	v_fma_f32 v7, -v3, v4, 1.0
	v_fmac_f32_e32 v4, v7, v4
	v_mul_f32_e32 v7, v5, v4
	v_fma_f32 v8, -v3, v7, v5
	v_fmac_f32_e32 v7, v8, v4
	v_fma_f32 v3, -v3, v7, v5
	v_div_fmas_f32 v3, v3, v4, v7
	v_div_fixup_f32 v3, v3, v2, v11
	v_cvt_f16_f32_e32 v3, v3
.LBB736_50:
	s_or_b64 exec, exec, s[2:3]
	global_store_short v[0:1], v3, off offset:256
	;; [unrolled: 22-line block ×3, first 2 shown]
.LBB736_54:
	s_endpgm
	.section	.rodata,"a",@progbits
	.p2align	6, 0x0
	.amdhsa_kernel _ZN12_GLOBAL__N_120softmax_warp_forwardIN3c104HalfES2_fLi8ELb0ELb1ELi64EEEvPT0_PKT_iiiPKbib
		.amdhsa_group_segment_fixed_size 0
		.amdhsa_private_segment_fixed_size 0
		.amdhsa_kernarg_size 304
		.amdhsa_user_sgpr_count 6
		.amdhsa_user_sgpr_private_segment_buffer 1
		.amdhsa_user_sgpr_dispatch_ptr 0
		.amdhsa_user_sgpr_queue_ptr 0
		.amdhsa_user_sgpr_kernarg_segment_ptr 1
		.amdhsa_user_sgpr_dispatch_id 0
		.amdhsa_user_sgpr_flat_scratch_init 0
		.amdhsa_user_sgpr_kernarg_preload_length 0
		.amdhsa_user_sgpr_kernarg_preload_offset 0
		.amdhsa_user_sgpr_private_segment_size 0
		.amdhsa_uses_dynamic_stack 0
		.amdhsa_system_sgpr_private_segment_wavefront_offset 0
		.amdhsa_system_sgpr_workgroup_id_x 1
		.amdhsa_system_sgpr_workgroup_id_y 0
		.amdhsa_system_sgpr_workgroup_id_z 0
		.amdhsa_system_sgpr_workgroup_info 0
		.amdhsa_system_vgpr_workitem_id 1
		.amdhsa_next_free_vgpr 21
		.amdhsa_next_free_sgpr 26
		.amdhsa_accum_offset 24
		.amdhsa_reserve_vcc 1
		.amdhsa_reserve_flat_scratch 0
		.amdhsa_float_round_mode_32 0
		.amdhsa_float_round_mode_16_64 0
		.amdhsa_float_denorm_mode_32 3
		.amdhsa_float_denorm_mode_16_64 3
		.amdhsa_dx10_clamp 1
		.amdhsa_ieee_mode 1
		.amdhsa_fp16_overflow 0
		.amdhsa_tg_split 0
		.amdhsa_exception_fp_ieee_invalid_op 0
		.amdhsa_exception_fp_denorm_src 0
		.amdhsa_exception_fp_ieee_div_zero 0
		.amdhsa_exception_fp_ieee_overflow 0
		.amdhsa_exception_fp_ieee_underflow 0
		.amdhsa_exception_fp_ieee_inexact 0
		.amdhsa_exception_int_div_zero 0
	.end_amdhsa_kernel
	.section	.text._ZN12_GLOBAL__N_120softmax_warp_forwardIN3c104HalfES2_fLi8ELb0ELb1ELi64EEEvPT0_PKT_iiiPKbib,"axG",@progbits,_ZN12_GLOBAL__N_120softmax_warp_forwardIN3c104HalfES2_fLi8ELb0ELb1ELi64EEEvPT0_PKT_iiiPKbib,comdat
.Lfunc_end736:
	.size	_ZN12_GLOBAL__N_120softmax_warp_forwardIN3c104HalfES2_fLi8ELb0ELb1ELi64EEEvPT0_PKT_iiiPKbib, .Lfunc_end736-_ZN12_GLOBAL__N_120softmax_warp_forwardIN3c104HalfES2_fLi8ELb0ELb1ELi64EEEvPT0_PKT_iiiPKbib
                                        ; -- End function
	.section	.AMDGPU.csdata,"",@progbits
; Kernel info:
; codeLenInByte = 2548
; NumSgprs: 30
; NumVgprs: 21
; NumAgprs: 0
; TotalNumVgprs: 21
; ScratchSize: 0
; MemoryBound: 0
; FloatMode: 240
; IeeeMode: 1
; LDSByteSize: 0 bytes/workgroup (compile time only)
; SGPRBlocks: 3
; VGPRBlocks: 2
; NumSGPRsForWavesPerEU: 30
; NumVGPRsForWavesPerEU: 21
; AccumOffset: 24
; Occupancy: 8
; WaveLimiterHint : 0
; COMPUTE_PGM_RSRC2:SCRATCH_EN: 0
; COMPUTE_PGM_RSRC2:USER_SGPR: 6
; COMPUTE_PGM_RSRC2:TRAP_HANDLER: 0
; COMPUTE_PGM_RSRC2:TGID_X_EN: 1
; COMPUTE_PGM_RSRC2:TGID_Y_EN: 0
; COMPUTE_PGM_RSRC2:TGID_Z_EN: 0
; COMPUTE_PGM_RSRC2:TIDIG_COMP_CNT: 1
; COMPUTE_PGM_RSRC3_GFX90A:ACCUM_OFFSET: 5
; COMPUTE_PGM_RSRC3_GFX90A:TG_SPLIT: 0
	.section	.text._ZN12_GLOBAL__N_120softmax_warp_forwardIN3c104HalfES2_fLi8ELb0ELb1ELi32EEEvPT0_PKT_iiiPKbib,"axG",@progbits,_ZN12_GLOBAL__N_120softmax_warp_forwardIN3c104HalfES2_fLi8ELb0ELb1ELi32EEEvPT0_PKT_iiiPKbib,comdat
	.globl	_ZN12_GLOBAL__N_120softmax_warp_forwardIN3c104HalfES2_fLi8ELb0ELb1ELi32EEEvPT0_PKT_iiiPKbib ; -- Begin function _ZN12_GLOBAL__N_120softmax_warp_forwardIN3c104HalfES2_fLi8ELb0ELb1ELi32EEEvPT0_PKT_iiiPKbib
	.p2align	8
	.type	_ZN12_GLOBAL__N_120softmax_warp_forwardIN3c104HalfES2_fLi8ELb0ELb1ELi32EEEvPT0_PKT_iiiPKbib,@function
_ZN12_GLOBAL__N_120softmax_warp_forwardIN3c104HalfES2_fLi8ELb0ELb1ELi32EEEvPT0_PKT_iiiPKbib: ; @_ZN12_GLOBAL__N_120softmax_warp_forwardIN3c104HalfES2_fLi8ELb0ELb1ELi32EEEvPT0_PKT_iiiPKbib
; %bb.0:
	s_load_dword s2, s[4:5], 0x3c
	s_load_dwordx4 s[16:19], s[4:5], 0x10
	s_load_dwordx2 s[0:1], s[4:5], 0x28
	v_bfe_u32 v1, v0, 10, 10
	v_and_b32_e32 v2, 0x3ff, v0
	s_waitcnt lgkmcnt(0)
	s_lshr_b32 s2, s2, 16
	s_mul_i32 s6, s6, s2
	v_add_u32_e32 v3, s6, v1
	v_mul_lo_u32 v6, v3, s17
	v_add_u32_e32 v0, v6, v2
	v_ashrrev_i32_e32 v1, 31, v0
	s_bitcmp0_b32 s1, 0
	v_pk_mov_b32 v[4:5], v[0:1], v[0:1] op_sel:[0,1]
	s_cbranch_scc1 .LBB737_2
; %bb.1:
	s_abs_i32 s1, s0
	v_cvt_f32_u32_e32 v4, s1
	v_xor_b32_e32 v5, s0, v6
	v_sub_u32_e32 v7, 0, v6
	s_sub_i32 s0, 0, s1
	v_rcp_iflag_f32_e32 v4, v4
	v_max_i32_e32 v6, v6, v7
	v_ashrrev_i32_e32 v5, 31, v5
	v_mul_f32_e32 v4, 0x4f7ffffe, v4
	v_cvt_u32_f32_e32 v4, v4
	v_mul_lo_u32 v7, s0, v4
	v_mul_hi_u32 v7, v4, v7
	v_add_u32_e32 v4, v4, v7
	v_mul_hi_u32 v4, v6, v4
	v_mul_lo_u32 v7, v4, s1
	v_sub_u32_e32 v6, v6, v7
	v_add_u32_e32 v8, 1, v4
	v_cmp_le_u32_e32 vcc, s1, v6
	v_subrev_u32_e32 v7, s1, v6
	v_cndmask_b32_e32 v4, v4, v8, vcc
	v_cndmask_b32_e32 v6, v6, v7, vcc
	v_add_u32_e32 v7, 1, v4
	v_cmp_le_u32_e32 vcc, s1, v6
	v_cndmask_b32_e32 v4, v4, v7, vcc
	v_xor_b32_e32 v4, v4, v5
	v_sub_u32_e32 v4, v4, v5
	v_mad_u64_u32 v[4:5], s[0:1], v4, s17, v[2:3]
	v_ashrrev_i32_e32 v5, 31, v4
.LBB737_2:
	s_load_dwordx4 s[20:23], s[4:5], 0x0
	v_lshlrev_b64 v[0:1], 1, v[0:1]
	v_sub_u32_e32 v8, s16, v3
	v_cmp_lt_i32_e64 s[14:15], 0, v8
	v_mov_b32_e32 v15, 0xff800000
	s_waitcnt lgkmcnt(0)
	v_mov_b32_e32 v3, s23
	v_add_co_u32_e32 v6, vcc, s22, v0
	v_addc_co_u32_e32 v7, vcc, v3, v1, vcc
	v_cmp_gt_i32_e32 vcc, s18, v2
	s_and_b64 s[36:37], s[14:15], vcc
	v_mov_b32_e32 v16, 0xff800000
	s_and_saveexec_b64 s[0:1], s[36:37]
	s_cbranch_execz .LBB737_4
; %bb.3:
	global_load_ushort v3, v[6:7], off
	s_waitcnt vmcnt(0)
	v_cvt_f32_f16_e32 v16, v3
.LBB737_4:
	s_or_b64 exec, exec, s[0:1]
	v_add_u32_e32 v3, 32, v2
	v_cmp_gt_i32_e64 s[12:13], s18, v3
	s_and_b64 s[34:35], s[14:15], s[12:13]
	s_and_saveexec_b64 s[0:1], s[34:35]
	s_cbranch_execz .LBB737_6
; %bb.5:
	global_load_ushort v3, v[6:7], off offset:64
	s_waitcnt vmcnt(0)
	v_cvt_f32_f16_e32 v15, v3
.LBB737_6:
	s_or_b64 exec, exec, s[0:1]
	v_add_u32_e32 v3, 64, v2
	v_cmp_gt_i32_e64 s[10:11], s18, v3
	s_and_b64 s[30:31], s[14:15], s[10:11]
	v_mov_b32_e32 v13, 0xff800000
	v_mov_b32_e32 v14, 0xff800000
	s_and_saveexec_b64 s[0:1], s[30:31]
	s_cbranch_execz .LBB737_8
; %bb.7:
	global_load_ushort v3, v[6:7], off offset:128
	s_waitcnt vmcnt(0)
	v_cvt_f32_f16_e32 v14, v3
.LBB737_8:
	s_or_b64 exec, exec, s[0:1]
	v_add_u32_e32 v3, 0x60, v2
	v_cmp_gt_i32_e64 s[8:9], s18, v3
	s_and_b64 s[28:29], s[14:15], s[8:9]
	s_and_saveexec_b64 s[0:1], s[28:29]
	s_cbranch_execz .LBB737_10
; %bb.9:
	global_load_ushort v3, v[6:7], off offset:192
	s_waitcnt vmcnt(0)
	v_cvt_f32_f16_e32 v13, v3
.LBB737_10:
	s_or_b64 exec, exec, s[0:1]
	v_add_u32_e32 v3, 0x80, v2
	v_cmp_gt_i32_e64 s[6:7], s18, v3
	s_and_b64 s[26:27], s[14:15], s[6:7]
	v_mov_b32_e32 v11, 0xff800000
	v_mov_b32_e32 v12, 0xff800000
	s_and_saveexec_b64 s[0:1], s[26:27]
	s_cbranch_execz .LBB737_12
; %bb.11:
	global_load_ushort v3, v[6:7], off offset:256
	s_waitcnt vmcnt(0)
	v_cvt_f32_f16_e32 v12, v3
.LBB737_12:
	;; [unrolled: 24-line block ×3, first 2 shown]
	s_or_b64 exec, exec, s[0:1]
	v_add_u32_e32 v2, 0xe0, v2
	v_cmp_gt_i32_e64 s[0:1], s18, v2
	s_and_b64 s[14:15], s[14:15], s[0:1]
	s_and_saveexec_b64 s[18:19], s[14:15]
	s_cbranch_execz .LBB737_18
; %bb.17:
	global_load_ushort v2, v[6:7], off offset:448
	s_waitcnt vmcnt(0)
	v_cvt_f32_f16_e32 v9, v2
.LBB737_18:
	s_or_b64 exec, exec, s[18:19]
	s_load_dwordx2 s[4:5], s[4:5], 0x20
	s_mov_b64 s[18:19], 0
	s_waitcnt lgkmcnt(0)
	v_mov_b32_e32 v3, s5
	v_add_co_u32_e64 v2, s[4:5], s4, v4
	v_addc_co_u32_e64 v3, s[4:5], v3, v5, s[4:5]
	s_and_saveexec_b64 s[38:39], s[36:37]
	s_cbranch_execnz .LBB737_26
; %bb.19:
	s_or_b64 exec, exec, s[38:39]
	v_mov_b32_e32 v4, v16
	s_and_saveexec_b64 s[38:39], s[34:35]
	s_cbranch_execnz .LBB737_27
.LBB737_20:
	s_or_b64 exec, exec, s[38:39]
	s_and_saveexec_b64 s[38:39], s[30:31]
	s_cbranch_execnz .LBB737_30
.LBB737_21:
	s_or_b64 exec, exec, s[38:39]
	s_and_saveexec_b64 s[38:39], s[28:29]
	s_cbranch_execnz .LBB737_33
.LBB737_22:
	s_or_b64 exec, exec, s[38:39]
	s_and_saveexec_b64 s[38:39], s[26:27]
	s_cbranch_execnz .LBB737_36
.LBB737_23:
	s_or_b64 exec, exec, s[38:39]
	s_and_saveexec_b64 s[38:39], s[24:25]
	s_cbranch_execnz .LBB737_39
.LBB737_24:
	s_or_b64 exec, exec, s[38:39]
	s_and_saveexec_b64 s[38:39], s[22:23]
	s_cbranch_execnz .LBB737_42
.LBB737_25:
	s_or_b64 exec, exec, s[38:39]
	s_and_saveexec_b64 s[38:39], s[14:15]
	s_cbranch_execnz .LBB737_45
	s_branch .LBB737_48
.LBB737_26:
	global_load_ubyte v4, v[2:3], off
	s_waitcnt vmcnt(0)
	v_and_b32_e32 v4, 1, v4
	v_cmp_eq_u32_e64 s[4:5], 1, v4
	s_xor_b64 s[4:5], s[4:5], -1
	s_and_b64 s[18:19], s[4:5], exec
	s_or_b64 exec, exec, s[38:39]
	v_mov_b32_e32 v4, v16
	s_and_saveexec_b64 s[38:39], s[34:35]
	s_cbranch_execz .LBB737_20
.LBB737_27:
	global_load_ubyte v4, v[2:3], off offset:32
	s_mov_b64 s[40:41], s[18:19]
	s_waitcnt vmcnt(0)
	v_and_b32_e32 v4, 1, v4
	v_cmp_eq_u32_e64 s[4:5], 1, v4
	s_xor_b64 s[4:5], s[4:5], -1
	v_mov_b32_e32 v4, v16
	s_and_saveexec_b64 s[42:43], s[4:5]
; %bb.28:
	v_cmp_gt_f32_e64 s[4:5], v16, v15
	s_and_b64 s[4:5], s[18:19], s[4:5]
	v_cndmask_b32_e64 v4, v15, v16, s[4:5]
	s_or_b64 s[40:41], s[18:19], exec
; %bb.29:
	s_or_b64 exec, exec, s[42:43]
	s_andn2_b64 s[4:5], s[18:19], exec
	s_and_b64 s[18:19], s[40:41], exec
	s_or_b64 s[18:19], s[4:5], s[18:19]
	s_or_b64 exec, exec, s[38:39]
	s_and_saveexec_b64 s[38:39], s[30:31]
	s_cbranch_execz .LBB737_21
.LBB737_30:
	global_load_ubyte v5, v[2:3], off offset:64
	s_waitcnt vmcnt(0)
	v_and_b32_e32 v5, 1, v5
	v_cmp_eq_u32_e64 s[4:5], 1, v5
	s_xor_b64 s[42:43], s[4:5], -1
	s_mov_b64 s[4:5], s[18:19]
	s_and_saveexec_b64 s[40:41], s[42:43]
; %bb.31:
	v_cmp_gt_f32_e64 s[4:5], v4, v14
	s_and_b64 s[4:5], s[18:19], s[4:5]
	v_cndmask_b32_e64 v4, v14, v4, s[4:5]
	s_or_b64 s[4:5], s[18:19], exec
; %bb.32:
	s_or_b64 exec, exec, s[40:41]
	s_andn2_b64 s[18:19], s[18:19], exec
	s_and_b64 s[4:5], s[4:5], exec
	s_or_b64 s[18:19], s[18:19], s[4:5]
	s_or_b64 exec, exec, s[38:39]
	s_and_saveexec_b64 s[38:39], s[28:29]
	s_cbranch_execz .LBB737_22
.LBB737_33:
	global_load_ubyte v5, v[2:3], off offset:96
	s_waitcnt vmcnt(0)
	v_and_b32_e32 v5, 1, v5
	v_cmp_eq_u32_e64 s[4:5], 1, v5
	s_xor_b64 s[42:43], s[4:5], -1
	s_mov_b64 s[4:5], s[18:19]
	s_and_saveexec_b64 s[40:41], s[42:43]
; %bb.34:
	v_cmp_gt_f32_e64 s[4:5], v4, v13
	s_and_b64 s[4:5], s[18:19], s[4:5]
	v_cndmask_b32_e64 v4, v13, v4, s[4:5]
	s_or_b64 s[4:5], s[18:19], exec
; %bb.35:
	s_or_b64 exec, exec, s[40:41]
	s_andn2_b64 s[18:19], s[18:19], exec
	s_and_b64 s[4:5], s[4:5], exec
	s_or_b64 s[18:19], s[18:19], s[4:5]
	s_or_b64 exec, exec, s[38:39]
	s_and_saveexec_b64 s[38:39], s[26:27]
	s_cbranch_execz .LBB737_23
.LBB737_36:
	global_load_ubyte v5, v[2:3], off offset:128
	s_waitcnt vmcnt(0)
	v_and_b32_e32 v5, 1, v5
	v_cmp_eq_u32_e64 s[4:5], 1, v5
	s_xor_b64 s[42:43], s[4:5], -1
	s_mov_b64 s[4:5], s[18:19]
	s_and_saveexec_b64 s[40:41], s[42:43]
; %bb.37:
	v_cmp_gt_f32_e64 s[4:5], v4, v12
	s_and_b64 s[4:5], s[18:19], s[4:5]
	v_cndmask_b32_e64 v4, v12, v4, s[4:5]
	s_or_b64 s[4:5], s[18:19], exec
; %bb.38:
	s_or_b64 exec, exec, s[40:41]
	s_andn2_b64 s[18:19], s[18:19], exec
	s_and_b64 s[4:5], s[4:5], exec
	s_or_b64 s[18:19], s[18:19], s[4:5]
	s_or_b64 exec, exec, s[38:39]
	s_and_saveexec_b64 s[38:39], s[24:25]
	s_cbranch_execz .LBB737_24
.LBB737_39:
	global_load_ubyte v5, v[2:3], off offset:160
	s_waitcnt vmcnt(0)
	v_and_b32_e32 v5, 1, v5
	v_cmp_eq_u32_e64 s[4:5], 1, v5
	s_xor_b64 s[42:43], s[4:5], -1
	s_mov_b64 s[4:5], s[18:19]
	s_and_saveexec_b64 s[40:41], s[42:43]
; %bb.40:
	v_cmp_gt_f32_e64 s[4:5], v4, v11
	s_and_b64 s[4:5], s[18:19], s[4:5]
	v_cndmask_b32_e64 v4, v11, v4, s[4:5]
	s_or_b64 s[4:5], s[18:19], exec
; %bb.41:
	s_or_b64 exec, exec, s[40:41]
	s_andn2_b64 s[18:19], s[18:19], exec
	s_and_b64 s[4:5], s[4:5], exec
	s_or_b64 s[18:19], s[18:19], s[4:5]
	s_or_b64 exec, exec, s[38:39]
	s_and_saveexec_b64 s[38:39], s[22:23]
	s_cbranch_execz .LBB737_25
.LBB737_42:
	global_load_ubyte v5, v[2:3], off offset:192
	s_waitcnt vmcnt(0)
	v_and_b32_e32 v5, 1, v5
	v_cmp_eq_u32_e64 s[4:5], 1, v5
	s_xor_b64 s[42:43], s[4:5], -1
	s_mov_b64 s[4:5], s[18:19]
	s_and_saveexec_b64 s[40:41], s[42:43]
; %bb.43:
	v_cmp_gt_f32_e64 s[4:5], v4, v10
	s_and_b64 s[4:5], s[18:19], s[4:5]
	v_cndmask_b32_e64 v4, v10, v4, s[4:5]
	s_or_b64 s[4:5], s[18:19], exec
; %bb.44:
	s_or_b64 exec, exec, s[40:41]
	s_andn2_b64 s[18:19], s[18:19], exec
	s_and_b64 s[4:5], s[4:5], exec
	s_or_b64 s[18:19], s[18:19], s[4:5]
	s_or_b64 exec, exec, s[38:39]
	s_and_saveexec_b64 s[38:39], s[14:15]
	s_cbranch_execz .LBB737_48
.LBB737_45:
	global_load_ubyte v5, v[2:3], off offset:224
	s_waitcnt vmcnt(0)
	v_and_b32_e32 v5, 1, v5
	v_cmp_eq_u32_e64 s[4:5], 1, v5
	s_xor_b64 s[42:43], s[4:5], -1
	s_mov_b64 s[4:5], s[18:19]
	s_and_saveexec_b64 s[40:41], s[42:43]
; %bb.46:
	v_cmp_gt_f32_e64 s[4:5], v4, v9
	s_and_b64 s[4:5], s[18:19], s[4:5]
	v_cndmask_b32_e64 v4, v9, v4, s[4:5]
	s_or_b64 s[4:5], s[18:19], exec
; %bb.47:
	s_or_b64 exec, exec, s[40:41]
	s_andn2_b64 s[18:19], s[18:19], exec
	s_and_b64 s[4:5], s[4:5], exec
	s_or_b64 s[18:19], s[18:19], s[4:5]
.LBB737_48:
	s_or_b64 exec, exec, s[38:39]
	v_mov_b32_e32 v5, 0xff800000
	v_cndmask_b32_e64 v4, v5, v4, s[18:19]
	v_mbcnt_lo_u32_b32 v5, -1, 0
	v_mbcnt_hi_u32_b32 v5, -1, v5
	v_and_b32_e32 v6, 0x60, v5
	v_add_u32_e32 v18, 32, v6
	v_xor_b32_e32 v6, 16, v5
	v_cmp_lt_i32_e64 s[4:5], v6, v18
	v_cndmask_b32_e64 v6, v5, v6, s[4:5]
	v_lshlrev_b32_e32 v6, 2, v6
	ds_bpermute_b32 v7, v6, v4
	s_waitcnt lgkmcnt(0)
	v_cmp_lt_f32_e64 s[4:5], v4, v7
	v_cndmask_b32_e64 v4, v4, v7, s[4:5]
	v_xor_b32_e32 v7, 8, v5
	v_cmp_lt_i32_e64 s[4:5], v7, v18
	v_cndmask_b32_e64 v7, v5, v7, s[4:5]
	v_lshlrev_b32_e32 v7, 2, v7
	ds_bpermute_b32 v17, v7, v4
	s_waitcnt lgkmcnt(0)
	v_cmp_lt_f32_e64 s[4:5], v4, v17
	v_cndmask_b32_e64 v4, v4, v17, s[4:5]
	;; [unrolled: 8-line block ×4, first 2 shown]
	v_xor_b32_e32 v20, 1, v5
	v_cmp_lt_i32_e64 s[4:5], v20, v18
	v_cndmask_b32_e64 v5, v5, v20, s[4:5]
	v_lshlrev_b32_e32 v20, 2, v5
	ds_bpermute_b32 v5, v20, v4
	v_mov_b32_e32 v18, 0
	s_waitcnt lgkmcnt(0)
	v_cmp_lt_f32_e64 s[4:5], v4, v5
	v_cndmask_b32_e64 v21, v4, v5, s[4:5]
	v_mov_b32_e32 v4, 0
	s_and_saveexec_b64 s[18:19], s[36:37]
	s_cbranch_execz .LBB737_52
; %bb.49:
	global_load_ubyte v5, v[2:3], off
	v_mov_b32_e32 v18, 0
	s_waitcnt vmcnt(0)
	v_and_b32_e32 v5, 1, v5
	v_cmp_eq_u32_e64 s[4:5], 1, v5
	s_xor_b64 s[4:5], s[4:5], -1
	s_and_saveexec_b64 s[36:37], s[4:5]
	s_cbranch_execz .LBB737_51
; %bb.50:
	v_sub_f32_e32 v5, v16, v21
	s_mov_b32 s4, 0x3fb8aa3b
	v_mul_f32_e32 v16, 0x3fb8aa3b, v5
	v_fma_f32 v18, v5, s4, -v16
	v_rndne_f32_e32 v22, v16
	v_fmac_f32_e32 v18, 0x32a5705f, v5
	v_sub_f32_e32 v16, v16, v22
	v_add_f32_e32 v16, v16, v18
	v_exp_f32_e32 v16, v16
	v_cvt_i32_f32_e32 v18, v22
	s_mov_b32 s4, 0xc2ce8ed0
	v_cmp_ngt_f32_e64 s[4:5], s4, v5
	v_ldexp_f32 v16, v16, v18
	v_cndmask_b32_e64 v16, 0, v16, s[4:5]
	s_mov_b32 s4, 0x42b17218
	v_mov_b32_e32 v18, 0x7f800000
	v_cmp_nlt_f32_e64 s[4:5], s4, v5
	v_cndmask_b32_e64 v18, v18, v16, s[4:5]
.LBB737_51:
	s_or_b64 exec, exec, s[36:37]
.LBB737_52:
	s_or_b64 exec, exec, s[18:19]
	v_mov_b32_e32 v16, v18
	s_and_saveexec_b64 s[18:19], s[34:35]
	s_cbranch_execz .LBB737_56
; %bb.53:
	global_load_ubyte v5, v[2:3], off offset:32
	v_mov_b32_e32 v4, 0
	v_mov_b32_e32 v16, v18
	s_waitcnt vmcnt(0)
	v_and_b32_e32 v5, 1, v5
	v_cmp_eq_u32_e64 s[4:5], 1, v5
	s_xor_b64 s[4:5], s[4:5], -1
	s_and_saveexec_b64 s[34:35], s[4:5]
	s_cbranch_execz .LBB737_55
; %bb.54:
	v_sub_f32_e32 v4, v15, v21
	s_mov_b32 s4, 0x3fb8aa3b
	v_mul_f32_e32 v5, 0x3fb8aa3b, v4
	v_fma_f32 v15, v4, s4, -v5
	v_rndne_f32_e32 v16, v5
	v_fmac_f32_e32 v15, 0x32a5705f, v4
	v_sub_f32_e32 v5, v5, v16
	v_add_f32_e32 v5, v5, v15
	v_exp_f32_e32 v5, v5
	v_cvt_i32_f32_e32 v15, v16
	s_mov_b32 s4, 0xc2ce8ed0
	v_cmp_ngt_f32_e64 s[4:5], s4, v4
	v_ldexp_f32 v5, v5, v15
	v_cndmask_b32_e64 v5, 0, v5, s[4:5]
	s_mov_b32 s4, 0x42b17218
	v_mov_b32_e32 v15, 0x7f800000
	v_cmp_nlt_f32_e64 s[4:5], s4, v4
	v_cndmask_b32_e64 v4, v15, v5, s[4:5]
	v_add_f32_e32 v16, v18, v4
.LBB737_55:
	s_or_b64 exec, exec, s[34:35]
.LBB737_56:
	s_or_b64 exec, exec, s[18:19]
	v_mov_b32_e32 v5, 0
	v_mov_b32_e32 v15, 0
	s_and_saveexec_b64 s[18:19], s[30:31]
	s_cbranch_execz .LBB737_60
; %bb.57:
	global_load_ubyte v15, v[2:3], off offset:64
	s_waitcnt vmcnt(0)
	v_and_b32_e32 v15, 1, v15
	v_cmp_eq_u32_e64 s[4:5], 1, v15
	s_xor_b64 s[4:5], s[4:5], -1
	v_mov_b32_e32 v15, 0
	s_and_saveexec_b64 s[30:31], s[4:5]
	s_cbranch_execz .LBB737_59
; %bb.58:
	v_sub_f32_e32 v14, v14, v21
	s_mov_b32 s4, 0x3fb8aa3b
	v_mul_f32_e32 v15, 0x3fb8aa3b, v14
	v_fma_f32 v22, v14, s4, -v15
	v_rndne_f32_e32 v23, v15
	v_fmac_f32_e32 v22, 0x32a5705f, v14
	v_sub_f32_e32 v15, v15, v23
	v_add_f32_e32 v15, v15, v22
	v_exp_f32_e32 v15, v15
	v_cvt_i32_f32_e32 v22, v23
	s_mov_b32 s4, 0xc2ce8ed0
	v_cmp_ngt_f32_e64 s[4:5], s4, v14
	v_ldexp_f32 v15, v15, v22
	v_cndmask_b32_e64 v15, 0, v15, s[4:5]
	s_mov_b32 s4, 0x42b17218
	v_mov_b32_e32 v22, 0x7f800000
	v_cmp_nlt_f32_e64 s[4:5], s4, v14
	v_cndmask_b32_e64 v15, v22, v15, s[4:5]
	v_add_f32_e32 v16, v16, v15
.LBB737_59:
	s_or_b64 exec, exec, s[30:31]
.LBB737_60:
	s_or_b64 exec, exec, s[18:19]
	s_and_saveexec_b64 s[18:19], s[28:29]
	s_cbranch_execz .LBB737_64
; %bb.61:
	global_load_ubyte v5, v[2:3], off offset:96
	s_waitcnt vmcnt(0)
	v_and_b32_e32 v5, 1, v5
	v_cmp_eq_u32_e64 s[4:5], 1, v5
	s_xor_b64 s[4:5], s[4:5], -1
	v_mov_b32_e32 v5, 0
	s_and_saveexec_b64 s[28:29], s[4:5]
	s_cbranch_execz .LBB737_63
; %bb.62:
	v_sub_f32_e32 v5, v13, v21
	s_mov_b32 s4, 0x3fb8aa3b
	v_mul_f32_e32 v13, 0x3fb8aa3b, v5
	v_fma_f32 v14, v5, s4, -v13
	v_rndne_f32_e32 v22, v13
	v_fmac_f32_e32 v14, 0x32a5705f, v5
	v_sub_f32_e32 v13, v13, v22
	v_add_f32_e32 v13, v13, v14
	v_exp_f32_e32 v13, v13
	v_cvt_i32_f32_e32 v14, v22
	s_mov_b32 s4, 0xc2ce8ed0
	v_cmp_ngt_f32_e64 s[4:5], s4, v5
	v_ldexp_f32 v13, v13, v14
	v_cndmask_b32_e64 v13, 0, v13, s[4:5]
	s_mov_b32 s4, 0x42b17218
	v_mov_b32_e32 v14, 0x7f800000
	v_cmp_nlt_f32_e64 s[4:5], s4, v5
	v_cndmask_b32_e64 v5, v14, v13, s[4:5]
	v_add_f32_e32 v16, v16, v5
.LBB737_63:
	s_or_b64 exec, exec, s[28:29]
.LBB737_64:
	s_or_b64 exec, exec, s[18:19]
	v_mov_b32_e32 v13, 0
	v_mov_b32_e32 v14, 0
	s_and_saveexec_b64 s[18:19], s[26:27]
	s_cbranch_execz .LBB737_68
; %bb.65:
	global_load_ubyte v14, v[2:3], off offset:128
	s_waitcnt vmcnt(0)
	v_and_b32_e32 v14, 1, v14
	v_cmp_eq_u32_e64 s[4:5], 1, v14
	s_xor_b64 s[4:5], s[4:5], -1
	v_mov_b32_e32 v14, 0
	s_and_saveexec_b64 s[26:27], s[4:5]
	s_cbranch_execz .LBB737_67
; %bb.66:
	v_sub_f32_e32 v12, v12, v21
	s_mov_b32 s4, 0x3fb8aa3b
	v_mul_f32_e32 v14, 0x3fb8aa3b, v12
	v_fma_f32 v22, v12, s4, -v14
	v_rndne_f32_e32 v23, v14
	v_fmac_f32_e32 v22, 0x32a5705f, v12
	v_sub_f32_e32 v14, v14, v23
	v_add_f32_e32 v14, v14, v22
	v_exp_f32_e32 v14, v14
	v_cvt_i32_f32_e32 v22, v23
	s_mov_b32 s4, 0xc2ce8ed0
	v_cmp_ngt_f32_e64 s[4:5], s4, v12
	v_ldexp_f32 v14, v14, v22
	v_cndmask_b32_e64 v14, 0, v14, s[4:5]
	s_mov_b32 s4, 0x42b17218
	v_mov_b32_e32 v22, 0x7f800000
	v_cmp_nlt_f32_e64 s[4:5], s4, v12
	v_cndmask_b32_e64 v14, v22, v14, s[4:5]
	v_add_f32_e32 v16, v16, v14
.LBB737_67:
	s_or_b64 exec, exec, s[26:27]
.LBB737_68:
	s_or_b64 exec, exec, s[18:19]
	s_and_saveexec_b64 s[18:19], s[24:25]
	s_cbranch_execz .LBB737_72
; %bb.69:
	global_load_ubyte v12, v[2:3], off offset:160
	v_mov_b32_e32 v13, 0
	s_waitcnt vmcnt(0)
	v_and_b32_e32 v12, 1, v12
	v_cmp_eq_u32_e64 s[4:5], 1, v12
	s_xor_b64 s[4:5], s[4:5], -1
	s_and_saveexec_b64 s[24:25], s[4:5]
	s_cbranch_execz .LBB737_71
; %bb.70:
	v_sub_f32_e32 v11, v11, v21
	s_mov_b32 s4, 0x3fb8aa3b
	v_mul_f32_e32 v12, 0x3fb8aa3b, v11
	v_fma_f32 v13, v11, s4, -v12
	v_rndne_f32_e32 v22, v12
	v_fmac_f32_e32 v13, 0x32a5705f, v11
	v_sub_f32_e32 v12, v12, v22
	v_add_f32_e32 v12, v12, v13
	v_exp_f32_e32 v12, v12
	v_cvt_i32_f32_e32 v13, v22
	s_mov_b32 s4, 0xc2ce8ed0
	v_cmp_ngt_f32_e64 s[4:5], s4, v11
	v_ldexp_f32 v12, v12, v13
	v_cndmask_b32_e64 v12, 0, v12, s[4:5]
	s_mov_b32 s4, 0x42b17218
	v_mov_b32_e32 v13, 0x7f800000
	v_cmp_nlt_f32_e64 s[4:5], s4, v11
	v_cndmask_b32_e64 v13, v13, v12, s[4:5]
	v_add_f32_e32 v16, v16, v13
.LBB737_71:
	s_or_b64 exec, exec, s[24:25]
.LBB737_72:
	s_or_b64 exec, exec, s[18:19]
	v_mov_b32_e32 v11, 0
	v_mov_b32_e32 v12, 0
	s_and_saveexec_b64 s[18:19], s[22:23]
	s_cbranch_execz .LBB737_76
; %bb.73:
	global_load_ubyte v12, v[2:3], off offset:192
	s_waitcnt vmcnt(0)
	v_and_b32_e32 v12, 1, v12
	v_cmp_eq_u32_e64 s[4:5], 1, v12
	s_xor_b64 s[4:5], s[4:5], -1
	v_mov_b32_e32 v12, 0
	s_and_saveexec_b64 s[22:23], s[4:5]
	s_cbranch_execz .LBB737_75
; %bb.74:
	v_sub_f32_e32 v10, v10, v21
	s_mov_b32 s4, 0x3fb8aa3b
	v_mul_f32_e32 v12, 0x3fb8aa3b, v10
	v_fma_f32 v22, v10, s4, -v12
	v_rndne_f32_e32 v23, v12
	v_fmac_f32_e32 v22, 0x32a5705f, v10
	v_sub_f32_e32 v12, v12, v23
	v_add_f32_e32 v12, v12, v22
	v_exp_f32_e32 v12, v12
	v_cvt_i32_f32_e32 v22, v23
	s_mov_b32 s4, 0xc2ce8ed0
	v_cmp_ngt_f32_e64 s[4:5], s4, v10
	v_ldexp_f32 v12, v12, v22
	v_cndmask_b32_e64 v12, 0, v12, s[4:5]
	s_mov_b32 s4, 0x42b17218
	v_mov_b32_e32 v22, 0x7f800000
	v_cmp_nlt_f32_e64 s[4:5], s4, v10
	v_cndmask_b32_e64 v12, v22, v12, s[4:5]
	v_add_f32_e32 v16, v16, v12
.LBB737_75:
	s_or_b64 exec, exec, s[22:23]
.LBB737_76:
	s_or_b64 exec, exec, s[18:19]
	s_and_saveexec_b64 s[18:19], s[14:15]
	s_cbranch_execz .LBB737_80
; %bb.77:
	global_load_ubyte v2, v[2:3], off offset:224
	v_mov_b32_e32 v11, 0
	s_waitcnt vmcnt(0)
	v_and_b32_e32 v2, 1, v2
	v_cmp_eq_u32_e64 s[4:5], 1, v2
	s_xor_b64 s[4:5], s[4:5], -1
	s_and_saveexec_b64 s[14:15], s[4:5]
	s_cbranch_execz .LBB737_79
; %bb.78:
	v_sub_f32_e32 v2, v9, v21
	s_mov_b32 s4, 0x3fb8aa3b
	v_mul_f32_e32 v3, 0x3fb8aa3b, v2
	v_fma_f32 v9, v2, s4, -v3
	v_rndne_f32_e32 v10, v3
	v_fmac_f32_e32 v9, 0x32a5705f, v2
	v_sub_f32_e32 v3, v3, v10
	v_add_f32_e32 v3, v3, v9
	v_exp_f32_e32 v3, v3
	v_cvt_i32_f32_e32 v9, v10
	s_mov_b32 s4, 0xc2ce8ed0
	v_cmp_ngt_f32_e64 s[4:5], s4, v2
	v_ldexp_f32 v3, v3, v9
	v_cndmask_b32_e64 v3, 0, v3, s[4:5]
	s_mov_b32 s4, 0x42b17218
	v_mov_b32_e32 v9, 0x7f800000
	v_cmp_nlt_f32_e64 s[4:5], s4, v2
	v_cndmask_b32_e64 v11, v9, v3, s[4:5]
	v_add_f32_e32 v16, v16, v11
.LBB737_79:
	s_or_b64 exec, exec, s[14:15]
.LBB737_80:
	s_or_b64 exec, exec, s[18:19]
	ds_bpermute_b32 v2, v6, v16
	v_cmp_lt_i32_e64 s[4:5], 0, v8
	s_waitcnt lgkmcnt(0)
	v_add_f32_e32 v2, v16, v2
	ds_bpermute_b32 v3, v7, v2
	s_waitcnt lgkmcnt(0)
	v_add_f32_e32 v2, v2, v3
	ds_bpermute_b32 v3, v17, v2
	s_waitcnt lgkmcnt(0)
	v_add_f32_e32 v2, v2, v3
	ds_bpermute_b32 v3, v19, v2
	s_waitcnt lgkmcnt(0)
	v_add_f32_e32 v2, v2, v3
	ds_bpermute_b32 v3, v20, v2
	s_and_saveexec_b64 s[14:15], s[4:5]
	s_cbranch_execz .LBB737_106
; %bb.81:
	s_and_b64 exec, exec, vcc
	s_cbranch_execz .LBB737_106
; %bb.82:
	s_waitcnt lgkmcnt(0)
	v_add_f32_e32 v2, v2, v3
	v_cmp_neq_f32_e64 s[14:15], 0, v2
	v_mov_b32_e32 v3, 0x7e00
	s_and_saveexec_b64 s[4:5], s[14:15]
	s_cbranch_execz .LBB737_84
; %bb.83:
	v_div_scale_f32 v3, s[18:19], v2, v2, v18
	v_rcp_f32_e32 v6, v3
	v_div_scale_f32 v7, vcc, v18, v2, v18
	v_fma_f32 v8, -v3, v6, 1.0
	v_fmac_f32_e32 v6, v8, v6
	v_mul_f32_e32 v8, v7, v6
	v_fma_f32 v9, -v3, v8, v7
	v_fmac_f32_e32 v8, v9, v6
	v_fma_f32 v3, -v3, v8, v7
	v_div_fmas_f32 v3, v3, v6, v8
	v_div_fixup_f32 v3, v3, v2, v18
	v_cvt_f16_f32_e32 v3, v3
.LBB737_84:
	s_or_b64 exec, exec, s[4:5]
	v_mov_b32_e32 v6, s21
	v_add_co_u32_e32 v0, vcc, s20, v0
	v_addc_co_u32_e32 v1, vcc, v6, v1, vcc
	global_store_short v[0:1], v3, off
	s_and_b64 exec, exec, s[12:13]
	s_cbranch_execz .LBB737_106
; %bb.85:
	v_mov_b32_e32 v3, 0x7e00
	s_and_saveexec_b64 s[4:5], s[14:15]
	s_cbranch_execz .LBB737_87
; %bb.86:
	v_div_scale_f32 v3, s[12:13], v2, v2, v4
	v_rcp_f32_e32 v6, v3
	v_div_scale_f32 v7, vcc, v4, v2, v4
	v_fma_f32 v8, -v3, v6, 1.0
	v_fmac_f32_e32 v6, v8, v6
	v_mul_f32_e32 v8, v7, v6
	v_fma_f32 v9, -v3, v8, v7
	v_fmac_f32_e32 v8, v9, v6
	v_fma_f32 v3, -v3, v8, v7
	v_div_fmas_f32 v3, v3, v6, v8
	v_div_fixup_f32 v3, v3, v2, v4
	v_cvt_f16_f32_e32 v3, v3
.LBB737_87:
	s_or_b64 exec, exec, s[4:5]
	global_store_short v[0:1], v3, off offset:64
	s_and_b64 exec, exec, s[10:11]
	s_cbranch_execz .LBB737_106
; %bb.88:
	v_mov_b32_e32 v3, 0x7e00
	s_and_saveexec_b64 s[4:5], s[14:15]
	s_cbranch_execz .LBB737_90
; %bb.89:
	v_div_scale_f32 v3, s[10:11], v2, v2, v15
	v_rcp_f32_e32 v4, v3
	v_div_scale_f32 v6, vcc, v15, v2, v15
	v_fma_f32 v7, -v3, v4, 1.0
	v_fmac_f32_e32 v4, v7, v4
	v_mul_f32_e32 v7, v6, v4
	v_fma_f32 v8, -v3, v7, v6
	v_fmac_f32_e32 v7, v8, v4
	v_fma_f32 v3, -v3, v7, v6
	v_div_fmas_f32 v3, v3, v4, v7
	v_div_fixup_f32 v3, v3, v2, v15
	v_cvt_f16_f32_e32 v3, v3
.LBB737_90:
	s_or_b64 exec, exec, s[4:5]
	global_store_short v[0:1], v3, off offset:128
	;; [unrolled: 22-line block ×7, first 2 shown]
.LBB737_106:
	s_endpgm
	.section	.rodata,"a",@progbits
	.p2align	6, 0x0
	.amdhsa_kernel _ZN12_GLOBAL__N_120softmax_warp_forwardIN3c104HalfES2_fLi8ELb0ELb1ELi32EEEvPT0_PKT_iiiPKbib
		.amdhsa_group_segment_fixed_size 0
		.amdhsa_private_segment_fixed_size 0
		.amdhsa_kernarg_size 304
		.amdhsa_user_sgpr_count 6
		.amdhsa_user_sgpr_private_segment_buffer 1
		.amdhsa_user_sgpr_dispatch_ptr 0
		.amdhsa_user_sgpr_queue_ptr 0
		.amdhsa_user_sgpr_kernarg_segment_ptr 1
		.amdhsa_user_sgpr_dispatch_id 0
		.amdhsa_user_sgpr_flat_scratch_init 0
		.amdhsa_user_sgpr_kernarg_preload_length 0
		.amdhsa_user_sgpr_kernarg_preload_offset 0
		.amdhsa_user_sgpr_private_segment_size 0
		.amdhsa_uses_dynamic_stack 0
		.amdhsa_system_sgpr_private_segment_wavefront_offset 0
		.amdhsa_system_sgpr_workgroup_id_x 1
		.amdhsa_system_sgpr_workgroup_id_y 0
		.amdhsa_system_sgpr_workgroup_id_z 0
		.amdhsa_system_sgpr_workgroup_info 0
		.amdhsa_system_vgpr_workitem_id 1
		.amdhsa_next_free_vgpr 24
		.amdhsa_next_free_sgpr 44
		.amdhsa_accum_offset 24
		.amdhsa_reserve_vcc 1
		.amdhsa_reserve_flat_scratch 0
		.amdhsa_float_round_mode_32 0
		.amdhsa_float_round_mode_16_64 0
		.amdhsa_float_denorm_mode_32 3
		.amdhsa_float_denorm_mode_16_64 3
		.amdhsa_dx10_clamp 1
		.amdhsa_ieee_mode 1
		.amdhsa_fp16_overflow 0
		.amdhsa_tg_split 0
		.amdhsa_exception_fp_ieee_invalid_op 0
		.amdhsa_exception_fp_denorm_src 0
		.amdhsa_exception_fp_ieee_div_zero 0
		.amdhsa_exception_fp_ieee_overflow 0
		.amdhsa_exception_fp_ieee_underflow 0
		.amdhsa_exception_fp_ieee_inexact 0
		.amdhsa_exception_int_div_zero 0
	.end_amdhsa_kernel
	.section	.text._ZN12_GLOBAL__N_120softmax_warp_forwardIN3c104HalfES2_fLi8ELb0ELb1ELi32EEEvPT0_PKT_iiiPKbib,"axG",@progbits,_ZN12_GLOBAL__N_120softmax_warp_forwardIN3c104HalfES2_fLi8ELb0ELb1ELi32EEEvPT0_PKT_iiiPKbib,comdat
.Lfunc_end737:
	.size	_ZN12_GLOBAL__N_120softmax_warp_forwardIN3c104HalfES2_fLi8ELb0ELb1ELi32EEEvPT0_PKT_iiiPKbib, .Lfunc_end737-_ZN12_GLOBAL__N_120softmax_warp_forwardIN3c104HalfES2_fLi8ELb0ELb1ELi32EEEvPT0_PKT_iiiPKbib
                                        ; -- End function
	.section	.AMDGPU.csdata,"",@progbits
; Kernel info:
; codeLenInByte = 4288
; NumSgprs: 48
; NumVgprs: 24
; NumAgprs: 0
; TotalNumVgprs: 24
; ScratchSize: 0
; MemoryBound: 0
; FloatMode: 240
; IeeeMode: 1
; LDSByteSize: 0 bytes/workgroup (compile time only)
; SGPRBlocks: 5
; VGPRBlocks: 2
; NumSGPRsForWavesPerEU: 48
; NumVGPRsForWavesPerEU: 24
; AccumOffset: 24
; Occupancy: 8
; WaveLimiterHint : 0
; COMPUTE_PGM_RSRC2:SCRATCH_EN: 0
; COMPUTE_PGM_RSRC2:USER_SGPR: 6
; COMPUTE_PGM_RSRC2:TRAP_HANDLER: 0
; COMPUTE_PGM_RSRC2:TGID_X_EN: 1
; COMPUTE_PGM_RSRC2:TGID_Y_EN: 0
; COMPUTE_PGM_RSRC2:TGID_Z_EN: 0
; COMPUTE_PGM_RSRC2:TIDIG_COMP_CNT: 1
; COMPUTE_PGM_RSRC3_GFX90A:ACCUM_OFFSET: 5
; COMPUTE_PGM_RSRC3_GFX90A:TG_SPLIT: 0
	.section	.text._ZN12_GLOBAL__N_120softmax_warp_forwardIN3c104HalfES2_fLi9ELb0ELb1ELi64EEEvPT0_PKT_iiiPKbib,"axG",@progbits,_ZN12_GLOBAL__N_120softmax_warp_forwardIN3c104HalfES2_fLi9ELb0ELb1ELi64EEEvPT0_PKT_iiiPKbib,comdat
	.globl	_ZN12_GLOBAL__N_120softmax_warp_forwardIN3c104HalfES2_fLi9ELb0ELb1ELi64EEEvPT0_PKT_iiiPKbib ; -- Begin function _ZN12_GLOBAL__N_120softmax_warp_forwardIN3c104HalfES2_fLi9ELb0ELb1ELi64EEEvPT0_PKT_iiiPKbib
	.p2align	8
	.type	_ZN12_GLOBAL__N_120softmax_warp_forwardIN3c104HalfES2_fLi9ELb0ELb1ELi64EEEvPT0_PKT_iiiPKbib,@function
_ZN12_GLOBAL__N_120softmax_warp_forwardIN3c104HalfES2_fLi9ELb0ELb1ELi64EEEvPT0_PKT_iiiPKbib: ; @_ZN12_GLOBAL__N_120softmax_warp_forwardIN3c104HalfES2_fLi9ELb0ELb1ELi64EEEvPT0_PKT_iiiPKbib
; %bb.0:
	s_load_dword s2, s[4:5], 0x3c
	s_load_dwordx4 s[16:19], s[4:5], 0x10
	s_load_dwordx2 s[0:1], s[4:5], 0x28
	v_bfe_u32 v1, v0, 10, 10
	v_and_b32_e32 v2, 0x3ff, v0
	s_waitcnt lgkmcnt(0)
	s_lshr_b32 s2, s2, 16
	s_mul_i32 s6, s6, s2
	v_add_u32_e32 v3, s6, v1
	v_mul_lo_u32 v6, v3, s17
	v_add_u32_e32 v0, v6, v2
	v_ashrrev_i32_e32 v1, 31, v0
	s_bitcmp0_b32 s1, 0
	v_pk_mov_b32 v[4:5], v[0:1], v[0:1] op_sel:[0,1]
	s_cbranch_scc1 .LBB738_2
; %bb.1:
	s_abs_i32 s1, s0
	v_cvt_f32_u32_e32 v4, s1
	v_xor_b32_e32 v5, s0, v6
	v_sub_u32_e32 v7, 0, v6
	s_sub_i32 s0, 0, s1
	v_rcp_iflag_f32_e32 v4, v4
	v_max_i32_e32 v6, v6, v7
	v_ashrrev_i32_e32 v5, 31, v5
	v_mul_f32_e32 v4, 0x4f7ffffe, v4
	v_cvt_u32_f32_e32 v4, v4
	v_mul_lo_u32 v7, s0, v4
	v_mul_hi_u32 v7, v4, v7
	v_add_u32_e32 v4, v4, v7
	v_mul_hi_u32 v4, v6, v4
	v_mul_lo_u32 v7, v4, s1
	v_sub_u32_e32 v6, v6, v7
	v_add_u32_e32 v8, 1, v4
	v_cmp_le_u32_e32 vcc, s1, v6
	v_subrev_u32_e32 v7, s1, v6
	v_cndmask_b32_e32 v4, v4, v8, vcc
	v_cndmask_b32_e32 v6, v6, v7, vcc
	v_add_u32_e32 v7, 1, v4
	v_cmp_le_u32_e32 vcc, s1, v6
	v_cndmask_b32_e32 v4, v4, v7, vcc
	v_xor_b32_e32 v4, v4, v5
	v_sub_u32_e32 v4, v4, v5
	v_mad_u64_u32 v[4:5], s[0:1], v4, s17, v[2:3]
	v_ashrrev_i32_e32 v5, 31, v4
.LBB738_2:
	s_load_dwordx4 s[20:23], s[4:5], 0x0
	v_lshlrev_b64 v[0:1], 1, v[0:1]
	v_sub_u32_e32 v8, s16, v3
	v_cmp_lt_i32_e64 s[14:15], 0, v8
	v_mov_b32_e32 v15, 0xff800000
	s_waitcnt lgkmcnt(0)
	v_mov_b32_e32 v3, s23
	v_add_co_u32_e32 v6, vcc, s22, v0
	v_addc_co_u32_e32 v7, vcc, v3, v1, vcc
	v_cmp_gt_i32_e32 vcc, s18, v2
	s_and_b64 s[36:37], s[14:15], vcc
	v_mov_b32_e32 v16, 0xff800000
	s_and_saveexec_b64 s[0:1], s[36:37]
	s_cbranch_execz .LBB738_4
; %bb.3:
	global_load_ushort v3, v[6:7], off
	s_waitcnt vmcnt(0)
	v_cvt_f32_f16_e32 v16, v3
.LBB738_4:
	s_or_b64 exec, exec, s[0:1]
	v_add_u32_e32 v3, 64, v2
	v_cmp_gt_i32_e64 s[12:13], s18, v3
	s_and_b64 s[34:35], s[14:15], s[12:13]
	s_and_saveexec_b64 s[0:1], s[34:35]
	s_cbranch_execz .LBB738_6
; %bb.5:
	global_load_ushort v3, v[6:7], off offset:128
	s_waitcnt vmcnt(0)
	v_cvt_f32_f16_e32 v15, v3
.LBB738_6:
	s_or_b64 exec, exec, s[0:1]
	v_add_u32_e32 v3, 0x80, v2
	v_cmp_gt_i32_e64 s[10:11], s18, v3
	s_and_b64 s[30:31], s[14:15], s[10:11]
	v_mov_b32_e32 v13, 0xff800000
	v_mov_b32_e32 v14, 0xff800000
	s_and_saveexec_b64 s[0:1], s[30:31]
	s_cbranch_execz .LBB738_8
; %bb.7:
	global_load_ushort v3, v[6:7], off offset:256
	s_waitcnt vmcnt(0)
	v_cvt_f32_f16_e32 v14, v3
.LBB738_8:
	s_or_b64 exec, exec, s[0:1]
	v_add_u32_e32 v3, 0xc0, v2
	v_cmp_gt_i32_e64 s[8:9], s18, v3
	s_and_b64 s[28:29], s[14:15], s[8:9]
	s_and_saveexec_b64 s[0:1], s[28:29]
	s_cbranch_execz .LBB738_10
; %bb.9:
	global_load_ushort v3, v[6:7], off offset:384
	s_waitcnt vmcnt(0)
	v_cvt_f32_f16_e32 v13, v3
.LBB738_10:
	s_or_b64 exec, exec, s[0:1]
	v_add_u32_e32 v3, 0x100, v2
	v_cmp_gt_i32_e64 s[6:7], s18, v3
	s_and_b64 s[26:27], s[14:15], s[6:7]
	v_mov_b32_e32 v11, 0xff800000
	v_mov_b32_e32 v12, 0xff800000
	s_and_saveexec_b64 s[0:1], s[26:27]
	s_cbranch_execz .LBB738_12
; %bb.11:
	global_load_ushort v3, v[6:7], off offset:512
	s_waitcnt vmcnt(0)
	v_cvt_f32_f16_e32 v12, v3
.LBB738_12:
	;; [unrolled: 24-line block ×3, first 2 shown]
	s_or_b64 exec, exec, s[0:1]
	v_add_u32_e32 v2, 0x1c0, v2
	v_cmp_gt_i32_e64 s[0:1], s18, v2
	s_and_b64 s[14:15], s[14:15], s[0:1]
	s_and_saveexec_b64 s[18:19], s[14:15]
	s_cbranch_execz .LBB738_18
; %bb.17:
	global_load_ushort v2, v[6:7], off offset:896
	s_waitcnt vmcnt(0)
	v_cvt_f32_f16_e32 v9, v2
.LBB738_18:
	s_or_b64 exec, exec, s[18:19]
	s_load_dwordx2 s[4:5], s[4:5], 0x20
	s_mov_b64 s[18:19], 0
	s_waitcnt lgkmcnt(0)
	v_mov_b32_e32 v3, s5
	v_add_co_u32_e64 v2, s[4:5], s4, v4
	v_addc_co_u32_e64 v3, s[4:5], v3, v5, s[4:5]
	s_and_saveexec_b64 s[38:39], s[36:37]
	s_cbranch_execnz .LBB738_26
; %bb.19:
	s_or_b64 exec, exec, s[38:39]
	v_mov_b32_e32 v4, v16
	s_and_saveexec_b64 s[38:39], s[34:35]
	s_cbranch_execnz .LBB738_27
.LBB738_20:
	s_or_b64 exec, exec, s[38:39]
	s_and_saveexec_b64 s[38:39], s[30:31]
	s_cbranch_execnz .LBB738_30
.LBB738_21:
	s_or_b64 exec, exec, s[38:39]
	s_and_saveexec_b64 s[38:39], s[28:29]
	s_cbranch_execnz .LBB738_33
.LBB738_22:
	s_or_b64 exec, exec, s[38:39]
	s_and_saveexec_b64 s[38:39], s[26:27]
	s_cbranch_execnz .LBB738_36
.LBB738_23:
	s_or_b64 exec, exec, s[38:39]
	s_and_saveexec_b64 s[38:39], s[24:25]
	s_cbranch_execnz .LBB738_39
.LBB738_24:
	s_or_b64 exec, exec, s[38:39]
	s_and_saveexec_b64 s[38:39], s[22:23]
	s_cbranch_execnz .LBB738_42
.LBB738_25:
	s_or_b64 exec, exec, s[38:39]
	s_and_saveexec_b64 s[38:39], s[14:15]
	s_cbranch_execnz .LBB738_45
	s_branch .LBB738_48
.LBB738_26:
	global_load_ubyte v4, v[2:3], off
	s_waitcnt vmcnt(0)
	v_and_b32_e32 v4, 1, v4
	v_cmp_eq_u32_e64 s[4:5], 1, v4
	s_xor_b64 s[4:5], s[4:5], -1
	s_and_b64 s[18:19], s[4:5], exec
	s_or_b64 exec, exec, s[38:39]
	v_mov_b32_e32 v4, v16
	s_and_saveexec_b64 s[38:39], s[34:35]
	s_cbranch_execz .LBB738_20
.LBB738_27:
	global_load_ubyte v4, v[2:3], off offset:64
	s_mov_b64 s[40:41], s[18:19]
	s_waitcnt vmcnt(0)
	v_and_b32_e32 v4, 1, v4
	v_cmp_eq_u32_e64 s[4:5], 1, v4
	s_xor_b64 s[4:5], s[4:5], -1
	v_mov_b32_e32 v4, v16
	s_and_saveexec_b64 s[42:43], s[4:5]
; %bb.28:
	v_cmp_gt_f32_e64 s[4:5], v16, v15
	s_and_b64 s[4:5], s[18:19], s[4:5]
	v_cndmask_b32_e64 v4, v15, v16, s[4:5]
	s_or_b64 s[40:41], s[18:19], exec
; %bb.29:
	s_or_b64 exec, exec, s[42:43]
	s_andn2_b64 s[4:5], s[18:19], exec
	s_and_b64 s[18:19], s[40:41], exec
	s_or_b64 s[18:19], s[4:5], s[18:19]
	s_or_b64 exec, exec, s[38:39]
	s_and_saveexec_b64 s[38:39], s[30:31]
	s_cbranch_execz .LBB738_21
.LBB738_30:
	global_load_ubyte v5, v[2:3], off offset:128
	s_waitcnt vmcnt(0)
	v_and_b32_e32 v5, 1, v5
	v_cmp_eq_u32_e64 s[4:5], 1, v5
	s_xor_b64 s[42:43], s[4:5], -1
	s_mov_b64 s[4:5], s[18:19]
	s_and_saveexec_b64 s[40:41], s[42:43]
; %bb.31:
	v_cmp_gt_f32_e64 s[4:5], v4, v14
	s_and_b64 s[4:5], s[18:19], s[4:5]
	v_cndmask_b32_e64 v4, v14, v4, s[4:5]
	s_or_b64 s[4:5], s[18:19], exec
; %bb.32:
	s_or_b64 exec, exec, s[40:41]
	s_andn2_b64 s[18:19], s[18:19], exec
	s_and_b64 s[4:5], s[4:5], exec
	s_or_b64 s[18:19], s[18:19], s[4:5]
	s_or_b64 exec, exec, s[38:39]
	s_and_saveexec_b64 s[38:39], s[28:29]
	s_cbranch_execz .LBB738_22
.LBB738_33:
	global_load_ubyte v5, v[2:3], off offset:192
	s_waitcnt vmcnt(0)
	v_and_b32_e32 v5, 1, v5
	v_cmp_eq_u32_e64 s[4:5], 1, v5
	s_xor_b64 s[42:43], s[4:5], -1
	s_mov_b64 s[4:5], s[18:19]
	s_and_saveexec_b64 s[40:41], s[42:43]
; %bb.34:
	v_cmp_gt_f32_e64 s[4:5], v4, v13
	s_and_b64 s[4:5], s[18:19], s[4:5]
	v_cndmask_b32_e64 v4, v13, v4, s[4:5]
	s_or_b64 s[4:5], s[18:19], exec
; %bb.35:
	s_or_b64 exec, exec, s[40:41]
	s_andn2_b64 s[18:19], s[18:19], exec
	s_and_b64 s[4:5], s[4:5], exec
	s_or_b64 s[18:19], s[18:19], s[4:5]
	s_or_b64 exec, exec, s[38:39]
	s_and_saveexec_b64 s[38:39], s[26:27]
	s_cbranch_execz .LBB738_23
.LBB738_36:
	global_load_ubyte v5, v[2:3], off offset:256
	s_waitcnt vmcnt(0)
	v_and_b32_e32 v5, 1, v5
	v_cmp_eq_u32_e64 s[4:5], 1, v5
	s_xor_b64 s[42:43], s[4:5], -1
	s_mov_b64 s[4:5], s[18:19]
	s_and_saveexec_b64 s[40:41], s[42:43]
; %bb.37:
	v_cmp_gt_f32_e64 s[4:5], v4, v12
	s_and_b64 s[4:5], s[18:19], s[4:5]
	v_cndmask_b32_e64 v4, v12, v4, s[4:5]
	s_or_b64 s[4:5], s[18:19], exec
; %bb.38:
	s_or_b64 exec, exec, s[40:41]
	s_andn2_b64 s[18:19], s[18:19], exec
	s_and_b64 s[4:5], s[4:5], exec
	s_or_b64 s[18:19], s[18:19], s[4:5]
	s_or_b64 exec, exec, s[38:39]
	s_and_saveexec_b64 s[38:39], s[24:25]
	s_cbranch_execz .LBB738_24
.LBB738_39:
	global_load_ubyte v5, v[2:3], off offset:320
	s_waitcnt vmcnt(0)
	v_and_b32_e32 v5, 1, v5
	v_cmp_eq_u32_e64 s[4:5], 1, v5
	s_xor_b64 s[42:43], s[4:5], -1
	s_mov_b64 s[4:5], s[18:19]
	s_and_saveexec_b64 s[40:41], s[42:43]
; %bb.40:
	v_cmp_gt_f32_e64 s[4:5], v4, v11
	s_and_b64 s[4:5], s[18:19], s[4:5]
	v_cndmask_b32_e64 v4, v11, v4, s[4:5]
	s_or_b64 s[4:5], s[18:19], exec
; %bb.41:
	s_or_b64 exec, exec, s[40:41]
	s_andn2_b64 s[18:19], s[18:19], exec
	s_and_b64 s[4:5], s[4:5], exec
	s_or_b64 s[18:19], s[18:19], s[4:5]
	s_or_b64 exec, exec, s[38:39]
	s_and_saveexec_b64 s[38:39], s[22:23]
	s_cbranch_execz .LBB738_25
.LBB738_42:
	global_load_ubyte v5, v[2:3], off offset:384
	s_waitcnt vmcnt(0)
	v_and_b32_e32 v5, 1, v5
	v_cmp_eq_u32_e64 s[4:5], 1, v5
	s_xor_b64 s[42:43], s[4:5], -1
	s_mov_b64 s[4:5], s[18:19]
	s_and_saveexec_b64 s[40:41], s[42:43]
; %bb.43:
	v_cmp_gt_f32_e64 s[4:5], v4, v10
	s_and_b64 s[4:5], s[18:19], s[4:5]
	v_cndmask_b32_e64 v4, v10, v4, s[4:5]
	s_or_b64 s[4:5], s[18:19], exec
; %bb.44:
	s_or_b64 exec, exec, s[40:41]
	s_andn2_b64 s[18:19], s[18:19], exec
	s_and_b64 s[4:5], s[4:5], exec
	s_or_b64 s[18:19], s[18:19], s[4:5]
	s_or_b64 exec, exec, s[38:39]
	s_and_saveexec_b64 s[38:39], s[14:15]
	s_cbranch_execz .LBB738_48
.LBB738_45:
	global_load_ubyte v5, v[2:3], off offset:448
	s_waitcnt vmcnt(0)
	v_and_b32_e32 v5, 1, v5
	v_cmp_eq_u32_e64 s[4:5], 1, v5
	s_xor_b64 s[42:43], s[4:5], -1
	s_mov_b64 s[4:5], s[18:19]
	s_and_saveexec_b64 s[40:41], s[42:43]
; %bb.46:
	v_cmp_gt_f32_e64 s[4:5], v4, v9
	s_and_b64 s[4:5], s[18:19], s[4:5]
	v_cndmask_b32_e64 v4, v9, v4, s[4:5]
	s_or_b64 s[4:5], s[18:19], exec
; %bb.47:
	s_or_b64 exec, exec, s[40:41]
	s_andn2_b64 s[18:19], s[18:19], exec
	s_and_b64 s[4:5], s[4:5], exec
	s_or_b64 s[18:19], s[18:19], s[4:5]
.LBB738_48:
	s_or_b64 exec, exec, s[38:39]
	v_mov_b32_e32 v5, 0xff800000
	v_cndmask_b32_e64 v4, v5, v4, s[18:19]
	v_mbcnt_lo_u32_b32 v5, -1, 0
	v_mbcnt_hi_u32_b32 v6, -1, v5
	v_and_b32_e32 v5, 64, v6
	v_add_u32_e32 v19, 64, v5
	v_xor_b32_e32 v5, 32, v6
	v_cmp_lt_i32_e64 s[4:5], v5, v19
	v_cndmask_b32_e64 v5, v6, v5, s[4:5]
	v_lshlrev_b32_e32 v5, 2, v5
	ds_bpermute_b32 v7, v5, v4
	s_waitcnt lgkmcnt(0)
	v_cmp_lt_f32_e64 s[4:5], v4, v7
	v_cndmask_b32_e64 v4, v4, v7, s[4:5]
	v_xor_b32_e32 v7, 16, v6
	v_cmp_lt_i32_e64 s[4:5], v7, v19
	v_cndmask_b32_e64 v7, v6, v7, s[4:5]
	v_lshlrev_b32_e32 v7, 2, v7
	ds_bpermute_b32 v17, v7, v4
	s_waitcnt lgkmcnt(0)
	v_cmp_lt_f32_e64 s[4:5], v4, v17
	v_cndmask_b32_e64 v4, v4, v17, s[4:5]
	;; [unrolled: 8-line block ×5, first 2 shown]
	v_xor_b32_e32 v21, 1, v6
	v_cmp_lt_i32_e64 s[4:5], v21, v19
	v_cndmask_b32_e64 v6, v6, v21, s[4:5]
	v_lshlrev_b32_e32 v21, 2, v6
	ds_bpermute_b32 v6, v21, v4
	v_mov_b32_e32 v19, 0
	s_waitcnt lgkmcnt(0)
	v_cmp_lt_f32_e64 s[4:5], v4, v6
	v_cndmask_b32_e64 v22, v4, v6, s[4:5]
	v_mov_b32_e32 v4, 0
	s_and_saveexec_b64 s[18:19], s[36:37]
	s_cbranch_execz .LBB738_52
; %bb.49:
	global_load_ubyte v6, v[2:3], off
	v_mov_b32_e32 v19, 0
	s_waitcnt vmcnt(0)
	v_and_b32_e32 v6, 1, v6
	v_cmp_eq_u32_e64 s[4:5], 1, v6
	s_xor_b64 s[4:5], s[4:5], -1
	s_and_saveexec_b64 s[36:37], s[4:5]
	s_cbranch_execz .LBB738_51
; %bb.50:
	v_sub_f32_e32 v6, v16, v22
	s_mov_b32 s4, 0x3fb8aa3b
	v_mul_f32_e32 v16, 0x3fb8aa3b, v6
	v_fma_f32 v19, v6, s4, -v16
	v_rndne_f32_e32 v23, v16
	v_fmac_f32_e32 v19, 0x32a5705f, v6
	v_sub_f32_e32 v16, v16, v23
	v_add_f32_e32 v16, v16, v19
	v_exp_f32_e32 v16, v16
	v_cvt_i32_f32_e32 v19, v23
	s_mov_b32 s4, 0xc2ce8ed0
	v_cmp_ngt_f32_e64 s[4:5], s4, v6
	v_ldexp_f32 v16, v16, v19
	v_cndmask_b32_e64 v16, 0, v16, s[4:5]
	s_mov_b32 s4, 0x42b17218
	v_mov_b32_e32 v19, 0x7f800000
	v_cmp_nlt_f32_e64 s[4:5], s4, v6
	v_cndmask_b32_e64 v19, v19, v16, s[4:5]
.LBB738_51:
	s_or_b64 exec, exec, s[36:37]
.LBB738_52:
	s_or_b64 exec, exec, s[18:19]
	v_mov_b32_e32 v16, v19
	s_and_saveexec_b64 s[18:19], s[34:35]
	s_cbranch_execz .LBB738_56
; %bb.53:
	global_load_ubyte v6, v[2:3], off offset:64
	v_mov_b32_e32 v4, 0
	v_mov_b32_e32 v16, v19
	s_waitcnt vmcnt(0)
	v_and_b32_e32 v6, 1, v6
	v_cmp_eq_u32_e64 s[4:5], 1, v6
	s_xor_b64 s[4:5], s[4:5], -1
	s_and_saveexec_b64 s[34:35], s[4:5]
	s_cbranch_execz .LBB738_55
; %bb.54:
	v_sub_f32_e32 v4, v15, v22
	s_mov_b32 s4, 0x3fb8aa3b
	v_mul_f32_e32 v6, 0x3fb8aa3b, v4
	v_fma_f32 v15, v4, s4, -v6
	v_rndne_f32_e32 v16, v6
	v_fmac_f32_e32 v15, 0x32a5705f, v4
	v_sub_f32_e32 v6, v6, v16
	v_add_f32_e32 v6, v6, v15
	v_exp_f32_e32 v6, v6
	v_cvt_i32_f32_e32 v15, v16
	s_mov_b32 s4, 0xc2ce8ed0
	v_cmp_ngt_f32_e64 s[4:5], s4, v4
	v_ldexp_f32 v6, v6, v15
	v_cndmask_b32_e64 v6, 0, v6, s[4:5]
	s_mov_b32 s4, 0x42b17218
	v_mov_b32_e32 v15, 0x7f800000
	v_cmp_nlt_f32_e64 s[4:5], s4, v4
	v_cndmask_b32_e64 v4, v15, v6, s[4:5]
	v_add_f32_e32 v16, v19, v4
.LBB738_55:
	s_or_b64 exec, exec, s[34:35]
.LBB738_56:
	s_or_b64 exec, exec, s[18:19]
	v_mov_b32_e32 v6, 0
	v_mov_b32_e32 v15, 0
	s_and_saveexec_b64 s[18:19], s[30:31]
	s_cbranch_execz .LBB738_60
; %bb.57:
	global_load_ubyte v15, v[2:3], off offset:128
	s_waitcnt vmcnt(0)
	v_and_b32_e32 v15, 1, v15
	v_cmp_eq_u32_e64 s[4:5], 1, v15
	s_xor_b64 s[4:5], s[4:5], -1
	v_mov_b32_e32 v15, 0
	s_and_saveexec_b64 s[30:31], s[4:5]
	s_cbranch_execz .LBB738_59
; %bb.58:
	v_sub_f32_e32 v14, v14, v22
	s_mov_b32 s4, 0x3fb8aa3b
	v_mul_f32_e32 v15, 0x3fb8aa3b, v14
	v_fma_f32 v23, v14, s4, -v15
	v_rndne_f32_e32 v24, v15
	v_fmac_f32_e32 v23, 0x32a5705f, v14
	v_sub_f32_e32 v15, v15, v24
	v_add_f32_e32 v15, v15, v23
	v_exp_f32_e32 v15, v15
	v_cvt_i32_f32_e32 v23, v24
	s_mov_b32 s4, 0xc2ce8ed0
	v_cmp_ngt_f32_e64 s[4:5], s4, v14
	v_ldexp_f32 v15, v15, v23
	v_cndmask_b32_e64 v15, 0, v15, s[4:5]
	s_mov_b32 s4, 0x42b17218
	v_mov_b32_e32 v23, 0x7f800000
	v_cmp_nlt_f32_e64 s[4:5], s4, v14
	v_cndmask_b32_e64 v15, v23, v15, s[4:5]
	v_add_f32_e32 v16, v16, v15
.LBB738_59:
	s_or_b64 exec, exec, s[30:31]
.LBB738_60:
	s_or_b64 exec, exec, s[18:19]
	s_and_saveexec_b64 s[18:19], s[28:29]
	s_cbranch_execz .LBB738_64
; %bb.61:
	global_load_ubyte v6, v[2:3], off offset:192
	s_waitcnt vmcnt(0)
	v_and_b32_e32 v6, 1, v6
	v_cmp_eq_u32_e64 s[4:5], 1, v6
	s_xor_b64 s[4:5], s[4:5], -1
	v_mov_b32_e32 v6, 0
	s_and_saveexec_b64 s[28:29], s[4:5]
	s_cbranch_execz .LBB738_63
; %bb.62:
	v_sub_f32_e32 v6, v13, v22
	s_mov_b32 s4, 0x3fb8aa3b
	v_mul_f32_e32 v13, 0x3fb8aa3b, v6
	v_fma_f32 v14, v6, s4, -v13
	v_rndne_f32_e32 v23, v13
	v_fmac_f32_e32 v14, 0x32a5705f, v6
	v_sub_f32_e32 v13, v13, v23
	v_add_f32_e32 v13, v13, v14
	v_exp_f32_e32 v13, v13
	v_cvt_i32_f32_e32 v14, v23
	s_mov_b32 s4, 0xc2ce8ed0
	v_cmp_ngt_f32_e64 s[4:5], s4, v6
	v_ldexp_f32 v13, v13, v14
	v_cndmask_b32_e64 v13, 0, v13, s[4:5]
	s_mov_b32 s4, 0x42b17218
	v_mov_b32_e32 v14, 0x7f800000
	v_cmp_nlt_f32_e64 s[4:5], s4, v6
	v_cndmask_b32_e64 v6, v14, v13, s[4:5]
	v_add_f32_e32 v16, v16, v6
.LBB738_63:
	s_or_b64 exec, exec, s[28:29]
.LBB738_64:
	s_or_b64 exec, exec, s[18:19]
	v_mov_b32_e32 v13, 0
	v_mov_b32_e32 v14, 0
	s_and_saveexec_b64 s[18:19], s[26:27]
	s_cbranch_execz .LBB738_68
; %bb.65:
	global_load_ubyte v14, v[2:3], off offset:256
	s_waitcnt vmcnt(0)
	v_and_b32_e32 v14, 1, v14
	v_cmp_eq_u32_e64 s[4:5], 1, v14
	s_xor_b64 s[4:5], s[4:5], -1
	v_mov_b32_e32 v14, 0
	s_and_saveexec_b64 s[26:27], s[4:5]
	s_cbranch_execz .LBB738_67
; %bb.66:
	v_sub_f32_e32 v12, v12, v22
	s_mov_b32 s4, 0x3fb8aa3b
	v_mul_f32_e32 v14, 0x3fb8aa3b, v12
	v_fma_f32 v23, v12, s4, -v14
	v_rndne_f32_e32 v24, v14
	v_fmac_f32_e32 v23, 0x32a5705f, v12
	v_sub_f32_e32 v14, v14, v24
	v_add_f32_e32 v14, v14, v23
	v_exp_f32_e32 v14, v14
	v_cvt_i32_f32_e32 v23, v24
	s_mov_b32 s4, 0xc2ce8ed0
	v_cmp_ngt_f32_e64 s[4:5], s4, v12
	v_ldexp_f32 v14, v14, v23
	v_cndmask_b32_e64 v14, 0, v14, s[4:5]
	s_mov_b32 s4, 0x42b17218
	v_mov_b32_e32 v23, 0x7f800000
	v_cmp_nlt_f32_e64 s[4:5], s4, v12
	v_cndmask_b32_e64 v14, v23, v14, s[4:5]
	v_add_f32_e32 v16, v16, v14
.LBB738_67:
	s_or_b64 exec, exec, s[26:27]
.LBB738_68:
	s_or_b64 exec, exec, s[18:19]
	s_and_saveexec_b64 s[18:19], s[24:25]
	s_cbranch_execz .LBB738_72
; %bb.69:
	global_load_ubyte v12, v[2:3], off offset:320
	v_mov_b32_e32 v13, 0
	s_waitcnt vmcnt(0)
	v_and_b32_e32 v12, 1, v12
	v_cmp_eq_u32_e64 s[4:5], 1, v12
	s_xor_b64 s[4:5], s[4:5], -1
	s_and_saveexec_b64 s[24:25], s[4:5]
	s_cbranch_execz .LBB738_71
; %bb.70:
	v_sub_f32_e32 v11, v11, v22
	s_mov_b32 s4, 0x3fb8aa3b
	v_mul_f32_e32 v12, 0x3fb8aa3b, v11
	v_fma_f32 v13, v11, s4, -v12
	v_rndne_f32_e32 v23, v12
	v_fmac_f32_e32 v13, 0x32a5705f, v11
	v_sub_f32_e32 v12, v12, v23
	v_add_f32_e32 v12, v12, v13
	v_exp_f32_e32 v12, v12
	v_cvt_i32_f32_e32 v13, v23
	s_mov_b32 s4, 0xc2ce8ed0
	v_cmp_ngt_f32_e64 s[4:5], s4, v11
	v_ldexp_f32 v12, v12, v13
	v_cndmask_b32_e64 v12, 0, v12, s[4:5]
	s_mov_b32 s4, 0x42b17218
	v_mov_b32_e32 v13, 0x7f800000
	v_cmp_nlt_f32_e64 s[4:5], s4, v11
	v_cndmask_b32_e64 v13, v13, v12, s[4:5]
	v_add_f32_e32 v16, v16, v13
.LBB738_71:
	s_or_b64 exec, exec, s[24:25]
.LBB738_72:
	s_or_b64 exec, exec, s[18:19]
	v_mov_b32_e32 v11, 0
	v_mov_b32_e32 v12, 0
	s_and_saveexec_b64 s[18:19], s[22:23]
	s_cbranch_execz .LBB738_76
; %bb.73:
	global_load_ubyte v12, v[2:3], off offset:384
	s_waitcnt vmcnt(0)
	v_and_b32_e32 v12, 1, v12
	v_cmp_eq_u32_e64 s[4:5], 1, v12
	s_xor_b64 s[4:5], s[4:5], -1
	v_mov_b32_e32 v12, 0
	s_and_saveexec_b64 s[22:23], s[4:5]
	s_cbranch_execz .LBB738_75
; %bb.74:
	v_sub_f32_e32 v10, v10, v22
	s_mov_b32 s4, 0x3fb8aa3b
	v_mul_f32_e32 v12, 0x3fb8aa3b, v10
	v_fma_f32 v23, v10, s4, -v12
	v_rndne_f32_e32 v24, v12
	v_fmac_f32_e32 v23, 0x32a5705f, v10
	v_sub_f32_e32 v12, v12, v24
	v_add_f32_e32 v12, v12, v23
	v_exp_f32_e32 v12, v12
	v_cvt_i32_f32_e32 v23, v24
	s_mov_b32 s4, 0xc2ce8ed0
	v_cmp_ngt_f32_e64 s[4:5], s4, v10
	v_ldexp_f32 v12, v12, v23
	v_cndmask_b32_e64 v12, 0, v12, s[4:5]
	s_mov_b32 s4, 0x42b17218
	v_mov_b32_e32 v23, 0x7f800000
	v_cmp_nlt_f32_e64 s[4:5], s4, v10
	v_cndmask_b32_e64 v12, v23, v12, s[4:5]
	v_add_f32_e32 v16, v16, v12
.LBB738_75:
	s_or_b64 exec, exec, s[22:23]
.LBB738_76:
	s_or_b64 exec, exec, s[18:19]
	s_and_saveexec_b64 s[18:19], s[14:15]
	s_cbranch_execz .LBB738_80
; %bb.77:
	global_load_ubyte v2, v[2:3], off offset:448
	v_mov_b32_e32 v11, 0
	s_waitcnt vmcnt(0)
	v_and_b32_e32 v2, 1, v2
	v_cmp_eq_u32_e64 s[4:5], 1, v2
	s_xor_b64 s[4:5], s[4:5], -1
	s_and_saveexec_b64 s[14:15], s[4:5]
	s_cbranch_execz .LBB738_79
; %bb.78:
	v_sub_f32_e32 v2, v9, v22
	s_mov_b32 s4, 0x3fb8aa3b
	v_mul_f32_e32 v3, 0x3fb8aa3b, v2
	v_fma_f32 v9, v2, s4, -v3
	v_rndne_f32_e32 v10, v3
	v_fmac_f32_e32 v9, 0x32a5705f, v2
	v_sub_f32_e32 v3, v3, v10
	v_add_f32_e32 v3, v3, v9
	v_exp_f32_e32 v3, v3
	v_cvt_i32_f32_e32 v9, v10
	s_mov_b32 s4, 0xc2ce8ed0
	v_cmp_ngt_f32_e64 s[4:5], s4, v2
	v_ldexp_f32 v3, v3, v9
	v_cndmask_b32_e64 v3, 0, v3, s[4:5]
	s_mov_b32 s4, 0x42b17218
	v_mov_b32_e32 v9, 0x7f800000
	v_cmp_nlt_f32_e64 s[4:5], s4, v2
	v_cndmask_b32_e64 v11, v9, v3, s[4:5]
	v_add_f32_e32 v16, v16, v11
.LBB738_79:
	s_or_b64 exec, exec, s[14:15]
.LBB738_80:
	s_or_b64 exec, exec, s[18:19]
	ds_bpermute_b32 v2, v5, v16
	v_cmp_lt_i32_e64 s[4:5], 0, v8
	s_waitcnt lgkmcnt(0)
	v_add_f32_e32 v2, v16, v2
	ds_bpermute_b32 v3, v7, v2
	s_waitcnt lgkmcnt(0)
	v_add_f32_e32 v2, v2, v3
	ds_bpermute_b32 v3, v17, v2
	;; [unrolled: 3-line block ×5, first 2 shown]
	s_and_saveexec_b64 s[14:15], s[4:5]
	s_cbranch_execz .LBB738_106
; %bb.81:
	s_and_b64 exec, exec, vcc
	s_cbranch_execz .LBB738_106
; %bb.82:
	s_waitcnt lgkmcnt(0)
	v_add_f32_e32 v2, v2, v3
	v_cmp_neq_f32_e64 s[14:15], 0, v2
	v_mov_b32_e32 v3, 0x7e00
	s_and_saveexec_b64 s[4:5], s[14:15]
	s_cbranch_execz .LBB738_84
; %bb.83:
	v_div_scale_f32 v3, s[18:19], v2, v2, v19
	v_rcp_f32_e32 v5, v3
	v_div_scale_f32 v7, vcc, v19, v2, v19
	v_fma_f32 v8, -v3, v5, 1.0
	v_fmac_f32_e32 v5, v8, v5
	v_mul_f32_e32 v8, v7, v5
	v_fma_f32 v9, -v3, v8, v7
	v_fmac_f32_e32 v8, v9, v5
	v_fma_f32 v3, -v3, v8, v7
	v_div_fmas_f32 v3, v3, v5, v8
	v_div_fixup_f32 v3, v3, v2, v19
	v_cvt_f16_f32_e32 v3, v3
.LBB738_84:
	s_or_b64 exec, exec, s[4:5]
	v_mov_b32_e32 v5, s21
	v_add_co_u32_e32 v0, vcc, s20, v0
	v_addc_co_u32_e32 v1, vcc, v5, v1, vcc
	global_store_short v[0:1], v3, off
	s_and_b64 exec, exec, s[12:13]
	s_cbranch_execz .LBB738_106
; %bb.85:
	v_mov_b32_e32 v3, 0x7e00
	s_and_saveexec_b64 s[4:5], s[14:15]
	s_cbranch_execz .LBB738_87
; %bb.86:
	v_div_scale_f32 v3, s[12:13], v2, v2, v4
	v_rcp_f32_e32 v5, v3
	v_div_scale_f32 v7, vcc, v4, v2, v4
	v_fma_f32 v8, -v3, v5, 1.0
	v_fmac_f32_e32 v5, v8, v5
	v_mul_f32_e32 v8, v7, v5
	v_fma_f32 v9, -v3, v8, v7
	v_fmac_f32_e32 v8, v9, v5
	v_fma_f32 v3, -v3, v8, v7
	v_div_fmas_f32 v3, v3, v5, v8
	v_div_fixup_f32 v3, v3, v2, v4
	v_cvt_f16_f32_e32 v3, v3
.LBB738_87:
	s_or_b64 exec, exec, s[4:5]
	global_store_short v[0:1], v3, off offset:128
	s_and_b64 exec, exec, s[10:11]
	s_cbranch_execz .LBB738_106
; %bb.88:
	v_mov_b32_e32 v3, 0x7e00
	s_and_saveexec_b64 s[4:5], s[14:15]
	s_cbranch_execz .LBB738_90
; %bb.89:
	v_div_scale_f32 v3, s[10:11], v2, v2, v15
	v_rcp_f32_e32 v4, v3
	v_div_scale_f32 v5, vcc, v15, v2, v15
	v_fma_f32 v7, -v3, v4, 1.0
	v_fmac_f32_e32 v4, v7, v4
	v_mul_f32_e32 v7, v5, v4
	v_fma_f32 v8, -v3, v7, v5
	v_fmac_f32_e32 v7, v8, v4
	v_fma_f32 v3, -v3, v7, v5
	v_div_fmas_f32 v3, v3, v4, v7
	v_div_fixup_f32 v3, v3, v2, v15
	v_cvt_f16_f32_e32 v3, v3
.LBB738_90:
	s_or_b64 exec, exec, s[4:5]
	global_store_short v[0:1], v3, off offset:256
	;; [unrolled: 22-line block ×7, first 2 shown]
.LBB738_106:
	s_endpgm
	.section	.rodata,"a",@progbits
	.p2align	6, 0x0
	.amdhsa_kernel _ZN12_GLOBAL__N_120softmax_warp_forwardIN3c104HalfES2_fLi9ELb0ELb1ELi64EEEvPT0_PKT_iiiPKbib
		.amdhsa_group_segment_fixed_size 0
		.amdhsa_private_segment_fixed_size 0
		.amdhsa_kernarg_size 304
		.amdhsa_user_sgpr_count 6
		.amdhsa_user_sgpr_private_segment_buffer 1
		.amdhsa_user_sgpr_dispatch_ptr 0
		.amdhsa_user_sgpr_queue_ptr 0
		.amdhsa_user_sgpr_kernarg_segment_ptr 1
		.amdhsa_user_sgpr_dispatch_id 0
		.amdhsa_user_sgpr_flat_scratch_init 0
		.amdhsa_user_sgpr_kernarg_preload_length 0
		.amdhsa_user_sgpr_kernarg_preload_offset 0
		.amdhsa_user_sgpr_private_segment_size 0
		.amdhsa_uses_dynamic_stack 0
		.amdhsa_system_sgpr_private_segment_wavefront_offset 0
		.amdhsa_system_sgpr_workgroup_id_x 1
		.amdhsa_system_sgpr_workgroup_id_y 0
		.amdhsa_system_sgpr_workgroup_id_z 0
		.amdhsa_system_sgpr_workgroup_info 0
		.amdhsa_system_vgpr_workitem_id 1
		.amdhsa_next_free_vgpr 25
		.amdhsa_next_free_sgpr 44
		.amdhsa_accum_offset 28
		.amdhsa_reserve_vcc 1
		.amdhsa_reserve_flat_scratch 0
		.amdhsa_float_round_mode_32 0
		.amdhsa_float_round_mode_16_64 0
		.amdhsa_float_denorm_mode_32 3
		.amdhsa_float_denorm_mode_16_64 3
		.amdhsa_dx10_clamp 1
		.amdhsa_ieee_mode 1
		.amdhsa_fp16_overflow 0
		.amdhsa_tg_split 0
		.amdhsa_exception_fp_ieee_invalid_op 0
		.amdhsa_exception_fp_denorm_src 0
		.amdhsa_exception_fp_ieee_div_zero 0
		.amdhsa_exception_fp_ieee_overflow 0
		.amdhsa_exception_fp_ieee_underflow 0
		.amdhsa_exception_fp_ieee_inexact 0
		.amdhsa_exception_int_div_zero 0
	.end_amdhsa_kernel
	.section	.text._ZN12_GLOBAL__N_120softmax_warp_forwardIN3c104HalfES2_fLi9ELb0ELb1ELi64EEEvPT0_PKT_iiiPKbib,"axG",@progbits,_ZN12_GLOBAL__N_120softmax_warp_forwardIN3c104HalfES2_fLi9ELb0ELb1ELi64EEEvPT0_PKT_iiiPKbib,comdat
.Lfunc_end738:
	.size	_ZN12_GLOBAL__N_120softmax_warp_forwardIN3c104HalfES2_fLi9ELb0ELb1ELi64EEEvPT0_PKT_iiiPKbib, .Lfunc_end738-_ZN12_GLOBAL__N_120softmax_warp_forwardIN3c104HalfES2_fLi9ELb0ELb1ELi64EEEvPT0_PKT_iiiPKbib
                                        ; -- End function
	.section	.AMDGPU.csdata,"",@progbits
; Kernel info:
; codeLenInByte = 4356
; NumSgprs: 48
; NumVgprs: 25
; NumAgprs: 0
; TotalNumVgprs: 25
; ScratchSize: 0
; MemoryBound: 0
; FloatMode: 240
; IeeeMode: 1
; LDSByteSize: 0 bytes/workgroup (compile time only)
; SGPRBlocks: 5
; VGPRBlocks: 3
; NumSGPRsForWavesPerEU: 48
; NumVGPRsForWavesPerEU: 25
; AccumOffset: 28
; Occupancy: 8
; WaveLimiterHint : 0
; COMPUTE_PGM_RSRC2:SCRATCH_EN: 0
; COMPUTE_PGM_RSRC2:USER_SGPR: 6
; COMPUTE_PGM_RSRC2:TRAP_HANDLER: 0
; COMPUTE_PGM_RSRC2:TGID_X_EN: 1
; COMPUTE_PGM_RSRC2:TGID_Y_EN: 0
; COMPUTE_PGM_RSRC2:TGID_Z_EN: 0
; COMPUTE_PGM_RSRC2:TIDIG_COMP_CNT: 1
; COMPUTE_PGM_RSRC3_GFX90A:ACCUM_OFFSET: 6
; COMPUTE_PGM_RSRC3_GFX90A:TG_SPLIT: 0
	.section	.text._ZN12_GLOBAL__N_120softmax_warp_forwardIN3c104HalfES2_fLi9ELb0ELb1ELi32EEEvPT0_PKT_iiiPKbib,"axG",@progbits,_ZN12_GLOBAL__N_120softmax_warp_forwardIN3c104HalfES2_fLi9ELb0ELb1ELi32EEEvPT0_PKT_iiiPKbib,comdat
	.globl	_ZN12_GLOBAL__N_120softmax_warp_forwardIN3c104HalfES2_fLi9ELb0ELb1ELi32EEEvPT0_PKT_iiiPKbib ; -- Begin function _ZN12_GLOBAL__N_120softmax_warp_forwardIN3c104HalfES2_fLi9ELb0ELb1ELi32EEEvPT0_PKT_iiiPKbib
	.p2align	8
	.type	_ZN12_GLOBAL__N_120softmax_warp_forwardIN3c104HalfES2_fLi9ELb0ELb1ELi32EEEvPT0_PKT_iiiPKbib,@function
_ZN12_GLOBAL__N_120softmax_warp_forwardIN3c104HalfES2_fLi9ELb0ELb1ELi32EEEvPT0_PKT_iiiPKbib: ; @_ZN12_GLOBAL__N_120softmax_warp_forwardIN3c104HalfES2_fLi9ELb0ELb1ELi32EEEvPT0_PKT_iiiPKbib
; %bb.0:
	s_load_dword s2, s[4:5], 0x3c
	s_load_dwordx4 s[40:43], s[4:5], 0x10
	s_load_dwordx2 s[0:1], s[4:5], 0x28
	v_bfe_u32 v1, v0, 10, 10
	v_and_b32_e32 v2, 0x3ff, v0
	s_waitcnt lgkmcnt(0)
	s_lshr_b32 s2, s2, 16
	s_mul_i32 s6, s6, s2
	v_add_u32_e32 v3, s6, v1
	v_mul_lo_u32 v6, v3, s41
	v_add_u32_e32 v0, v6, v2
	v_ashrrev_i32_e32 v1, 31, v0
	s_bitcmp0_b32 s1, 0
	v_pk_mov_b32 v[4:5], v[0:1], v[0:1] op_sel:[0,1]
	s_cbranch_scc1 .LBB739_2
; %bb.1:
	s_abs_i32 s1, s0
	v_cvt_f32_u32_e32 v4, s1
	v_xor_b32_e32 v5, s0, v6
	v_sub_u32_e32 v7, 0, v6
	s_sub_i32 s0, 0, s1
	v_rcp_iflag_f32_e32 v4, v4
	v_max_i32_e32 v6, v6, v7
	v_ashrrev_i32_e32 v5, 31, v5
	v_mul_f32_e32 v4, 0x4f7ffffe, v4
	v_cvt_u32_f32_e32 v4, v4
	v_mul_lo_u32 v7, s0, v4
	v_mul_hi_u32 v7, v4, v7
	v_add_u32_e32 v4, v4, v7
	v_mul_hi_u32 v4, v6, v4
	v_mul_lo_u32 v7, v4, s1
	v_sub_u32_e32 v6, v6, v7
	v_add_u32_e32 v8, 1, v4
	v_cmp_le_u32_e32 vcc, s1, v6
	v_subrev_u32_e32 v7, s1, v6
	v_cndmask_b32_e32 v4, v4, v8, vcc
	v_cndmask_b32_e32 v6, v6, v7, vcc
	v_add_u32_e32 v7, 1, v4
	v_cmp_le_u32_e32 vcc, s1, v6
	v_cndmask_b32_e32 v4, v4, v7, vcc
	v_xor_b32_e32 v4, v4, v5
	v_sub_u32_e32 v4, v4, v5
	v_mad_u64_u32 v[4:5], s[0:1], v4, s41, v[2:3]
	v_ashrrev_i32_e32 v5, 31, v4
.LBB739_2:
	s_load_dwordx4 s[36:39], s[4:5], 0x0
	v_lshlrev_b64 v[0:1], 1, v[0:1]
	v_sub_u32_e32 v8, s40, v3
	v_cmp_lt_i32_e64 s[30:31], 0, v8
	v_mov_b32_e32 v23, 0xff800000
	s_waitcnt lgkmcnt(0)
	v_mov_b32_e32 v3, s39
	v_add_co_u32_e32 v6, vcc, s38, v0
	v_addc_co_u32_e32 v7, vcc, v3, v1, vcc
	v_cmp_gt_i32_e32 vcc, s42, v2
	s_and_b64 s[68:69], s[30:31], vcc
	v_mov_b32_e32 v24, 0xff800000
	s_and_saveexec_b64 s[0:1], s[68:69]
	s_cbranch_execz .LBB739_4
; %bb.3:
	global_load_ushort v3, v[6:7], off
	s_waitcnt vmcnt(0)
	v_cvt_f32_f16_e32 v24, v3
.LBB739_4:
	s_or_b64 exec, exec, s[0:1]
	v_add_u32_e32 v3, 32, v2
	v_cmp_gt_i32_e64 s[28:29], s42, v3
	s_and_b64 s[66:67], s[30:31], s[28:29]
	s_and_saveexec_b64 s[0:1], s[66:67]
	s_cbranch_execz .LBB739_6
; %bb.5:
	global_load_ushort v3, v[6:7], off offset:64
	s_waitcnt vmcnt(0)
	v_cvt_f32_f16_e32 v23, v3
.LBB739_6:
	s_or_b64 exec, exec, s[0:1]
	v_add_u32_e32 v3, 64, v2
	v_cmp_gt_i32_e64 s[26:27], s42, v3
	s_and_b64 s[64:65], s[30:31], s[26:27]
	v_mov_b32_e32 v21, 0xff800000
	v_mov_b32_e32 v22, 0xff800000
	s_and_saveexec_b64 s[0:1], s[64:65]
	s_cbranch_execz .LBB739_8
; %bb.7:
	global_load_ushort v3, v[6:7], off offset:128
	s_waitcnt vmcnt(0)
	v_cvt_f32_f16_e32 v22, v3
.LBB739_8:
	s_or_b64 exec, exec, s[0:1]
	v_add_u32_e32 v3, 0x60, v2
	v_cmp_gt_i32_e64 s[24:25], s42, v3
	s_and_b64 s[62:63], s[30:31], s[24:25]
	s_and_saveexec_b64 s[0:1], s[62:63]
	s_cbranch_execz .LBB739_10
; %bb.9:
	global_load_ushort v3, v[6:7], off offset:192
	s_waitcnt vmcnt(0)
	v_cvt_f32_f16_e32 v21, v3
.LBB739_10:
	s_or_b64 exec, exec, s[0:1]
	v_add_u32_e32 v3, 0x80, v2
	v_cmp_gt_i32_e64 s[22:23], s42, v3
	s_and_b64 s[60:61], s[30:31], s[22:23]
	v_mov_b32_e32 v19, 0xff800000
	v_mov_b32_e32 v20, 0xff800000
	s_and_saveexec_b64 s[0:1], s[60:61]
	s_cbranch_execz .LBB739_12
; %bb.11:
	global_load_ushort v3, v[6:7], off offset:256
	s_waitcnt vmcnt(0)
	v_cvt_f32_f16_e32 v20, v3
.LBB739_12:
	;; [unrolled: 24-line block ×7, first 2 shown]
	s_or_b64 exec, exec, s[0:1]
	v_add_u32_e32 v2, 0x1e0, v2
	v_cmp_gt_i32_e64 s[0:1], s42, v2
	s_and_b64 s[30:31], s[30:31], s[0:1]
	s_and_saveexec_b64 s[42:43], s[30:31]
	s_cbranch_execz .LBB739_34
; %bb.33:
	global_load_ushort v2, v[6:7], off offset:960
	s_waitcnt vmcnt(0)
	v_cvt_f32_f16_e32 v9, v2
.LBB739_34:
	s_or_b64 exec, exec, s[42:43]
	s_load_dwordx2 s[4:5], s[4:5], 0x20
	s_mov_b64 s[42:43], 0
	s_waitcnt lgkmcnt(0)
	v_mov_b32_e32 v3, s5
	v_add_co_u32_e64 v2, s[4:5], s4, v4
	v_addc_co_u32_e64 v3, s[4:5], v3, v5, s[4:5]
	s_and_saveexec_b64 s[70:71], s[68:69]
	s_cbranch_execnz .LBB739_50
; %bb.35:
	s_or_b64 exec, exec, s[70:71]
	v_mov_b32_e32 v4, v24
	s_and_saveexec_b64 s[70:71], s[66:67]
	s_cbranch_execnz .LBB739_51
.LBB739_36:
	s_or_b64 exec, exec, s[70:71]
	s_and_saveexec_b64 s[70:71], s[64:65]
	s_cbranch_execnz .LBB739_54
.LBB739_37:
	s_or_b64 exec, exec, s[70:71]
	s_and_saveexec_b64 s[70:71], s[62:63]
	s_cbranch_execnz .LBB739_57
.LBB739_38:
	s_or_b64 exec, exec, s[70:71]
	s_and_saveexec_b64 s[70:71], s[60:61]
	s_cbranch_execnz .LBB739_60
.LBB739_39:
	s_or_b64 exec, exec, s[70:71]
	s_and_saveexec_b64 s[70:71], s[58:59]
	s_cbranch_execnz .LBB739_63
.LBB739_40:
	s_or_b64 exec, exec, s[70:71]
	s_and_saveexec_b64 s[70:71], s[56:57]
	s_cbranch_execnz .LBB739_66
.LBB739_41:
	s_or_b64 exec, exec, s[70:71]
	s_and_saveexec_b64 s[70:71], s[54:55]
	s_cbranch_execnz .LBB739_69
.LBB739_42:
	s_or_b64 exec, exec, s[70:71]
	s_and_saveexec_b64 s[70:71], s[52:53]
	s_cbranch_execnz .LBB739_72
.LBB739_43:
	s_or_b64 exec, exec, s[70:71]
	s_and_saveexec_b64 s[70:71], s[50:51]
	s_cbranch_execnz .LBB739_75
.LBB739_44:
	s_or_b64 exec, exec, s[70:71]
	s_and_saveexec_b64 s[70:71], s[48:49]
	s_cbranch_execnz .LBB739_78
.LBB739_45:
	s_or_b64 exec, exec, s[70:71]
	s_and_saveexec_b64 s[70:71], s[46:47]
	s_cbranch_execnz .LBB739_81
.LBB739_46:
	s_or_b64 exec, exec, s[70:71]
	s_and_saveexec_b64 s[70:71], s[44:45]
	s_cbranch_execnz .LBB739_84
.LBB739_47:
	s_or_b64 exec, exec, s[70:71]
	s_and_saveexec_b64 s[70:71], s[40:41]
	s_cbranch_execnz .LBB739_87
.LBB739_48:
	s_or_b64 exec, exec, s[70:71]
	s_and_saveexec_b64 s[70:71], s[38:39]
	s_cbranch_execnz .LBB739_90
.LBB739_49:
	s_or_b64 exec, exec, s[70:71]
	s_and_saveexec_b64 s[70:71], s[30:31]
	s_cbranch_execnz .LBB739_93
	s_branch .LBB739_96
.LBB739_50:
	global_load_ubyte v4, v[2:3], off
	s_waitcnt vmcnt(0)
	v_and_b32_e32 v4, 1, v4
	v_cmp_eq_u32_e64 s[4:5], 1, v4
	s_xor_b64 s[4:5], s[4:5], -1
	s_and_b64 s[42:43], s[4:5], exec
	s_or_b64 exec, exec, s[70:71]
	v_mov_b32_e32 v4, v24
	s_and_saveexec_b64 s[70:71], s[66:67]
	s_cbranch_execz .LBB739_36
.LBB739_51:
	global_load_ubyte v4, v[2:3], off offset:32
	s_mov_b64 s[72:73], s[42:43]
	s_waitcnt vmcnt(0)
	v_and_b32_e32 v4, 1, v4
	v_cmp_eq_u32_e64 s[4:5], 1, v4
	s_xor_b64 s[4:5], s[4:5], -1
	v_mov_b32_e32 v4, v24
	s_and_saveexec_b64 s[74:75], s[4:5]
; %bb.52:
	v_cmp_gt_f32_e64 s[4:5], v24, v23
	s_and_b64 s[4:5], s[42:43], s[4:5]
	v_cndmask_b32_e64 v4, v23, v24, s[4:5]
	s_or_b64 s[72:73], s[42:43], exec
; %bb.53:
	s_or_b64 exec, exec, s[74:75]
	s_andn2_b64 s[4:5], s[42:43], exec
	s_and_b64 s[42:43], s[72:73], exec
	s_or_b64 s[42:43], s[4:5], s[42:43]
	s_or_b64 exec, exec, s[70:71]
	s_and_saveexec_b64 s[70:71], s[64:65]
	s_cbranch_execz .LBB739_37
.LBB739_54:
	global_load_ubyte v5, v[2:3], off offset:64
	s_waitcnt vmcnt(0)
	v_and_b32_e32 v5, 1, v5
	v_cmp_eq_u32_e64 s[4:5], 1, v5
	s_xor_b64 s[74:75], s[4:5], -1
	s_mov_b64 s[4:5], s[42:43]
	s_and_saveexec_b64 s[72:73], s[74:75]
; %bb.55:
	v_cmp_gt_f32_e64 s[4:5], v4, v22
	s_and_b64 s[4:5], s[42:43], s[4:5]
	v_cndmask_b32_e64 v4, v22, v4, s[4:5]
	s_or_b64 s[4:5], s[42:43], exec
; %bb.56:
	s_or_b64 exec, exec, s[72:73]
	s_andn2_b64 s[42:43], s[42:43], exec
	s_and_b64 s[4:5], s[4:5], exec
	s_or_b64 s[42:43], s[42:43], s[4:5]
	s_or_b64 exec, exec, s[70:71]
	s_and_saveexec_b64 s[70:71], s[62:63]
	s_cbranch_execz .LBB739_38
.LBB739_57:
	global_load_ubyte v5, v[2:3], off offset:96
	s_waitcnt vmcnt(0)
	v_and_b32_e32 v5, 1, v5
	v_cmp_eq_u32_e64 s[4:5], 1, v5
	s_xor_b64 s[74:75], s[4:5], -1
	s_mov_b64 s[4:5], s[42:43]
	s_and_saveexec_b64 s[72:73], s[74:75]
; %bb.58:
	v_cmp_gt_f32_e64 s[4:5], v4, v21
	s_and_b64 s[4:5], s[42:43], s[4:5]
	v_cndmask_b32_e64 v4, v21, v4, s[4:5]
	s_or_b64 s[4:5], s[42:43], exec
; %bb.59:
	s_or_b64 exec, exec, s[72:73]
	s_andn2_b64 s[42:43], s[42:43], exec
	s_and_b64 s[4:5], s[4:5], exec
	s_or_b64 s[42:43], s[42:43], s[4:5]
	s_or_b64 exec, exec, s[70:71]
	s_and_saveexec_b64 s[70:71], s[60:61]
	s_cbranch_execz .LBB739_39
.LBB739_60:
	global_load_ubyte v5, v[2:3], off offset:128
	s_waitcnt vmcnt(0)
	v_and_b32_e32 v5, 1, v5
	v_cmp_eq_u32_e64 s[4:5], 1, v5
	s_xor_b64 s[74:75], s[4:5], -1
	s_mov_b64 s[4:5], s[42:43]
	s_and_saveexec_b64 s[72:73], s[74:75]
; %bb.61:
	v_cmp_gt_f32_e64 s[4:5], v4, v20
	s_and_b64 s[4:5], s[42:43], s[4:5]
	v_cndmask_b32_e64 v4, v20, v4, s[4:5]
	s_or_b64 s[4:5], s[42:43], exec
; %bb.62:
	s_or_b64 exec, exec, s[72:73]
	s_andn2_b64 s[42:43], s[42:43], exec
	s_and_b64 s[4:5], s[4:5], exec
	s_or_b64 s[42:43], s[42:43], s[4:5]
	s_or_b64 exec, exec, s[70:71]
	s_and_saveexec_b64 s[70:71], s[58:59]
	s_cbranch_execz .LBB739_40
.LBB739_63:
	global_load_ubyte v5, v[2:3], off offset:160
	s_waitcnt vmcnt(0)
	v_and_b32_e32 v5, 1, v5
	v_cmp_eq_u32_e64 s[4:5], 1, v5
	s_xor_b64 s[74:75], s[4:5], -1
	s_mov_b64 s[4:5], s[42:43]
	s_and_saveexec_b64 s[72:73], s[74:75]
; %bb.64:
	v_cmp_gt_f32_e64 s[4:5], v4, v19
	s_and_b64 s[4:5], s[42:43], s[4:5]
	v_cndmask_b32_e64 v4, v19, v4, s[4:5]
	s_or_b64 s[4:5], s[42:43], exec
; %bb.65:
	s_or_b64 exec, exec, s[72:73]
	s_andn2_b64 s[42:43], s[42:43], exec
	s_and_b64 s[4:5], s[4:5], exec
	s_or_b64 s[42:43], s[42:43], s[4:5]
	s_or_b64 exec, exec, s[70:71]
	s_and_saveexec_b64 s[70:71], s[56:57]
	s_cbranch_execz .LBB739_41
.LBB739_66:
	global_load_ubyte v5, v[2:3], off offset:192
	s_waitcnt vmcnt(0)
	v_and_b32_e32 v5, 1, v5
	v_cmp_eq_u32_e64 s[4:5], 1, v5
	s_xor_b64 s[74:75], s[4:5], -1
	s_mov_b64 s[4:5], s[42:43]
	s_and_saveexec_b64 s[72:73], s[74:75]
; %bb.67:
	v_cmp_gt_f32_e64 s[4:5], v4, v18
	s_and_b64 s[4:5], s[42:43], s[4:5]
	v_cndmask_b32_e64 v4, v18, v4, s[4:5]
	s_or_b64 s[4:5], s[42:43], exec
; %bb.68:
	s_or_b64 exec, exec, s[72:73]
	s_andn2_b64 s[42:43], s[42:43], exec
	s_and_b64 s[4:5], s[4:5], exec
	s_or_b64 s[42:43], s[42:43], s[4:5]
	s_or_b64 exec, exec, s[70:71]
	s_and_saveexec_b64 s[70:71], s[54:55]
	s_cbranch_execz .LBB739_42
.LBB739_69:
	global_load_ubyte v5, v[2:3], off offset:224
	s_waitcnt vmcnt(0)
	v_and_b32_e32 v5, 1, v5
	v_cmp_eq_u32_e64 s[4:5], 1, v5
	s_xor_b64 s[74:75], s[4:5], -1
	s_mov_b64 s[4:5], s[42:43]
	s_and_saveexec_b64 s[72:73], s[74:75]
; %bb.70:
	v_cmp_gt_f32_e64 s[4:5], v4, v17
	s_and_b64 s[4:5], s[42:43], s[4:5]
	v_cndmask_b32_e64 v4, v17, v4, s[4:5]
	s_or_b64 s[4:5], s[42:43], exec
; %bb.71:
	s_or_b64 exec, exec, s[72:73]
	s_andn2_b64 s[42:43], s[42:43], exec
	s_and_b64 s[4:5], s[4:5], exec
	s_or_b64 s[42:43], s[42:43], s[4:5]
	s_or_b64 exec, exec, s[70:71]
	s_and_saveexec_b64 s[70:71], s[52:53]
	s_cbranch_execz .LBB739_43
.LBB739_72:
	global_load_ubyte v5, v[2:3], off offset:256
	s_waitcnt vmcnt(0)
	v_and_b32_e32 v5, 1, v5
	v_cmp_eq_u32_e64 s[4:5], 1, v5
	s_xor_b64 s[74:75], s[4:5], -1
	s_mov_b64 s[4:5], s[42:43]
	s_and_saveexec_b64 s[72:73], s[74:75]
; %bb.73:
	v_cmp_gt_f32_e64 s[4:5], v4, v16
	s_and_b64 s[4:5], s[42:43], s[4:5]
	v_cndmask_b32_e64 v4, v16, v4, s[4:5]
	s_or_b64 s[4:5], s[42:43], exec
; %bb.74:
	s_or_b64 exec, exec, s[72:73]
	s_andn2_b64 s[42:43], s[42:43], exec
	s_and_b64 s[4:5], s[4:5], exec
	s_or_b64 s[42:43], s[42:43], s[4:5]
	s_or_b64 exec, exec, s[70:71]
	s_and_saveexec_b64 s[70:71], s[50:51]
	s_cbranch_execz .LBB739_44
.LBB739_75:
	global_load_ubyte v5, v[2:3], off offset:288
	s_waitcnt vmcnt(0)
	v_and_b32_e32 v5, 1, v5
	v_cmp_eq_u32_e64 s[4:5], 1, v5
	s_xor_b64 s[74:75], s[4:5], -1
	s_mov_b64 s[4:5], s[42:43]
	s_and_saveexec_b64 s[72:73], s[74:75]
; %bb.76:
	v_cmp_gt_f32_e64 s[4:5], v4, v15
	s_and_b64 s[4:5], s[42:43], s[4:5]
	v_cndmask_b32_e64 v4, v15, v4, s[4:5]
	s_or_b64 s[4:5], s[42:43], exec
; %bb.77:
	s_or_b64 exec, exec, s[72:73]
	s_andn2_b64 s[42:43], s[42:43], exec
	s_and_b64 s[4:5], s[4:5], exec
	s_or_b64 s[42:43], s[42:43], s[4:5]
	s_or_b64 exec, exec, s[70:71]
	s_and_saveexec_b64 s[70:71], s[48:49]
	s_cbranch_execz .LBB739_45
.LBB739_78:
	global_load_ubyte v5, v[2:3], off offset:320
	s_waitcnt vmcnt(0)
	v_and_b32_e32 v5, 1, v5
	v_cmp_eq_u32_e64 s[4:5], 1, v5
	s_xor_b64 s[74:75], s[4:5], -1
	s_mov_b64 s[4:5], s[42:43]
	s_and_saveexec_b64 s[72:73], s[74:75]
; %bb.79:
	v_cmp_gt_f32_e64 s[4:5], v4, v14
	s_and_b64 s[4:5], s[42:43], s[4:5]
	v_cndmask_b32_e64 v4, v14, v4, s[4:5]
	s_or_b64 s[4:5], s[42:43], exec
; %bb.80:
	s_or_b64 exec, exec, s[72:73]
	s_andn2_b64 s[42:43], s[42:43], exec
	s_and_b64 s[4:5], s[4:5], exec
	s_or_b64 s[42:43], s[42:43], s[4:5]
	s_or_b64 exec, exec, s[70:71]
	s_and_saveexec_b64 s[70:71], s[46:47]
	s_cbranch_execz .LBB739_46
.LBB739_81:
	global_load_ubyte v5, v[2:3], off offset:352
	s_waitcnt vmcnt(0)
	v_and_b32_e32 v5, 1, v5
	v_cmp_eq_u32_e64 s[4:5], 1, v5
	s_xor_b64 s[74:75], s[4:5], -1
	s_mov_b64 s[4:5], s[42:43]
	s_and_saveexec_b64 s[72:73], s[74:75]
; %bb.82:
	v_cmp_gt_f32_e64 s[4:5], v4, v13
	s_and_b64 s[4:5], s[42:43], s[4:5]
	v_cndmask_b32_e64 v4, v13, v4, s[4:5]
	s_or_b64 s[4:5], s[42:43], exec
; %bb.83:
	s_or_b64 exec, exec, s[72:73]
	s_andn2_b64 s[42:43], s[42:43], exec
	s_and_b64 s[4:5], s[4:5], exec
	s_or_b64 s[42:43], s[42:43], s[4:5]
	s_or_b64 exec, exec, s[70:71]
	s_and_saveexec_b64 s[70:71], s[44:45]
	s_cbranch_execz .LBB739_47
.LBB739_84:
	global_load_ubyte v5, v[2:3], off offset:384
	s_waitcnt vmcnt(0)
	v_and_b32_e32 v5, 1, v5
	v_cmp_eq_u32_e64 s[4:5], 1, v5
	s_xor_b64 s[74:75], s[4:5], -1
	s_mov_b64 s[4:5], s[42:43]
	s_and_saveexec_b64 s[72:73], s[74:75]
; %bb.85:
	v_cmp_gt_f32_e64 s[4:5], v4, v12
	s_and_b64 s[4:5], s[42:43], s[4:5]
	v_cndmask_b32_e64 v4, v12, v4, s[4:5]
	s_or_b64 s[4:5], s[42:43], exec
; %bb.86:
	s_or_b64 exec, exec, s[72:73]
	s_andn2_b64 s[42:43], s[42:43], exec
	s_and_b64 s[4:5], s[4:5], exec
	s_or_b64 s[42:43], s[42:43], s[4:5]
	s_or_b64 exec, exec, s[70:71]
	s_and_saveexec_b64 s[70:71], s[40:41]
	s_cbranch_execz .LBB739_48
.LBB739_87:
	global_load_ubyte v5, v[2:3], off offset:416
	s_waitcnt vmcnt(0)
	v_and_b32_e32 v5, 1, v5
	v_cmp_eq_u32_e64 s[4:5], 1, v5
	s_xor_b64 s[74:75], s[4:5], -1
	s_mov_b64 s[4:5], s[42:43]
	s_and_saveexec_b64 s[72:73], s[74:75]
; %bb.88:
	v_cmp_gt_f32_e64 s[4:5], v4, v11
	s_and_b64 s[4:5], s[42:43], s[4:5]
	v_cndmask_b32_e64 v4, v11, v4, s[4:5]
	s_or_b64 s[4:5], s[42:43], exec
; %bb.89:
	s_or_b64 exec, exec, s[72:73]
	s_andn2_b64 s[42:43], s[42:43], exec
	s_and_b64 s[4:5], s[4:5], exec
	s_or_b64 s[42:43], s[42:43], s[4:5]
	s_or_b64 exec, exec, s[70:71]
	s_and_saveexec_b64 s[70:71], s[38:39]
	s_cbranch_execz .LBB739_49
.LBB739_90:
	global_load_ubyte v5, v[2:3], off offset:448
	s_waitcnt vmcnt(0)
	v_and_b32_e32 v5, 1, v5
	v_cmp_eq_u32_e64 s[4:5], 1, v5
	s_xor_b64 s[74:75], s[4:5], -1
	s_mov_b64 s[4:5], s[42:43]
	s_and_saveexec_b64 s[72:73], s[74:75]
; %bb.91:
	v_cmp_gt_f32_e64 s[4:5], v4, v10
	s_and_b64 s[4:5], s[42:43], s[4:5]
	v_cndmask_b32_e64 v4, v10, v4, s[4:5]
	s_or_b64 s[4:5], s[42:43], exec
; %bb.92:
	s_or_b64 exec, exec, s[72:73]
	s_andn2_b64 s[42:43], s[42:43], exec
	s_and_b64 s[4:5], s[4:5], exec
	s_or_b64 s[42:43], s[42:43], s[4:5]
	s_or_b64 exec, exec, s[70:71]
	s_and_saveexec_b64 s[70:71], s[30:31]
	s_cbranch_execz .LBB739_96
.LBB739_93:
	global_load_ubyte v5, v[2:3], off offset:480
	s_waitcnt vmcnt(0)
	v_and_b32_e32 v5, 1, v5
	v_cmp_eq_u32_e64 s[4:5], 1, v5
	s_xor_b64 s[74:75], s[4:5], -1
	s_mov_b64 s[4:5], s[42:43]
	s_and_saveexec_b64 s[72:73], s[74:75]
; %bb.94:
	v_cmp_gt_f32_e64 s[4:5], v4, v9
	s_and_b64 s[4:5], s[42:43], s[4:5]
	v_cndmask_b32_e64 v4, v9, v4, s[4:5]
	s_or_b64 s[4:5], s[42:43], exec
; %bb.95:
	s_or_b64 exec, exec, s[72:73]
	s_andn2_b64 s[42:43], s[42:43], exec
	s_and_b64 s[4:5], s[4:5], exec
	s_or_b64 s[42:43], s[42:43], s[4:5]
.LBB739_96:
	s_or_b64 exec, exec, s[70:71]
	v_mov_b32_e32 v5, 0xff800000
	v_cndmask_b32_e64 v4, v5, v4, s[42:43]
	v_mbcnt_lo_u32_b32 v5, -1, 0
	v_mbcnt_hi_u32_b32 v5, -1, v5
	v_and_b32_e32 v6, 0x60, v5
	v_add_u32_e32 v26, 32, v6
	v_xor_b32_e32 v6, 16, v5
	v_cmp_lt_i32_e64 s[4:5], v6, v26
	v_cndmask_b32_e64 v6, v5, v6, s[4:5]
	v_lshlrev_b32_e32 v6, 2, v6
	ds_bpermute_b32 v7, v6, v4
	s_waitcnt lgkmcnt(0)
	v_cmp_lt_f32_e64 s[4:5], v4, v7
	v_cndmask_b32_e64 v4, v4, v7, s[4:5]
	v_xor_b32_e32 v7, 8, v5
	v_cmp_lt_i32_e64 s[4:5], v7, v26
	v_cndmask_b32_e64 v7, v5, v7, s[4:5]
	v_lshlrev_b32_e32 v7, 2, v7
	ds_bpermute_b32 v25, v7, v4
	s_waitcnt lgkmcnt(0)
	v_cmp_lt_f32_e64 s[4:5], v4, v25
	v_cndmask_b32_e64 v4, v4, v25, s[4:5]
	;; [unrolled: 8-line block ×4, first 2 shown]
	v_xor_b32_e32 v28, 1, v5
	v_cmp_lt_i32_e64 s[4:5], v28, v26
	v_cndmask_b32_e64 v5, v5, v28, s[4:5]
	v_lshlrev_b32_e32 v28, 2, v5
	ds_bpermute_b32 v5, v28, v4
	v_mov_b32_e32 v26, 0
	s_waitcnt lgkmcnt(0)
	v_cmp_lt_f32_e64 s[4:5], v4, v5
	v_cndmask_b32_e64 v29, v4, v5, s[4:5]
	v_mov_b32_e32 v4, 0
	s_and_saveexec_b64 s[42:43], s[68:69]
	s_cbranch_execz .LBB739_100
; %bb.97:
	global_load_ubyte v5, v[2:3], off
	v_mov_b32_e32 v26, 0
	s_waitcnt vmcnt(0)
	v_and_b32_e32 v5, 1, v5
	v_cmp_eq_u32_e64 s[4:5], 1, v5
	s_xor_b64 s[4:5], s[4:5], -1
	s_and_saveexec_b64 s[68:69], s[4:5]
	s_cbranch_execz .LBB739_99
; %bb.98:
	v_sub_f32_e32 v5, v24, v29
	s_mov_b32 s4, 0x3fb8aa3b
	v_mul_f32_e32 v24, 0x3fb8aa3b, v5
	v_fma_f32 v26, v5, s4, -v24
	v_rndne_f32_e32 v30, v24
	v_fmac_f32_e32 v26, 0x32a5705f, v5
	v_sub_f32_e32 v24, v24, v30
	v_add_f32_e32 v24, v24, v26
	v_exp_f32_e32 v24, v24
	v_cvt_i32_f32_e32 v26, v30
	s_mov_b32 s4, 0xc2ce8ed0
	v_cmp_ngt_f32_e64 s[4:5], s4, v5
	v_ldexp_f32 v24, v24, v26
	v_cndmask_b32_e64 v24, 0, v24, s[4:5]
	s_mov_b32 s4, 0x42b17218
	v_mov_b32_e32 v26, 0x7f800000
	v_cmp_nlt_f32_e64 s[4:5], s4, v5
	v_cndmask_b32_e64 v26, v26, v24, s[4:5]
.LBB739_99:
	s_or_b64 exec, exec, s[68:69]
.LBB739_100:
	s_or_b64 exec, exec, s[42:43]
	v_mov_b32_e32 v24, v26
	s_and_saveexec_b64 s[42:43], s[66:67]
	s_cbranch_execz .LBB739_104
; %bb.101:
	global_load_ubyte v5, v[2:3], off offset:32
	v_mov_b32_e32 v4, 0
	v_mov_b32_e32 v24, v26
	s_waitcnt vmcnt(0)
	v_and_b32_e32 v5, 1, v5
	v_cmp_eq_u32_e64 s[4:5], 1, v5
	s_xor_b64 s[4:5], s[4:5], -1
	s_and_saveexec_b64 s[66:67], s[4:5]
	s_cbranch_execz .LBB739_103
; %bb.102:
	v_sub_f32_e32 v4, v23, v29
	s_mov_b32 s4, 0x3fb8aa3b
	v_mul_f32_e32 v5, 0x3fb8aa3b, v4
	v_fma_f32 v23, v4, s4, -v5
	v_rndne_f32_e32 v24, v5
	v_fmac_f32_e32 v23, 0x32a5705f, v4
	v_sub_f32_e32 v5, v5, v24
	v_add_f32_e32 v5, v5, v23
	v_exp_f32_e32 v5, v5
	v_cvt_i32_f32_e32 v23, v24
	s_mov_b32 s4, 0xc2ce8ed0
	v_cmp_ngt_f32_e64 s[4:5], s4, v4
	v_ldexp_f32 v5, v5, v23
	v_cndmask_b32_e64 v5, 0, v5, s[4:5]
	s_mov_b32 s4, 0x42b17218
	v_mov_b32_e32 v23, 0x7f800000
	v_cmp_nlt_f32_e64 s[4:5], s4, v4
	v_cndmask_b32_e64 v4, v23, v5, s[4:5]
	v_add_f32_e32 v24, v26, v4
.LBB739_103:
	s_or_b64 exec, exec, s[66:67]
.LBB739_104:
	s_or_b64 exec, exec, s[42:43]
	v_mov_b32_e32 v5, 0
	v_mov_b32_e32 v23, 0
	s_and_saveexec_b64 s[42:43], s[64:65]
	s_cbranch_execz .LBB739_108
; %bb.105:
	global_load_ubyte v23, v[2:3], off offset:64
	s_waitcnt vmcnt(0)
	v_and_b32_e32 v23, 1, v23
	v_cmp_eq_u32_e64 s[4:5], 1, v23
	s_xor_b64 s[4:5], s[4:5], -1
	v_mov_b32_e32 v23, 0
	s_and_saveexec_b64 s[64:65], s[4:5]
	s_cbranch_execz .LBB739_107
; %bb.106:
	v_sub_f32_e32 v22, v22, v29
	s_mov_b32 s4, 0x3fb8aa3b
	v_mul_f32_e32 v23, 0x3fb8aa3b, v22
	v_fma_f32 v30, v22, s4, -v23
	v_rndne_f32_e32 v31, v23
	v_fmac_f32_e32 v30, 0x32a5705f, v22
	v_sub_f32_e32 v23, v23, v31
	v_add_f32_e32 v23, v23, v30
	v_exp_f32_e32 v23, v23
	v_cvt_i32_f32_e32 v30, v31
	s_mov_b32 s4, 0xc2ce8ed0
	v_cmp_ngt_f32_e64 s[4:5], s4, v22
	v_ldexp_f32 v23, v23, v30
	v_cndmask_b32_e64 v23, 0, v23, s[4:5]
	s_mov_b32 s4, 0x42b17218
	v_mov_b32_e32 v30, 0x7f800000
	v_cmp_nlt_f32_e64 s[4:5], s4, v22
	v_cndmask_b32_e64 v23, v30, v23, s[4:5]
	v_add_f32_e32 v24, v24, v23
.LBB739_107:
	s_or_b64 exec, exec, s[64:65]
.LBB739_108:
	s_or_b64 exec, exec, s[42:43]
	s_and_saveexec_b64 s[42:43], s[62:63]
	s_cbranch_execz .LBB739_112
; %bb.109:
	global_load_ubyte v5, v[2:3], off offset:96
	s_waitcnt vmcnt(0)
	v_and_b32_e32 v5, 1, v5
	v_cmp_eq_u32_e64 s[4:5], 1, v5
	s_xor_b64 s[4:5], s[4:5], -1
	v_mov_b32_e32 v5, 0
	s_and_saveexec_b64 s[62:63], s[4:5]
	s_cbranch_execz .LBB739_111
; %bb.110:
	v_sub_f32_e32 v5, v21, v29
	s_mov_b32 s4, 0x3fb8aa3b
	v_mul_f32_e32 v21, 0x3fb8aa3b, v5
	v_fma_f32 v22, v5, s4, -v21
	v_rndne_f32_e32 v30, v21
	v_fmac_f32_e32 v22, 0x32a5705f, v5
	v_sub_f32_e32 v21, v21, v30
	v_add_f32_e32 v21, v21, v22
	v_exp_f32_e32 v21, v21
	v_cvt_i32_f32_e32 v22, v30
	s_mov_b32 s4, 0xc2ce8ed0
	v_cmp_ngt_f32_e64 s[4:5], s4, v5
	v_ldexp_f32 v21, v21, v22
	v_cndmask_b32_e64 v21, 0, v21, s[4:5]
	s_mov_b32 s4, 0x42b17218
	v_mov_b32_e32 v22, 0x7f800000
	v_cmp_nlt_f32_e64 s[4:5], s4, v5
	v_cndmask_b32_e64 v5, v22, v21, s[4:5]
	v_add_f32_e32 v24, v24, v5
.LBB739_111:
	s_or_b64 exec, exec, s[62:63]
.LBB739_112:
	s_or_b64 exec, exec, s[42:43]
	v_mov_b32_e32 v21, 0
	v_mov_b32_e32 v22, 0
	s_and_saveexec_b64 s[42:43], s[60:61]
	s_cbranch_execz .LBB739_116
; %bb.113:
	global_load_ubyte v22, v[2:3], off offset:128
	s_waitcnt vmcnt(0)
	v_and_b32_e32 v22, 1, v22
	v_cmp_eq_u32_e64 s[4:5], 1, v22
	s_xor_b64 s[4:5], s[4:5], -1
	v_mov_b32_e32 v22, 0
	s_and_saveexec_b64 s[60:61], s[4:5]
	s_cbranch_execz .LBB739_115
; %bb.114:
	v_sub_f32_e32 v20, v20, v29
	s_mov_b32 s4, 0x3fb8aa3b
	v_mul_f32_e32 v22, 0x3fb8aa3b, v20
	v_fma_f32 v30, v20, s4, -v22
	v_rndne_f32_e32 v31, v22
	v_fmac_f32_e32 v30, 0x32a5705f, v20
	v_sub_f32_e32 v22, v22, v31
	v_add_f32_e32 v22, v22, v30
	v_exp_f32_e32 v22, v22
	v_cvt_i32_f32_e32 v30, v31
	s_mov_b32 s4, 0xc2ce8ed0
	v_cmp_ngt_f32_e64 s[4:5], s4, v20
	v_ldexp_f32 v22, v22, v30
	v_cndmask_b32_e64 v22, 0, v22, s[4:5]
	s_mov_b32 s4, 0x42b17218
	v_mov_b32_e32 v30, 0x7f800000
	v_cmp_nlt_f32_e64 s[4:5], s4, v20
	v_cndmask_b32_e64 v22, v30, v22, s[4:5]
	v_add_f32_e32 v24, v24, v22
.LBB739_115:
	s_or_b64 exec, exec, s[60:61]
.LBB739_116:
	s_or_b64 exec, exec, s[42:43]
	s_and_saveexec_b64 s[42:43], s[58:59]
	s_cbranch_execz .LBB739_120
; %bb.117:
	global_load_ubyte v20, v[2:3], off offset:160
	v_mov_b32_e32 v21, 0
	s_waitcnt vmcnt(0)
	v_and_b32_e32 v20, 1, v20
	v_cmp_eq_u32_e64 s[4:5], 1, v20
	s_xor_b64 s[4:5], s[4:5], -1
	s_and_saveexec_b64 s[58:59], s[4:5]
	s_cbranch_execz .LBB739_119
; %bb.118:
	v_sub_f32_e32 v19, v19, v29
	s_mov_b32 s4, 0x3fb8aa3b
	v_mul_f32_e32 v20, 0x3fb8aa3b, v19
	v_fma_f32 v21, v19, s4, -v20
	v_rndne_f32_e32 v30, v20
	v_fmac_f32_e32 v21, 0x32a5705f, v19
	v_sub_f32_e32 v20, v20, v30
	v_add_f32_e32 v20, v20, v21
	v_exp_f32_e32 v20, v20
	v_cvt_i32_f32_e32 v21, v30
	s_mov_b32 s4, 0xc2ce8ed0
	v_cmp_ngt_f32_e64 s[4:5], s4, v19
	v_ldexp_f32 v20, v20, v21
	v_cndmask_b32_e64 v20, 0, v20, s[4:5]
	s_mov_b32 s4, 0x42b17218
	v_mov_b32_e32 v21, 0x7f800000
	v_cmp_nlt_f32_e64 s[4:5], s4, v19
	v_cndmask_b32_e64 v21, v21, v20, s[4:5]
	v_add_f32_e32 v24, v24, v21
.LBB739_119:
	s_or_b64 exec, exec, s[58:59]
.LBB739_120:
	s_or_b64 exec, exec, s[42:43]
	v_mov_b32_e32 v19, 0
	v_mov_b32_e32 v20, 0
	s_and_saveexec_b64 s[42:43], s[56:57]
	s_cbranch_execz .LBB739_124
; %bb.121:
	global_load_ubyte v20, v[2:3], off offset:192
	s_waitcnt vmcnt(0)
	v_and_b32_e32 v20, 1, v20
	v_cmp_eq_u32_e64 s[4:5], 1, v20
	s_xor_b64 s[4:5], s[4:5], -1
	v_mov_b32_e32 v20, 0
	s_and_saveexec_b64 s[56:57], s[4:5]
	s_cbranch_execz .LBB739_123
; %bb.122:
	v_sub_f32_e32 v18, v18, v29
	s_mov_b32 s4, 0x3fb8aa3b
	v_mul_f32_e32 v20, 0x3fb8aa3b, v18
	v_fma_f32 v30, v18, s4, -v20
	v_rndne_f32_e32 v31, v20
	v_fmac_f32_e32 v30, 0x32a5705f, v18
	v_sub_f32_e32 v20, v20, v31
	v_add_f32_e32 v20, v20, v30
	v_exp_f32_e32 v20, v20
	v_cvt_i32_f32_e32 v30, v31
	s_mov_b32 s4, 0xc2ce8ed0
	v_cmp_ngt_f32_e64 s[4:5], s4, v18
	v_ldexp_f32 v20, v20, v30
	v_cndmask_b32_e64 v20, 0, v20, s[4:5]
	s_mov_b32 s4, 0x42b17218
	v_mov_b32_e32 v30, 0x7f800000
	v_cmp_nlt_f32_e64 s[4:5], s4, v18
	v_cndmask_b32_e64 v20, v30, v20, s[4:5]
	v_add_f32_e32 v24, v24, v20
.LBB739_123:
	s_or_b64 exec, exec, s[56:57]
.LBB739_124:
	s_or_b64 exec, exec, s[42:43]
	s_and_saveexec_b64 s[42:43], s[54:55]
	s_cbranch_execz .LBB739_128
; %bb.125:
	global_load_ubyte v18, v[2:3], off offset:224
	v_mov_b32_e32 v19, 0
	s_waitcnt vmcnt(0)
	v_and_b32_e32 v18, 1, v18
	v_cmp_eq_u32_e64 s[4:5], 1, v18
	s_xor_b64 s[4:5], s[4:5], -1
	s_and_saveexec_b64 s[54:55], s[4:5]
	s_cbranch_execz .LBB739_127
; %bb.126:
	v_sub_f32_e32 v17, v17, v29
	s_mov_b32 s4, 0x3fb8aa3b
	v_mul_f32_e32 v18, 0x3fb8aa3b, v17
	v_fma_f32 v19, v17, s4, -v18
	v_rndne_f32_e32 v30, v18
	v_fmac_f32_e32 v19, 0x32a5705f, v17
	v_sub_f32_e32 v18, v18, v30
	v_add_f32_e32 v18, v18, v19
	v_exp_f32_e32 v18, v18
	v_cvt_i32_f32_e32 v19, v30
	s_mov_b32 s4, 0xc2ce8ed0
	v_cmp_ngt_f32_e64 s[4:5], s4, v17
	v_ldexp_f32 v18, v18, v19
	v_cndmask_b32_e64 v18, 0, v18, s[4:5]
	s_mov_b32 s4, 0x42b17218
	v_mov_b32_e32 v19, 0x7f800000
	v_cmp_nlt_f32_e64 s[4:5], s4, v17
	v_cndmask_b32_e64 v19, v19, v18, s[4:5]
	v_add_f32_e32 v24, v24, v19
.LBB739_127:
	s_or_b64 exec, exec, s[54:55]
.LBB739_128:
	s_or_b64 exec, exec, s[42:43]
	v_mov_b32_e32 v17, 0
	v_mov_b32_e32 v18, 0
	s_and_saveexec_b64 s[42:43], s[52:53]
	s_cbranch_execz .LBB739_132
; %bb.129:
	global_load_ubyte v18, v[2:3], off offset:256
	s_waitcnt vmcnt(0)
	v_and_b32_e32 v18, 1, v18
	v_cmp_eq_u32_e64 s[4:5], 1, v18
	s_xor_b64 s[4:5], s[4:5], -1
	v_mov_b32_e32 v18, 0
	s_and_saveexec_b64 s[52:53], s[4:5]
	s_cbranch_execz .LBB739_131
; %bb.130:
	v_sub_f32_e32 v16, v16, v29
	s_mov_b32 s4, 0x3fb8aa3b
	v_mul_f32_e32 v18, 0x3fb8aa3b, v16
	v_fma_f32 v30, v16, s4, -v18
	v_rndne_f32_e32 v31, v18
	v_fmac_f32_e32 v30, 0x32a5705f, v16
	v_sub_f32_e32 v18, v18, v31
	v_add_f32_e32 v18, v18, v30
	v_exp_f32_e32 v18, v18
	v_cvt_i32_f32_e32 v30, v31
	s_mov_b32 s4, 0xc2ce8ed0
	v_cmp_ngt_f32_e64 s[4:5], s4, v16
	v_ldexp_f32 v18, v18, v30
	v_cndmask_b32_e64 v18, 0, v18, s[4:5]
	s_mov_b32 s4, 0x42b17218
	v_mov_b32_e32 v30, 0x7f800000
	v_cmp_nlt_f32_e64 s[4:5], s4, v16
	v_cndmask_b32_e64 v18, v30, v18, s[4:5]
	v_add_f32_e32 v24, v24, v18
.LBB739_131:
	s_or_b64 exec, exec, s[52:53]
.LBB739_132:
	s_or_b64 exec, exec, s[42:43]
	s_and_saveexec_b64 s[42:43], s[50:51]
	s_cbranch_execz .LBB739_136
; %bb.133:
	global_load_ubyte v16, v[2:3], off offset:288
	v_mov_b32_e32 v17, 0
	s_waitcnt vmcnt(0)
	v_and_b32_e32 v16, 1, v16
	v_cmp_eq_u32_e64 s[4:5], 1, v16
	s_xor_b64 s[4:5], s[4:5], -1
	s_and_saveexec_b64 s[50:51], s[4:5]
	s_cbranch_execz .LBB739_135
; %bb.134:
	v_sub_f32_e32 v15, v15, v29
	s_mov_b32 s4, 0x3fb8aa3b
	v_mul_f32_e32 v16, 0x3fb8aa3b, v15
	v_fma_f32 v17, v15, s4, -v16
	v_rndne_f32_e32 v30, v16
	v_fmac_f32_e32 v17, 0x32a5705f, v15
	v_sub_f32_e32 v16, v16, v30
	v_add_f32_e32 v16, v16, v17
	v_exp_f32_e32 v16, v16
	v_cvt_i32_f32_e32 v17, v30
	s_mov_b32 s4, 0xc2ce8ed0
	v_cmp_ngt_f32_e64 s[4:5], s4, v15
	v_ldexp_f32 v16, v16, v17
	v_cndmask_b32_e64 v16, 0, v16, s[4:5]
	s_mov_b32 s4, 0x42b17218
	v_mov_b32_e32 v17, 0x7f800000
	v_cmp_nlt_f32_e64 s[4:5], s4, v15
	v_cndmask_b32_e64 v17, v17, v16, s[4:5]
	v_add_f32_e32 v24, v24, v17
.LBB739_135:
	s_or_b64 exec, exec, s[50:51]
.LBB739_136:
	s_or_b64 exec, exec, s[42:43]
	v_mov_b32_e32 v15, 0
	v_mov_b32_e32 v16, 0
	s_and_saveexec_b64 s[42:43], s[48:49]
	s_cbranch_execz .LBB739_140
; %bb.137:
	global_load_ubyte v16, v[2:3], off offset:320
	s_waitcnt vmcnt(0)
	v_and_b32_e32 v16, 1, v16
	v_cmp_eq_u32_e64 s[4:5], 1, v16
	s_xor_b64 s[4:5], s[4:5], -1
	v_mov_b32_e32 v16, 0
	s_and_saveexec_b64 s[48:49], s[4:5]
	s_cbranch_execz .LBB739_139
; %bb.138:
	v_sub_f32_e32 v14, v14, v29
	s_mov_b32 s4, 0x3fb8aa3b
	v_mul_f32_e32 v16, 0x3fb8aa3b, v14
	v_fma_f32 v30, v14, s4, -v16
	v_rndne_f32_e32 v31, v16
	v_fmac_f32_e32 v30, 0x32a5705f, v14
	v_sub_f32_e32 v16, v16, v31
	v_add_f32_e32 v16, v16, v30
	v_exp_f32_e32 v16, v16
	v_cvt_i32_f32_e32 v30, v31
	s_mov_b32 s4, 0xc2ce8ed0
	v_cmp_ngt_f32_e64 s[4:5], s4, v14
	v_ldexp_f32 v16, v16, v30
	v_cndmask_b32_e64 v16, 0, v16, s[4:5]
	s_mov_b32 s4, 0x42b17218
	v_mov_b32_e32 v30, 0x7f800000
	v_cmp_nlt_f32_e64 s[4:5], s4, v14
	v_cndmask_b32_e64 v16, v30, v16, s[4:5]
	v_add_f32_e32 v24, v24, v16
.LBB739_139:
	s_or_b64 exec, exec, s[48:49]
.LBB739_140:
	s_or_b64 exec, exec, s[42:43]
	s_and_saveexec_b64 s[42:43], s[46:47]
	s_cbranch_execz .LBB739_144
; %bb.141:
	global_load_ubyte v14, v[2:3], off offset:352
	v_mov_b32_e32 v15, 0
	s_waitcnt vmcnt(0)
	v_and_b32_e32 v14, 1, v14
	v_cmp_eq_u32_e64 s[4:5], 1, v14
	s_xor_b64 s[4:5], s[4:5], -1
	s_and_saveexec_b64 s[46:47], s[4:5]
	s_cbranch_execz .LBB739_143
; %bb.142:
	v_sub_f32_e32 v13, v13, v29
	s_mov_b32 s4, 0x3fb8aa3b
	v_mul_f32_e32 v14, 0x3fb8aa3b, v13
	v_fma_f32 v15, v13, s4, -v14
	v_rndne_f32_e32 v30, v14
	v_fmac_f32_e32 v15, 0x32a5705f, v13
	v_sub_f32_e32 v14, v14, v30
	v_add_f32_e32 v14, v14, v15
	v_exp_f32_e32 v14, v14
	v_cvt_i32_f32_e32 v15, v30
	s_mov_b32 s4, 0xc2ce8ed0
	v_cmp_ngt_f32_e64 s[4:5], s4, v13
	v_ldexp_f32 v14, v14, v15
	v_cndmask_b32_e64 v14, 0, v14, s[4:5]
	s_mov_b32 s4, 0x42b17218
	v_mov_b32_e32 v15, 0x7f800000
	v_cmp_nlt_f32_e64 s[4:5], s4, v13
	v_cndmask_b32_e64 v15, v15, v14, s[4:5]
	v_add_f32_e32 v24, v24, v15
.LBB739_143:
	s_or_b64 exec, exec, s[46:47]
.LBB739_144:
	s_or_b64 exec, exec, s[42:43]
	v_mov_b32_e32 v13, 0
	v_mov_b32_e32 v14, 0
	s_and_saveexec_b64 s[42:43], s[44:45]
	s_cbranch_execz .LBB739_148
; %bb.145:
	global_load_ubyte v14, v[2:3], off offset:384
	s_waitcnt vmcnt(0)
	v_and_b32_e32 v14, 1, v14
	v_cmp_eq_u32_e64 s[4:5], 1, v14
	s_xor_b64 s[4:5], s[4:5], -1
	v_mov_b32_e32 v14, 0
	s_and_saveexec_b64 s[44:45], s[4:5]
	s_cbranch_execz .LBB739_147
; %bb.146:
	v_sub_f32_e32 v12, v12, v29
	s_mov_b32 s4, 0x3fb8aa3b
	v_mul_f32_e32 v14, 0x3fb8aa3b, v12
	v_fma_f32 v30, v12, s4, -v14
	v_rndne_f32_e32 v31, v14
	v_fmac_f32_e32 v30, 0x32a5705f, v12
	v_sub_f32_e32 v14, v14, v31
	v_add_f32_e32 v14, v14, v30
	v_exp_f32_e32 v14, v14
	v_cvt_i32_f32_e32 v30, v31
	s_mov_b32 s4, 0xc2ce8ed0
	v_cmp_ngt_f32_e64 s[4:5], s4, v12
	v_ldexp_f32 v14, v14, v30
	v_cndmask_b32_e64 v14, 0, v14, s[4:5]
	s_mov_b32 s4, 0x42b17218
	v_mov_b32_e32 v30, 0x7f800000
	v_cmp_nlt_f32_e64 s[4:5], s4, v12
	v_cndmask_b32_e64 v14, v30, v14, s[4:5]
	v_add_f32_e32 v24, v24, v14
.LBB739_147:
	s_or_b64 exec, exec, s[44:45]
.LBB739_148:
	s_or_b64 exec, exec, s[42:43]
	s_and_saveexec_b64 s[42:43], s[40:41]
	s_cbranch_execz .LBB739_152
; %bb.149:
	global_load_ubyte v12, v[2:3], off offset:416
	v_mov_b32_e32 v13, 0
	s_waitcnt vmcnt(0)
	v_and_b32_e32 v12, 1, v12
	v_cmp_eq_u32_e64 s[4:5], 1, v12
	s_xor_b64 s[4:5], s[4:5], -1
	s_and_saveexec_b64 s[40:41], s[4:5]
	s_cbranch_execz .LBB739_151
; %bb.150:
	v_sub_f32_e32 v11, v11, v29
	s_mov_b32 s4, 0x3fb8aa3b
	v_mul_f32_e32 v12, 0x3fb8aa3b, v11
	v_fma_f32 v13, v11, s4, -v12
	v_rndne_f32_e32 v30, v12
	v_fmac_f32_e32 v13, 0x32a5705f, v11
	v_sub_f32_e32 v12, v12, v30
	v_add_f32_e32 v12, v12, v13
	v_exp_f32_e32 v12, v12
	v_cvt_i32_f32_e32 v13, v30
	s_mov_b32 s4, 0xc2ce8ed0
	v_cmp_ngt_f32_e64 s[4:5], s4, v11
	v_ldexp_f32 v12, v12, v13
	v_cndmask_b32_e64 v12, 0, v12, s[4:5]
	s_mov_b32 s4, 0x42b17218
	v_mov_b32_e32 v13, 0x7f800000
	v_cmp_nlt_f32_e64 s[4:5], s4, v11
	v_cndmask_b32_e64 v13, v13, v12, s[4:5]
	v_add_f32_e32 v24, v24, v13
.LBB739_151:
	s_or_b64 exec, exec, s[40:41]
.LBB739_152:
	s_or_b64 exec, exec, s[42:43]
	v_mov_b32_e32 v11, 0
	v_mov_b32_e32 v12, 0
	s_and_saveexec_b64 s[40:41], s[38:39]
	s_cbranch_execz .LBB739_156
; %bb.153:
	global_load_ubyte v12, v[2:3], off offset:448
	s_waitcnt vmcnt(0)
	v_and_b32_e32 v12, 1, v12
	v_cmp_eq_u32_e64 s[4:5], 1, v12
	s_xor_b64 s[4:5], s[4:5], -1
	v_mov_b32_e32 v12, 0
	s_and_saveexec_b64 s[38:39], s[4:5]
	s_cbranch_execz .LBB739_155
; %bb.154:
	v_sub_f32_e32 v10, v10, v29
	s_mov_b32 s4, 0x3fb8aa3b
	v_mul_f32_e32 v12, 0x3fb8aa3b, v10
	v_fma_f32 v30, v10, s4, -v12
	v_rndne_f32_e32 v31, v12
	v_fmac_f32_e32 v30, 0x32a5705f, v10
	v_sub_f32_e32 v12, v12, v31
	v_add_f32_e32 v12, v12, v30
	v_exp_f32_e32 v12, v12
	v_cvt_i32_f32_e32 v30, v31
	s_mov_b32 s4, 0xc2ce8ed0
	v_cmp_ngt_f32_e64 s[4:5], s4, v10
	v_ldexp_f32 v12, v12, v30
	v_cndmask_b32_e64 v12, 0, v12, s[4:5]
	s_mov_b32 s4, 0x42b17218
	v_mov_b32_e32 v30, 0x7f800000
	v_cmp_nlt_f32_e64 s[4:5], s4, v10
	v_cndmask_b32_e64 v12, v30, v12, s[4:5]
	v_add_f32_e32 v24, v24, v12
.LBB739_155:
	s_or_b64 exec, exec, s[38:39]
.LBB739_156:
	s_or_b64 exec, exec, s[40:41]
	s_and_saveexec_b64 s[38:39], s[30:31]
	s_cbranch_execz .LBB739_160
; %bb.157:
	global_load_ubyte v2, v[2:3], off offset:480
	v_mov_b32_e32 v11, 0
	s_waitcnt vmcnt(0)
	v_and_b32_e32 v2, 1, v2
	v_cmp_eq_u32_e64 s[4:5], 1, v2
	s_xor_b64 s[4:5], s[4:5], -1
	s_and_saveexec_b64 s[30:31], s[4:5]
	s_cbranch_execz .LBB739_159
; %bb.158:
	v_sub_f32_e32 v2, v9, v29
	s_mov_b32 s4, 0x3fb8aa3b
	v_mul_f32_e32 v3, 0x3fb8aa3b, v2
	v_fma_f32 v9, v2, s4, -v3
	v_rndne_f32_e32 v10, v3
	v_fmac_f32_e32 v9, 0x32a5705f, v2
	v_sub_f32_e32 v3, v3, v10
	v_add_f32_e32 v3, v3, v9
	v_exp_f32_e32 v3, v3
	v_cvt_i32_f32_e32 v9, v10
	s_mov_b32 s4, 0xc2ce8ed0
	v_cmp_ngt_f32_e64 s[4:5], s4, v2
	v_ldexp_f32 v3, v3, v9
	v_cndmask_b32_e64 v3, 0, v3, s[4:5]
	s_mov_b32 s4, 0x42b17218
	v_mov_b32_e32 v9, 0x7f800000
	v_cmp_nlt_f32_e64 s[4:5], s4, v2
	v_cndmask_b32_e64 v11, v9, v3, s[4:5]
	v_add_f32_e32 v24, v24, v11
.LBB739_159:
	s_or_b64 exec, exec, s[30:31]
.LBB739_160:
	s_or_b64 exec, exec, s[38:39]
	ds_bpermute_b32 v2, v6, v24
	v_cmp_lt_i32_e64 s[4:5], 0, v8
	s_waitcnt lgkmcnt(0)
	v_add_f32_e32 v2, v24, v2
	ds_bpermute_b32 v3, v7, v2
	s_waitcnt lgkmcnt(0)
	v_add_f32_e32 v2, v2, v3
	ds_bpermute_b32 v3, v25, v2
	;; [unrolled: 3-line block ×4, first 2 shown]
	s_and_saveexec_b64 s[30:31], s[4:5]
	s_cbranch_execz .LBB739_210
; %bb.161:
	s_and_b64 exec, exec, vcc
	s_cbranch_execz .LBB739_210
; %bb.162:
	s_waitcnt lgkmcnt(0)
	v_add_f32_e32 v2, v2, v3
	v_cmp_neq_f32_e64 s[30:31], 0, v2
	v_mov_b32_e32 v3, 0x7e00
	s_and_saveexec_b64 s[4:5], s[30:31]
	s_cbranch_execz .LBB739_164
; %bb.163:
	v_div_scale_f32 v3, s[38:39], v2, v2, v26
	v_rcp_f32_e32 v6, v3
	v_div_scale_f32 v7, vcc, v26, v2, v26
	v_fma_f32 v8, -v3, v6, 1.0
	v_fmac_f32_e32 v6, v8, v6
	v_mul_f32_e32 v8, v7, v6
	v_fma_f32 v9, -v3, v8, v7
	v_fmac_f32_e32 v8, v9, v6
	v_fma_f32 v3, -v3, v8, v7
	v_div_fmas_f32 v3, v3, v6, v8
	v_div_fixup_f32 v3, v3, v2, v26
	v_cvt_f16_f32_e32 v3, v3
.LBB739_164:
	s_or_b64 exec, exec, s[4:5]
	v_mov_b32_e32 v6, s37
	v_add_co_u32_e32 v0, vcc, s36, v0
	v_addc_co_u32_e32 v1, vcc, v6, v1, vcc
	global_store_short v[0:1], v3, off
	s_and_b64 exec, exec, s[28:29]
	s_cbranch_execz .LBB739_210
; %bb.165:
	v_mov_b32_e32 v3, 0x7e00
	s_and_saveexec_b64 s[4:5], s[30:31]
	s_cbranch_execz .LBB739_167
; %bb.166:
	v_div_scale_f32 v3, s[28:29], v2, v2, v4
	v_rcp_f32_e32 v6, v3
	v_div_scale_f32 v7, vcc, v4, v2, v4
	v_fma_f32 v8, -v3, v6, 1.0
	v_fmac_f32_e32 v6, v8, v6
	v_mul_f32_e32 v8, v7, v6
	v_fma_f32 v9, -v3, v8, v7
	v_fmac_f32_e32 v8, v9, v6
	v_fma_f32 v3, -v3, v8, v7
	v_div_fmas_f32 v3, v3, v6, v8
	v_div_fixup_f32 v3, v3, v2, v4
	v_cvt_f16_f32_e32 v3, v3
.LBB739_167:
	s_or_b64 exec, exec, s[4:5]
	global_store_short v[0:1], v3, off offset:64
	s_and_b64 exec, exec, s[26:27]
	s_cbranch_execz .LBB739_210
; %bb.168:
	v_mov_b32_e32 v3, 0x7e00
	s_and_saveexec_b64 s[4:5], s[30:31]
	s_cbranch_execz .LBB739_170
; %bb.169:
	v_div_scale_f32 v3, s[26:27], v2, v2, v23
	v_rcp_f32_e32 v4, v3
	v_div_scale_f32 v6, vcc, v23, v2, v23
	v_fma_f32 v7, -v3, v4, 1.0
	v_fmac_f32_e32 v4, v7, v4
	v_mul_f32_e32 v7, v6, v4
	v_fma_f32 v8, -v3, v7, v6
	v_fmac_f32_e32 v7, v8, v4
	v_fma_f32 v3, -v3, v7, v6
	v_div_fmas_f32 v3, v3, v4, v7
	v_div_fixup_f32 v3, v3, v2, v23
	v_cvt_f16_f32_e32 v3, v3
.LBB739_170:
	s_or_b64 exec, exec, s[4:5]
	global_store_short v[0:1], v3, off offset:128
	;; [unrolled: 22-line block ×15, first 2 shown]
.LBB739_210:
	s_endpgm
	.section	.rodata,"a",@progbits
	.p2align	6, 0x0
	.amdhsa_kernel _ZN12_GLOBAL__N_120softmax_warp_forwardIN3c104HalfES2_fLi9ELb0ELb1ELi32EEEvPT0_PKT_iiiPKbib
		.amdhsa_group_segment_fixed_size 0
		.amdhsa_private_segment_fixed_size 0
		.amdhsa_kernarg_size 304
		.amdhsa_user_sgpr_count 6
		.amdhsa_user_sgpr_private_segment_buffer 1
		.amdhsa_user_sgpr_dispatch_ptr 0
		.amdhsa_user_sgpr_queue_ptr 0
		.amdhsa_user_sgpr_kernarg_segment_ptr 1
		.amdhsa_user_sgpr_dispatch_id 0
		.amdhsa_user_sgpr_flat_scratch_init 0
		.amdhsa_user_sgpr_kernarg_preload_length 0
		.amdhsa_user_sgpr_kernarg_preload_offset 0
		.amdhsa_user_sgpr_private_segment_size 0
		.amdhsa_uses_dynamic_stack 0
		.amdhsa_system_sgpr_private_segment_wavefront_offset 0
		.amdhsa_system_sgpr_workgroup_id_x 1
		.amdhsa_system_sgpr_workgroup_id_y 0
		.amdhsa_system_sgpr_workgroup_id_z 0
		.amdhsa_system_sgpr_workgroup_info 0
		.amdhsa_system_vgpr_workitem_id 1
		.amdhsa_next_free_vgpr 32
		.amdhsa_next_free_sgpr 76
		.amdhsa_accum_offset 32
		.amdhsa_reserve_vcc 1
		.amdhsa_reserve_flat_scratch 0
		.amdhsa_float_round_mode_32 0
		.amdhsa_float_round_mode_16_64 0
		.amdhsa_float_denorm_mode_32 3
		.amdhsa_float_denorm_mode_16_64 3
		.amdhsa_dx10_clamp 1
		.amdhsa_ieee_mode 1
		.amdhsa_fp16_overflow 0
		.amdhsa_tg_split 0
		.amdhsa_exception_fp_ieee_invalid_op 0
		.amdhsa_exception_fp_denorm_src 0
		.amdhsa_exception_fp_ieee_div_zero 0
		.amdhsa_exception_fp_ieee_overflow 0
		.amdhsa_exception_fp_ieee_underflow 0
		.amdhsa_exception_fp_ieee_inexact 0
		.amdhsa_exception_int_div_zero 0
	.end_amdhsa_kernel
	.section	.text._ZN12_GLOBAL__N_120softmax_warp_forwardIN3c104HalfES2_fLi9ELb0ELb1ELi32EEEvPT0_PKT_iiiPKbib,"axG",@progbits,_ZN12_GLOBAL__N_120softmax_warp_forwardIN3c104HalfES2_fLi9ELb0ELb1ELi32EEEvPT0_PKT_iiiPKbib,comdat
.Lfunc_end739:
	.size	_ZN12_GLOBAL__N_120softmax_warp_forwardIN3c104HalfES2_fLi9ELb0ELb1ELi32EEEvPT0_PKT_iiiPKbib, .Lfunc_end739-_ZN12_GLOBAL__N_120softmax_warp_forwardIN3c104HalfES2_fLi9ELb0ELb1ELi32EEEvPT0_PKT_iiiPKbib
                                        ; -- End function
	.section	.AMDGPU.csdata,"",@progbits
; Kernel info:
; codeLenInByte = 7904
; NumSgprs: 80
; NumVgprs: 32
; NumAgprs: 0
; TotalNumVgprs: 32
; ScratchSize: 0
; MemoryBound: 0
; FloatMode: 240
; IeeeMode: 1
; LDSByteSize: 0 bytes/workgroup (compile time only)
; SGPRBlocks: 9
; VGPRBlocks: 3
; NumSGPRsForWavesPerEU: 80
; NumVGPRsForWavesPerEU: 32
; AccumOffset: 32
; Occupancy: 8
; WaveLimiterHint : 0
; COMPUTE_PGM_RSRC2:SCRATCH_EN: 0
; COMPUTE_PGM_RSRC2:USER_SGPR: 6
; COMPUTE_PGM_RSRC2:TRAP_HANDLER: 0
; COMPUTE_PGM_RSRC2:TGID_X_EN: 1
; COMPUTE_PGM_RSRC2:TGID_Y_EN: 0
; COMPUTE_PGM_RSRC2:TGID_Z_EN: 0
; COMPUTE_PGM_RSRC2:TIDIG_COMP_CNT: 1
; COMPUTE_PGM_RSRC3_GFX90A:ACCUM_OFFSET: 7
; COMPUTE_PGM_RSRC3_GFX90A:TG_SPLIT: 0
	.section	.text._ZN12_GLOBAL__N_120softmax_warp_forwardIN3c104HalfES2_fLi10ELb0ELb1ELi64EEEvPT0_PKT_iiiPKbib,"axG",@progbits,_ZN12_GLOBAL__N_120softmax_warp_forwardIN3c104HalfES2_fLi10ELb0ELb1ELi64EEEvPT0_PKT_iiiPKbib,comdat
	.globl	_ZN12_GLOBAL__N_120softmax_warp_forwardIN3c104HalfES2_fLi10ELb0ELb1ELi64EEEvPT0_PKT_iiiPKbib ; -- Begin function _ZN12_GLOBAL__N_120softmax_warp_forwardIN3c104HalfES2_fLi10ELb0ELb1ELi64EEEvPT0_PKT_iiiPKbib
	.p2align	8
	.type	_ZN12_GLOBAL__N_120softmax_warp_forwardIN3c104HalfES2_fLi10ELb0ELb1ELi64EEEvPT0_PKT_iiiPKbib,@function
_ZN12_GLOBAL__N_120softmax_warp_forwardIN3c104HalfES2_fLi10ELb0ELb1ELi64EEEvPT0_PKT_iiiPKbib: ; @_ZN12_GLOBAL__N_120softmax_warp_forwardIN3c104HalfES2_fLi10ELb0ELb1ELi64EEEvPT0_PKT_iiiPKbib
; %bb.0:
	s_load_dword s2, s[4:5], 0x3c
	s_load_dwordx4 s[40:43], s[4:5], 0x10
	s_load_dwordx2 s[0:1], s[4:5], 0x28
	v_bfe_u32 v1, v0, 10, 10
	v_and_b32_e32 v2, 0x3ff, v0
	s_waitcnt lgkmcnt(0)
	s_lshr_b32 s2, s2, 16
	s_mul_i32 s6, s6, s2
	v_add_u32_e32 v3, s6, v1
	v_mul_lo_u32 v6, v3, s41
	v_add_u32_e32 v0, v6, v2
	v_ashrrev_i32_e32 v1, 31, v0
	s_bitcmp0_b32 s1, 0
	v_pk_mov_b32 v[4:5], v[0:1], v[0:1] op_sel:[0,1]
	s_cbranch_scc1 .LBB740_2
; %bb.1:
	s_abs_i32 s1, s0
	v_cvt_f32_u32_e32 v4, s1
	v_xor_b32_e32 v5, s0, v6
	v_sub_u32_e32 v7, 0, v6
	s_sub_i32 s0, 0, s1
	v_rcp_iflag_f32_e32 v4, v4
	v_max_i32_e32 v6, v6, v7
	v_ashrrev_i32_e32 v5, 31, v5
	v_mul_f32_e32 v4, 0x4f7ffffe, v4
	v_cvt_u32_f32_e32 v4, v4
	v_mul_lo_u32 v7, s0, v4
	v_mul_hi_u32 v7, v4, v7
	v_add_u32_e32 v4, v4, v7
	v_mul_hi_u32 v4, v6, v4
	v_mul_lo_u32 v7, v4, s1
	v_sub_u32_e32 v6, v6, v7
	v_add_u32_e32 v8, 1, v4
	v_cmp_le_u32_e32 vcc, s1, v6
	v_subrev_u32_e32 v7, s1, v6
	v_cndmask_b32_e32 v4, v4, v8, vcc
	v_cndmask_b32_e32 v6, v6, v7, vcc
	v_add_u32_e32 v7, 1, v4
	v_cmp_le_u32_e32 vcc, s1, v6
	v_cndmask_b32_e32 v4, v4, v7, vcc
	v_xor_b32_e32 v4, v4, v5
	v_sub_u32_e32 v4, v4, v5
	v_mad_u64_u32 v[4:5], s[0:1], v4, s41, v[2:3]
	v_ashrrev_i32_e32 v5, 31, v4
.LBB740_2:
	s_load_dwordx4 s[36:39], s[4:5], 0x0
	v_lshlrev_b64 v[0:1], 1, v[0:1]
	v_sub_u32_e32 v8, s40, v3
	v_cmp_lt_i32_e64 s[30:31], 0, v8
	v_mov_b32_e32 v23, 0xff800000
	s_waitcnt lgkmcnt(0)
	v_mov_b32_e32 v3, s39
	v_add_co_u32_e32 v6, vcc, s38, v0
	v_addc_co_u32_e32 v7, vcc, v3, v1, vcc
	v_cmp_gt_i32_e32 vcc, s42, v2
	s_and_b64 s[68:69], s[30:31], vcc
	v_mov_b32_e32 v24, 0xff800000
	s_and_saveexec_b64 s[0:1], s[68:69]
	s_cbranch_execz .LBB740_4
; %bb.3:
	global_load_ushort v3, v[6:7], off
	s_waitcnt vmcnt(0)
	v_cvt_f32_f16_e32 v24, v3
.LBB740_4:
	s_or_b64 exec, exec, s[0:1]
	v_add_u32_e32 v3, 64, v2
	v_cmp_gt_i32_e64 s[28:29], s42, v3
	s_and_b64 s[66:67], s[30:31], s[28:29]
	s_and_saveexec_b64 s[0:1], s[66:67]
	s_cbranch_execz .LBB740_6
; %bb.5:
	global_load_ushort v3, v[6:7], off offset:128
	s_waitcnt vmcnt(0)
	v_cvt_f32_f16_e32 v23, v3
.LBB740_6:
	s_or_b64 exec, exec, s[0:1]
	v_add_u32_e32 v3, 0x80, v2
	v_cmp_gt_i32_e64 s[26:27], s42, v3
	s_and_b64 s[64:65], s[30:31], s[26:27]
	v_mov_b32_e32 v21, 0xff800000
	v_mov_b32_e32 v22, 0xff800000
	s_and_saveexec_b64 s[0:1], s[64:65]
	s_cbranch_execz .LBB740_8
; %bb.7:
	global_load_ushort v3, v[6:7], off offset:256
	s_waitcnt vmcnt(0)
	v_cvt_f32_f16_e32 v22, v3
.LBB740_8:
	s_or_b64 exec, exec, s[0:1]
	v_add_u32_e32 v3, 0xc0, v2
	v_cmp_gt_i32_e64 s[24:25], s42, v3
	s_and_b64 s[62:63], s[30:31], s[24:25]
	s_and_saveexec_b64 s[0:1], s[62:63]
	s_cbranch_execz .LBB740_10
; %bb.9:
	global_load_ushort v3, v[6:7], off offset:384
	s_waitcnt vmcnt(0)
	v_cvt_f32_f16_e32 v21, v3
.LBB740_10:
	s_or_b64 exec, exec, s[0:1]
	v_add_u32_e32 v3, 0x100, v2
	v_cmp_gt_i32_e64 s[22:23], s42, v3
	s_and_b64 s[60:61], s[30:31], s[22:23]
	v_mov_b32_e32 v19, 0xff800000
	v_mov_b32_e32 v20, 0xff800000
	s_and_saveexec_b64 s[0:1], s[60:61]
	s_cbranch_execz .LBB740_12
; %bb.11:
	global_load_ushort v3, v[6:7], off offset:512
	s_waitcnt vmcnt(0)
	v_cvt_f32_f16_e32 v20, v3
.LBB740_12:
	;; [unrolled: 24-line block ×7, first 2 shown]
	s_or_b64 exec, exec, s[0:1]
	v_add_u32_e32 v2, 0x3c0, v2
	v_cmp_gt_i32_e64 s[0:1], s42, v2
	s_and_b64 s[30:31], s[30:31], s[0:1]
	s_and_saveexec_b64 s[42:43], s[30:31]
	s_cbranch_execz .LBB740_34
; %bb.33:
	global_load_ushort v2, v[6:7], off offset:1920
	s_waitcnt vmcnt(0)
	v_cvt_f32_f16_e32 v9, v2
.LBB740_34:
	s_or_b64 exec, exec, s[42:43]
	s_load_dwordx2 s[4:5], s[4:5], 0x20
	s_mov_b64 s[42:43], 0
	s_waitcnt lgkmcnt(0)
	v_mov_b32_e32 v3, s5
	v_add_co_u32_e64 v2, s[4:5], s4, v4
	v_addc_co_u32_e64 v3, s[4:5], v3, v5, s[4:5]
	s_and_saveexec_b64 s[70:71], s[68:69]
	s_cbranch_execnz .LBB740_50
; %bb.35:
	s_or_b64 exec, exec, s[70:71]
	v_mov_b32_e32 v4, v24
	s_and_saveexec_b64 s[70:71], s[66:67]
	s_cbranch_execnz .LBB740_51
.LBB740_36:
	s_or_b64 exec, exec, s[70:71]
	s_and_saveexec_b64 s[70:71], s[64:65]
	s_cbranch_execnz .LBB740_54
.LBB740_37:
	s_or_b64 exec, exec, s[70:71]
	s_and_saveexec_b64 s[70:71], s[62:63]
	s_cbranch_execnz .LBB740_57
.LBB740_38:
	s_or_b64 exec, exec, s[70:71]
	s_and_saveexec_b64 s[70:71], s[60:61]
	s_cbranch_execnz .LBB740_60
.LBB740_39:
	s_or_b64 exec, exec, s[70:71]
	s_and_saveexec_b64 s[70:71], s[58:59]
	s_cbranch_execnz .LBB740_63
.LBB740_40:
	s_or_b64 exec, exec, s[70:71]
	s_and_saveexec_b64 s[70:71], s[56:57]
	s_cbranch_execnz .LBB740_66
.LBB740_41:
	s_or_b64 exec, exec, s[70:71]
	s_and_saveexec_b64 s[70:71], s[54:55]
	s_cbranch_execnz .LBB740_69
.LBB740_42:
	s_or_b64 exec, exec, s[70:71]
	s_and_saveexec_b64 s[70:71], s[52:53]
	s_cbranch_execnz .LBB740_72
.LBB740_43:
	s_or_b64 exec, exec, s[70:71]
	s_and_saveexec_b64 s[70:71], s[50:51]
	s_cbranch_execnz .LBB740_75
.LBB740_44:
	s_or_b64 exec, exec, s[70:71]
	s_and_saveexec_b64 s[70:71], s[48:49]
	s_cbranch_execnz .LBB740_78
.LBB740_45:
	s_or_b64 exec, exec, s[70:71]
	s_and_saveexec_b64 s[70:71], s[46:47]
	s_cbranch_execnz .LBB740_81
.LBB740_46:
	s_or_b64 exec, exec, s[70:71]
	s_and_saveexec_b64 s[70:71], s[44:45]
	s_cbranch_execnz .LBB740_84
.LBB740_47:
	s_or_b64 exec, exec, s[70:71]
	s_and_saveexec_b64 s[70:71], s[40:41]
	s_cbranch_execnz .LBB740_87
.LBB740_48:
	s_or_b64 exec, exec, s[70:71]
	s_and_saveexec_b64 s[70:71], s[38:39]
	s_cbranch_execnz .LBB740_90
.LBB740_49:
	s_or_b64 exec, exec, s[70:71]
	s_and_saveexec_b64 s[70:71], s[30:31]
	s_cbranch_execnz .LBB740_93
	s_branch .LBB740_96
.LBB740_50:
	global_load_ubyte v4, v[2:3], off
	s_waitcnt vmcnt(0)
	v_and_b32_e32 v4, 1, v4
	v_cmp_eq_u32_e64 s[4:5], 1, v4
	s_xor_b64 s[4:5], s[4:5], -1
	s_and_b64 s[42:43], s[4:5], exec
	s_or_b64 exec, exec, s[70:71]
	v_mov_b32_e32 v4, v24
	s_and_saveexec_b64 s[70:71], s[66:67]
	s_cbranch_execz .LBB740_36
.LBB740_51:
	global_load_ubyte v4, v[2:3], off offset:64
	s_mov_b64 s[72:73], s[42:43]
	s_waitcnt vmcnt(0)
	v_and_b32_e32 v4, 1, v4
	v_cmp_eq_u32_e64 s[4:5], 1, v4
	s_xor_b64 s[4:5], s[4:5], -1
	v_mov_b32_e32 v4, v24
	s_and_saveexec_b64 s[74:75], s[4:5]
; %bb.52:
	v_cmp_gt_f32_e64 s[4:5], v24, v23
	s_and_b64 s[4:5], s[42:43], s[4:5]
	v_cndmask_b32_e64 v4, v23, v24, s[4:5]
	s_or_b64 s[72:73], s[42:43], exec
; %bb.53:
	s_or_b64 exec, exec, s[74:75]
	s_andn2_b64 s[4:5], s[42:43], exec
	s_and_b64 s[42:43], s[72:73], exec
	s_or_b64 s[42:43], s[4:5], s[42:43]
	s_or_b64 exec, exec, s[70:71]
	s_and_saveexec_b64 s[70:71], s[64:65]
	s_cbranch_execz .LBB740_37
.LBB740_54:
	global_load_ubyte v5, v[2:3], off offset:128
	s_waitcnt vmcnt(0)
	v_and_b32_e32 v5, 1, v5
	v_cmp_eq_u32_e64 s[4:5], 1, v5
	s_xor_b64 s[74:75], s[4:5], -1
	s_mov_b64 s[4:5], s[42:43]
	s_and_saveexec_b64 s[72:73], s[74:75]
; %bb.55:
	v_cmp_gt_f32_e64 s[4:5], v4, v22
	s_and_b64 s[4:5], s[42:43], s[4:5]
	v_cndmask_b32_e64 v4, v22, v4, s[4:5]
	s_or_b64 s[4:5], s[42:43], exec
; %bb.56:
	s_or_b64 exec, exec, s[72:73]
	s_andn2_b64 s[42:43], s[42:43], exec
	s_and_b64 s[4:5], s[4:5], exec
	s_or_b64 s[42:43], s[42:43], s[4:5]
	s_or_b64 exec, exec, s[70:71]
	s_and_saveexec_b64 s[70:71], s[62:63]
	s_cbranch_execz .LBB740_38
.LBB740_57:
	global_load_ubyte v5, v[2:3], off offset:192
	s_waitcnt vmcnt(0)
	v_and_b32_e32 v5, 1, v5
	v_cmp_eq_u32_e64 s[4:5], 1, v5
	s_xor_b64 s[74:75], s[4:5], -1
	s_mov_b64 s[4:5], s[42:43]
	s_and_saveexec_b64 s[72:73], s[74:75]
; %bb.58:
	v_cmp_gt_f32_e64 s[4:5], v4, v21
	s_and_b64 s[4:5], s[42:43], s[4:5]
	v_cndmask_b32_e64 v4, v21, v4, s[4:5]
	s_or_b64 s[4:5], s[42:43], exec
; %bb.59:
	s_or_b64 exec, exec, s[72:73]
	s_andn2_b64 s[42:43], s[42:43], exec
	s_and_b64 s[4:5], s[4:5], exec
	s_or_b64 s[42:43], s[42:43], s[4:5]
	s_or_b64 exec, exec, s[70:71]
	s_and_saveexec_b64 s[70:71], s[60:61]
	s_cbranch_execz .LBB740_39
.LBB740_60:
	global_load_ubyte v5, v[2:3], off offset:256
	s_waitcnt vmcnt(0)
	v_and_b32_e32 v5, 1, v5
	v_cmp_eq_u32_e64 s[4:5], 1, v5
	s_xor_b64 s[74:75], s[4:5], -1
	s_mov_b64 s[4:5], s[42:43]
	s_and_saveexec_b64 s[72:73], s[74:75]
; %bb.61:
	v_cmp_gt_f32_e64 s[4:5], v4, v20
	s_and_b64 s[4:5], s[42:43], s[4:5]
	v_cndmask_b32_e64 v4, v20, v4, s[4:5]
	s_or_b64 s[4:5], s[42:43], exec
; %bb.62:
	s_or_b64 exec, exec, s[72:73]
	s_andn2_b64 s[42:43], s[42:43], exec
	s_and_b64 s[4:5], s[4:5], exec
	s_or_b64 s[42:43], s[42:43], s[4:5]
	s_or_b64 exec, exec, s[70:71]
	s_and_saveexec_b64 s[70:71], s[58:59]
	s_cbranch_execz .LBB740_40
.LBB740_63:
	global_load_ubyte v5, v[2:3], off offset:320
	s_waitcnt vmcnt(0)
	v_and_b32_e32 v5, 1, v5
	v_cmp_eq_u32_e64 s[4:5], 1, v5
	s_xor_b64 s[74:75], s[4:5], -1
	s_mov_b64 s[4:5], s[42:43]
	s_and_saveexec_b64 s[72:73], s[74:75]
; %bb.64:
	v_cmp_gt_f32_e64 s[4:5], v4, v19
	s_and_b64 s[4:5], s[42:43], s[4:5]
	v_cndmask_b32_e64 v4, v19, v4, s[4:5]
	s_or_b64 s[4:5], s[42:43], exec
; %bb.65:
	s_or_b64 exec, exec, s[72:73]
	s_andn2_b64 s[42:43], s[42:43], exec
	s_and_b64 s[4:5], s[4:5], exec
	s_or_b64 s[42:43], s[42:43], s[4:5]
	s_or_b64 exec, exec, s[70:71]
	s_and_saveexec_b64 s[70:71], s[56:57]
	s_cbranch_execz .LBB740_41
.LBB740_66:
	global_load_ubyte v5, v[2:3], off offset:384
	s_waitcnt vmcnt(0)
	v_and_b32_e32 v5, 1, v5
	v_cmp_eq_u32_e64 s[4:5], 1, v5
	s_xor_b64 s[74:75], s[4:5], -1
	s_mov_b64 s[4:5], s[42:43]
	s_and_saveexec_b64 s[72:73], s[74:75]
; %bb.67:
	v_cmp_gt_f32_e64 s[4:5], v4, v18
	s_and_b64 s[4:5], s[42:43], s[4:5]
	v_cndmask_b32_e64 v4, v18, v4, s[4:5]
	s_or_b64 s[4:5], s[42:43], exec
; %bb.68:
	s_or_b64 exec, exec, s[72:73]
	s_andn2_b64 s[42:43], s[42:43], exec
	s_and_b64 s[4:5], s[4:5], exec
	s_or_b64 s[42:43], s[42:43], s[4:5]
	s_or_b64 exec, exec, s[70:71]
	s_and_saveexec_b64 s[70:71], s[54:55]
	s_cbranch_execz .LBB740_42
.LBB740_69:
	global_load_ubyte v5, v[2:3], off offset:448
	s_waitcnt vmcnt(0)
	v_and_b32_e32 v5, 1, v5
	v_cmp_eq_u32_e64 s[4:5], 1, v5
	s_xor_b64 s[74:75], s[4:5], -1
	s_mov_b64 s[4:5], s[42:43]
	s_and_saveexec_b64 s[72:73], s[74:75]
; %bb.70:
	v_cmp_gt_f32_e64 s[4:5], v4, v17
	s_and_b64 s[4:5], s[42:43], s[4:5]
	v_cndmask_b32_e64 v4, v17, v4, s[4:5]
	s_or_b64 s[4:5], s[42:43], exec
; %bb.71:
	s_or_b64 exec, exec, s[72:73]
	s_andn2_b64 s[42:43], s[42:43], exec
	s_and_b64 s[4:5], s[4:5], exec
	s_or_b64 s[42:43], s[42:43], s[4:5]
	s_or_b64 exec, exec, s[70:71]
	s_and_saveexec_b64 s[70:71], s[52:53]
	s_cbranch_execz .LBB740_43
.LBB740_72:
	global_load_ubyte v5, v[2:3], off offset:512
	s_waitcnt vmcnt(0)
	v_and_b32_e32 v5, 1, v5
	v_cmp_eq_u32_e64 s[4:5], 1, v5
	s_xor_b64 s[74:75], s[4:5], -1
	s_mov_b64 s[4:5], s[42:43]
	s_and_saveexec_b64 s[72:73], s[74:75]
; %bb.73:
	v_cmp_gt_f32_e64 s[4:5], v4, v16
	s_and_b64 s[4:5], s[42:43], s[4:5]
	v_cndmask_b32_e64 v4, v16, v4, s[4:5]
	s_or_b64 s[4:5], s[42:43], exec
; %bb.74:
	s_or_b64 exec, exec, s[72:73]
	s_andn2_b64 s[42:43], s[42:43], exec
	s_and_b64 s[4:5], s[4:5], exec
	s_or_b64 s[42:43], s[42:43], s[4:5]
	s_or_b64 exec, exec, s[70:71]
	s_and_saveexec_b64 s[70:71], s[50:51]
	s_cbranch_execz .LBB740_44
.LBB740_75:
	global_load_ubyte v5, v[2:3], off offset:576
	s_waitcnt vmcnt(0)
	v_and_b32_e32 v5, 1, v5
	v_cmp_eq_u32_e64 s[4:5], 1, v5
	s_xor_b64 s[74:75], s[4:5], -1
	s_mov_b64 s[4:5], s[42:43]
	s_and_saveexec_b64 s[72:73], s[74:75]
; %bb.76:
	v_cmp_gt_f32_e64 s[4:5], v4, v15
	s_and_b64 s[4:5], s[42:43], s[4:5]
	v_cndmask_b32_e64 v4, v15, v4, s[4:5]
	s_or_b64 s[4:5], s[42:43], exec
; %bb.77:
	s_or_b64 exec, exec, s[72:73]
	s_andn2_b64 s[42:43], s[42:43], exec
	s_and_b64 s[4:5], s[4:5], exec
	s_or_b64 s[42:43], s[42:43], s[4:5]
	s_or_b64 exec, exec, s[70:71]
	s_and_saveexec_b64 s[70:71], s[48:49]
	s_cbranch_execz .LBB740_45
.LBB740_78:
	global_load_ubyte v5, v[2:3], off offset:640
	s_waitcnt vmcnt(0)
	v_and_b32_e32 v5, 1, v5
	v_cmp_eq_u32_e64 s[4:5], 1, v5
	s_xor_b64 s[74:75], s[4:5], -1
	s_mov_b64 s[4:5], s[42:43]
	s_and_saveexec_b64 s[72:73], s[74:75]
; %bb.79:
	v_cmp_gt_f32_e64 s[4:5], v4, v14
	s_and_b64 s[4:5], s[42:43], s[4:5]
	v_cndmask_b32_e64 v4, v14, v4, s[4:5]
	s_or_b64 s[4:5], s[42:43], exec
; %bb.80:
	s_or_b64 exec, exec, s[72:73]
	s_andn2_b64 s[42:43], s[42:43], exec
	s_and_b64 s[4:5], s[4:5], exec
	s_or_b64 s[42:43], s[42:43], s[4:5]
	s_or_b64 exec, exec, s[70:71]
	s_and_saveexec_b64 s[70:71], s[46:47]
	s_cbranch_execz .LBB740_46
.LBB740_81:
	global_load_ubyte v5, v[2:3], off offset:704
	s_waitcnt vmcnt(0)
	v_and_b32_e32 v5, 1, v5
	v_cmp_eq_u32_e64 s[4:5], 1, v5
	s_xor_b64 s[74:75], s[4:5], -1
	s_mov_b64 s[4:5], s[42:43]
	s_and_saveexec_b64 s[72:73], s[74:75]
; %bb.82:
	v_cmp_gt_f32_e64 s[4:5], v4, v13
	s_and_b64 s[4:5], s[42:43], s[4:5]
	v_cndmask_b32_e64 v4, v13, v4, s[4:5]
	s_or_b64 s[4:5], s[42:43], exec
; %bb.83:
	s_or_b64 exec, exec, s[72:73]
	s_andn2_b64 s[42:43], s[42:43], exec
	s_and_b64 s[4:5], s[4:5], exec
	s_or_b64 s[42:43], s[42:43], s[4:5]
	s_or_b64 exec, exec, s[70:71]
	s_and_saveexec_b64 s[70:71], s[44:45]
	s_cbranch_execz .LBB740_47
.LBB740_84:
	global_load_ubyte v5, v[2:3], off offset:768
	s_waitcnt vmcnt(0)
	v_and_b32_e32 v5, 1, v5
	v_cmp_eq_u32_e64 s[4:5], 1, v5
	s_xor_b64 s[74:75], s[4:5], -1
	s_mov_b64 s[4:5], s[42:43]
	s_and_saveexec_b64 s[72:73], s[74:75]
; %bb.85:
	v_cmp_gt_f32_e64 s[4:5], v4, v12
	s_and_b64 s[4:5], s[42:43], s[4:5]
	v_cndmask_b32_e64 v4, v12, v4, s[4:5]
	s_or_b64 s[4:5], s[42:43], exec
; %bb.86:
	s_or_b64 exec, exec, s[72:73]
	s_andn2_b64 s[42:43], s[42:43], exec
	s_and_b64 s[4:5], s[4:5], exec
	s_or_b64 s[42:43], s[42:43], s[4:5]
	s_or_b64 exec, exec, s[70:71]
	s_and_saveexec_b64 s[70:71], s[40:41]
	s_cbranch_execz .LBB740_48
.LBB740_87:
	global_load_ubyte v5, v[2:3], off offset:832
	s_waitcnt vmcnt(0)
	v_and_b32_e32 v5, 1, v5
	v_cmp_eq_u32_e64 s[4:5], 1, v5
	s_xor_b64 s[74:75], s[4:5], -1
	s_mov_b64 s[4:5], s[42:43]
	s_and_saveexec_b64 s[72:73], s[74:75]
; %bb.88:
	v_cmp_gt_f32_e64 s[4:5], v4, v11
	s_and_b64 s[4:5], s[42:43], s[4:5]
	v_cndmask_b32_e64 v4, v11, v4, s[4:5]
	s_or_b64 s[4:5], s[42:43], exec
; %bb.89:
	s_or_b64 exec, exec, s[72:73]
	s_andn2_b64 s[42:43], s[42:43], exec
	s_and_b64 s[4:5], s[4:5], exec
	s_or_b64 s[42:43], s[42:43], s[4:5]
	s_or_b64 exec, exec, s[70:71]
	s_and_saveexec_b64 s[70:71], s[38:39]
	s_cbranch_execz .LBB740_49
.LBB740_90:
	global_load_ubyte v5, v[2:3], off offset:896
	s_waitcnt vmcnt(0)
	v_and_b32_e32 v5, 1, v5
	v_cmp_eq_u32_e64 s[4:5], 1, v5
	s_xor_b64 s[74:75], s[4:5], -1
	s_mov_b64 s[4:5], s[42:43]
	s_and_saveexec_b64 s[72:73], s[74:75]
; %bb.91:
	v_cmp_gt_f32_e64 s[4:5], v4, v10
	s_and_b64 s[4:5], s[42:43], s[4:5]
	v_cndmask_b32_e64 v4, v10, v4, s[4:5]
	s_or_b64 s[4:5], s[42:43], exec
; %bb.92:
	s_or_b64 exec, exec, s[72:73]
	s_andn2_b64 s[42:43], s[42:43], exec
	s_and_b64 s[4:5], s[4:5], exec
	s_or_b64 s[42:43], s[42:43], s[4:5]
	s_or_b64 exec, exec, s[70:71]
	s_and_saveexec_b64 s[70:71], s[30:31]
	s_cbranch_execz .LBB740_96
.LBB740_93:
	global_load_ubyte v5, v[2:3], off offset:960
	s_waitcnt vmcnt(0)
	v_and_b32_e32 v5, 1, v5
	v_cmp_eq_u32_e64 s[4:5], 1, v5
	s_xor_b64 s[74:75], s[4:5], -1
	s_mov_b64 s[4:5], s[42:43]
	s_and_saveexec_b64 s[72:73], s[74:75]
; %bb.94:
	v_cmp_gt_f32_e64 s[4:5], v4, v9
	s_and_b64 s[4:5], s[42:43], s[4:5]
	v_cndmask_b32_e64 v4, v9, v4, s[4:5]
	s_or_b64 s[4:5], s[42:43], exec
; %bb.95:
	s_or_b64 exec, exec, s[72:73]
	s_andn2_b64 s[42:43], s[42:43], exec
	s_and_b64 s[4:5], s[4:5], exec
	s_or_b64 s[42:43], s[42:43], s[4:5]
.LBB740_96:
	s_or_b64 exec, exec, s[70:71]
	v_mov_b32_e32 v5, 0xff800000
	v_cndmask_b32_e64 v4, v5, v4, s[42:43]
	v_mbcnt_lo_u32_b32 v5, -1, 0
	v_mbcnt_hi_u32_b32 v6, -1, v5
	v_and_b32_e32 v5, 64, v6
	v_add_u32_e32 v27, 64, v5
	v_xor_b32_e32 v5, 32, v6
	v_cmp_lt_i32_e64 s[4:5], v5, v27
	v_cndmask_b32_e64 v5, v6, v5, s[4:5]
	v_lshlrev_b32_e32 v5, 2, v5
	ds_bpermute_b32 v7, v5, v4
	s_waitcnt lgkmcnt(0)
	v_cmp_lt_f32_e64 s[4:5], v4, v7
	v_cndmask_b32_e64 v4, v4, v7, s[4:5]
	v_xor_b32_e32 v7, 16, v6
	v_cmp_lt_i32_e64 s[4:5], v7, v27
	v_cndmask_b32_e64 v7, v6, v7, s[4:5]
	v_lshlrev_b32_e32 v7, 2, v7
	ds_bpermute_b32 v25, v7, v4
	s_waitcnt lgkmcnt(0)
	v_cmp_lt_f32_e64 s[4:5], v4, v25
	v_cndmask_b32_e64 v4, v4, v25, s[4:5]
	;; [unrolled: 8-line block ×5, first 2 shown]
	v_xor_b32_e32 v29, 1, v6
	v_cmp_lt_i32_e64 s[4:5], v29, v27
	v_cndmask_b32_e64 v6, v6, v29, s[4:5]
	v_lshlrev_b32_e32 v29, 2, v6
	ds_bpermute_b32 v6, v29, v4
	v_mov_b32_e32 v27, 0
	s_waitcnt lgkmcnt(0)
	v_cmp_lt_f32_e64 s[4:5], v4, v6
	v_cndmask_b32_e64 v30, v4, v6, s[4:5]
	v_mov_b32_e32 v4, 0
	s_and_saveexec_b64 s[42:43], s[68:69]
	s_cbranch_execz .LBB740_100
; %bb.97:
	global_load_ubyte v6, v[2:3], off
	v_mov_b32_e32 v27, 0
	s_waitcnt vmcnt(0)
	v_and_b32_e32 v6, 1, v6
	v_cmp_eq_u32_e64 s[4:5], 1, v6
	s_xor_b64 s[4:5], s[4:5], -1
	s_and_saveexec_b64 s[68:69], s[4:5]
	s_cbranch_execz .LBB740_99
; %bb.98:
	v_sub_f32_e32 v6, v24, v30
	s_mov_b32 s4, 0x3fb8aa3b
	v_mul_f32_e32 v24, 0x3fb8aa3b, v6
	v_fma_f32 v27, v6, s4, -v24
	v_rndne_f32_e32 v31, v24
	v_fmac_f32_e32 v27, 0x32a5705f, v6
	v_sub_f32_e32 v24, v24, v31
	v_add_f32_e32 v24, v24, v27
	v_exp_f32_e32 v24, v24
	v_cvt_i32_f32_e32 v27, v31
	s_mov_b32 s4, 0xc2ce8ed0
	v_cmp_ngt_f32_e64 s[4:5], s4, v6
	v_ldexp_f32 v24, v24, v27
	v_cndmask_b32_e64 v24, 0, v24, s[4:5]
	s_mov_b32 s4, 0x42b17218
	v_mov_b32_e32 v27, 0x7f800000
	v_cmp_nlt_f32_e64 s[4:5], s4, v6
	v_cndmask_b32_e64 v27, v27, v24, s[4:5]
.LBB740_99:
	s_or_b64 exec, exec, s[68:69]
.LBB740_100:
	s_or_b64 exec, exec, s[42:43]
	v_mov_b32_e32 v24, v27
	s_and_saveexec_b64 s[42:43], s[66:67]
	s_cbranch_execz .LBB740_104
; %bb.101:
	global_load_ubyte v6, v[2:3], off offset:64
	v_mov_b32_e32 v4, 0
	v_mov_b32_e32 v24, v27
	s_waitcnt vmcnt(0)
	v_and_b32_e32 v6, 1, v6
	v_cmp_eq_u32_e64 s[4:5], 1, v6
	s_xor_b64 s[4:5], s[4:5], -1
	s_and_saveexec_b64 s[66:67], s[4:5]
	s_cbranch_execz .LBB740_103
; %bb.102:
	v_sub_f32_e32 v4, v23, v30
	s_mov_b32 s4, 0x3fb8aa3b
	v_mul_f32_e32 v6, 0x3fb8aa3b, v4
	v_fma_f32 v23, v4, s4, -v6
	v_rndne_f32_e32 v24, v6
	v_fmac_f32_e32 v23, 0x32a5705f, v4
	v_sub_f32_e32 v6, v6, v24
	v_add_f32_e32 v6, v6, v23
	v_exp_f32_e32 v6, v6
	v_cvt_i32_f32_e32 v23, v24
	s_mov_b32 s4, 0xc2ce8ed0
	v_cmp_ngt_f32_e64 s[4:5], s4, v4
	v_ldexp_f32 v6, v6, v23
	v_cndmask_b32_e64 v6, 0, v6, s[4:5]
	s_mov_b32 s4, 0x42b17218
	v_mov_b32_e32 v23, 0x7f800000
	v_cmp_nlt_f32_e64 s[4:5], s4, v4
	v_cndmask_b32_e64 v4, v23, v6, s[4:5]
	v_add_f32_e32 v24, v27, v4
.LBB740_103:
	s_or_b64 exec, exec, s[66:67]
.LBB740_104:
	s_or_b64 exec, exec, s[42:43]
	v_mov_b32_e32 v6, 0
	v_mov_b32_e32 v23, 0
	s_and_saveexec_b64 s[42:43], s[64:65]
	s_cbranch_execz .LBB740_108
; %bb.105:
	global_load_ubyte v23, v[2:3], off offset:128
	s_waitcnt vmcnt(0)
	v_and_b32_e32 v23, 1, v23
	v_cmp_eq_u32_e64 s[4:5], 1, v23
	s_xor_b64 s[4:5], s[4:5], -1
	v_mov_b32_e32 v23, 0
	s_and_saveexec_b64 s[64:65], s[4:5]
	s_cbranch_execz .LBB740_107
; %bb.106:
	v_sub_f32_e32 v22, v22, v30
	s_mov_b32 s4, 0x3fb8aa3b
	v_mul_f32_e32 v23, 0x3fb8aa3b, v22
	v_fma_f32 v31, v22, s4, -v23
	v_rndne_f32_e32 v32, v23
	v_fmac_f32_e32 v31, 0x32a5705f, v22
	v_sub_f32_e32 v23, v23, v32
	v_add_f32_e32 v23, v23, v31
	v_exp_f32_e32 v23, v23
	v_cvt_i32_f32_e32 v31, v32
	s_mov_b32 s4, 0xc2ce8ed0
	v_cmp_ngt_f32_e64 s[4:5], s4, v22
	v_ldexp_f32 v23, v23, v31
	v_cndmask_b32_e64 v23, 0, v23, s[4:5]
	s_mov_b32 s4, 0x42b17218
	v_mov_b32_e32 v31, 0x7f800000
	v_cmp_nlt_f32_e64 s[4:5], s4, v22
	v_cndmask_b32_e64 v23, v31, v23, s[4:5]
	v_add_f32_e32 v24, v24, v23
.LBB740_107:
	s_or_b64 exec, exec, s[64:65]
.LBB740_108:
	s_or_b64 exec, exec, s[42:43]
	s_and_saveexec_b64 s[42:43], s[62:63]
	s_cbranch_execz .LBB740_112
; %bb.109:
	global_load_ubyte v6, v[2:3], off offset:192
	s_waitcnt vmcnt(0)
	v_and_b32_e32 v6, 1, v6
	v_cmp_eq_u32_e64 s[4:5], 1, v6
	s_xor_b64 s[4:5], s[4:5], -1
	v_mov_b32_e32 v6, 0
	s_and_saveexec_b64 s[62:63], s[4:5]
	s_cbranch_execz .LBB740_111
; %bb.110:
	v_sub_f32_e32 v6, v21, v30
	s_mov_b32 s4, 0x3fb8aa3b
	v_mul_f32_e32 v21, 0x3fb8aa3b, v6
	v_fma_f32 v22, v6, s4, -v21
	v_rndne_f32_e32 v31, v21
	v_fmac_f32_e32 v22, 0x32a5705f, v6
	v_sub_f32_e32 v21, v21, v31
	v_add_f32_e32 v21, v21, v22
	v_exp_f32_e32 v21, v21
	v_cvt_i32_f32_e32 v22, v31
	s_mov_b32 s4, 0xc2ce8ed0
	v_cmp_ngt_f32_e64 s[4:5], s4, v6
	v_ldexp_f32 v21, v21, v22
	v_cndmask_b32_e64 v21, 0, v21, s[4:5]
	s_mov_b32 s4, 0x42b17218
	v_mov_b32_e32 v22, 0x7f800000
	v_cmp_nlt_f32_e64 s[4:5], s4, v6
	v_cndmask_b32_e64 v6, v22, v21, s[4:5]
	v_add_f32_e32 v24, v24, v6
.LBB740_111:
	s_or_b64 exec, exec, s[62:63]
.LBB740_112:
	s_or_b64 exec, exec, s[42:43]
	v_mov_b32_e32 v21, 0
	v_mov_b32_e32 v22, 0
	s_and_saveexec_b64 s[42:43], s[60:61]
	s_cbranch_execz .LBB740_116
; %bb.113:
	global_load_ubyte v22, v[2:3], off offset:256
	s_waitcnt vmcnt(0)
	v_and_b32_e32 v22, 1, v22
	v_cmp_eq_u32_e64 s[4:5], 1, v22
	s_xor_b64 s[4:5], s[4:5], -1
	v_mov_b32_e32 v22, 0
	s_and_saveexec_b64 s[60:61], s[4:5]
	s_cbranch_execz .LBB740_115
; %bb.114:
	v_sub_f32_e32 v20, v20, v30
	s_mov_b32 s4, 0x3fb8aa3b
	v_mul_f32_e32 v22, 0x3fb8aa3b, v20
	v_fma_f32 v31, v20, s4, -v22
	v_rndne_f32_e32 v32, v22
	v_fmac_f32_e32 v31, 0x32a5705f, v20
	v_sub_f32_e32 v22, v22, v32
	v_add_f32_e32 v22, v22, v31
	v_exp_f32_e32 v22, v22
	v_cvt_i32_f32_e32 v31, v32
	s_mov_b32 s4, 0xc2ce8ed0
	v_cmp_ngt_f32_e64 s[4:5], s4, v20
	v_ldexp_f32 v22, v22, v31
	v_cndmask_b32_e64 v22, 0, v22, s[4:5]
	s_mov_b32 s4, 0x42b17218
	v_mov_b32_e32 v31, 0x7f800000
	v_cmp_nlt_f32_e64 s[4:5], s4, v20
	v_cndmask_b32_e64 v22, v31, v22, s[4:5]
	v_add_f32_e32 v24, v24, v22
.LBB740_115:
	s_or_b64 exec, exec, s[60:61]
.LBB740_116:
	s_or_b64 exec, exec, s[42:43]
	s_and_saveexec_b64 s[42:43], s[58:59]
	s_cbranch_execz .LBB740_120
; %bb.117:
	global_load_ubyte v20, v[2:3], off offset:320
	v_mov_b32_e32 v21, 0
	s_waitcnt vmcnt(0)
	v_and_b32_e32 v20, 1, v20
	v_cmp_eq_u32_e64 s[4:5], 1, v20
	s_xor_b64 s[4:5], s[4:5], -1
	s_and_saveexec_b64 s[58:59], s[4:5]
	s_cbranch_execz .LBB740_119
; %bb.118:
	v_sub_f32_e32 v19, v19, v30
	s_mov_b32 s4, 0x3fb8aa3b
	v_mul_f32_e32 v20, 0x3fb8aa3b, v19
	v_fma_f32 v21, v19, s4, -v20
	v_rndne_f32_e32 v31, v20
	v_fmac_f32_e32 v21, 0x32a5705f, v19
	v_sub_f32_e32 v20, v20, v31
	v_add_f32_e32 v20, v20, v21
	v_exp_f32_e32 v20, v20
	v_cvt_i32_f32_e32 v21, v31
	s_mov_b32 s4, 0xc2ce8ed0
	v_cmp_ngt_f32_e64 s[4:5], s4, v19
	v_ldexp_f32 v20, v20, v21
	v_cndmask_b32_e64 v20, 0, v20, s[4:5]
	s_mov_b32 s4, 0x42b17218
	v_mov_b32_e32 v21, 0x7f800000
	v_cmp_nlt_f32_e64 s[4:5], s4, v19
	v_cndmask_b32_e64 v21, v21, v20, s[4:5]
	v_add_f32_e32 v24, v24, v21
.LBB740_119:
	s_or_b64 exec, exec, s[58:59]
.LBB740_120:
	s_or_b64 exec, exec, s[42:43]
	v_mov_b32_e32 v19, 0
	v_mov_b32_e32 v20, 0
	s_and_saveexec_b64 s[42:43], s[56:57]
	s_cbranch_execz .LBB740_124
; %bb.121:
	global_load_ubyte v20, v[2:3], off offset:384
	s_waitcnt vmcnt(0)
	v_and_b32_e32 v20, 1, v20
	v_cmp_eq_u32_e64 s[4:5], 1, v20
	s_xor_b64 s[4:5], s[4:5], -1
	v_mov_b32_e32 v20, 0
	s_and_saveexec_b64 s[56:57], s[4:5]
	s_cbranch_execz .LBB740_123
; %bb.122:
	v_sub_f32_e32 v18, v18, v30
	s_mov_b32 s4, 0x3fb8aa3b
	v_mul_f32_e32 v20, 0x3fb8aa3b, v18
	v_fma_f32 v31, v18, s4, -v20
	v_rndne_f32_e32 v32, v20
	v_fmac_f32_e32 v31, 0x32a5705f, v18
	v_sub_f32_e32 v20, v20, v32
	v_add_f32_e32 v20, v20, v31
	v_exp_f32_e32 v20, v20
	v_cvt_i32_f32_e32 v31, v32
	s_mov_b32 s4, 0xc2ce8ed0
	v_cmp_ngt_f32_e64 s[4:5], s4, v18
	v_ldexp_f32 v20, v20, v31
	v_cndmask_b32_e64 v20, 0, v20, s[4:5]
	s_mov_b32 s4, 0x42b17218
	v_mov_b32_e32 v31, 0x7f800000
	v_cmp_nlt_f32_e64 s[4:5], s4, v18
	v_cndmask_b32_e64 v20, v31, v20, s[4:5]
	v_add_f32_e32 v24, v24, v20
.LBB740_123:
	s_or_b64 exec, exec, s[56:57]
.LBB740_124:
	s_or_b64 exec, exec, s[42:43]
	s_and_saveexec_b64 s[42:43], s[54:55]
	s_cbranch_execz .LBB740_128
; %bb.125:
	global_load_ubyte v18, v[2:3], off offset:448
	v_mov_b32_e32 v19, 0
	s_waitcnt vmcnt(0)
	v_and_b32_e32 v18, 1, v18
	v_cmp_eq_u32_e64 s[4:5], 1, v18
	s_xor_b64 s[4:5], s[4:5], -1
	s_and_saveexec_b64 s[54:55], s[4:5]
	s_cbranch_execz .LBB740_127
; %bb.126:
	v_sub_f32_e32 v17, v17, v30
	s_mov_b32 s4, 0x3fb8aa3b
	v_mul_f32_e32 v18, 0x3fb8aa3b, v17
	v_fma_f32 v19, v17, s4, -v18
	v_rndne_f32_e32 v31, v18
	v_fmac_f32_e32 v19, 0x32a5705f, v17
	v_sub_f32_e32 v18, v18, v31
	v_add_f32_e32 v18, v18, v19
	v_exp_f32_e32 v18, v18
	v_cvt_i32_f32_e32 v19, v31
	s_mov_b32 s4, 0xc2ce8ed0
	v_cmp_ngt_f32_e64 s[4:5], s4, v17
	v_ldexp_f32 v18, v18, v19
	v_cndmask_b32_e64 v18, 0, v18, s[4:5]
	s_mov_b32 s4, 0x42b17218
	v_mov_b32_e32 v19, 0x7f800000
	v_cmp_nlt_f32_e64 s[4:5], s4, v17
	v_cndmask_b32_e64 v19, v19, v18, s[4:5]
	v_add_f32_e32 v24, v24, v19
.LBB740_127:
	s_or_b64 exec, exec, s[54:55]
.LBB740_128:
	s_or_b64 exec, exec, s[42:43]
	v_mov_b32_e32 v17, 0
	v_mov_b32_e32 v18, 0
	s_and_saveexec_b64 s[42:43], s[52:53]
	s_cbranch_execz .LBB740_132
; %bb.129:
	global_load_ubyte v18, v[2:3], off offset:512
	s_waitcnt vmcnt(0)
	v_and_b32_e32 v18, 1, v18
	v_cmp_eq_u32_e64 s[4:5], 1, v18
	s_xor_b64 s[4:5], s[4:5], -1
	v_mov_b32_e32 v18, 0
	s_and_saveexec_b64 s[52:53], s[4:5]
	s_cbranch_execz .LBB740_131
; %bb.130:
	v_sub_f32_e32 v16, v16, v30
	s_mov_b32 s4, 0x3fb8aa3b
	v_mul_f32_e32 v18, 0x3fb8aa3b, v16
	v_fma_f32 v31, v16, s4, -v18
	v_rndne_f32_e32 v32, v18
	v_fmac_f32_e32 v31, 0x32a5705f, v16
	v_sub_f32_e32 v18, v18, v32
	v_add_f32_e32 v18, v18, v31
	v_exp_f32_e32 v18, v18
	v_cvt_i32_f32_e32 v31, v32
	s_mov_b32 s4, 0xc2ce8ed0
	v_cmp_ngt_f32_e64 s[4:5], s4, v16
	v_ldexp_f32 v18, v18, v31
	v_cndmask_b32_e64 v18, 0, v18, s[4:5]
	s_mov_b32 s4, 0x42b17218
	v_mov_b32_e32 v31, 0x7f800000
	v_cmp_nlt_f32_e64 s[4:5], s4, v16
	v_cndmask_b32_e64 v18, v31, v18, s[4:5]
	v_add_f32_e32 v24, v24, v18
.LBB740_131:
	s_or_b64 exec, exec, s[52:53]
.LBB740_132:
	s_or_b64 exec, exec, s[42:43]
	s_and_saveexec_b64 s[42:43], s[50:51]
	s_cbranch_execz .LBB740_136
; %bb.133:
	global_load_ubyte v16, v[2:3], off offset:576
	v_mov_b32_e32 v17, 0
	s_waitcnt vmcnt(0)
	v_and_b32_e32 v16, 1, v16
	v_cmp_eq_u32_e64 s[4:5], 1, v16
	s_xor_b64 s[4:5], s[4:5], -1
	s_and_saveexec_b64 s[50:51], s[4:5]
	s_cbranch_execz .LBB740_135
; %bb.134:
	v_sub_f32_e32 v15, v15, v30
	s_mov_b32 s4, 0x3fb8aa3b
	v_mul_f32_e32 v16, 0x3fb8aa3b, v15
	v_fma_f32 v17, v15, s4, -v16
	v_rndne_f32_e32 v31, v16
	v_fmac_f32_e32 v17, 0x32a5705f, v15
	v_sub_f32_e32 v16, v16, v31
	v_add_f32_e32 v16, v16, v17
	v_exp_f32_e32 v16, v16
	v_cvt_i32_f32_e32 v17, v31
	s_mov_b32 s4, 0xc2ce8ed0
	v_cmp_ngt_f32_e64 s[4:5], s4, v15
	v_ldexp_f32 v16, v16, v17
	v_cndmask_b32_e64 v16, 0, v16, s[4:5]
	s_mov_b32 s4, 0x42b17218
	v_mov_b32_e32 v17, 0x7f800000
	v_cmp_nlt_f32_e64 s[4:5], s4, v15
	v_cndmask_b32_e64 v17, v17, v16, s[4:5]
	v_add_f32_e32 v24, v24, v17
.LBB740_135:
	s_or_b64 exec, exec, s[50:51]
.LBB740_136:
	s_or_b64 exec, exec, s[42:43]
	v_mov_b32_e32 v15, 0
	v_mov_b32_e32 v16, 0
	s_and_saveexec_b64 s[42:43], s[48:49]
	s_cbranch_execz .LBB740_140
; %bb.137:
	global_load_ubyte v16, v[2:3], off offset:640
	s_waitcnt vmcnt(0)
	v_and_b32_e32 v16, 1, v16
	v_cmp_eq_u32_e64 s[4:5], 1, v16
	s_xor_b64 s[4:5], s[4:5], -1
	v_mov_b32_e32 v16, 0
	s_and_saveexec_b64 s[48:49], s[4:5]
	s_cbranch_execz .LBB740_139
; %bb.138:
	v_sub_f32_e32 v14, v14, v30
	s_mov_b32 s4, 0x3fb8aa3b
	v_mul_f32_e32 v16, 0x3fb8aa3b, v14
	v_fma_f32 v31, v14, s4, -v16
	v_rndne_f32_e32 v32, v16
	v_fmac_f32_e32 v31, 0x32a5705f, v14
	v_sub_f32_e32 v16, v16, v32
	v_add_f32_e32 v16, v16, v31
	v_exp_f32_e32 v16, v16
	v_cvt_i32_f32_e32 v31, v32
	s_mov_b32 s4, 0xc2ce8ed0
	v_cmp_ngt_f32_e64 s[4:5], s4, v14
	v_ldexp_f32 v16, v16, v31
	v_cndmask_b32_e64 v16, 0, v16, s[4:5]
	s_mov_b32 s4, 0x42b17218
	v_mov_b32_e32 v31, 0x7f800000
	v_cmp_nlt_f32_e64 s[4:5], s4, v14
	v_cndmask_b32_e64 v16, v31, v16, s[4:5]
	v_add_f32_e32 v24, v24, v16
.LBB740_139:
	s_or_b64 exec, exec, s[48:49]
.LBB740_140:
	s_or_b64 exec, exec, s[42:43]
	s_and_saveexec_b64 s[42:43], s[46:47]
	s_cbranch_execz .LBB740_144
; %bb.141:
	global_load_ubyte v14, v[2:3], off offset:704
	v_mov_b32_e32 v15, 0
	s_waitcnt vmcnt(0)
	v_and_b32_e32 v14, 1, v14
	v_cmp_eq_u32_e64 s[4:5], 1, v14
	s_xor_b64 s[4:5], s[4:5], -1
	s_and_saveexec_b64 s[46:47], s[4:5]
	s_cbranch_execz .LBB740_143
; %bb.142:
	v_sub_f32_e32 v13, v13, v30
	s_mov_b32 s4, 0x3fb8aa3b
	v_mul_f32_e32 v14, 0x3fb8aa3b, v13
	v_fma_f32 v15, v13, s4, -v14
	v_rndne_f32_e32 v31, v14
	v_fmac_f32_e32 v15, 0x32a5705f, v13
	v_sub_f32_e32 v14, v14, v31
	v_add_f32_e32 v14, v14, v15
	v_exp_f32_e32 v14, v14
	v_cvt_i32_f32_e32 v15, v31
	s_mov_b32 s4, 0xc2ce8ed0
	v_cmp_ngt_f32_e64 s[4:5], s4, v13
	v_ldexp_f32 v14, v14, v15
	v_cndmask_b32_e64 v14, 0, v14, s[4:5]
	s_mov_b32 s4, 0x42b17218
	v_mov_b32_e32 v15, 0x7f800000
	v_cmp_nlt_f32_e64 s[4:5], s4, v13
	v_cndmask_b32_e64 v15, v15, v14, s[4:5]
	v_add_f32_e32 v24, v24, v15
.LBB740_143:
	s_or_b64 exec, exec, s[46:47]
.LBB740_144:
	s_or_b64 exec, exec, s[42:43]
	v_mov_b32_e32 v13, 0
	v_mov_b32_e32 v14, 0
	s_and_saveexec_b64 s[42:43], s[44:45]
	s_cbranch_execz .LBB740_148
; %bb.145:
	global_load_ubyte v14, v[2:3], off offset:768
	s_waitcnt vmcnt(0)
	v_and_b32_e32 v14, 1, v14
	v_cmp_eq_u32_e64 s[4:5], 1, v14
	s_xor_b64 s[4:5], s[4:5], -1
	v_mov_b32_e32 v14, 0
	s_and_saveexec_b64 s[44:45], s[4:5]
	s_cbranch_execz .LBB740_147
; %bb.146:
	v_sub_f32_e32 v12, v12, v30
	s_mov_b32 s4, 0x3fb8aa3b
	v_mul_f32_e32 v14, 0x3fb8aa3b, v12
	v_fma_f32 v31, v12, s4, -v14
	v_rndne_f32_e32 v32, v14
	v_fmac_f32_e32 v31, 0x32a5705f, v12
	v_sub_f32_e32 v14, v14, v32
	v_add_f32_e32 v14, v14, v31
	v_exp_f32_e32 v14, v14
	v_cvt_i32_f32_e32 v31, v32
	s_mov_b32 s4, 0xc2ce8ed0
	v_cmp_ngt_f32_e64 s[4:5], s4, v12
	v_ldexp_f32 v14, v14, v31
	v_cndmask_b32_e64 v14, 0, v14, s[4:5]
	s_mov_b32 s4, 0x42b17218
	v_mov_b32_e32 v31, 0x7f800000
	v_cmp_nlt_f32_e64 s[4:5], s4, v12
	v_cndmask_b32_e64 v14, v31, v14, s[4:5]
	v_add_f32_e32 v24, v24, v14
.LBB740_147:
	s_or_b64 exec, exec, s[44:45]
.LBB740_148:
	s_or_b64 exec, exec, s[42:43]
	s_and_saveexec_b64 s[42:43], s[40:41]
	s_cbranch_execz .LBB740_152
; %bb.149:
	global_load_ubyte v12, v[2:3], off offset:832
	v_mov_b32_e32 v13, 0
	s_waitcnt vmcnt(0)
	v_and_b32_e32 v12, 1, v12
	v_cmp_eq_u32_e64 s[4:5], 1, v12
	s_xor_b64 s[4:5], s[4:5], -1
	s_and_saveexec_b64 s[40:41], s[4:5]
	s_cbranch_execz .LBB740_151
; %bb.150:
	v_sub_f32_e32 v11, v11, v30
	s_mov_b32 s4, 0x3fb8aa3b
	v_mul_f32_e32 v12, 0x3fb8aa3b, v11
	v_fma_f32 v13, v11, s4, -v12
	v_rndne_f32_e32 v31, v12
	v_fmac_f32_e32 v13, 0x32a5705f, v11
	v_sub_f32_e32 v12, v12, v31
	v_add_f32_e32 v12, v12, v13
	v_exp_f32_e32 v12, v12
	v_cvt_i32_f32_e32 v13, v31
	s_mov_b32 s4, 0xc2ce8ed0
	v_cmp_ngt_f32_e64 s[4:5], s4, v11
	v_ldexp_f32 v12, v12, v13
	v_cndmask_b32_e64 v12, 0, v12, s[4:5]
	s_mov_b32 s4, 0x42b17218
	v_mov_b32_e32 v13, 0x7f800000
	v_cmp_nlt_f32_e64 s[4:5], s4, v11
	v_cndmask_b32_e64 v13, v13, v12, s[4:5]
	v_add_f32_e32 v24, v24, v13
.LBB740_151:
	s_or_b64 exec, exec, s[40:41]
.LBB740_152:
	s_or_b64 exec, exec, s[42:43]
	v_mov_b32_e32 v11, 0
	v_mov_b32_e32 v12, 0
	s_and_saveexec_b64 s[40:41], s[38:39]
	s_cbranch_execz .LBB740_156
; %bb.153:
	global_load_ubyte v12, v[2:3], off offset:896
	s_waitcnt vmcnt(0)
	v_and_b32_e32 v12, 1, v12
	v_cmp_eq_u32_e64 s[4:5], 1, v12
	s_xor_b64 s[4:5], s[4:5], -1
	v_mov_b32_e32 v12, 0
	s_and_saveexec_b64 s[38:39], s[4:5]
	s_cbranch_execz .LBB740_155
; %bb.154:
	v_sub_f32_e32 v10, v10, v30
	s_mov_b32 s4, 0x3fb8aa3b
	v_mul_f32_e32 v12, 0x3fb8aa3b, v10
	v_fma_f32 v31, v10, s4, -v12
	v_rndne_f32_e32 v32, v12
	v_fmac_f32_e32 v31, 0x32a5705f, v10
	v_sub_f32_e32 v12, v12, v32
	v_add_f32_e32 v12, v12, v31
	v_exp_f32_e32 v12, v12
	v_cvt_i32_f32_e32 v31, v32
	s_mov_b32 s4, 0xc2ce8ed0
	v_cmp_ngt_f32_e64 s[4:5], s4, v10
	v_ldexp_f32 v12, v12, v31
	v_cndmask_b32_e64 v12, 0, v12, s[4:5]
	s_mov_b32 s4, 0x42b17218
	v_mov_b32_e32 v31, 0x7f800000
	v_cmp_nlt_f32_e64 s[4:5], s4, v10
	v_cndmask_b32_e64 v12, v31, v12, s[4:5]
	v_add_f32_e32 v24, v24, v12
.LBB740_155:
	s_or_b64 exec, exec, s[38:39]
.LBB740_156:
	s_or_b64 exec, exec, s[40:41]
	s_and_saveexec_b64 s[38:39], s[30:31]
	s_cbranch_execz .LBB740_160
; %bb.157:
	global_load_ubyte v2, v[2:3], off offset:960
	v_mov_b32_e32 v11, 0
	s_waitcnt vmcnt(0)
	v_and_b32_e32 v2, 1, v2
	v_cmp_eq_u32_e64 s[4:5], 1, v2
	s_xor_b64 s[4:5], s[4:5], -1
	s_and_saveexec_b64 s[30:31], s[4:5]
	s_cbranch_execz .LBB740_159
; %bb.158:
	v_sub_f32_e32 v2, v9, v30
	s_mov_b32 s4, 0x3fb8aa3b
	v_mul_f32_e32 v3, 0x3fb8aa3b, v2
	v_fma_f32 v9, v2, s4, -v3
	v_rndne_f32_e32 v10, v3
	v_fmac_f32_e32 v9, 0x32a5705f, v2
	v_sub_f32_e32 v3, v3, v10
	v_add_f32_e32 v3, v3, v9
	v_exp_f32_e32 v3, v3
	v_cvt_i32_f32_e32 v9, v10
	s_mov_b32 s4, 0xc2ce8ed0
	v_cmp_ngt_f32_e64 s[4:5], s4, v2
	v_ldexp_f32 v3, v3, v9
	v_cndmask_b32_e64 v3, 0, v3, s[4:5]
	s_mov_b32 s4, 0x42b17218
	v_mov_b32_e32 v9, 0x7f800000
	v_cmp_nlt_f32_e64 s[4:5], s4, v2
	v_cndmask_b32_e64 v11, v9, v3, s[4:5]
	v_add_f32_e32 v24, v24, v11
.LBB740_159:
	s_or_b64 exec, exec, s[30:31]
.LBB740_160:
	s_or_b64 exec, exec, s[38:39]
	ds_bpermute_b32 v2, v5, v24
	v_cmp_lt_i32_e64 s[4:5], 0, v8
	s_waitcnt lgkmcnt(0)
	v_add_f32_e32 v2, v24, v2
	ds_bpermute_b32 v3, v7, v2
	s_waitcnt lgkmcnt(0)
	v_add_f32_e32 v2, v2, v3
	ds_bpermute_b32 v3, v25, v2
	;; [unrolled: 3-line block ×5, first 2 shown]
	s_and_saveexec_b64 s[30:31], s[4:5]
	s_cbranch_execz .LBB740_210
; %bb.161:
	s_and_b64 exec, exec, vcc
	s_cbranch_execz .LBB740_210
; %bb.162:
	s_waitcnt lgkmcnt(0)
	v_add_f32_e32 v2, v2, v3
	v_cmp_neq_f32_e64 s[30:31], 0, v2
	v_mov_b32_e32 v3, 0x7e00
	s_and_saveexec_b64 s[4:5], s[30:31]
	s_cbranch_execz .LBB740_164
; %bb.163:
	v_div_scale_f32 v3, s[38:39], v2, v2, v27
	v_rcp_f32_e32 v5, v3
	v_div_scale_f32 v7, vcc, v27, v2, v27
	v_fma_f32 v8, -v3, v5, 1.0
	v_fmac_f32_e32 v5, v8, v5
	v_mul_f32_e32 v8, v7, v5
	v_fma_f32 v9, -v3, v8, v7
	v_fmac_f32_e32 v8, v9, v5
	v_fma_f32 v3, -v3, v8, v7
	v_div_fmas_f32 v3, v3, v5, v8
	v_div_fixup_f32 v3, v3, v2, v27
	v_cvt_f16_f32_e32 v3, v3
.LBB740_164:
	s_or_b64 exec, exec, s[4:5]
	v_mov_b32_e32 v5, s37
	v_add_co_u32_e32 v0, vcc, s36, v0
	v_addc_co_u32_e32 v1, vcc, v5, v1, vcc
	global_store_short v[0:1], v3, off
	s_and_b64 exec, exec, s[28:29]
	s_cbranch_execz .LBB740_210
; %bb.165:
	v_mov_b32_e32 v3, 0x7e00
	s_and_saveexec_b64 s[4:5], s[30:31]
	s_cbranch_execz .LBB740_167
; %bb.166:
	v_div_scale_f32 v3, s[28:29], v2, v2, v4
	v_rcp_f32_e32 v5, v3
	v_div_scale_f32 v7, vcc, v4, v2, v4
	v_fma_f32 v8, -v3, v5, 1.0
	v_fmac_f32_e32 v5, v8, v5
	v_mul_f32_e32 v8, v7, v5
	v_fma_f32 v9, -v3, v8, v7
	v_fmac_f32_e32 v8, v9, v5
	v_fma_f32 v3, -v3, v8, v7
	v_div_fmas_f32 v3, v3, v5, v8
	v_div_fixup_f32 v3, v3, v2, v4
	v_cvt_f16_f32_e32 v3, v3
.LBB740_167:
	s_or_b64 exec, exec, s[4:5]
	global_store_short v[0:1], v3, off offset:128
	s_and_b64 exec, exec, s[26:27]
	s_cbranch_execz .LBB740_210
; %bb.168:
	v_mov_b32_e32 v3, 0x7e00
	s_and_saveexec_b64 s[4:5], s[30:31]
	s_cbranch_execz .LBB740_170
; %bb.169:
	v_div_scale_f32 v3, s[26:27], v2, v2, v23
	v_rcp_f32_e32 v4, v3
	v_div_scale_f32 v5, vcc, v23, v2, v23
	v_fma_f32 v7, -v3, v4, 1.0
	v_fmac_f32_e32 v4, v7, v4
	v_mul_f32_e32 v7, v5, v4
	v_fma_f32 v8, -v3, v7, v5
	v_fmac_f32_e32 v7, v8, v4
	v_fma_f32 v3, -v3, v7, v5
	v_div_fmas_f32 v3, v3, v4, v7
	v_div_fixup_f32 v3, v3, v2, v23
	v_cvt_f16_f32_e32 v3, v3
.LBB740_170:
	s_or_b64 exec, exec, s[4:5]
	global_store_short v[0:1], v3, off offset:256
	;; [unrolled: 22-line block ×15, first 2 shown]
.LBB740_210:
	s_endpgm
	.section	.rodata,"a",@progbits
	.p2align	6, 0x0
	.amdhsa_kernel _ZN12_GLOBAL__N_120softmax_warp_forwardIN3c104HalfES2_fLi10ELb0ELb1ELi64EEEvPT0_PKT_iiiPKbib
		.amdhsa_group_segment_fixed_size 0
		.amdhsa_private_segment_fixed_size 0
		.amdhsa_kernarg_size 304
		.amdhsa_user_sgpr_count 6
		.amdhsa_user_sgpr_private_segment_buffer 1
		.amdhsa_user_sgpr_dispatch_ptr 0
		.amdhsa_user_sgpr_queue_ptr 0
		.amdhsa_user_sgpr_kernarg_segment_ptr 1
		.amdhsa_user_sgpr_dispatch_id 0
		.amdhsa_user_sgpr_flat_scratch_init 0
		.amdhsa_user_sgpr_kernarg_preload_length 0
		.amdhsa_user_sgpr_kernarg_preload_offset 0
		.amdhsa_user_sgpr_private_segment_size 0
		.amdhsa_uses_dynamic_stack 0
		.amdhsa_system_sgpr_private_segment_wavefront_offset 0
		.amdhsa_system_sgpr_workgroup_id_x 1
		.amdhsa_system_sgpr_workgroup_id_y 0
		.amdhsa_system_sgpr_workgroup_id_z 0
		.amdhsa_system_sgpr_workgroup_info 0
		.amdhsa_system_vgpr_workitem_id 1
		.amdhsa_next_free_vgpr 33
		.amdhsa_next_free_sgpr 76
		.amdhsa_accum_offset 36
		.amdhsa_reserve_vcc 1
		.amdhsa_reserve_flat_scratch 0
		.amdhsa_float_round_mode_32 0
		.amdhsa_float_round_mode_16_64 0
		.amdhsa_float_denorm_mode_32 3
		.amdhsa_float_denorm_mode_16_64 3
		.amdhsa_dx10_clamp 1
		.amdhsa_ieee_mode 1
		.amdhsa_fp16_overflow 0
		.amdhsa_tg_split 0
		.amdhsa_exception_fp_ieee_invalid_op 0
		.amdhsa_exception_fp_denorm_src 0
		.amdhsa_exception_fp_ieee_div_zero 0
		.amdhsa_exception_fp_ieee_overflow 0
		.amdhsa_exception_fp_ieee_underflow 0
		.amdhsa_exception_fp_ieee_inexact 0
		.amdhsa_exception_int_div_zero 0
	.end_amdhsa_kernel
	.section	.text._ZN12_GLOBAL__N_120softmax_warp_forwardIN3c104HalfES2_fLi10ELb0ELb1ELi64EEEvPT0_PKT_iiiPKbib,"axG",@progbits,_ZN12_GLOBAL__N_120softmax_warp_forwardIN3c104HalfES2_fLi10ELb0ELb1ELi64EEEvPT0_PKT_iiiPKbib,comdat
.Lfunc_end740:
	.size	_ZN12_GLOBAL__N_120softmax_warp_forwardIN3c104HalfES2_fLi10ELb0ELb1ELi64EEEvPT0_PKT_iiiPKbib, .Lfunc_end740-_ZN12_GLOBAL__N_120softmax_warp_forwardIN3c104HalfES2_fLi10ELb0ELb1ELi64EEEvPT0_PKT_iiiPKbib
                                        ; -- End function
	.section	.AMDGPU.csdata,"",@progbits
; Kernel info:
; codeLenInByte = 7972
; NumSgprs: 80
; NumVgprs: 33
; NumAgprs: 0
; TotalNumVgprs: 33
; ScratchSize: 0
; MemoryBound: 0
; FloatMode: 240
; IeeeMode: 1
; LDSByteSize: 0 bytes/workgroup (compile time only)
; SGPRBlocks: 9
; VGPRBlocks: 4
; NumSGPRsForWavesPerEU: 80
; NumVGPRsForWavesPerEU: 33
; AccumOffset: 36
; Occupancy: 8
; WaveLimiterHint : 0
; COMPUTE_PGM_RSRC2:SCRATCH_EN: 0
; COMPUTE_PGM_RSRC2:USER_SGPR: 6
; COMPUTE_PGM_RSRC2:TRAP_HANDLER: 0
; COMPUTE_PGM_RSRC2:TGID_X_EN: 1
; COMPUTE_PGM_RSRC2:TGID_Y_EN: 0
; COMPUTE_PGM_RSRC2:TGID_Z_EN: 0
; COMPUTE_PGM_RSRC2:TIDIG_COMP_CNT: 1
; COMPUTE_PGM_RSRC3_GFX90A:ACCUM_OFFSET: 8
; COMPUTE_PGM_RSRC3_GFX90A:TG_SPLIT: 0
	.section	.text._ZN12_GLOBAL__N_120softmax_warp_forwardIN3c104HalfES2_fLi10ELb0ELb1ELi32EEEvPT0_PKT_iiiPKbib,"axG",@progbits,_ZN12_GLOBAL__N_120softmax_warp_forwardIN3c104HalfES2_fLi10ELb0ELb1ELi32EEEvPT0_PKT_iiiPKbib,comdat
	.globl	_ZN12_GLOBAL__N_120softmax_warp_forwardIN3c104HalfES2_fLi10ELb0ELb1ELi32EEEvPT0_PKT_iiiPKbib ; -- Begin function _ZN12_GLOBAL__N_120softmax_warp_forwardIN3c104HalfES2_fLi10ELb0ELb1ELi32EEEvPT0_PKT_iiiPKbib
	.p2align	8
	.type	_ZN12_GLOBAL__N_120softmax_warp_forwardIN3c104HalfES2_fLi10ELb0ELb1ELi32EEEvPT0_PKT_iiiPKbib,@function
_ZN12_GLOBAL__N_120softmax_warp_forwardIN3c104HalfES2_fLi10ELb0ELb1ELi32EEEvPT0_PKT_iiiPKbib: ; @_ZN12_GLOBAL__N_120softmax_warp_forwardIN3c104HalfES2_fLi10ELb0ELb1ELi32EEEvPT0_PKT_iiiPKbib
; %bb.0:
	s_load_dword s2, s[4:5], 0x3c
	s_load_dwordx4 s[72:75], s[4:5], 0x10
	s_load_dwordx2 s[0:1], s[4:5], 0x28
	v_bfe_u32 v1, v0, 10, 10
	v_and_b32_e32 v2, 0x3ff, v0
	s_waitcnt lgkmcnt(0)
	s_lshr_b32 s2, s2, 16
	s_mul_i32 s6, s6, s2
	v_add_u32_e32 v3, s6, v1
	v_mul_lo_u32 v6, v3, s73
	v_add_u32_e32 v0, v6, v2
	v_ashrrev_i32_e32 v1, 31, v0
	s_bitcmp0_b32 s1, 0
	v_pk_mov_b32 v[4:5], v[0:1], v[0:1] op_sel:[0,1]
	s_cbranch_scc1 .LBB741_2
; %bb.1:
	s_abs_i32 s1, s0
	v_cvt_f32_u32_e32 v4, s1
	v_xor_b32_e32 v5, s0, v6
	v_sub_u32_e32 v7, 0, v6
	s_sub_i32 s0, 0, s1
	v_rcp_iflag_f32_e32 v4, v4
	v_max_i32_e32 v6, v6, v7
	v_ashrrev_i32_e32 v5, 31, v5
	v_mul_f32_e32 v4, 0x4f7ffffe, v4
	v_cvt_u32_f32_e32 v4, v4
	v_mul_lo_u32 v7, s0, v4
	v_mul_hi_u32 v7, v4, v7
	v_add_u32_e32 v4, v4, v7
	v_mul_hi_u32 v4, v6, v4
	v_mul_lo_u32 v7, v4, s1
	v_sub_u32_e32 v6, v6, v7
	v_add_u32_e32 v8, 1, v4
	v_cmp_le_u32_e32 vcc, s1, v6
	v_subrev_u32_e32 v7, s1, v6
	v_cndmask_b32_e32 v4, v4, v8, vcc
	v_cndmask_b32_e32 v6, v6, v7, vcc
	v_add_u32_e32 v7, 1, v4
	v_cmp_le_u32_e32 vcc, s1, v6
	v_cndmask_b32_e32 v4, v4, v7, vcc
	v_xor_b32_e32 v4, v4, v5
	v_sub_u32_e32 v4, v4, v5
	v_mad_u64_u32 v[4:5], s[0:1], v4, s73, v[2:3]
	v_ashrrev_i32_e32 v5, 31, v4
.LBB741_2:
	s_load_dwordx4 s[0:3], s[4:5], 0x0
	v_lshlrev_b64 v[0:1], 1, v[0:1]
                                        ; implicit-def: $vgpr48 : SGPR spill to VGPR lane
	v_sub_u32_e32 v8, s72, v3
	v_cmp_lt_i32_e64 s[64:65], 0, v8
	v_mov_b32_e32 v39, 0xff800000
	s_waitcnt lgkmcnt(0)
	v_mov_b32_e32 v3, s3
	v_writelane_b32 v48, s0, 0
	v_add_co_u32_e32 v6, vcc, s2, v0
	v_addc_co_u32_e32 v7, vcc, v3, v1, vcc
	v_writelane_b32 v48, s1, 1
	v_cmp_gt_i32_e32 vcc, s74, v2
	v_writelane_b32 v48, s2, 2
	s_and_b64 s[36:37], s[64:65], vcc
	v_mov_b32_e32 v40, 0xff800000
	v_writelane_b32 v48, s3, 3
	s_and_saveexec_b64 s[0:1], s[36:37]
	s_cbranch_execz .LBB741_4
; %bb.3:
	global_load_ushort v3, v[6:7], off
	s_waitcnt vmcnt(0)
	v_cvt_f32_f16_e32 v40, v3
.LBB741_4:
	s_or_b64 exec, exec, s[0:1]
	v_add_u32_e32 v3, 32, v2
	v_cmp_gt_i32_e64 s[62:63], s74, v3
	s_and_b64 s[34:35], s[64:65], s[62:63]
	s_and_saveexec_b64 s[0:1], s[34:35]
	s_cbranch_execz .LBB741_6
; %bb.5:
	global_load_ushort v3, v[6:7], off offset:64
	s_waitcnt vmcnt(0)
	v_cvt_f32_f16_e32 v39, v3
.LBB741_6:
	s_or_b64 exec, exec, s[0:1]
	v_add_u32_e32 v3, 64, v2
	v_cmp_gt_i32_e64 s[60:61], s74, v3
	s_and_b64 s[30:31], s[64:65], s[60:61]
	v_mov_b32_e32 v37, 0xff800000
	v_mov_b32_e32 v38, 0xff800000
	s_and_saveexec_b64 s[0:1], s[30:31]
	s_cbranch_execz .LBB741_8
; %bb.7:
	global_load_ushort v3, v[6:7], off offset:128
	s_waitcnt vmcnt(0)
	v_cvt_f32_f16_e32 v38, v3
.LBB741_8:
	s_or_b64 exec, exec, s[0:1]
	v_add_u32_e32 v3, 0x60, v2
	v_cmp_gt_i32_e64 s[58:59], s74, v3
	s_and_b64 s[28:29], s[64:65], s[58:59]
	s_and_saveexec_b64 s[0:1], s[28:29]
	s_cbranch_execz .LBB741_10
; %bb.9:
	global_load_ushort v3, v[6:7], off offset:192
	s_waitcnt vmcnt(0)
	v_cvt_f32_f16_e32 v37, v3
.LBB741_10:
	s_or_b64 exec, exec, s[0:1]
	v_add_u32_e32 v3, 0x80, v2
	v_cmp_gt_i32_e64 s[56:57], s74, v3
	s_and_b64 s[26:27], s[64:65], s[56:57]
	v_mov_b32_e32 v35, 0xff800000
	v_mov_b32_e32 v36, 0xff800000
	s_and_saveexec_b64 s[0:1], s[26:27]
	s_cbranch_execz .LBB741_12
; %bb.11:
	global_load_ushort v3, v[6:7], off offset:256
	s_waitcnt vmcnt(0)
	v_cvt_f32_f16_e32 v36, v3
.LBB741_12:
	;; [unrolled: 24-line block ×5, first 2 shown]
	s_or_b64 exec, exec, s[0:1]
	v_add_u32_e32 v3, 0x160, v2
	v_cmp_gt_i32_e64 s[0:1], s74, v3
	v_writelane_b32 v48, s0, 4
	s_and_b64 s[12:13], s[64:65], s[0:1]
	v_writelane_b32 v48, s1, 5
	s_and_saveexec_b64 s[0:1], s[12:13]
	s_cbranch_execz .LBB741_26
; %bb.25:
	global_load_ushort v3, v[6:7], off offset:704
	s_waitcnt vmcnt(0)
	v_cvt_f32_f16_e32 v29, v3
.LBB741_26:
	s_or_b64 exec, exec, s[0:1]
	v_add_u32_e32 v3, 0x180, v2
	v_cmp_gt_i32_e64 s[0:1], s74, v3
	v_writelane_b32 v48, s0, 6
	s_and_b64 s[10:11], s[64:65], s[0:1]
	v_mov_b32_e32 v27, 0xff800000
	v_mov_b32_e32 v28, 0xff800000
	v_writelane_b32 v48, s1, 7
	s_and_saveexec_b64 s[0:1], s[10:11]
	s_cbranch_execz .LBB741_28
; %bb.27:
	global_load_ushort v3, v[6:7], off offset:768
	s_waitcnt vmcnt(0)
	v_cvt_f32_f16_e32 v28, v3
.LBB741_28:
	s_or_b64 exec, exec, s[0:1]
	v_add_u32_e32 v3, 0x1a0, v2
	v_cmp_gt_i32_e64 s[0:1], s74, v3
	v_writelane_b32 v48, s0, 8
	s_and_b64 s[8:9], s[64:65], s[0:1]
	v_writelane_b32 v48, s1, 9
	s_and_saveexec_b64 s[0:1], s[8:9]
	s_cbranch_execz .LBB741_30
; %bb.29:
	global_load_ushort v3, v[6:7], off offset:832
	s_waitcnt vmcnt(0)
	v_cvt_f32_f16_e32 v27, v3
.LBB741_30:
	s_or_b64 exec, exec, s[0:1]
	v_add_u32_e32 v3, 0x1c0, v2
	v_cmp_gt_i32_e64 s[0:1], s74, v3
	v_writelane_b32 v48, s0, 10
	s_and_b64 s[68:69], s[64:65], s[0:1]
	v_mov_b32_e32 v25, 0xff800000
	v_mov_b32_e32 v26, 0xff800000
	v_writelane_b32 v48, s1, 11
	s_and_saveexec_b64 s[0:1], s[68:69]
	s_cbranch_execz .LBB741_32
; %bb.31:
	global_load_ushort v3, v[6:7], off offset:896
	s_waitcnt vmcnt(0)
	v_cvt_f32_f16_e32 v26, v3
.LBB741_32:
	s_or_b64 exec, exec, s[0:1]
	v_add_u32_e32 v3, 0x1e0, v2
	v_cmp_gt_i32_e64 s[0:1], s74, v3
	v_writelane_b32 v48, s0, 12
	s_and_b64 s[6:7], s[64:65], s[0:1]
	v_writelane_b32 v48, s1, 13
	s_and_saveexec_b64 s[0:1], s[6:7]
	s_cbranch_execz .LBB741_34
; %bb.33:
	global_load_ushort v3, v[6:7], off offset:960
	s_waitcnt vmcnt(0)
	v_cvt_f32_f16_e32 v25, v3
.LBB741_34:
	s_or_b64 exec, exec, s[0:1]
	v_add_u32_e32 v3, 0x200, v2
	v_cmp_gt_i32_e64 s[0:1], s74, v3
	v_writelane_b32 v48, s0, 14
	s_and_b64 s[66:67], s[64:65], s[0:1]
	v_mov_b32_e32 v23, 0xff800000
	v_mov_b32_e32 v24, 0xff800000
	v_writelane_b32 v48, s1, 15
	s_and_saveexec_b64 s[0:1], s[66:67]
	s_cbranch_execz .LBB741_36
; %bb.35:
	global_load_ushort v3, v[6:7], off offset:1024
	s_waitcnt vmcnt(0)
	v_cvt_f32_f16_e32 v24, v3
.LBB741_36:
	s_or_b64 exec, exec, s[0:1]
	v_add_u32_e32 v3, 0x220, v2
	v_cmp_gt_i32_e64 s[0:1], s74, v3
	v_writelane_b32 v48, s0, 16
	s_and_b64 s[2:3], s[64:65], s[0:1]
	v_writelane_b32 v48, s1, 17
	s_and_saveexec_b64 s[0:1], s[2:3]
	s_cbranch_execz .LBB741_38
; %bb.37:
	global_load_ushort v3, v[6:7], off offset:1088
	s_waitcnt vmcnt(0)
	v_cvt_f32_f16_e32 v23, v3
.LBB741_38:
	s_or_b64 exec, exec, s[0:1]
	v_add_u32_e32 v3, 0x240, v2
	v_cmp_gt_i32_e64 s[0:1], s74, v3
	v_writelane_b32 v48, s0, 18
	v_writelane_b32 v48, s1, 19
	s_and_b64 s[0:1], s[64:65], s[0:1]
	v_mov_b32_e32 v21, 0xff800000
	v_mov_b32_e32 v22, 0xff800000
	s_and_saveexec_b64 s[38:39], s[0:1]
	s_cbranch_execz .LBB741_40
; %bb.39:
	global_load_ushort v3, v[6:7], off offset:1152
	s_waitcnt vmcnt(0)
	v_cvt_f32_f16_e32 v22, v3
.LBB741_40:
	s_or_b64 exec, exec, s[38:39]
	v_add_u32_e32 v3, 0x260, v2
	v_cmp_gt_i32_e64 s[38:39], s74, v3
	v_writelane_b32 v48, s38, 20
	s_and_b64 s[94:95], s[64:65], s[38:39]
	v_writelane_b32 v48, s39, 21
	s_and_saveexec_b64 s[38:39], s[94:95]
	s_cbranch_execz .LBB741_42
; %bb.41:
	global_load_ushort v3, v[6:7], off offset:1216
	s_waitcnt vmcnt(0)
	v_cvt_f32_f16_e32 v21, v3
.LBB741_42:
	s_or_b64 exec, exec, s[38:39]
	v_add_u32_e32 v3, 0x280, v2
	v_cmp_gt_i32_e64 s[38:39], s74, v3
	v_writelane_b32 v48, s38, 22
	s_and_b64 s[92:93], s[64:65], s[38:39]
	v_mov_b32_e32 v19, 0xff800000
	v_mov_b32_e32 v20, 0xff800000
	v_writelane_b32 v48, s39, 23
	s_and_saveexec_b64 s[38:39], s[92:93]
	s_cbranch_execz .LBB741_44
; %bb.43:
	global_load_ushort v3, v[6:7], off offset:1280
	s_waitcnt vmcnt(0)
	v_cvt_f32_f16_e32 v20, v3
.LBB741_44:
	s_or_b64 exec, exec, s[38:39]
	v_add_u32_e32 v3, 0x2a0, v2
	v_cmp_gt_i32_e64 s[38:39], s74, v3
	v_writelane_b32 v48, s38, 24
	s_and_b64 s[90:91], s[64:65], s[38:39]
	v_writelane_b32 v48, s39, 25
	s_and_saveexec_b64 s[38:39], s[90:91]
	s_cbranch_execz .LBB741_46
; %bb.45:
	global_load_ushort v3, v[6:7], off offset:1344
	s_waitcnt vmcnt(0)
	v_cvt_f32_f16_e32 v19, v3
.LBB741_46:
	s_or_b64 exec, exec, s[38:39]
	v_add_u32_e32 v3, 0x2c0, v2
	v_cmp_gt_i32_e64 s[38:39], s74, v3
	v_writelane_b32 v48, s38, 26
	s_and_b64 s[88:89], s[64:65], s[38:39]
	v_mov_b32_e32 v17, 0xff800000
	v_mov_b32_e32 v18, 0xff800000
	v_writelane_b32 v48, s39, 27
	;; [unrolled: 28-line block ×6, first 2 shown]
	s_and_saveexec_b64 s[38:39], s[70:71]
	s_cbranch_execz .LBB741_64
; %bb.63:
	global_load_ushort v3, v[6:7], off offset:1920
	s_waitcnt vmcnt(0)
	v_cvt_f32_f16_e32 v10, v3
.LBB741_64:
	s_or_b64 exec, exec, s[38:39]
	v_add_u32_e32 v2, 0x3e0, v2
	v_cmp_gt_i32_e64 s[38:39], s74, v2
	v_writelane_b32 v48, s38, 44
	s_and_b64 s[64:65], s[64:65], s[38:39]
	v_writelane_b32 v48, s39, 45
	s_and_saveexec_b64 s[38:39], s[64:65]
	s_cbranch_execz .LBB741_66
; %bb.65:
	global_load_ushort v2, v[6:7], off offset:1984
	s_waitcnt vmcnt(0)
	v_cvt_f32_f16_e32 v9, v2
.LBB741_66:
	s_or_b64 exec, exec, s[38:39]
	s_load_dwordx2 s[4:5], s[4:5], 0x20
	s_mov_b64 s[74:75], 0
	s_waitcnt lgkmcnt(0)
	v_mov_b32_e32 v3, s5
	v_add_co_u32_e64 v2, s[4:5], s4, v4
	v_addc_co_u32_e64 v3, s[4:5], v3, v5, s[4:5]
	s_and_saveexec_b64 s[38:39], s[36:37]
	s_cbranch_execnz .LBB741_98
; %bb.67:
	s_or_b64 exec, exec, s[38:39]
	v_mov_b32_e32 v4, v40
	s_and_saveexec_b64 s[38:39], s[34:35]
	s_cbranch_execnz .LBB741_99
.LBB741_68:
	s_or_b64 exec, exec, s[38:39]
	s_and_saveexec_b64 s[38:39], s[30:31]
	s_cbranch_execnz .LBB741_102
.LBB741_69:
	s_or_b64 exec, exec, s[38:39]
	s_and_saveexec_b64 s[38:39], s[28:29]
	s_cbranch_execnz .LBB741_105
.LBB741_70:
	s_or_b64 exec, exec, s[38:39]
	s_and_saveexec_b64 s[38:39], s[26:27]
	s_cbranch_execnz .LBB741_108
.LBB741_71:
	s_or_b64 exec, exec, s[38:39]
	s_and_saveexec_b64 s[38:39], s[24:25]
	s_cbranch_execnz .LBB741_111
.LBB741_72:
	s_or_b64 exec, exec, s[38:39]
	s_and_saveexec_b64 s[38:39], s[22:23]
	s_cbranch_execnz .LBB741_114
.LBB741_73:
	s_or_b64 exec, exec, s[38:39]
	s_and_saveexec_b64 s[38:39], s[20:21]
	s_cbranch_execnz .LBB741_117
.LBB741_74:
	s_or_b64 exec, exec, s[38:39]
	s_and_saveexec_b64 s[38:39], s[18:19]
	s_cbranch_execnz .LBB741_120
.LBB741_75:
	s_or_b64 exec, exec, s[38:39]
	s_and_saveexec_b64 s[38:39], s[16:17]
	s_cbranch_execnz .LBB741_123
.LBB741_76:
	s_or_b64 exec, exec, s[38:39]
	s_and_saveexec_b64 s[38:39], s[14:15]
	s_cbranch_execnz .LBB741_126
.LBB741_77:
	s_or_b64 exec, exec, s[38:39]
	s_and_saveexec_b64 s[38:39], s[12:13]
	s_cbranch_execnz .LBB741_129
.LBB741_78:
	s_or_b64 exec, exec, s[38:39]
	s_and_saveexec_b64 s[38:39], s[10:11]
	s_cbranch_execnz .LBB741_132
.LBB741_79:
	s_or_b64 exec, exec, s[38:39]
	s_and_saveexec_b64 s[38:39], s[8:9]
	s_cbranch_execnz .LBB741_135
.LBB741_80:
	s_or_b64 exec, exec, s[38:39]
	s_and_saveexec_b64 s[38:39], s[68:69]
	s_cbranch_execnz .LBB741_138
.LBB741_81:
	s_or_b64 exec, exec, s[38:39]
	s_and_saveexec_b64 s[38:39], s[6:7]
	s_cbranch_execnz .LBB741_141
.LBB741_82:
	s_or_b64 exec, exec, s[38:39]
	s_and_saveexec_b64 s[38:39], s[66:67]
	s_cbranch_execnz .LBB741_144
.LBB741_83:
	s_or_b64 exec, exec, s[38:39]
	s_and_saveexec_b64 s[38:39], s[2:3]
	s_cbranch_execnz .LBB741_147
.LBB741_84:
	s_or_b64 exec, exec, s[38:39]
	s_and_saveexec_b64 s[38:39], s[0:1]
	s_cbranch_execnz .LBB741_150
.LBB741_85:
	s_or_b64 exec, exec, s[38:39]
	s_and_saveexec_b64 s[38:39], s[94:95]
	s_cbranch_execnz .LBB741_153
.LBB741_86:
	s_or_b64 exec, exec, s[38:39]
	s_and_saveexec_b64 s[38:39], s[92:93]
	s_cbranch_execnz .LBB741_156
.LBB741_87:
	s_or_b64 exec, exec, s[38:39]
	s_and_saveexec_b64 s[38:39], s[90:91]
	s_cbranch_execnz .LBB741_159
.LBB741_88:
	s_or_b64 exec, exec, s[38:39]
	s_and_saveexec_b64 s[38:39], s[88:89]
	s_cbranch_execnz .LBB741_162
.LBB741_89:
	s_or_b64 exec, exec, s[38:39]
	s_and_saveexec_b64 s[38:39], s[86:87]
	s_cbranch_execnz .LBB741_165
.LBB741_90:
	s_or_b64 exec, exec, s[38:39]
	s_and_saveexec_b64 s[38:39], s[84:85]
	s_cbranch_execnz .LBB741_168
.LBB741_91:
	s_or_b64 exec, exec, s[38:39]
	s_and_saveexec_b64 s[38:39], s[82:83]
	s_cbranch_execnz .LBB741_171
.LBB741_92:
	s_or_b64 exec, exec, s[38:39]
	s_and_saveexec_b64 s[38:39], s[80:81]
	s_cbranch_execnz .LBB741_174
.LBB741_93:
	s_or_b64 exec, exec, s[38:39]
	s_and_saveexec_b64 s[38:39], s[78:79]
	s_cbranch_execnz .LBB741_177
.LBB741_94:
	s_or_b64 exec, exec, s[38:39]
	s_and_saveexec_b64 s[38:39], s[76:77]
	s_cbranch_execnz .LBB741_180
.LBB741_95:
	s_or_b64 exec, exec, s[38:39]
	s_and_saveexec_b64 s[38:39], s[72:73]
	s_cbranch_execnz .LBB741_183
.LBB741_96:
	s_or_b64 exec, exec, s[38:39]
	s_and_saveexec_b64 s[38:39], s[70:71]
	s_cbranch_execnz .LBB741_186
.LBB741_97:
	s_or_b64 exec, exec, s[38:39]
	s_and_saveexec_b64 s[38:39], s[64:65]
	s_cbranch_execnz .LBB741_189
	s_branch .LBB741_192
.LBB741_98:
	global_load_ubyte v4, v[2:3], off
	s_waitcnt vmcnt(0)
	v_and_b32_e32 v4, 1, v4
	v_cmp_eq_u32_e64 s[4:5], 1, v4
	s_xor_b64 s[4:5], s[4:5], -1
	s_and_b64 s[74:75], s[4:5], exec
	s_or_b64 exec, exec, s[38:39]
	v_mov_b32_e32 v4, v40
	s_and_saveexec_b64 s[38:39], s[34:35]
	s_cbranch_execz .LBB741_68
.LBB741_99:
	global_load_ubyte v4, v[2:3], off offset:32
	s_mov_b64 s[40:41], s[74:75]
	s_waitcnt vmcnt(0)
	v_and_b32_e32 v4, 1, v4
	v_cmp_eq_u32_e64 s[4:5], 1, v4
	s_xor_b64 s[4:5], s[4:5], -1
	v_mov_b32_e32 v4, v40
	s_and_saveexec_b64 s[42:43], s[4:5]
; %bb.100:
	v_cmp_gt_f32_e64 s[4:5], v40, v39
	s_and_b64 s[4:5], s[74:75], s[4:5]
	v_cndmask_b32_e64 v4, v39, v40, s[4:5]
	s_or_b64 s[40:41], s[74:75], exec
; %bb.101:
	s_or_b64 exec, exec, s[42:43]
	s_andn2_b64 s[4:5], s[74:75], exec
	s_and_b64 s[40:41], s[40:41], exec
	s_or_b64 s[74:75], s[4:5], s[40:41]
	s_or_b64 exec, exec, s[38:39]
	s_and_saveexec_b64 s[38:39], s[30:31]
	s_cbranch_execz .LBB741_69
.LBB741_102:
	global_load_ubyte v5, v[2:3], off offset:64
	s_waitcnt vmcnt(0)
	v_and_b32_e32 v5, 1, v5
	v_cmp_eq_u32_e64 s[4:5], 1, v5
	s_xor_b64 s[42:43], s[4:5], -1
	s_mov_b64 s[4:5], s[74:75]
	s_and_saveexec_b64 s[40:41], s[42:43]
; %bb.103:
	v_cmp_gt_f32_e64 s[4:5], v4, v38
	s_and_b64 s[4:5], s[74:75], s[4:5]
	v_cndmask_b32_e64 v4, v38, v4, s[4:5]
	s_or_b64 s[4:5], s[74:75], exec
; %bb.104:
	s_or_b64 exec, exec, s[40:41]
	s_andn2_b64 s[40:41], s[74:75], exec
	s_and_b64 s[4:5], s[4:5], exec
	s_or_b64 s[74:75], s[40:41], s[4:5]
	s_or_b64 exec, exec, s[38:39]
	s_and_saveexec_b64 s[38:39], s[28:29]
	s_cbranch_execz .LBB741_70
.LBB741_105:
	global_load_ubyte v5, v[2:3], off offset:96
	s_waitcnt vmcnt(0)
	v_and_b32_e32 v5, 1, v5
	v_cmp_eq_u32_e64 s[4:5], 1, v5
	s_xor_b64 s[42:43], s[4:5], -1
	s_mov_b64 s[4:5], s[74:75]
	s_and_saveexec_b64 s[40:41], s[42:43]
; %bb.106:
	v_cmp_gt_f32_e64 s[4:5], v4, v37
	s_and_b64 s[4:5], s[74:75], s[4:5]
	v_cndmask_b32_e64 v4, v37, v4, s[4:5]
	s_or_b64 s[4:5], s[74:75], exec
; %bb.107:
	s_or_b64 exec, exec, s[40:41]
	s_andn2_b64 s[40:41], s[74:75], exec
	s_and_b64 s[4:5], s[4:5], exec
	s_or_b64 s[74:75], s[40:41], s[4:5]
	s_or_b64 exec, exec, s[38:39]
	s_and_saveexec_b64 s[38:39], s[26:27]
	s_cbranch_execz .LBB741_71
.LBB741_108:
	global_load_ubyte v5, v[2:3], off offset:128
	s_waitcnt vmcnt(0)
	v_and_b32_e32 v5, 1, v5
	v_cmp_eq_u32_e64 s[4:5], 1, v5
	s_xor_b64 s[42:43], s[4:5], -1
	s_mov_b64 s[4:5], s[74:75]
	s_and_saveexec_b64 s[40:41], s[42:43]
; %bb.109:
	v_cmp_gt_f32_e64 s[4:5], v4, v36
	s_and_b64 s[4:5], s[74:75], s[4:5]
	v_cndmask_b32_e64 v4, v36, v4, s[4:5]
	s_or_b64 s[4:5], s[74:75], exec
; %bb.110:
	s_or_b64 exec, exec, s[40:41]
	s_andn2_b64 s[40:41], s[74:75], exec
	s_and_b64 s[4:5], s[4:5], exec
	s_or_b64 s[74:75], s[40:41], s[4:5]
	s_or_b64 exec, exec, s[38:39]
	s_and_saveexec_b64 s[38:39], s[24:25]
	s_cbranch_execz .LBB741_72
.LBB741_111:
	global_load_ubyte v5, v[2:3], off offset:160
	s_waitcnt vmcnt(0)
	v_and_b32_e32 v5, 1, v5
	v_cmp_eq_u32_e64 s[4:5], 1, v5
	s_xor_b64 s[42:43], s[4:5], -1
	s_mov_b64 s[4:5], s[74:75]
	s_and_saveexec_b64 s[40:41], s[42:43]
; %bb.112:
	v_cmp_gt_f32_e64 s[4:5], v4, v35
	s_and_b64 s[4:5], s[74:75], s[4:5]
	v_cndmask_b32_e64 v4, v35, v4, s[4:5]
	s_or_b64 s[4:5], s[74:75], exec
; %bb.113:
	s_or_b64 exec, exec, s[40:41]
	s_andn2_b64 s[40:41], s[74:75], exec
	s_and_b64 s[4:5], s[4:5], exec
	s_or_b64 s[74:75], s[40:41], s[4:5]
	s_or_b64 exec, exec, s[38:39]
	s_and_saveexec_b64 s[38:39], s[22:23]
	s_cbranch_execz .LBB741_73
.LBB741_114:
	global_load_ubyte v5, v[2:3], off offset:192
	s_waitcnt vmcnt(0)
	v_and_b32_e32 v5, 1, v5
	v_cmp_eq_u32_e64 s[4:5], 1, v5
	s_xor_b64 s[42:43], s[4:5], -1
	s_mov_b64 s[4:5], s[74:75]
	s_and_saveexec_b64 s[40:41], s[42:43]
; %bb.115:
	v_cmp_gt_f32_e64 s[4:5], v4, v34
	s_and_b64 s[4:5], s[74:75], s[4:5]
	v_cndmask_b32_e64 v4, v34, v4, s[4:5]
	s_or_b64 s[4:5], s[74:75], exec
; %bb.116:
	s_or_b64 exec, exec, s[40:41]
	s_andn2_b64 s[40:41], s[74:75], exec
	s_and_b64 s[4:5], s[4:5], exec
	s_or_b64 s[74:75], s[40:41], s[4:5]
	s_or_b64 exec, exec, s[38:39]
	s_and_saveexec_b64 s[38:39], s[20:21]
	s_cbranch_execz .LBB741_74
.LBB741_117:
	global_load_ubyte v5, v[2:3], off offset:224
	s_waitcnt vmcnt(0)
	v_and_b32_e32 v5, 1, v5
	v_cmp_eq_u32_e64 s[4:5], 1, v5
	s_xor_b64 s[42:43], s[4:5], -1
	s_mov_b64 s[4:5], s[74:75]
	s_and_saveexec_b64 s[40:41], s[42:43]
; %bb.118:
	v_cmp_gt_f32_e64 s[4:5], v4, v33
	s_and_b64 s[4:5], s[74:75], s[4:5]
	v_cndmask_b32_e64 v4, v33, v4, s[4:5]
	s_or_b64 s[4:5], s[74:75], exec
; %bb.119:
	s_or_b64 exec, exec, s[40:41]
	s_andn2_b64 s[40:41], s[74:75], exec
	s_and_b64 s[4:5], s[4:5], exec
	s_or_b64 s[74:75], s[40:41], s[4:5]
	s_or_b64 exec, exec, s[38:39]
	s_and_saveexec_b64 s[38:39], s[18:19]
	s_cbranch_execz .LBB741_75
.LBB741_120:
	global_load_ubyte v5, v[2:3], off offset:256
	s_waitcnt vmcnt(0)
	v_and_b32_e32 v5, 1, v5
	v_cmp_eq_u32_e64 s[4:5], 1, v5
	s_xor_b64 s[42:43], s[4:5], -1
	s_mov_b64 s[4:5], s[74:75]
	s_and_saveexec_b64 s[40:41], s[42:43]
; %bb.121:
	v_cmp_gt_f32_e64 s[4:5], v4, v32
	s_and_b64 s[4:5], s[74:75], s[4:5]
	v_cndmask_b32_e64 v4, v32, v4, s[4:5]
	s_or_b64 s[4:5], s[74:75], exec
; %bb.122:
	s_or_b64 exec, exec, s[40:41]
	s_andn2_b64 s[40:41], s[74:75], exec
	s_and_b64 s[4:5], s[4:5], exec
	s_or_b64 s[74:75], s[40:41], s[4:5]
	s_or_b64 exec, exec, s[38:39]
	s_and_saveexec_b64 s[38:39], s[16:17]
	s_cbranch_execz .LBB741_76
.LBB741_123:
	global_load_ubyte v5, v[2:3], off offset:288
	s_waitcnt vmcnt(0)
	v_and_b32_e32 v5, 1, v5
	v_cmp_eq_u32_e64 s[4:5], 1, v5
	s_xor_b64 s[42:43], s[4:5], -1
	s_mov_b64 s[4:5], s[74:75]
	s_and_saveexec_b64 s[40:41], s[42:43]
; %bb.124:
	v_cmp_gt_f32_e64 s[4:5], v4, v31
	s_and_b64 s[4:5], s[74:75], s[4:5]
	v_cndmask_b32_e64 v4, v31, v4, s[4:5]
	s_or_b64 s[4:5], s[74:75], exec
; %bb.125:
	s_or_b64 exec, exec, s[40:41]
	s_andn2_b64 s[40:41], s[74:75], exec
	s_and_b64 s[4:5], s[4:5], exec
	s_or_b64 s[74:75], s[40:41], s[4:5]
	s_or_b64 exec, exec, s[38:39]
	s_and_saveexec_b64 s[38:39], s[14:15]
	s_cbranch_execz .LBB741_77
.LBB741_126:
	global_load_ubyte v5, v[2:3], off offset:320
	s_waitcnt vmcnt(0)
	v_and_b32_e32 v5, 1, v5
	v_cmp_eq_u32_e64 s[4:5], 1, v5
	s_xor_b64 s[42:43], s[4:5], -1
	s_mov_b64 s[4:5], s[74:75]
	s_and_saveexec_b64 s[40:41], s[42:43]
; %bb.127:
	v_cmp_gt_f32_e64 s[4:5], v4, v30
	s_and_b64 s[4:5], s[74:75], s[4:5]
	v_cndmask_b32_e64 v4, v30, v4, s[4:5]
	s_or_b64 s[4:5], s[74:75], exec
; %bb.128:
	s_or_b64 exec, exec, s[40:41]
	s_andn2_b64 s[40:41], s[74:75], exec
	s_and_b64 s[4:5], s[4:5], exec
	s_or_b64 s[74:75], s[40:41], s[4:5]
	s_or_b64 exec, exec, s[38:39]
	s_and_saveexec_b64 s[38:39], s[12:13]
	s_cbranch_execz .LBB741_78
.LBB741_129:
	global_load_ubyte v5, v[2:3], off offset:352
	s_waitcnt vmcnt(0)
	v_and_b32_e32 v5, 1, v5
	v_cmp_eq_u32_e64 s[4:5], 1, v5
	s_xor_b64 s[42:43], s[4:5], -1
	s_mov_b64 s[4:5], s[74:75]
	s_and_saveexec_b64 s[40:41], s[42:43]
; %bb.130:
	v_cmp_gt_f32_e64 s[4:5], v4, v29
	s_and_b64 s[4:5], s[74:75], s[4:5]
	v_cndmask_b32_e64 v4, v29, v4, s[4:5]
	s_or_b64 s[4:5], s[74:75], exec
; %bb.131:
	s_or_b64 exec, exec, s[40:41]
	s_andn2_b64 s[40:41], s[74:75], exec
	s_and_b64 s[4:5], s[4:5], exec
	s_or_b64 s[74:75], s[40:41], s[4:5]
	s_or_b64 exec, exec, s[38:39]
	s_and_saveexec_b64 s[38:39], s[10:11]
	s_cbranch_execz .LBB741_79
.LBB741_132:
	global_load_ubyte v5, v[2:3], off offset:384
	s_waitcnt vmcnt(0)
	v_and_b32_e32 v5, 1, v5
	v_cmp_eq_u32_e64 s[4:5], 1, v5
	s_xor_b64 s[42:43], s[4:5], -1
	s_mov_b64 s[4:5], s[74:75]
	s_and_saveexec_b64 s[40:41], s[42:43]
; %bb.133:
	v_cmp_gt_f32_e64 s[4:5], v4, v28
	s_and_b64 s[4:5], s[74:75], s[4:5]
	v_cndmask_b32_e64 v4, v28, v4, s[4:5]
	s_or_b64 s[4:5], s[74:75], exec
; %bb.134:
	s_or_b64 exec, exec, s[40:41]
	s_andn2_b64 s[40:41], s[74:75], exec
	s_and_b64 s[4:5], s[4:5], exec
	s_or_b64 s[74:75], s[40:41], s[4:5]
	s_or_b64 exec, exec, s[38:39]
	s_and_saveexec_b64 s[38:39], s[8:9]
	s_cbranch_execz .LBB741_80
.LBB741_135:
	global_load_ubyte v5, v[2:3], off offset:416
	s_waitcnt vmcnt(0)
	v_and_b32_e32 v5, 1, v5
	v_cmp_eq_u32_e64 s[4:5], 1, v5
	s_xor_b64 s[42:43], s[4:5], -1
	s_mov_b64 s[4:5], s[74:75]
	s_and_saveexec_b64 s[40:41], s[42:43]
; %bb.136:
	v_cmp_gt_f32_e64 s[4:5], v4, v27
	s_and_b64 s[4:5], s[74:75], s[4:5]
	v_cndmask_b32_e64 v4, v27, v4, s[4:5]
	s_or_b64 s[4:5], s[74:75], exec
; %bb.137:
	s_or_b64 exec, exec, s[40:41]
	s_andn2_b64 s[40:41], s[74:75], exec
	s_and_b64 s[4:5], s[4:5], exec
	s_or_b64 s[74:75], s[40:41], s[4:5]
	s_or_b64 exec, exec, s[38:39]
	s_and_saveexec_b64 s[38:39], s[68:69]
	s_cbranch_execz .LBB741_81
.LBB741_138:
	global_load_ubyte v5, v[2:3], off offset:448
	s_waitcnt vmcnt(0)
	v_and_b32_e32 v5, 1, v5
	v_cmp_eq_u32_e64 s[4:5], 1, v5
	s_xor_b64 s[42:43], s[4:5], -1
	s_mov_b64 s[4:5], s[74:75]
	s_and_saveexec_b64 s[40:41], s[42:43]
; %bb.139:
	v_cmp_gt_f32_e64 s[4:5], v4, v26
	s_and_b64 s[4:5], s[74:75], s[4:5]
	v_cndmask_b32_e64 v4, v26, v4, s[4:5]
	s_or_b64 s[4:5], s[74:75], exec
; %bb.140:
	s_or_b64 exec, exec, s[40:41]
	s_andn2_b64 s[40:41], s[74:75], exec
	s_and_b64 s[4:5], s[4:5], exec
	s_or_b64 s[74:75], s[40:41], s[4:5]
	s_or_b64 exec, exec, s[38:39]
	s_and_saveexec_b64 s[38:39], s[6:7]
	s_cbranch_execz .LBB741_82
.LBB741_141:
	global_load_ubyte v5, v[2:3], off offset:480
	s_waitcnt vmcnt(0)
	v_and_b32_e32 v5, 1, v5
	v_cmp_eq_u32_e64 s[4:5], 1, v5
	s_xor_b64 s[42:43], s[4:5], -1
	s_mov_b64 s[4:5], s[74:75]
	s_and_saveexec_b64 s[40:41], s[42:43]
; %bb.142:
	v_cmp_gt_f32_e64 s[4:5], v4, v25
	s_and_b64 s[4:5], s[74:75], s[4:5]
	v_cndmask_b32_e64 v4, v25, v4, s[4:5]
	s_or_b64 s[4:5], s[74:75], exec
; %bb.143:
	s_or_b64 exec, exec, s[40:41]
	s_andn2_b64 s[40:41], s[74:75], exec
	s_and_b64 s[4:5], s[4:5], exec
	s_or_b64 s[74:75], s[40:41], s[4:5]
	s_or_b64 exec, exec, s[38:39]
	s_and_saveexec_b64 s[38:39], s[66:67]
	s_cbranch_execz .LBB741_83
.LBB741_144:
	global_load_ubyte v5, v[2:3], off offset:512
	s_waitcnt vmcnt(0)
	v_and_b32_e32 v5, 1, v5
	v_cmp_eq_u32_e64 s[4:5], 1, v5
	s_xor_b64 s[42:43], s[4:5], -1
	s_mov_b64 s[4:5], s[74:75]
	s_and_saveexec_b64 s[40:41], s[42:43]
; %bb.145:
	v_cmp_gt_f32_e64 s[4:5], v4, v24
	s_and_b64 s[4:5], s[74:75], s[4:5]
	v_cndmask_b32_e64 v4, v24, v4, s[4:5]
	s_or_b64 s[4:5], s[74:75], exec
; %bb.146:
	s_or_b64 exec, exec, s[40:41]
	s_andn2_b64 s[40:41], s[74:75], exec
	s_and_b64 s[4:5], s[4:5], exec
	s_or_b64 s[74:75], s[40:41], s[4:5]
	s_or_b64 exec, exec, s[38:39]
	s_and_saveexec_b64 s[38:39], s[2:3]
	s_cbranch_execz .LBB741_84
.LBB741_147:
	global_load_ubyte v5, v[2:3], off offset:544
	s_waitcnt vmcnt(0)
	v_and_b32_e32 v5, 1, v5
	v_cmp_eq_u32_e64 s[4:5], 1, v5
	s_xor_b64 s[42:43], s[4:5], -1
	s_mov_b64 s[4:5], s[74:75]
	s_and_saveexec_b64 s[40:41], s[42:43]
; %bb.148:
	v_cmp_gt_f32_e64 s[4:5], v4, v23
	s_and_b64 s[4:5], s[74:75], s[4:5]
	v_cndmask_b32_e64 v4, v23, v4, s[4:5]
	s_or_b64 s[4:5], s[74:75], exec
; %bb.149:
	s_or_b64 exec, exec, s[40:41]
	s_andn2_b64 s[40:41], s[74:75], exec
	s_and_b64 s[4:5], s[4:5], exec
	s_or_b64 s[74:75], s[40:41], s[4:5]
	s_or_b64 exec, exec, s[38:39]
	s_and_saveexec_b64 s[38:39], s[0:1]
	s_cbranch_execz .LBB741_85
.LBB741_150:
	global_load_ubyte v5, v[2:3], off offset:576
	s_waitcnt vmcnt(0)
	v_and_b32_e32 v5, 1, v5
	v_cmp_eq_u32_e64 s[4:5], 1, v5
	s_xor_b64 s[42:43], s[4:5], -1
	s_mov_b64 s[4:5], s[74:75]
	s_and_saveexec_b64 s[40:41], s[42:43]
; %bb.151:
	v_cmp_gt_f32_e64 s[4:5], v4, v22
	s_and_b64 s[4:5], s[74:75], s[4:5]
	v_cndmask_b32_e64 v4, v22, v4, s[4:5]
	s_or_b64 s[4:5], s[74:75], exec
; %bb.152:
	s_or_b64 exec, exec, s[40:41]
	s_andn2_b64 s[40:41], s[74:75], exec
	s_and_b64 s[4:5], s[4:5], exec
	s_or_b64 s[74:75], s[40:41], s[4:5]
	s_or_b64 exec, exec, s[38:39]
	s_and_saveexec_b64 s[38:39], s[94:95]
	s_cbranch_execz .LBB741_86
.LBB741_153:
	global_load_ubyte v5, v[2:3], off offset:608
	s_waitcnt vmcnt(0)
	v_and_b32_e32 v5, 1, v5
	v_cmp_eq_u32_e64 s[4:5], 1, v5
	s_xor_b64 s[42:43], s[4:5], -1
	s_mov_b64 s[4:5], s[74:75]
	s_and_saveexec_b64 s[40:41], s[42:43]
; %bb.154:
	v_cmp_gt_f32_e64 s[4:5], v4, v21
	s_and_b64 s[4:5], s[74:75], s[4:5]
	v_cndmask_b32_e64 v4, v21, v4, s[4:5]
	s_or_b64 s[4:5], s[74:75], exec
; %bb.155:
	s_or_b64 exec, exec, s[40:41]
	s_andn2_b64 s[40:41], s[74:75], exec
	s_and_b64 s[4:5], s[4:5], exec
	s_or_b64 s[74:75], s[40:41], s[4:5]
	s_or_b64 exec, exec, s[38:39]
	s_and_saveexec_b64 s[38:39], s[92:93]
	s_cbranch_execz .LBB741_87
.LBB741_156:
	global_load_ubyte v5, v[2:3], off offset:640
	s_waitcnt vmcnt(0)
	v_and_b32_e32 v5, 1, v5
	v_cmp_eq_u32_e64 s[4:5], 1, v5
	s_xor_b64 s[42:43], s[4:5], -1
	s_mov_b64 s[4:5], s[74:75]
	s_and_saveexec_b64 s[40:41], s[42:43]
; %bb.157:
	v_cmp_gt_f32_e64 s[4:5], v4, v20
	s_and_b64 s[4:5], s[74:75], s[4:5]
	v_cndmask_b32_e64 v4, v20, v4, s[4:5]
	s_or_b64 s[4:5], s[74:75], exec
; %bb.158:
	s_or_b64 exec, exec, s[40:41]
	s_andn2_b64 s[40:41], s[74:75], exec
	s_and_b64 s[4:5], s[4:5], exec
	s_or_b64 s[74:75], s[40:41], s[4:5]
	s_or_b64 exec, exec, s[38:39]
	s_and_saveexec_b64 s[38:39], s[90:91]
	s_cbranch_execz .LBB741_88
.LBB741_159:
	global_load_ubyte v5, v[2:3], off offset:672
	s_waitcnt vmcnt(0)
	v_and_b32_e32 v5, 1, v5
	v_cmp_eq_u32_e64 s[4:5], 1, v5
	s_xor_b64 s[42:43], s[4:5], -1
	s_mov_b64 s[4:5], s[74:75]
	s_and_saveexec_b64 s[40:41], s[42:43]
; %bb.160:
	v_cmp_gt_f32_e64 s[4:5], v4, v19
	s_and_b64 s[4:5], s[74:75], s[4:5]
	v_cndmask_b32_e64 v4, v19, v4, s[4:5]
	s_or_b64 s[4:5], s[74:75], exec
; %bb.161:
	s_or_b64 exec, exec, s[40:41]
	s_andn2_b64 s[40:41], s[74:75], exec
	s_and_b64 s[4:5], s[4:5], exec
	s_or_b64 s[74:75], s[40:41], s[4:5]
	s_or_b64 exec, exec, s[38:39]
	s_and_saveexec_b64 s[38:39], s[88:89]
	s_cbranch_execz .LBB741_89
.LBB741_162:
	global_load_ubyte v5, v[2:3], off offset:704
	s_waitcnt vmcnt(0)
	v_and_b32_e32 v5, 1, v5
	v_cmp_eq_u32_e64 s[4:5], 1, v5
	s_xor_b64 s[42:43], s[4:5], -1
	s_mov_b64 s[4:5], s[74:75]
	s_and_saveexec_b64 s[40:41], s[42:43]
; %bb.163:
	v_cmp_gt_f32_e64 s[4:5], v4, v18
	s_and_b64 s[4:5], s[74:75], s[4:5]
	v_cndmask_b32_e64 v4, v18, v4, s[4:5]
	s_or_b64 s[4:5], s[74:75], exec
; %bb.164:
	s_or_b64 exec, exec, s[40:41]
	s_andn2_b64 s[40:41], s[74:75], exec
	s_and_b64 s[4:5], s[4:5], exec
	s_or_b64 s[74:75], s[40:41], s[4:5]
	s_or_b64 exec, exec, s[38:39]
	s_and_saveexec_b64 s[38:39], s[86:87]
	s_cbranch_execz .LBB741_90
.LBB741_165:
	global_load_ubyte v5, v[2:3], off offset:736
	s_waitcnt vmcnt(0)
	v_and_b32_e32 v5, 1, v5
	v_cmp_eq_u32_e64 s[4:5], 1, v5
	s_xor_b64 s[42:43], s[4:5], -1
	s_mov_b64 s[4:5], s[74:75]
	s_and_saveexec_b64 s[40:41], s[42:43]
; %bb.166:
	v_cmp_gt_f32_e64 s[4:5], v4, v17
	s_and_b64 s[4:5], s[74:75], s[4:5]
	v_cndmask_b32_e64 v4, v17, v4, s[4:5]
	s_or_b64 s[4:5], s[74:75], exec
; %bb.167:
	s_or_b64 exec, exec, s[40:41]
	s_andn2_b64 s[40:41], s[74:75], exec
	s_and_b64 s[4:5], s[4:5], exec
	s_or_b64 s[74:75], s[40:41], s[4:5]
	s_or_b64 exec, exec, s[38:39]
	s_and_saveexec_b64 s[38:39], s[84:85]
	s_cbranch_execz .LBB741_91
.LBB741_168:
	global_load_ubyte v5, v[2:3], off offset:768
	s_waitcnt vmcnt(0)
	v_and_b32_e32 v5, 1, v5
	v_cmp_eq_u32_e64 s[4:5], 1, v5
	s_xor_b64 s[42:43], s[4:5], -1
	s_mov_b64 s[4:5], s[74:75]
	s_and_saveexec_b64 s[40:41], s[42:43]
; %bb.169:
	v_cmp_gt_f32_e64 s[4:5], v4, v16
	s_and_b64 s[4:5], s[74:75], s[4:5]
	v_cndmask_b32_e64 v4, v16, v4, s[4:5]
	s_or_b64 s[4:5], s[74:75], exec
; %bb.170:
	s_or_b64 exec, exec, s[40:41]
	s_andn2_b64 s[40:41], s[74:75], exec
	s_and_b64 s[4:5], s[4:5], exec
	s_or_b64 s[74:75], s[40:41], s[4:5]
	s_or_b64 exec, exec, s[38:39]
	s_and_saveexec_b64 s[38:39], s[82:83]
	s_cbranch_execz .LBB741_92
.LBB741_171:
	global_load_ubyte v5, v[2:3], off offset:800
	s_waitcnt vmcnt(0)
	v_and_b32_e32 v5, 1, v5
	v_cmp_eq_u32_e64 s[4:5], 1, v5
	s_xor_b64 s[42:43], s[4:5], -1
	s_mov_b64 s[4:5], s[74:75]
	s_and_saveexec_b64 s[40:41], s[42:43]
; %bb.172:
	v_cmp_gt_f32_e64 s[4:5], v4, v15
	s_and_b64 s[4:5], s[74:75], s[4:5]
	v_cndmask_b32_e64 v4, v15, v4, s[4:5]
	s_or_b64 s[4:5], s[74:75], exec
; %bb.173:
	s_or_b64 exec, exec, s[40:41]
	s_andn2_b64 s[40:41], s[74:75], exec
	s_and_b64 s[4:5], s[4:5], exec
	s_or_b64 s[74:75], s[40:41], s[4:5]
	s_or_b64 exec, exec, s[38:39]
	s_and_saveexec_b64 s[38:39], s[80:81]
	s_cbranch_execz .LBB741_93
.LBB741_174:
	global_load_ubyte v5, v[2:3], off offset:832
	s_waitcnt vmcnt(0)
	v_and_b32_e32 v5, 1, v5
	v_cmp_eq_u32_e64 s[4:5], 1, v5
	s_xor_b64 s[42:43], s[4:5], -1
	s_mov_b64 s[4:5], s[74:75]
	s_and_saveexec_b64 s[40:41], s[42:43]
; %bb.175:
	v_cmp_gt_f32_e64 s[4:5], v4, v14
	s_and_b64 s[4:5], s[74:75], s[4:5]
	v_cndmask_b32_e64 v4, v14, v4, s[4:5]
	s_or_b64 s[4:5], s[74:75], exec
; %bb.176:
	s_or_b64 exec, exec, s[40:41]
	s_andn2_b64 s[40:41], s[74:75], exec
	s_and_b64 s[4:5], s[4:5], exec
	s_or_b64 s[74:75], s[40:41], s[4:5]
	s_or_b64 exec, exec, s[38:39]
	s_and_saveexec_b64 s[38:39], s[78:79]
	s_cbranch_execz .LBB741_94
.LBB741_177:
	global_load_ubyte v5, v[2:3], off offset:864
	s_waitcnt vmcnt(0)
	v_and_b32_e32 v5, 1, v5
	v_cmp_eq_u32_e64 s[4:5], 1, v5
	s_xor_b64 s[42:43], s[4:5], -1
	s_mov_b64 s[4:5], s[74:75]
	s_and_saveexec_b64 s[40:41], s[42:43]
; %bb.178:
	v_cmp_gt_f32_e64 s[4:5], v4, v13
	s_and_b64 s[4:5], s[74:75], s[4:5]
	v_cndmask_b32_e64 v4, v13, v4, s[4:5]
	s_or_b64 s[4:5], s[74:75], exec
; %bb.179:
	s_or_b64 exec, exec, s[40:41]
	s_andn2_b64 s[40:41], s[74:75], exec
	s_and_b64 s[4:5], s[4:5], exec
	s_or_b64 s[74:75], s[40:41], s[4:5]
	s_or_b64 exec, exec, s[38:39]
	s_and_saveexec_b64 s[38:39], s[76:77]
	s_cbranch_execz .LBB741_95
.LBB741_180:
	global_load_ubyte v5, v[2:3], off offset:896
	s_waitcnt vmcnt(0)
	v_and_b32_e32 v5, 1, v5
	v_cmp_eq_u32_e64 s[4:5], 1, v5
	s_xor_b64 s[42:43], s[4:5], -1
	s_mov_b64 s[4:5], s[74:75]
	s_and_saveexec_b64 s[40:41], s[42:43]
; %bb.181:
	v_cmp_gt_f32_e64 s[4:5], v4, v12
	s_and_b64 s[4:5], s[74:75], s[4:5]
	v_cndmask_b32_e64 v4, v12, v4, s[4:5]
	s_or_b64 s[4:5], s[74:75], exec
; %bb.182:
	s_or_b64 exec, exec, s[40:41]
	s_andn2_b64 s[40:41], s[74:75], exec
	s_and_b64 s[4:5], s[4:5], exec
	s_or_b64 s[74:75], s[40:41], s[4:5]
	s_or_b64 exec, exec, s[38:39]
	s_and_saveexec_b64 s[38:39], s[72:73]
	s_cbranch_execz .LBB741_96
.LBB741_183:
	global_load_ubyte v5, v[2:3], off offset:928
	s_waitcnt vmcnt(0)
	v_and_b32_e32 v5, 1, v5
	v_cmp_eq_u32_e64 s[4:5], 1, v5
	s_xor_b64 s[42:43], s[4:5], -1
	s_mov_b64 s[4:5], s[74:75]
	s_and_saveexec_b64 s[40:41], s[42:43]
; %bb.184:
	v_cmp_gt_f32_e64 s[4:5], v4, v11
	s_and_b64 s[4:5], s[74:75], s[4:5]
	v_cndmask_b32_e64 v4, v11, v4, s[4:5]
	s_or_b64 s[4:5], s[74:75], exec
; %bb.185:
	s_or_b64 exec, exec, s[40:41]
	s_andn2_b64 s[40:41], s[74:75], exec
	s_and_b64 s[4:5], s[4:5], exec
	s_or_b64 s[74:75], s[40:41], s[4:5]
	s_or_b64 exec, exec, s[38:39]
	s_and_saveexec_b64 s[38:39], s[70:71]
	s_cbranch_execz .LBB741_97
.LBB741_186:
	global_load_ubyte v5, v[2:3], off offset:960
	s_waitcnt vmcnt(0)
	v_and_b32_e32 v5, 1, v5
	v_cmp_eq_u32_e64 s[4:5], 1, v5
	s_xor_b64 s[42:43], s[4:5], -1
	s_mov_b64 s[4:5], s[74:75]
	s_and_saveexec_b64 s[40:41], s[42:43]
; %bb.187:
	v_cmp_gt_f32_e64 s[4:5], v4, v10
	s_and_b64 s[4:5], s[74:75], s[4:5]
	v_cndmask_b32_e64 v4, v10, v4, s[4:5]
	s_or_b64 s[4:5], s[74:75], exec
; %bb.188:
	s_or_b64 exec, exec, s[40:41]
	s_andn2_b64 s[40:41], s[74:75], exec
	s_and_b64 s[4:5], s[4:5], exec
	s_or_b64 s[74:75], s[40:41], s[4:5]
	s_or_b64 exec, exec, s[38:39]
	s_and_saveexec_b64 s[38:39], s[64:65]
	s_cbranch_execz .LBB741_192
.LBB741_189:
	global_load_ubyte v5, v[2:3], off offset:992
	s_waitcnt vmcnt(0)
	v_and_b32_e32 v5, 1, v5
	v_cmp_eq_u32_e64 s[4:5], 1, v5
	s_xor_b64 s[42:43], s[4:5], -1
	s_mov_b64 s[4:5], s[74:75]
	s_and_saveexec_b64 s[40:41], s[42:43]
; %bb.190:
	v_cmp_gt_f32_e64 s[4:5], v4, v9
	s_and_b64 s[4:5], s[74:75], s[4:5]
	v_cndmask_b32_e64 v4, v9, v4, s[4:5]
	s_or_b64 s[4:5], s[74:75], exec
; %bb.191:
	s_or_b64 exec, exec, s[40:41]
	s_andn2_b64 s[40:41], s[74:75], exec
	s_and_b64 s[4:5], s[4:5], exec
	s_or_b64 s[74:75], s[40:41], s[4:5]
.LBB741_192:
	s_or_b64 exec, exec, s[38:39]
	v_mov_b32_e32 v5, 0xff800000
	v_cndmask_b32_e64 v4, v5, v4, s[74:75]
	v_mbcnt_lo_u32_b32 v5, -1, 0
	v_mbcnt_hi_u32_b32 v6, -1, v5
	v_and_b32_e32 v5, 0x60, v6
	v_add_u32_e32 v43, 32, v5
	v_xor_b32_e32 v5, 16, v6
	v_cmp_lt_i32_e64 s[4:5], v5, v43
	v_cndmask_b32_e64 v5, v6, v5, s[4:5]
	v_lshlrev_b32_e32 v5, 2, v5
	ds_bpermute_b32 v7, v5, v4
	v_xor_b32_e32 v41, 8, v6
	v_xor_b32_e32 v42, 4, v6
	;; [unrolled: 1-line block ×4, first 2 shown]
	s_waitcnt lgkmcnt(0)
	v_cmp_lt_f32_e64 s[4:5], v4, v7
	v_cndmask_b32_e64 v4, v4, v7, s[4:5]
	v_cmp_lt_i32_e64 s[4:5], v41, v43
	v_cndmask_b32_e64 v7, v6, v41, s[4:5]
	v_lshlrev_b32_e32 v7, 2, v7
	ds_bpermute_b32 v41, v7, v4
	s_waitcnt lgkmcnt(0)
	v_cmp_lt_f32_e64 s[4:5], v4, v41
	v_cndmask_b32_e64 v4, v4, v41, s[4:5]
	v_cmp_lt_i32_e64 s[4:5], v42, v43
	v_cndmask_b32_e64 v41, v6, v42, s[4:5]
	v_lshlrev_b32_e32 v41, 2, v41
	ds_bpermute_b32 v42, v41, v4
	;; [unrolled: 7-line block ×4, first 2 shown]
	v_mov_b32_e32 v4, 0
	v_mov_b32_e32 v43, 0
	s_waitcnt lgkmcnt(0)
	v_cmp_lt_f32_e64 s[4:5], v46, v6
	v_cndmask_b32_e64 v45, v46, v6, s[4:5]
	s_and_saveexec_b64 s[74:75], s[36:37]
	s_cbranch_execz .LBB741_196
; %bb.193:
	global_load_ubyte v6, v[2:3], off
	v_mov_b32_e32 v43, 0
	s_waitcnt vmcnt(0)
	v_and_b32_e32 v6, 1, v6
	v_cmp_eq_u32_e64 s[4:5], 1, v6
	s_xor_b64 s[4:5], s[4:5], -1
	s_and_saveexec_b64 s[36:37], s[4:5]
	s_cbranch_execz .LBB741_195
; %bb.194:
	v_sub_f32_e32 v6, v40, v45
	s_mov_b32 s4, 0x3fb8aa3b
	v_mul_f32_e32 v40, 0x3fb8aa3b, v6
	v_fma_f32 v43, v6, s4, -v40
	v_rndne_f32_e32 v46, v40
	v_fmac_f32_e32 v43, 0x32a5705f, v6
	v_sub_f32_e32 v40, v40, v46
	v_add_f32_e32 v40, v40, v43
	v_exp_f32_e32 v40, v40
	v_cvt_i32_f32_e32 v43, v46
	s_mov_b32 s4, 0xc2ce8ed0
	v_cmp_ngt_f32_e64 s[4:5], s4, v6
	v_ldexp_f32 v40, v40, v43
	v_cndmask_b32_e64 v40, 0, v40, s[4:5]
	s_mov_b32 s4, 0x42b17218
	v_mov_b32_e32 v43, 0x7f800000
	v_cmp_nlt_f32_e64 s[4:5], s4, v6
	v_cndmask_b32_e64 v43, v43, v40, s[4:5]
.LBB741_195:
	s_or_b64 exec, exec, s[36:37]
.LBB741_196:
	s_or_b64 exec, exec, s[74:75]
	v_mov_b32_e32 v40, v43
	s_and_saveexec_b64 s[36:37], s[34:35]
	s_cbranch_execz .LBB741_200
; %bb.197:
	global_load_ubyte v6, v[2:3], off offset:32
	v_mov_b32_e32 v4, 0
	v_mov_b32_e32 v40, v43
	s_waitcnt vmcnt(0)
	v_and_b32_e32 v6, 1, v6
	v_cmp_eq_u32_e64 s[4:5], 1, v6
	s_xor_b64 s[4:5], s[4:5], -1
	s_and_saveexec_b64 s[34:35], s[4:5]
	s_cbranch_execz .LBB741_199
; %bb.198:
	v_sub_f32_e32 v4, v39, v45
	s_mov_b32 s4, 0x3fb8aa3b
	v_mul_f32_e32 v6, 0x3fb8aa3b, v4
	v_fma_f32 v39, v4, s4, -v6
	v_rndne_f32_e32 v40, v6
	v_fmac_f32_e32 v39, 0x32a5705f, v4
	v_sub_f32_e32 v6, v6, v40
	v_add_f32_e32 v6, v6, v39
	v_exp_f32_e32 v6, v6
	v_cvt_i32_f32_e32 v39, v40
	s_mov_b32 s4, 0xc2ce8ed0
	v_cmp_ngt_f32_e64 s[4:5], s4, v4
	v_ldexp_f32 v6, v6, v39
	v_cndmask_b32_e64 v6, 0, v6, s[4:5]
	s_mov_b32 s4, 0x42b17218
	v_mov_b32_e32 v39, 0x7f800000
	v_cmp_nlt_f32_e64 s[4:5], s4, v4
	v_cndmask_b32_e64 v4, v39, v6, s[4:5]
	v_add_f32_e32 v40, v43, v4
.LBB741_199:
	s_or_b64 exec, exec, s[34:35]
.LBB741_200:
	s_or_b64 exec, exec, s[36:37]
	v_mov_b32_e32 v6, 0
	v_mov_b32_e32 v39, 0
	s_and_saveexec_b64 s[34:35], s[30:31]
	s_cbranch_execz .LBB741_204
; %bb.201:
	global_load_ubyte v39, v[2:3], off offset:64
	s_waitcnt vmcnt(0)
	v_and_b32_e32 v39, 1, v39
	v_cmp_eq_u32_e64 s[4:5], 1, v39
	s_xor_b64 s[4:5], s[4:5], -1
	v_mov_b32_e32 v39, 0
	s_and_saveexec_b64 s[30:31], s[4:5]
	s_cbranch_execz .LBB741_203
; %bb.202:
	v_sub_f32_e32 v38, v38, v45
	s_mov_b32 s4, 0x3fb8aa3b
	v_mul_f32_e32 v39, 0x3fb8aa3b, v38
	v_fma_f32 v46, v38, s4, -v39
	v_rndne_f32_e32 v47, v39
	v_fmac_f32_e32 v46, 0x32a5705f, v38
	v_sub_f32_e32 v39, v39, v47
	v_add_f32_e32 v39, v39, v46
	v_exp_f32_e32 v39, v39
	v_cvt_i32_f32_e32 v46, v47
	s_mov_b32 s4, 0xc2ce8ed0
	v_cmp_ngt_f32_e64 s[4:5], s4, v38
	v_ldexp_f32 v39, v39, v46
	v_cndmask_b32_e64 v39, 0, v39, s[4:5]
	s_mov_b32 s4, 0x42b17218
	v_mov_b32_e32 v46, 0x7f800000
	v_cmp_nlt_f32_e64 s[4:5], s4, v38
	v_cndmask_b32_e64 v39, v46, v39, s[4:5]
	v_add_f32_e32 v40, v40, v39
.LBB741_203:
	s_or_b64 exec, exec, s[30:31]
.LBB741_204:
	s_or_b64 exec, exec, s[34:35]
	s_and_saveexec_b64 s[30:31], s[28:29]
	s_cbranch_execz .LBB741_208
; %bb.205:
	global_load_ubyte v6, v[2:3], off offset:96
	s_waitcnt vmcnt(0)
	v_and_b32_e32 v6, 1, v6
	v_cmp_eq_u32_e64 s[4:5], 1, v6
	s_xor_b64 s[4:5], s[4:5], -1
	v_mov_b32_e32 v6, 0
	s_and_saveexec_b64 s[28:29], s[4:5]
	s_cbranch_execz .LBB741_207
; %bb.206:
	v_sub_f32_e32 v6, v37, v45
	s_mov_b32 s4, 0x3fb8aa3b
	v_mul_f32_e32 v37, 0x3fb8aa3b, v6
	v_fma_f32 v38, v6, s4, -v37
	v_rndne_f32_e32 v46, v37
	v_fmac_f32_e32 v38, 0x32a5705f, v6
	v_sub_f32_e32 v37, v37, v46
	v_add_f32_e32 v37, v37, v38
	v_exp_f32_e32 v37, v37
	v_cvt_i32_f32_e32 v38, v46
	s_mov_b32 s4, 0xc2ce8ed0
	v_cmp_ngt_f32_e64 s[4:5], s4, v6
	v_ldexp_f32 v37, v37, v38
	v_cndmask_b32_e64 v37, 0, v37, s[4:5]
	s_mov_b32 s4, 0x42b17218
	v_mov_b32_e32 v38, 0x7f800000
	v_cmp_nlt_f32_e64 s[4:5], s4, v6
	v_cndmask_b32_e64 v6, v38, v37, s[4:5]
	v_add_f32_e32 v40, v40, v6
.LBB741_207:
	s_or_b64 exec, exec, s[28:29]
.LBB741_208:
	s_or_b64 exec, exec, s[30:31]
	v_mov_b32_e32 v37, 0
	v_mov_b32_e32 v38, 0
	s_and_saveexec_b64 s[28:29], s[26:27]
	s_cbranch_execz .LBB741_212
; %bb.209:
	global_load_ubyte v38, v[2:3], off offset:128
	s_waitcnt vmcnt(0)
	v_and_b32_e32 v38, 1, v38
	v_cmp_eq_u32_e64 s[4:5], 1, v38
	s_xor_b64 s[4:5], s[4:5], -1
	v_mov_b32_e32 v38, 0
	s_and_saveexec_b64 s[26:27], s[4:5]
	s_cbranch_execz .LBB741_211
; %bb.210:
	v_sub_f32_e32 v36, v36, v45
	s_mov_b32 s4, 0x3fb8aa3b
	v_mul_f32_e32 v38, 0x3fb8aa3b, v36
	v_fma_f32 v46, v36, s4, -v38
	v_rndne_f32_e32 v47, v38
	v_fmac_f32_e32 v46, 0x32a5705f, v36
	v_sub_f32_e32 v38, v38, v47
	v_add_f32_e32 v38, v38, v46
	v_exp_f32_e32 v38, v38
	v_cvt_i32_f32_e32 v46, v47
	s_mov_b32 s4, 0xc2ce8ed0
	v_cmp_ngt_f32_e64 s[4:5], s4, v36
	v_ldexp_f32 v38, v38, v46
	v_cndmask_b32_e64 v38, 0, v38, s[4:5]
	s_mov_b32 s4, 0x42b17218
	v_mov_b32_e32 v46, 0x7f800000
	v_cmp_nlt_f32_e64 s[4:5], s4, v36
	v_cndmask_b32_e64 v38, v46, v38, s[4:5]
	v_add_f32_e32 v40, v40, v38
.LBB741_211:
	s_or_b64 exec, exec, s[26:27]
.LBB741_212:
	s_or_b64 exec, exec, s[28:29]
	s_and_saveexec_b64 s[26:27], s[24:25]
	s_cbranch_execz .LBB741_216
; %bb.213:
	global_load_ubyte v36, v[2:3], off offset:160
	v_mov_b32_e32 v37, 0
	s_waitcnt vmcnt(0)
	v_and_b32_e32 v36, 1, v36
	v_cmp_eq_u32_e64 s[4:5], 1, v36
	s_xor_b64 s[4:5], s[4:5], -1
	s_and_saveexec_b64 s[24:25], s[4:5]
	s_cbranch_execz .LBB741_215
; %bb.214:
	v_sub_f32_e32 v35, v35, v45
	s_mov_b32 s4, 0x3fb8aa3b
	v_mul_f32_e32 v36, 0x3fb8aa3b, v35
	v_fma_f32 v37, v35, s4, -v36
	v_rndne_f32_e32 v46, v36
	v_fmac_f32_e32 v37, 0x32a5705f, v35
	v_sub_f32_e32 v36, v36, v46
	v_add_f32_e32 v36, v36, v37
	v_exp_f32_e32 v36, v36
	v_cvt_i32_f32_e32 v37, v46
	s_mov_b32 s4, 0xc2ce8ed0
	v_cmp_ngt_f32_e64 s[4:5], s4, v35
	v_ldexp_f32 v36, v36, v37
	v_cndmask_b32_e64 v36, 0, v36, s[4:5]
	s_mov_b32 s4, 0x42b17218
	v_mov_b32_e32 v37, 0x7f800000
	v_cmp_nlt_f32_e64 s[4:5], s4, v35
	v_cndmask_b32_e64 v37, v37, v36, s[4:5]
	v_add_f32_e32 v40, v40, v37
.LBB741_215:
	s_or_b64 exec, exec, s[24:25]
.LBB741_216:
	s_or_b64 exec, exec, s[26:27]
	v_mov_b32_e32 v35, 0
	v_mov_b32_e32 v36, 0
	s_and_saveexec_b64 s[24:25], s[22:23]
	s_cbranch_execz .LBB741_220
; %bb.217:
	global_load_ubyte v36, v[2:3], off offset:192
	s_waitcnt vmcnt(0)
	v_and_b32_e32 v36, 1, v36
	v_cmp_eq_u32_e64 s[4:5], 1, v36
	s_xor_b64 s[4:5], s[4:5], -1
	v_mov_b32_e32 v36, 0
	s_and_saveexec_b64 s[22:23], s[4:5]
	s_cbranch_execz .LBB741_219
; %bb.218:
	v_sub_f32_e32 v34, v34, v45
	s_mov_b32 s4, 0x3fb8aa3b
	v_mul_f32_e32 v36, 0x3fb8aa3b, v34
	v_fma_f32 v46, v34, s4, -v36
	v_rndne_f32_e32 v47, v36
	v_fmac_f32_e32 v46, 0x32a5705f, v34
	v_sub_f32_e32 v36, v36, v47
	v_add_f32_e32 v36, v36, v46
	v_exp_f32_e32 v36, v36
	v_cvt_i32_f32_e32 v46, v47
	s_mov_b32 s4, 0xc2ce8ed0
	v_cmp_ngt_f32_e64 s[4:5], s4, v34
	v_ldexp_f32 v36, v36, v46
	v_cndmask_b32_e64 v36, 0, v36, s[4:5]
	s_mov_b32 s4, 0x42b17218
	v_mov_b32_e32 v46, 0x7f800000
	v_cmp_nlt_f32_e64 s[4:5], s4, v34
	v_cndmask_b32_e64 v36, v46, v36, s[4:5]
	v_add_f32_e32 v40, v40, v36
.LBB741_219:
	s_or_b64 exec, exec, s[22:23]
.LBB741_220:
	s_or_b64 exec, exec, s[24:25]
	s_and_saveexec_b64 s[22:23], s[20:21]
	s_cbranch_execz .LBB741_224
; %bb.221:
	global_load_ubyte v34, v[2:3], off offset:224
	v_mov_b32_e32 v35, 0
	s_waitcnt vmcnt(0)
	v_and_b32_e32 v34, 1, v34
	v_cmp_eq_u32_e64 s[4:5], 1, v34
	s_xor_b64 s[4:5], s[4:5], -1
	s_and_saveexec_b64 s[20:21], s[4:5]
	s_cbranch_execz .LBB741_223
; %bb.222:
	v_sub_f32_e32 v33, v33, v45
	s_mov_b32 s4, 0x3fb8aa3b
	v_mul_f32_e32 v34, 0x3fb8aa3b, v33
	v_fma_f32 v35, v33, s4, -v34
	v_rndne_f32_e32 v46, v34
	v_fmac_f32_e32 v35, 0x32a5705f, v33
	v_sub_f32_e32 v34, v34, v46
	v_add_f32_e32 v34, v34, v35
	v_exp_f32_e32 v34, v34
	v_cvt_i32_f32_e32 v35, v46
	s_mov_b32 s4, 0xc2ce8ed0
	v_cmp_ngt_f32_e64 s[4:5], s4, v33
	v_ldexp_f32 v34, v34, v35
	v_cndmask_b32_e64 v34, 0, v34, s[4:5]
	s_mov_b32 s4, 0x42b17218
	v_mov_b32_e32 v35, 0x7f800000
	v_cmp_nlt_f32_e64 s[4:5], s4, v33
	v_cndmask_b32_e64 v35, v35, v34, s[4:5]
	v_add_f32_e32 v40, v40, v35
.LBB741_223:
	s_or_b64 exec, exec, s[20:21]
.LBB741_224:
	s_or_b64 exec, exec, s[22:23]
	v_mov_b32_e32 v33, 0
	v_mov_b32_e32 v34, 0
	s_and_saveexec_b64 s[20:21], s[18:19]
	s_cbranch_execz .LBB741_228
; %bb.225:
	global_load_ubyte v34, v[2:3], off offset:256
	s_waitcnt vmcnt(0)
	v_and_b32_e32 v34, 1, v34
	v_cmp_eq_u32_e64 s[4:5], 1, v34
	s_xor_b64 s[4:5], s[4:5], -1
	v_mov_b32_e32 v34, 0
	s_and_saveexec_b64 s[18:19], s[4:5]
	s_cbranch_execz .LBB741_227
; %bb.226:
	v_sub_f32_e32 v32, v32, v45
	s_mov_b32 s4, 0x3fb8aa3b
	v_mul_f32_e32 v34, 0x3fb8aa3b, v32
	v_fma_f32 v46, v32, s4, -v34
	v_rndne_f32_e32 v47, v34
	v_fmac_f32_e32 v46, 0x32a5705f, v32
	v_sub_f32_e32 v34, v34, v47
	v_add_f32_e32 v34, v34, v46
	v_exp_f32_e32 v34, v34
	v_cvt_i32_f32_e32 v46, v47
	s_mov_b32 s4, 0xc2ce8ed0
	v_cmp_ngt_f32_e64 s[4:5], s4, v32
	v_ldexp_f32 v34, v34, v46
	v_cndmask_b32_e64 v34, 0, v34, s[4:5]
	s_mov_b32 s4, 0x42b17218
	v_mov_b32_e32 v46, 0x7f800000
	v_cmp_nlt_f32_e64 s[4:5], s4, v32
	v_cndmask_b32_e64 v34, v46, v34, s[4:5]
	v_add_f32_e32 v40, v40, v34
.LBB741_227:
	s_or_b64 exec, exec, s[18:19]
.LBB741_228:
	s_or_b64 exec, exec, s[20:21]
	s_and_saveexec_b64 s[18:19], s[16:17]
	s_cbranch_execz .LBB741_232
; %bb.229:
	global_load_ubyte v32, v[2:3], off offset:288
	v_mov_b32_e32 v33, 0
	s_waitcnt vmcnt(0)
	v_and_b32_e32 v32, 1, v32
	v_cmp_eq_u32_e64 s[4:5], 1, v32
	s_xor_b64 s[4:5], s[4:5], -1
	s_and_saveexec_b64 s[16:17], s[4:5]
	s_cbranch_execz .LBB741_231
; %bb.230:
	v_sub_f32_e32 v31, v31, v45
	s_mov_b32 s4, 0x3fb8aa3b
	v_mul_f32_e32 v32, 0x3fb8aa3b, v31
	v_fma_f32 v33, v31, s4, -v32
	v_rndne_f32_e32 v46, v32
	v_fmac_f32_e32 v33, 0x32a5705f, v31
	v_sub_f32_e32 v32, v32, v46
	v_add_f32_e32 v32, v32, v33
	v_exp_f32_e32 v32, v32
	v_cvt_i32_f32_e32 v33, v46
	s_mov_b32 s4, 0xc2ce8ed0
	v_cmp_ngt_f32_e64 s[4:5], s4, v31
	v_ldexp_f32 v32, v32, v33
	v_cndmask_b32_e64 v32, 0, v32, s[4:5]
	s_mov_b32 s4, 0x42b17218
	v_mov_b32_e32 v33, 0x7f800000
	v_cmp_nlt_f32_e64 s[4:5], s4, v31
	v_cndmask_b32_e64 v33, v33, v32, s[4:5]
	v_add_f32_e32 v40, v40, v33
.LBB741_231:
	s_or_b64 exec, exec, s[16:17]
.LBB741_232:
	s_or_b64 exec, exec, s[18:19]
	v_mov_b32_e32 v31, 0
	v_mov_b32_e32 v32, 0
	s_and_saveexec_b64 s[16:17], s[14:15]
	s_cbranch_execz .LBB741_236
; %bb.233:
	global_load_ubyte v32, v[2:3], off offset:320
	s_waitcnt vmcnt(0)
	v_and_b32_e32 v32, 1, v32
	v_cmp_eq_u32_e64 s[4:5], 1, v32
	s_xor_b64 s[4:5], s[4:5], -1
	v_mov_b32_e32 v32, 0
	s_and_saveexec_b64 s[14:15], s[4:5]
	s_cbranch_execz .LBB741_235
; %bb.234:
	v_sub_f32_e32 v30, v30, v45
	s_mov_b32 s4, 0x3fb8aa3b
	v_mul_f32_e32 v32, 0x3fb8aa3b, v30
	v_fma_f32 v46, v30, s4, -v32
	v_rndne_f32_e32 v47, v32
	v_fmac_f32_e32 v46, 0x32a5705f, v30
	v_sub_f32_e32 v32, v32, v47
	v_add_f32_e32 v32, v32, v46
	v_exp_f32_e32 v32, v32
	v_cvt_i32_f32_e32 v46, v47
	s_mov_b32 s4, 0xc2ce8ed0
	v_cmp_ngt_f32_e64 s[4:5], s4, v30
	v_ldexp_f32 v32, v32, v46
	v_cndmask_b32_e64 v32, 0, v32, s[4:5]
	s_mov_b32 s4, 0x42b17218
	v_mov_b32_e32 v46, 0x7f800000
	v_cmp_nlt_f32_e64 s[4:5], s4, v30
	v_cndmask_b32_e64 v32, v46, v32, s[4:5]
	v_add_f32_e32 v40, v40, v32
.LBB741_235:
	s_or_b64 exec, exec, s[14:15]
.LBB741_236:
	s_or_b64 exec, exec, s[16:17]
	s_and_saveexec_b64 s[14:15], s[12:13]
	s_cbranch_execz .LBB741_240
; %bb.237:
	global_load_ubyte v30, v[2:3], off offset:352
	v_mov_b32_e32 v31, 0
	s_waitcnt vmcnt(0)
	v_and_b32_e32 v30, 1, v30
	v_cmp_eq_u32_e64 s[4:5], 1, v30
	s_xor_b64 s[4:5], s[4:5], -1
	s_and_saveexec_b64 s[12:13], s[4:5]
	s_cbranch_execz .LBB741_239
; %bb.238:
	v_sub_f32_e32 v29, v29, v45
	s_mov_b32 s4, 0x3fb8aa3b
	v_mul_f32_e32 v30, 0x3fb8aa3b, v29
	v_fma_f32 v31, v29, s4, -v30
	v_rndne_f32_e32 v46, v30
	v_fmac_f32_e32 v31, 0x32a5705f, v29
	v_sub_f32_e32 v30, v30, v46
	v_add_f32_e32 v30, v30, v31
	v_exp_f32_e32 v30, v30
	v_cvt_i32_f32_e32 v31, v46
	s_mov_b32 s4, 0xc2ce8ed0
	v_cmp_ngt_f32_e64 s[4:5], s4, v29
	v_ldexp_f32 v30, v30, v31
	v_cndmask_b32_e64 v30, 0, v30, s[4:5]
	s_mov_b32 s4, 0x42b17218
	v_mov_b32_e32 v31, 0x7f800000
	v_cmp_nlt_f32_e64 s[4:5], s4, v29
	v_cndmask_b32_e64 v31, v31, v30, s[4:5]
	v_add_f32_e32 v40, v40, v31
.LBB741_239:
	s_or_b64 exec, exec, s[12:13]
.LBB741_240:
	s_or_b64 exec, exec, s[14:15]
	v_mov_b32_e32 v29, 0
	v_mov_b32_e32 v30, 0
	s_and_saveexec_b64 s[12:13], s[10:11]
	s_cbranch_execz .LBB741_244
; %bb.241:
	global_load_ubyte v30, v[2:3], off offset:384
	s_waitcnt vmcnt(0)
	v_and_b32_e32 v30, 1, v30
	v_cmp_eq_u32_e64 s[4:5], 1, v30
	s_xor_b64 s[4:5], s[4:5], -1
	v_mov_b32_e32 v30, 0
	s_and_saveexec_b64 s[10:11], s[4:5]
	s_cbranch_execz .LBB741_243
; %bb.242:
	v_sub_f32_e32 v28, v28, v45
	s_mov_b32 s4, 0x3fb8aa3b
	v_mul_f32_e32 v30, 0x3fb8aa3b, v28
	v_fma_f32 v46, v28, s4, -v30
	v_rndne_f32_e32 v47, v30
	v_fmac_f32_e32 v46, 0x32a5705f, v28
	v_sub_f32_e32 v30, v30, v47
	v_add_f32_e32 v30, v30, v46
	v_exp_f32_e32 v30, v30
	v_cvt_i32_f32_e32 v46, v47
	s_mov_b32 s4, 0xc2ce8ed0
	v_cmp_ngt_f32_e64 s[4:5], s4, v28
	v_ldexp_f32 v30, v30, v46
	v_cndmask_b32_e64 v30, 0, v30, s[4:5]
	s_mov_b32 s4, 0x42b17218
	v_mov_b32_e32 v46, 0x7f800000
	v_cmp_nlt_f32_e64 s[4:5], s4, v28
	v_cndmask_b32_e64 v30, v46, v30, s[4:5]
	v_add_f32_e32 v40, v40, v30
.LBB741_243:
	s_or_b64 exec, exec, s[10:11]
.LBB741_244:
	s_or_b64 exec, exec, s[12:13]
	s_and_saveexec_b64 s[10:11], s[8:9]
	s_cbranch_execz .LBB741_248
; %bb.245:
	global_load_ubyte v28, v[2:3], off offset:416
	v_mov_b32_e32 v29, 0
	s_waitcnt vmcnt(0)
	v_and_b32_e32 v28, 1, v28
	v_cmp_eq_u32_e64 s[4:5], 1, v28
	s_xor_b64 s[4:5], s[4:5], -1
	s_and_saveexec_b64 s[8:9], s[4:5]
	s_cbranch_execz .LBB741_247
; %bb.246:
	v_sub_f32_e32 v27, v27, v45
	s_mov_b32 s4, 0x3fb8aa3b
	v_mul_f32_e32 v28, 0x3fb8aa3b, v27
	v_fma_f32 v29, v27, s4, -v28
	v_rndne_f32_e32 v46, v28
	v_fmac_f32_e32 v29, 0x32a5705f, v27
	v_sub_f32_e32 v28, v28, v46
	v_add_f32_e32 v28, v28, v29
	v_exp_f32_e32 v28, v28
	v_cvt_i32_f32_e32 v29, v46
	s_mov_b32 s4, 0xc2ce8ed0
	v_cmp_ngt_f32_e64 s[4:5], s4, v27
	v_ldexp_f32 v28, v28, v29
	v_cndmask_b32_e64 v28, 0, v28, s[4:5]
	s_mov_b32 s4, 0x42b17218
	v_mov_b32_e32 v29, 0x7f800000
	v_cmp_nlt_f32_e64 s[4:5], s4, v27
	v_cndmask_b32_e64 v29, v29, v28, s[4:5]
	v_add_f32_e32 v40, v40, v29
.LBB741_247:
	s_or_b64 exec, exec, s[8:9]
.LBB741_248:
	s_or_b64 exec, exec, s[10:11]
	v_mov_b32_e32 v27, 0
	v_mov_b32_e32 v28, 0
	s_and_saveexec_b64 s[8:9], s[68:69]
	s_cbranch_execz .LBB741_252
; %bb.249:
	global_load_ubyte v28, v[2:3], off offset:448
	s_waitcnt vmcnt(0)
	v_and_b32_e32 v28, 1, v28
	v_cmp_eq_u32_e64 s[4:5], 1, v28
	s_xor_b64 s[4:5], s[4:5], -1
	v_mov_b32_e32 v28, 0
	s_and_saveexec_b64 s[10:11], s[4:5]
	s_cbranch_execz .LBB741_251
; %bb.250:
	v_sub_f32_e32 v26, v26, v45
	s_mov_b32 s4, 0x3fb8aa3b
	v_mul_f32_e32 v28, 0x3fb8aa3b, v26
	v_fma_f32 v46, v26, s4, -v28
	v_rndne_f32_e32 v47, v28
	v_fmac_f32_e32 v46, 0x32a5705f, v26
	v_sub_f32_e32 v28, v28, v47
	v_add_f32_e32 v28, v28, v46
	v_exp_f32_e32 v28, v28
	v_cvt_i32_f32_e32 v46, v47
	s_mov_b32 s4, 0xc2ce8ed0
	v_cmp_ngt_f32_e64 s[4:5], s4, v26
	v_ldexp_f32 v28, v28, v46
	v_cndmask_b32_e64 v28, 0, v28, s[4:5]
	s_mov_b32 s4, 0x42b17218
	v_mov_b32_e32 v46, 0x7f800000
	v_cmp_nlt_f32_e64 s[4:5], s4, v26
	v_cndmask_b32_e64 v28, v46, v28, s[4:5]
	v_add_f32_e32 v40, v40, v28
.LBB741_251:
	s_or_b64 exec, exec, s[10:11]
.LBB741_252:
	s_or_b64 exec, exec, s[8:9]
	s_and_saveexec_b64 s[8:9], s[6:7]
	s_cbranch_execz .LBB741_256
; %bb.253:
	global_load_ubyte v26, v[2:3], off offset:480
	v_mov_b32_e32 v27, 0
	s_waitcnt vmcnt(0)
	v_and_b32_e32 v26, 1, v26
	v_cmp_eq_u32_e64 s[4:5], 1, v26
	s_xor_b64 s[4:5], s[4:5], -1
	s_and_saveexec_b64 s[6:7], s[4:5]
	s_cbranch_execz .LBB741_255
; %bb.254:
	v_sub_f32_e32 v25, v25, v45
	s_mov_b32 s4, 0x3fb8aa3b
	v_mul_f32_e32 v26, 0x3fb8aa3b, v25
	v_fma_f32 v27, v25, s4, -v26
	v_rndne_f32_e32 v46, v26
	v_fmac_f32_e32 v27, 0x32a5705f, v25
	v_sub_f32_e32 v26, v26, v46
	v_add_f32_e32 v26, v26, v27
	v_exp_f32_e32 v26, v26
	v_cvt_i32_f32_e32 v27, v46
	s_mov_b32 s4, 0xc2ce8ed0
	v_cmp_ngt_f32_e64 s[4:5], s4, v25
	v_ldexp_f32 v26, v26, v27
	v_cndmask_b32_e64 v26, 0, v26, s[4:5]
	s_mov_b32 s4, 0x42b17218
	v_mov_b32_e32 v27, 0x7f800000
	v_cmp_nlt_f32_e64 s[4:5], s4, v25
	v_cndmask_b32_e64 v27, v27, v26, s[4:5]
	v_add_f32_e32 v40, v40, v27
.LBB741_255:
	s_or_b64 exec, exec, s[6:7]
.LBB741_256:
	s_or_b64 exec, exec, s[8:9]
	v_mov_b32_e32 v25, 0
	v_mov_b32_e32 v26, 0
	s_and_saveexec_b64 s[6:7], s[66:67]
	s_cbranch_execz .LBB741_260
; %bb.257:
	global_load_ubyte v26, v[2:3], off offset:512
	s_waitcnt vmcnt(0)
	v_and_b32_e32 v26, 1, v26
	v_cmp_eq_u32_e64 s[4:5], 1, v26
	s_xor_b64 s[4:5], s[4:5], -1
	v_mov_b32_e32 v26, 0
	s_and_saveexec_b64 s[8:9], s[4:5]
	s_cbranch_execz .LBB741_259
; %bb.258:
	v_sub_f32_e32 v24, v24, v45
	s_mov_b32 s4, 0x3fb8aa3b
	v_mul_f32_e32 v26, 0x3fb8aa3b, v24
	v_fma_f32 v46, v24, s4, -v26
	v_rndne_f32_e32 v47, v26
	v_fmac_f32_e32 v46, 0x32a5705f, v24
	v_sub_f32_e32 v26, v26, v47
	v_add_f32_e32 v26, v26, v46
	v_exp_f32_e32 v26, v26
	v_cvt_i32_f32_e32 v46, v47
	s_mov_b32 s4, 0xc2ce8ed0
	v_cmp_ngt_f32_e64 s[4:5], s4, v24
	v_ldexp_f32 v26, v26, v46
	v_cndmask_b32_e64 v26, 0, v26, s[4:5]
	s_mov_b32 s4, 0x42b17218
	v_mov_b32_e32 v46, 0x7f800000
	v_cmp_nlt_f32_e64 s[4:5], s4, v24
	v_cndmask_b32_e64 v26, v46, v26, s[4:5]
	v_add_f32_e32 v40, v40, v26
.LBB741_259:
	s_or_b64 exec, exec, s[8:9]
.LBB741_260:
	s_or_b64 exec, exec, s[6:7]
	s_and_saveexec_b64 s[6:7], s[2:3]
	s_cbranch_execz .LBB741_264
; %bb.261:
	global_load_ubyte v24, v[2:3], off offset:544
	v_mov_b32_e32 v25, 0
	s_waitcnt vmcnt(0)
	v_and_b32_e32 v24, 1, v24
	v_cmp_eq_u32_e64 s[4:5], 1, v24
	s_xor_b64 s[4:5], s[4:5], -1
	s_and_saveexec_b64 s[2:3], s[4:5]
	s_cbranch_execz .LBB741_263
; %bb.262:
	v_sub_f32_e32 v23, v23, v45
	s_mov_b32 s4, 0x3fb8aa3b
	v_mul_f32_e32 v24, 0x3fb8aa3b, v23
	v_fma_f32 v25, v23, s4, -v24
	v_rndne_f32_e32 v46, v24
	v_fmac_f32_e32 v25, 0x32a5705f, v23
	v_sub_f32_e32 v24, v24, v46
	v_add_f32_e32 v24, v24, v25
	v_exp_f32_e32 v24, v24
	v_cvt_i32_f32_e32 v25, v46
	s_mov_b32 s4, 0xc2ce8ed0
	v_cmp_ngt_f32_e64 s[4:5], s4, v23
	v_ldexp_f32 v24, v24, v25
	v_cndmask_b32_e64 v24, 0, v24, s[4:5]
	s_mov_b32 s4, 0x42b17218
	v_mov_b32_e32 v25, 0x7f800000
	v_cmp_nlt_f32_e64 s[4:5], s4, v23
	v_cndmask_b32_e64 v25, v25, v24, s[4:5]
	v_add_f32_e32 v40, v40, v25
.LBB741_263:
	s_or_b64 exec, exec, s[2:3]
.LBB741_264:
	s_or_b64 exec, exec, s[6:7]
	v_mov_b32_e32 v23, 0
	v_mov_b32_e32 v24, 0
	s_and_saveexec_b64 s[2:3], s[0:1]
	s_cbranch_execz .LBB741_268
; %bb.265:
	global_load_ubyte v24, v[2:3], off offset:576
	s_waitcnt vmcnt(0)
	v_and_b32_e32 v24, 1, v24
	v_cmp_eq_u32_e64 s[4:5], 1, v24
	s_xor_b64 s[4:5], s[4:5], -1
	v_mov_b32_e32 v24, 0
	s_and_saveexec_b64 s[0:1], s[4:5]
	s_cbranch_execz .LBB741_267
; %bb.266:
	v_sub_f32_e32 v22, v22, v45
	s_mov_b32 s4, 0x3fb8aa3b
	v_mul_f32_e32 v24, 0x3fb8aa3b, v22
	v_fma_f32 v46, v22, s4, -v24
	v_rndne_f32_e32 v47, v24
	v_fmac_f32_e32 v46, 0x32a5705f, v22
	v_sub_f32_e32 v24, v24, v47
	v_add_f32_e32 v24, v24, v46
	v_exp_f32_e32 v24, v24
	v_cvt_i32_f32_e32 v46, v47
	s_mov_b32 s4, 0xc2ce8ed0
	v_cmp_ngt_f32_e64 s[4:5], s4, v22
	v_ldexp_f32 v24, v24, v46
	v_cndmask_b32_e64 v24, 0, v24, s[4:5]
	s_mov_b32 s4, 0x42b17218
	v_mov_b32_e32 v46, 0x7f800000
	v_cmp_nlt_f32_e64 s[4:5], s4, v22
	v_cndmask_b32_e64 v24, v46, v24, s[4:5]
	v_add_f32_e32 v40, v40, v24
.LBB741_267:
	s_or_b64 exec, exec, s[0:1]
.LBB741_268:
	s_or_b64 exec, exec, s[2:3]
	s_and_saveexec_b64 s[0:1], s[94:95]
	s_cbranch_execz .LBB741_272
; %bb.269:
	global_load_ubyte v22, v[2:3], off offset:608
	v_mov_b32_e32 v23, 0
	s_waitcnt vmcnt(0)
	v_and_b32_e32 v22, 1, v22
	v_cmp_eq_u32_e64 s[4:5], 1, v22
	s_xor_b64 s[4:5], s[4:5], -1
	s_and_saveexec_b64 s[2:3], s[4:5]
	s_cbranch_execz .LBB741_271
; %bb.270:
	v_sub_f32_e32 v21, v21, v45
	s_mov_b32 s4, 0x3fb8aa3b
	v_mul_f32_e32 v22, 0x3fb8aa3b, v21
	v_fma_f32 v23, v21, s4, -v22
	v_rndne_f32_e32 v46, v22
	v_fmac_f32_e32 v23, 0x32a5705f, v21
	v_sub_f32_e32 v22, v22, v46
	v_add_f32_e32 v22, v22, v23
	v_exp_f32_e32 v22, v22
	v_cvt_i32_f32_e32 v23, v46
	s_mov_b32 s4, 0xc2ce8ed0
	v_cmp_ngt_f32_e64 s[4:5], s4, v21
	v_ldexp_f32 v22, v22, v23
	v_cndmask_b32_e64 v22, 0, v22, s[4:5]
	s_mov_b32 s4, 0x42b17218
	v_mov_b32_e32 v23, 0x7f800000
	v_cmp_nlt_f32_e64 s[4:5], s4, v21
	v_cndmask_b32_e64 v23, v23, v22, s[4:5]
	v_add_f32_e32 v40, v40, v23
.LBB741_271:
	s_or_b64 exec, exec, s[2:3]
.LBB741_272:
	s_or_b64 exec, exec, s[0:1]
	v_mov_b32_e32 v21, 0
	v_mov_b32_e32 v22, 0
	s_and_saveexec_b64 s[0:1], s[92:93]
	s_cbranch_execz .LBB741_276
; %bb.273:
	global_load_ubyte v22, v[2:3], off offset:640
	s_waitcnt vmcnt(0)
	v_and_b32_e32 v22, 1, v22
	v_cmp_eq_u32_e64 s[4:5], 1, v22
	s_xor_b64 s[4:5], s[4:5], -1
	v_mov_b32_e32 v22, 0
	s_and_saveexec_b64 s[2:3], s[4:5]
	s_cbranch_execz .LBB741_275
; %bb.274:
	v_sub_f32_e32 v20, v20, v45
	s_mov_b32 s4, 0x3fb8aa3b
	v_mul_f32_e32 v22, 0x3fb8aa3b, v20
	v_fma_f32 v46, v20, s4, -v22
	v_rndne_f32_e32 v47, v22
	v_fmac_f32_e32 v46, 0x32a5705f, v20
	v_sub_f32_e32 v22, v22, v47
	v_add_f32_e32 v22, v22, v46
	v_exp_f32_e32 v22, v22
	v_cvt_i32_f32_e32 v46, v47
	s_mov_b32 s4, 0xc2ce8ed0
	v_cmp_ngt_f32_e64 s[4:5], s4, v20
	v_ldexp_f32 v22, v22, v46
	v_cndmask_b32_e64 v22, 0, v22, s[4:5]
	s_mov_b32 s4, 0x42b17218
	v_mov_b32_e32 v46, 0x7f800000
	v_cmp_nlt_f32_e64 s[4:5], s4, v20
	v_cndmask_b32_e64 v22, v46, v22, s[4:5]
	v_add_f32_e32 v40, v40, v22
.LBB741_275:
	s_or_b64 exec, exec, s[2:3]
.LBB741_276:
	s_or_b64 exec, exec, s[0:1]
	s_and_saveexec_b64 s[0:1], s[90:91]
	s_cbranch_execz .LBB741_280
; %bb.277:
	global_load_ubyte v20, v[2:3], off offset:672
	v_mov_b32_e32 v21, 0
	s_waitcnt vmcnt(0)
	v_and_b32_e32 v20, 1, v20
	v_cmp_eq_u32_e64 s[4:5], 1, v20
	s_xor_b64 s[4:5], s[4:5], -1
	s_and_saveexec_b64 s[2:3], s[4:5]
	s_cbranch_execz .LBB741_279
; %bb.278:
	v_sub_f32_e32 v19, v19, v45
	s_mov_b32 s4, 0x3fb8aa3b
	v_mul_f32_e32 v20, 0x3fb8aa3b, v19
	v_fma_f32 v21, v19, s4, -v20
	v_rndne_f32_e32 v46, v20
	v_fmac_f32_e32 v21, 0x32a5705f, v19
	v_sub_f32_e32 v20, v20, v46
	v_add_f32_e32 v20, v20, v21
	v_exp_f32_e32 v20, v20
	v_cvt_i32_f32_e32 v21, v46
	s_mov_b32 s4, 0xc2ce8ed0
	v_cmp_ngt_f32_e64 s[4:5], s4, v19
	v_ldexp_f32 v20, v20, v21
	v_cndmask_b32_e64 v20, 0, v20, s[4:5]
	s_mov_b32 s4, 0x42b17218
	v_mov_b32_e32 v21, 0x7f800000
	v_cmp_nlt_f32_e64 s[4:5], s4, v19
	v_cndmask_b32_e64 v21, v21, v20, s[4:5]
	v_add_f32_e32 v40, v40, v21
.LBB741_279:
	s_or_b64 exec, exec, s[2:3]
.LBB741_280:
	s_or_b64 exec, exec, s[0:1]
	v_mov_b32_e32 v19, 0
	v_mov_b32_e32 v20, 0
	s_and_saveexec_b64 s[0:1], s[88:89]
	s_cbranch_execz .LBB741_284
; %bb.281:
	global_load_ubyte v20, v[2:3], off offset:704
	s_waitcnt vmcnt(0)
	v_and_b32_e32 v20, 1, v20
	v_cmp_eq_u32_e64 s[4:5], 1, v20
	s_xor_b64 s[4:5], s[4:5], -1
	v_mov_b32_e32 v20, 0
	s_and_saveexec_b64 s[2:3], s[4:5]
	s_cbranch_execz .LBB741_283
; %bb.282:
	v_sub_f32_e32 v18, v18, v45
	s_mov_b32 s4, 0x3fb8aa3b
	v_mul_f32_e32 v20, 0x3fb8aa3b, v18
	v_fma_f32 v46, v18, s4, -v20
	v_rndne_f32_e32 v47, v20
	v_fmac_f32_e32 v46, 0x32a5705f, v18
	v_sub_f32_e32 v20, v20, v47
	v_add_f32_e32 v20, v20, v46
	v_exp_f32_e32 v20, v20
	v_cvt_i32_f32_e32 v46, v47
	s_mov_b32 s4, 0xc2ce8ed0
	v_cmp_ngt_f32_e64 s[4:5], s4, v18
	v_ldexp_f32 v20, v20, v46
	v_cndmask_b32_e64 v20, 0, v20, s[4:5]
	s_mov_b32 s4, 0x42b17218
	v_mov_b32_e32 v46, 0x7f800000
	v_cmp_nlt_f32_e64 s[4:5], s4, v18
	v_cndmask_b32_e64 v20, v46, v20, s[4:5]
	v_add_f32_e32 v40, v40, v20
.LBB741_283:
	s_or_b64 exec, exec, s[2:3]
.LBB741_284:
	s_or_b64 exec, exec, s[0:1]
	s_and_saveexec_b64 s[0:1], s[86:87]
	s_cbranch_execz .LBB741_288
; %bb.285:
	global_load_ubyte v18, v[2:3], off offset:736
	v_mov_b32_e32 v19, 0
	s_waitcnt vmcnt(0)
	v_and_b32_e32 v18, 1, v18
	v_cmp_eq_u32_e64 s[4:5], 1, v18
	s_xor_b64 s[4:5], s[4:5], -1
	s_and_saveexec_b64 s[2:3], s[4:5]
	s_cbranch_execz .LBB741_287
; %bb.286:
	v_sub_f32_e32 v17, v17, v45
	s_mov_b32 s4, 0x3fb8aa3b
	v_mul_f32_e32 v18, 0x3fb8aa3b, v17
	v_fma_f32 v19, v17, s4, -v18
	v_rndne_f32_e32 v46, v18
	v_fmac_f32_e32 v19, 0x32a5705f, v17
	v_sub_f32_e32 v18, v18, v46
	v_add_f32_e32 v18, v18, v19
	v_exp_f32_e32 v18, v18
	v_cvt_i32_f32_e32 v19, v46
	s_mov_b32 s4, 0xc2ce8ed0
	v_cmp_ngt_f32_e64 s[4:5], s4, v17
	v_ldexp_f32 v18, v18, v19
	v_cndmask_b32_e64 v18, 0, v18, s[4:5]
	s_mov_b32 s4, 0x42b17218
	v_mov_b32_e32 v19, 0x7f800000
	v_cmp_nlt_f32_e64 s[4:5], s4, v17
	v_cndmask_b32_e64 v19, v19, v18, s[4:5]
	v_add_f32_e32 v40, v40, v19
.LBB741_287:
	s_or_b64 exec, exec, s[2:3]
.LBB741_288:
	s_or_b64 exec, exec, s[0:1]
	v_mov_b32_e32 v17, 0
	v_mov_b32_e32 v18, 0
	s_and_saveexec_b64 s[0:1], s[84:85]
	s_cbranch_execz .LBB741_292
; %bb.289:
	global_load_ubyte v18, v[2:3], off offset:768
	s_waitcnt vmcnt(0)
	v_and_b32_e32 v18, 1, v18
	v_cmp_eq_u32_e64 s[4:5], 1, v18
	s_xor_b64 s[4:5], s[4:5], -1
	v_mov_b32_e32 v18, 0
	s_and_saveexec_b64 s[2:3], s[4:5]
	s_cbranch_execz .LBB741_291
; %bb.290:
	v_sub_f32_e32 v16, v16, v45
	s_mov_b32 s4, 0x3fb8aa3b
	v_mul_f32_e32 v18, 0x3fb8aa3b, v16
	v_fma_f32 v46, v16, s4, -v18
	v_rndne_f32_e32 v47, v18
	v_fmac_f32_e32 v46, 0x32a5705f, v16
	v_sub_f32_e32 v18, v18, v47
	v_add_f32_e32 v18, v18, v46
	v_exp_f32_e32 v18, v18
	v_cvt_i32_f32_e32 v46, v47
	s_mov_b32 s4, 0xc2ce8ed0
	v_cmp_ngt_f32_e64 s[4:5], s4, v16
	v_ldexp_f32 v18, v18, v46
	v_cndmask_b32_e64 v18, 0, v18, s[4:5]
	s_mov_b32 s4, 0x42b17218
	v_mov_b32_e32 v46, 0x7f800000
	v_cmp_nlt_f32_e64 s[4:5], s4, v16
	v_cndmask_b32_e64 v18, v46, v18, s[4:5]
	v_add_f32_e32 v40, v40, v18
.LBB741_291:
	s_or_b64 exec, exec, s[2:3]
.LBB741_292:
	s_or_b64 exec, exec, s[0:1]
	s_and_saveexec_b64 s[0:1], s[82:83]
	s_cbranch_execz .LBB741_296
; %bb.293:
	global_load_ubyte v16, v[2:3], off offset:800
	v_mov_b32_e32 v17, 0
	s_waitcnt vmcnt(0)
	v_and_b32_e32 v16, 1, v16
	v_cmp_eq_u32_e64 s[4:5], 1, v16
	s_xor_b64 s[4:5], s[4:5], -1
	s_and_saveexec_b64 s[2:3], s[4:5]
	s_cbranch_execz .LBB741_295
; %bb.294:
	v_sub_f32_e32 v15, v15, v45
	s_mov_b32 s4, 0x3fb8aa3b
	v_mul_f32_e32 v16, 0x3fb8aa3b, v15
	v_fma_f32 v17, v15, s4, -v16
	v_rndne_f32_e32 v46, v16
	v_fmac_f32_e32 v17, 0x32a5705f, v15
	v_sub_f32_e32 v16, v16, v46
	v_add_f32_e32 v16, v16, v17
	v_exp_f32_e32 v16, v16
	v_cvt_i32_f32_e32 v17, v46
	s_mov_b32 s4, 0xc2ce8ed0
	v_cmp_ngt_f32_e64 s[4:5], s4, v15
	v_ldexp_f32 v16, v16, v17
	v_cndmask_b32_e64 v16, 0, v16, s[4:5]
	s_mov_b32 s4, 0x42b17218
	v_mov_b32_e32 v17, 0x7f800000
	v_cmp_nlt_f32_e64 s[4:5], s4, v15
	v_cndmask_b32_e64 v17, v17, v16, s[4:5]
	v_add_f32_e32 v40, v40, v17
.LBB741_295:
	s_or_b64 exec, exec, s[2:3]
.LBB741_296:
	s_or_b64 exec, exec, s[0:1]
	v_mov_b32_e32 v15, 0
	v_mov_b32_e32 v16, 0
	s_and_saveexec_b64 s[0:1], s[80:81]
	s_cbranch_execz .LBB741_300
; %bb.297:
	global_load_ubyte v16, v[2:3], off offset:832
	s_waitcnt vmcnt(0)
	v_and_b32_e32 v16, 1, v16
	v_cmp_eq_u32_e64 s[4:5], 1, v16
	s_xor_b64 s[4:5], s[4:5], -1
	v_mov_b32_e32 v16, 0
	s_and_saveexec_b64 s[2:3], s[4:5]
	s_cbranch_execz .LBB741_299
; %bb.298:
	v_sub_f32_e32 v14, v14, v45
	s_mov_b32 s4, 0x3fb8aa3b
	v_mul_f32_e32 v16, 0x3fb8aa3b, v14
	v_fma_f32 v46, v14, s4, -v16
	v_rndne_f32_e32 v47, v16
	v_fmac_f32_e32 v46, 0x32a5705f, v14
	v_sub_f32_e32 v16, v16, v47
	v_add_f32_e32 v16, v16, v46
	v_exp_f32_e32 v16, v16
	v_cvt_i32_f32_e32 v46, v47
	s_mov_b32 s4, 0xc2ce8ed0
	v_cmp_ngt_f32_e64 s[4:5], s4, v14
	v_ldexp_f32 v16, v16, v46
	v_cndmask_b32_e64 v16, 0, v16, s[4:5]
	s_mov_b32 s4, 0x42b17218
	v_mov_b32_e32 v46, 0x7f800000
	v_cmp_nlt_f32_e64 s[4:5], s4, v14
	v_cndmask_b32_e64 v16, v46, v16, s[4:5]
	v_add_f32_e32 v40, v40, v16
.LBB741_299:
	s_or_b64 exec, exec, s[2:3]
.LBB741_300:
	s_or_b64 exec, exec, s[0:1]
	s_and_saveexec_b64 s[0:1], s[78:79]
	s_cbranch_execz .LBB741_304
; %bb.301:
	global_load_ubyte v14, v[2:3], off offset:864
	v_mov_b32_e32 v15, 0
	s_waitcnt vmcnt(0)
	v_and_b32_e32 v14, 1, v14
	v_cmp_eq_u32_e64 s[4:5], 1, v14
	s_xor_b64 s[4:5], s[4:5], -1
	s_and_saveexec_b64 s[2:3], s[4:5]
	s_cbranch_execz .LBB741_303
; %bb.302:
	v_sub_f32_e32 v13, v13, v45
	s_mov_b32 s4, 0x3fb8aa3b
	v_mul_f32_e32 v14, 0x3fb8aa3b, v13
	v_fma_f32 v15, v13, s4, -v14
	v_rndne_f32_e32 v46, v14
	v_fmac_f32_e32 v15, 0x32a5705f, v13
	v_sub_f32_e32 v14, v14, v46
	v_add_f32_e32 v14, v14, v15
	v_exp_f32_e32 v14, v14
	v_cvt_i32_f32_e32 v15, v46
	s_mov_b32 s4, 0xc2ce8ed0
	v_cmp_ngt_f32_e64 s[4:5], s4, v13
	v_ldexp_f32 v14, v14, v15
	v_cndmask_b32_e64 v14, 0, v14, s[4:5]
	s_mov_b32 s4, 0x42b17218
	v_mov_b32_e32 v15, 0x7f800000
	v_cmp_nlt_f32_e64 s[4:5], s4, v13
	v_cndmask_b32_e64 v15, v15, v14, s[4:5]
	v_add_f32_e32 v40, v40, v15
.LBB741_303:
	s_or_b64 exec, exec, s[2:3]
.LBB741_304:
	s_or_b64 exec, exec, s[0:1]
	v_mov_b32_e32 v13, 0
	v_mov_b32_e32 v14, 0
	s_and_saveexec_b64 s[0:1], s[76:77]
	s_cbranch_execz .LBB741_308
; %bb.305:
	global_load_ubyte v14, v[2:3], off offset:896
	s_waitcnt vmcnt(0)
	v_and_b32_e32 v14, 1, v14
	v_cmp_eq_u32_e64 s[4:5], 1, v14
	s_xor_b64 s[4:5], s[4:5], -1
	v_mov_b32_e32 v14, 0
	s_and_saveexec_b64 s[2:3], s[4:5]
	s_cbranch_execz .LBB741_307
; %bb.306:
	v_sub_f32_e32 v12, v12, v45
	s_mov_b32 s4, 0x3fb8aa3b
	v_mul_f32_e32 v14, 0x3fb8aa3b, v12
	v_fma_f32 v46, v12, s4, -v14
	v_rndne_f32_e32 v47, v14
	v_fmac_f32_e32 v46, 0x32a5705f, v12
	v_sub_f32_e32 v14, v14, v47
	v_add_f32_e32 v14, v14, v46
	v_exp_f32_e32 v14, v14
	v_cvt_i32_f32_e32 v46, v47
	s_mov_b32 s4, 0xc2ce8ed0
	v_cmp_ngt_f32_e64 s[4:5], s4, v12
	v_ldexp_f32 v14, v14, v46
	v_cndmask_b32_e64 v14, 0, v14, s[4:5]
	s_mov_b32 s4, 0x42b17218
	v_mov_b32_e32 v46, 0x7f800000
	v_cmp_nlt_f32_e64 s[4:5], s4, v12
	v_cndmask_b32_e64 v14, v46, v14, s[4:5]
	v_add_f32_e32 v40, v40, v14
.LBB741_307:
	s_or_b64 exec, exec, s[2:3]
.LBB741_308:
	s_or_b64 exec, exec, s[0:1]
	s_and_saveexec_b64 s[0:1], s[72:73]
	s_cbranch_execz .LBB741_312
; %bb.309:
	global_load_ubyte v12, v[2:3], off offset:928
	v_mov_b32_e32 v13, 0
	s_waitcnt vmcnt(0)
	v_and_b32_e32 v12, 1, v12
	v_cmp_eq_u32_e64 s[4:5], 1, v12
	s_xor_b64 s[4:5], s[4:5], -1
	s_and_saveexec_b64 s[2:3], s[4:5]
	s_cbranch_execz .LBB741_311
; %bb.310:
	v_sub_f32_e32 v11, v11, v45
	s_mov_b32 s4, 0x3fb8aa3b
	v_mul_f32_e32 v12, 0x3fb8aa3b, v11
	v_fma_f32 v13, v11, s4, -v12
	v_rndne_f32_e32 v46, v12
	v_fmac_f32_e32 v13, 0x32a5705f, v11
	v_sub_f32_e32 v12, v12, v46
	v_add_f32_e32 v12, v12, v13
	v_exp_f32_e32 v12, v12
	v_cvt_i32_f32_e32 v13, v46
	s_mov_b32 s4, 0xc2ce8ed0
	v_cmp_ngt_f32_e64 s[4:5], s4, v11
	v_ldexp_f32 v12, v12, v13
	v_cndmask_b32_e64 v12, 0, v12, s[4:5]
	s_mov_b32 s4, 0x42b17218
	v_mov_b32_e32 v13, 0x7f800000
	v_cmp_nlt_f32_e64 s[4:5], s4, v11
	v_cndmask_b32_e64 v13, v13, v12, s[4:5]
	v_add_f32_e32 v40, v40, v13
.LBB741_311:
	s_or_b64 exec, exec, s[2:3]
.LBB741_312:
	s_or_b64 exec, exec, s[0:1]
	v_mov_b32_e32 v11, 0
	v_mov_b32_e32 v12, 0
	s_and_saveexec_b64 s[0:1], s[70:71]
	s_cbranch_execz .LBB741_316
; %bb.313:
	global_load_ubyte v12, v[2:3], off offset:960
	s_waitcnt vmcnt(0)
	v_and_b32_e32 v12, 1, v12
	v_cmp_eq_u32_e64 s[4:5], 1, v12
	s_xor_b64 s[4:5], s[4:5], -1
	v_mov_b32_e32 v12, 0
	s_and_saveexec_b64 s[2:3], s[4:5]
	s_cbranch_execz .LBB741_315
; %bb.314:
	v_sub_f32_e32 v10, v10, v45
	s_mov_b32 s4, 0x3fb8aa3b
	v_mul_f32_e32 v12, 0x3fb8aa3b, v10
	v_fma_f32 v46, v10, s4, -v12
	v_rndne_f32_e32 v47, v12
	v_fmac_f32_e32 v46, 0x32a5705f, v10
	v_sub_f32_e32 v12, v12, v47
	v_add_f32_e32 v12, v12, v46
	v_exp_f32_e32 v12, v12
	v_cvt_i32_f32_e32 v46, v47
	s_mov_b32 s4, 0xc2ce8ed0
	v_cmp_ngt_f32_e64 s[4:5], s4, v10
	v_ldexp_f32 v12, v12, v46
	v_cndmask_b32_e64 v12, 0, v12, s[4:5]
	s_mov_b32 s4, 0x42b17218
	v_mov_b32_e32 v46, 0x7f800000
	v_cmp_nlt_f32_e64 s[4:5], s4, v10
	v_cndmask_b32_e64 v12, v46, v12, s[4:5]
	v_add_f32_e32 v40, v40, v12
.LBB741_315:
	s_or_b64 exec, exec, s[2:3]
.LBB741_316:
	s_or_b64 exec, exec, s[0:1]
	s_and_saveexec_b64 s[0:1], s[64:65]
	s_cbranch_execz .LBB741_320
; %bb.317:
	global_load_ubyte v2, v[2:3], off offset:992
	v_mov_b32_e32 v11, 0
	s_waitcnt vmcnt(0)
	v_and_b32_e32 v2, 1, v2
	v_cmp_eq_u32_e64 s[4:5], 1, v2
	s_xor_b64 s[4:5], s[4:5], -1
	s_and_saveexec_b64 s[2:3], s[4:5]
	s_cbranch_execz .LBB741_319
; %bb.318:
	v_sub_f32_e32 v2, v9, v45
	s_mov_b32 s4, 0x3fb8aa3b
	v_mul_f32_e32 v3, 0x3fb8aa3b, v2
	v_fma_f32 v9, v2, s4, -v3
	v_rndne_f32_e32 v10, v3
	v_fmac_f32_e32 v9, 0x32a5705f, v2
	v_sub_f32_e32 v3, v3, v10
	v_add_f32_e32 v3, v3, v9
	v_exp_f32_e32 v3, v3
	v_cvt_i32_f32_e32 v9, v10
	s_mov_b32 s4, 0xc2ce8ed0
	v_cmp_ngt_f32_e64 s[4:5], s4, v2
	v_ldexp_f32 v3, v3, v9
	v_cndmask_b32_e64 v3, 0, v3, s[4:5]
	s_mov_b32 s4, 0x42b17218
	v_mov_b32_e32 v9, 0x7f800000
	v_cmp_nlt_f32_e64 s[4:5], s4, v2
	v_cndmask_b32_e64 v11, v9, v3, s[4:5]
	v_add_f32_e32 v40, v40, v11
.LBB741_319:
	s_or_b64 exec, exec, s[2:3]
.LBB741_320:
	s_or_b64 exec, exec, s[0:1]
	ds_bpermute_b32 v2, v5, v40
	v_cmp_lt_i32_e64 s[4:5], 0, v8
	s_waitcnt lgkmcnt(0)
	v_add_f32_e32 v2, v40, v2
	ds_bpermute_b32 v3, v7, v2
	s_waitcnt lgkmcnt(0)
	v_add_f32_e32 v2, v2, v3
	ds_bpermute_b32 v3, v41, v2
	;; [unrolled: 3-line block ×4, first 2 shown]
	s_and_saveexec_b64 s[0:1], s[4:5]
	s_cbranch_execz .LBB741_418
; %bb.321:
	s_and_b64 exec, exec, vcc
	s_cbranch_execz .LBB741_418
; %bb.322:
	s_waitcnt lgkmcnt(0)
	v_add_f32_e32 v2, v2, v3
	v_cmp_neq_f32_e64 s[64:65], 0, v2
	v_mov_b32_e32 v3, 0x7e00
	s_and_saveexec_b64 s[0:1], s[64:65]
	s_cbranch_execz .LBB741_324
; %bb.323:
	v_div_scale_f32 v3, s[2:3], v2, v2, v43
	v_rcp_f32_e32 v5, v3
	v_div_scale_f32 v7, vcc, v43, v2, v43
	v_fma_f32 v8, -v3, v5, 1.0
	v_fmac_f32_e32 v5, v8, v5
	v_mul_f32_e32 v8, v7, v5
	v_fma_f32 v9, -v3, v8, v7
	v_fmac_f32_e32 v8, v9, v5
	v_fma_f32 v3, -v3, v8, v7
	v_div_fmas_f32 v3, v3, v5, v8
	v_div_fixup_f32 v3, v3, v2, v43
	v_cvt_f16_f32_e32 v3, v3
.LBB741_324:
	s_or_b64 exec, exec, s[0:1]
	v_readlane_b32 s0, v48, 0
	v_readlane_b32 s1, v48, 1
	v_mov_b32_e32 v5, s1
	v_add_co_u32_e32 v0, vcc, s0, v0
	v_addc_co_u32_e32 v1, vcc, v5, v1, vcc
	v_readlane_b32 s2, v48, 2
	v_readlane_b32 s3, v48, 3
	global_store_short v[0:1], v3, off
	s_and_b64 exec, exec, s[62:63]
	s_cbranch_execz .LBB741_418
; %bb.325:
	v_mov_b32_e32 v3, 0x7e00
	s_and_saveexec_b64 s[0:1], s[64:65]
	s_cbranch_execz .LBB741_327
; %bb.326:
	v_div_scale_f32 v3, s[2:3], v2, v2, v4
	v_rcp_f32_e32 v5, v3
	v_div_scale_f32 v7, vcc, v4, v2, v4
	v_fma_f32 v8, -v3, v5, 1.0
	v_fmac_f32_e32 v5, v8, v5
	v_mul_f32_e32 v8, v7, v5
	v_fma_f32 v9, -v3, v8, v7
	v_fmac_f32_e32 v8, v9, v5
	v_fma_f32 v3, -v3, v8, v7
	v_div_fmas_f32 v3, v3, v5, v8
	v_div_fixup_f32 v3, v3, v2, v4
	v_cvt_f16_f32_e32 v3, v3
.LBB741_327:
	s_or_b64 exec, exec, s[0:1]
	global_store_short v[0:1], v3, off offset:64
	s_and_b64 exec, exec, s[60:61]
	s_cbranch_execz .LBB741_418
; %bb.328:
	v_mov_b32_e32 v3, 0x7e00
	s_and_saveexec_b64 s[0:1], s[64:65]
	s_cbranch_execz .LBB741_330
; %bb.329:
	v_div_scale_f32 v3, s[2:3], v2, v2, v39
	v_rcp_f32_e32 v4, v3
	v_div_scale_f32 v5, vcc, v39, v2, v39
	v_fma_f32 v7, -v3, v4, 1.0
	v_fmac_f32_e32 v4, v7, v4
	v_mul_f32_e32 v7, v5, v4
	v_fma_f32 v8, -v3, v7, v5
	v_fmac_f32_e32 v7, v8, v4
	v_fma_f32 v3, -v3, v7, v5
	v_div_fmas_f32 v3, v3, v4, v7
	v_div_fixup_f32 v3, v3, v2, v39
	v_cvt_f16_f32_e32 v3, v3
.LBB741_330:
	s_or_b64 exec, exec, s[0:1]
	global_store_short v[0:1], v3, off offset:128
	;; [unrolled: 22-line block ×9, first 2 shown]
	s_and_b64 exec, exec, s[44:45]
	s_cbranch_execz .LBB741_418
; %bb.352:
	v_mov_b32_e32 v3, 0x7e00
	s_and_saveexec_b64 s[0:1], s[64:65]
	s_cbranch_execz .LBB741_354
; %bb.353:
	v_div_scale_f32 v3, s[2:3], v2, v2, v32
	v_rcp_f32_e32 v4, v3
	v_div_scale_f32 v5, vcc, v32, v2, v32
	v_fma_f32 v6, -v3, v4, 1.0
	v_fmac_f32_e32 v4, v6, v4
	v_mul_f32_e32 v6, v5, v4
	v_fma_f32 v7, -v3, v6, v5
	v_fmac_f32_e32 v6, v7, v4
	v_fma_f32 v3, -v3, v6, v5
	v_div_fmas_f32 v3, v3, v4, v6
	v_div_fixup_f32 v3, v3, v2, v32
	v_cvt_f16_f32_e32 v3, v3
.LBB741_354:
	s_or_b64 exec, exec, s[0:1]
	v_readlane_b32 s0, v48, 4
	v_readlane_b32 s1, v48, 5
	global_store_short v[0:1], v3, off offset:640
	s_and_b64 exec, exec, s[0:1]
	s_cbranch_execz .LBB741_418
; %bb.355:
	v_mov_b32_e32 v3, 0x7e00
	s_and_saveexec_b64 s[0:1], s[64:65]
	s_cbranch_execz .LBB741_357
; %bb.356:
	v_div_scale_f32 v3, s[2:3], v2, v2, v31
	v_rcp_f32_e32 v4, v3
	v_div_scale_f32 v5, vcc, v31, v2, v31
	v_fma_f32 v6, -v3, v4, 1.0
	v_fmac_f32_e32 v4, v6, v4
	v_mul_f32_e32 v6, v5, v4
	v_fma_f32 v7, -v3, v6, v5
	v_fmac_f32_e32 v6, v7, v4
	v_fma_f32 v3, -v3, v6, v5
	v_div_fmas_f32 v3, v3, v4, v6
	v_div_fixup_f32 v3, v3, v2, v31
	v_cvt_f16_f32_e32 v3, v3
.LBB741_357:
	s_or_b64 exec, exec, s[0:1]
	v_readlane_b32 s0, v48, 6
	v_readlane_b32 s1, v48, 7
	global_store_short v[0:1], v3, off offset:704
	;; [unrolled: 24-line block ×21, first 2 shown]
	s_and_b64 exec, exec, s[0:1]
	s_cbranch_execz .LBB741_418
; %bb.415:
	v_mov_b32_e32 v3, 0x7e00
	s_and_saveexec_b64 s[0:1], s[64:65]
	s_cbranch_execz .LBB741_417
; %bb.416:
	v_div_scale_f32 v3, s[2:3], v2, v2, v11
	v_rcp_f32_e32 v4, v3
	v_div_scale_f32 v5, vcc, v11, v2, v11
	v_fma_f32 v6, -v3, v4, 1.0
	v_fmac_f32_e32 v4, v6, v4
	v_mul_f32_e32 v6, v5, v4
	v_fma_f32 v7, -v3, v6, v5
	v_fmac_f32_e32 v6, v7, v4
	v_fma_f32 v3, -v3, v6, v5
	v_div_fmas_f32 v3, v3, v4, v6
	v_div_fixup_f32 v2, v3, v2, v11
	v_cvt_f16_f32_e32 v3, v2
.LBB741_417:
	s_or_b64 exec, exec, s[0:1]
	global_store_short v[0:1], v3, off offset:1984
.LBB741_418:
	s_endpgm
	.section	.rodata,"a",@progbits
	.p2align	6, 0x0
	.amdhsa_kernel _ZN12_GLOBAL__N_120softmax_warp_forwardIN3c104HalfES2_fLi10ELb0ELb1ELi32EEEvPT0_PKT_iiiPKbib
		.amdhsa_group_segment_fixed_size 0
		.amdhsa_private_segment_fixed_size 0
		.amdhsa_kernarg_size 304
		.amdhsa_user_sgpr_count 6
		.amdhsa_user_sgpr_private_segment_buffer 1
		.amdhsa_user_sgpr_dispatch_ptr 0
		.amdhsa_user_sgpr_queue_ptr 0
		.amdhsa_user_sgpr_kernarg_segment_ptr 1
		.amdhsa_user_sgpr_dispatch_id 0
		.amdhsa_user_sgpr_flat_scratch_init 0
		.amdhsa_user_sgpr_kernarg_preload_length 0
		.amdhsa_user_sgpr_kernarg_preload_offset 0
		.amdhsa_user_sgpr_private_segment_size 0
		.amdhsa_uses_dynamic_stack 0
		.amdhsa_system_sgpr_private_segment_wavefront_offset 0
		.amdhsa_system_sgpr_workgroup_id_x 1
		.amdhsa_system_sgpr_workgroup_id_y 0
		.amdhsa_system_sgpr_workgroup_id_z 0
		.amdhsa_system_sgpr_workgroup_info 0
		.amdhsa_system_vgpr_workitem_id 1
		.amdhsa_next_free_vgpr 49
		.amdhsa_next_free_sgpr 96
		.amdhsa_accum_offset 52
		.amdhsa_reserve_vcc 1
		.amdhsa_reserve_flat_scratch 0
		.amdhsa_float_round_mode_32 0
		.amdhsa_float_round_mode_16_64 0
		.amdhsa_float_denorm_mode_32 3
		.amdhsa_float_denorm_mode_16_64 3
		.amdhsa_dx10_clamp 1
		.amdhsa_ieee_mode 1
		.amdhsa_fp16_overflow 0
		.amdhsa_tg_split 0
		.amdhsa_exception_fp_ieee_invalid_op 0
		.amdhsa_exception_fp_denorm_src 0
		.amdhsa_exception_fp_ieee_div_zero 0
		.amdhsa_exception_fp_ieee_overflow 0
		.amdhsa_exception_fp_ieee_underflow 0
		.amdhsa_exception_fp_ieee_inexact 0
		.amdhsa_exception_int_div_zero 0
	.end_amdhsa_kernel
	.section	.text._ZN12_GLOBAL__N_120softmax_warp_forwardIN3c104HalfES2_fLi10ELb0ELb1ELi32EEEvPT0_PKT_iiiPKbib,"axG",@progbits,_ZN12_GLOBAL__N_120softmax_warp_forwardIN3c104HalfES2_fLi10ELb0ELb1ELi32EEEvPT0_PKT_iiiPKbib,comdat
.Lfunc_end741:
	.size	_ZN12_GLOBAL__N_120softmax_warp_forwardIN3c104HalfES2_fLi10ELb0ELb1ELi32EEEvPT0_PKT_iiiPKbib, .Lfunc_end741-_ZN12_GLOBAL__N_120softmax_warp_forwardIN3c104HalfES2_fLi10ELb0ELb1ELi32EEEvPT0_PKT_iiiPKbib
                                        ; -- End function
	.section	.AMDGPU.csdata,"",@progbits
; Kernel info:
; codeLenInByte = 15872
; NumSgprs: 100
; NumVgprs: 49
; NumAgprs: 0
; TotalNumVgprs: 49
; ScratchSize: 0
; MemoryBound: 0
; FloatMode: 240
; IeeeMode: 1
; LDSByteSize: 0 bytes/workgroup (compile time only)
; SGPRBlocks: 12
; VGPRBlocks: 6
; NumSGPRsForWavesPerEU: 100
; NumVGPRsForWavesPerEU: 49
; AccumOffset: 52
; Occupancy: 8
; WaveLimiterHint : 0
; COMPUTE_PGM_RSRC2:SCRATCH_EN: 0
; COMPUTE_PGM_RSRC2:USER_SGPR: 6
; COMPUTE_PGM_RSRC2:TRAP_HANDLER: 0
; COMPUTE_PGM_RSRC2:TGID_X_EN: 1
; COMPUTE_PGM_RSRC2:TGID_Y_EN: 0
; COMPUTE_PGM_RSRC2:TGID_Z_EN: 0
; COMPUTE_PGM_RSRC2:TIDIG_COMP_CNT: 1
; COMPUTE_PGM_RSRC3_GFX90A:ACCUM_OFFSET: 12
; COMPUTE_PGM_RSRC3_GFX90A:TG_SPLIT: 0
	.section	.text._ZN12_GLOBAL__N_120softmax_warp_forwardIN3c104HalfES2_fLi11ELb0ELb1ELi64EEEvPT0_PKT_iiiPKbib,"axG",@progbits,_ZN12_GLOBAL__N_120softmax_warp_forwardIN3c104HalfES2_fLi11ELb0ELb1ELi64EEEvPT0_PKT_iiiPKbib,comdat
	.globl	_ZN12_GLOBAL__N_120softmax_warp_forwardIN3c104HalfES2_fLi11ELb0ELb1ELi64EEEvPT0_PKT_iiiPKbib ; -- Begin function _ZN12_GLOBAL__N_120softmax_warp_forwardIN3c104HalfES2_fLi11ELb0ELb1ELi64EEEvPT0_PKT_iiiPKbib
	.p2align	8
	.type	_ZN12_GLOBAL__N_120softmax_warp_forwardIN3c104HalfES2_fLi11ELb0ELb1ELi64EEEvPT0_PKT_iiiPKbib,@function
_ZN12_GLOBAL__N_120softmax_warp_forwardIN3c104HalfES2_fLi11ELb0ELb1ELi64EEEvPT0_PKT_iiiPKbib: ; @_ZN12_GLOBAL__N_120softmax_warp_forwardIN3c104HalfES2_fLi11ELb0ELb1ELi64EEEvPT0_PKT_iiiPKbib
; %bb.0:
	s_load_dword s2, s[4:5], 0x3c
	s_load_dwordx4 s[72:75], s[4:5], 0x10
	s_load_dwordx2 s[0:1], s[4:5], 0x28
	v_bfe_u32 v1, v0, 10, 10
	v_and_b32_e32 v2, 0x3ff, v0
	s_waitcnt lgkmcnt(0)
	s_lshr_b32 s2, s2, 16
	s_mul_i32 s6, s6, s2
	v_add_u32_e32 v3, s6, v1
	v_mul_lo_u32 v6, v3, s73
	v_add_u32_e32 v0, v6, v2
	v_ashrrev_i32_e32 v1, 31, v0
	s_bitcmp0_b32 s1, 0
	v_pk_mov_b32 v[4:5], v[0:1], v[0:1] op_sel:[0,1]
	s_cbranch_scc1 .LBB742_2
; %bb.1:
	s_abs_i32 s1, s0
	v_cvt_f32_u32_e32 v4, s1
	v_xor_b32_e32 v5, s0, v6
	v_sub_u32_e32 v7, 0, v6
	s_sub_i32 s0, 0, s1
	v_rcp_iflag_f32_e32 v4, v4
	v_max_i32_e32 v6, v6, v7
	v_ashrrev_i32_e32 v5, 31, v5
	v_mul_f32_e32 v4, 0x4f7ffffe, v4
	v_cvt_u32_f32_e32 v4, v4
	v_mul_lo_u32 v7, s0, v4
	v_mul_hi_u32 v7, v4, v7
	v_add_u32_e32 v4, v4, v7
	v_mul_hi_u32 v4, v6, v4
	v_mul_lo_u32 v7, v4, s1
	v_sub_u32_e32 v6, v6, v7
	v_add_u32_e32 v8, 1, v4
	v_cmp_le_u32_e32 vcc, s1, v6
	v_subrev_u32_e32 v7, s1, v6
	v_cndmask_b32_e32 v4, v4, v8, vcc
	v_cndmask_b32_e32 v6, v6, v7, vcc
	v_add_u32_e32 v7, 1, v4
	v_cmp_le_u32_e32 vcc, s1, v6
	v_cndmask_b32_e32 v4, v4, v7, vcc
	v_xor_b32_e32 v4, v4, v5
	v_sub_u32_e32 v4, v4, v5
	v_mad_u64_u32 v[4:5], s[0:1], v4, s73, v[2:3]
	v_ashrrev_i32_e32 v5, 31, v4
.LBB742_2:
	s_load_dwordx4 s[0:3], s[4:5], 0x0
	v_lshlrev_b64 v[0:1], 1, v[0:1]
                                        ; implicit-def: $vgpr49 : SGPR spill to VGPR lane
	v_sub_u32_e32 v8, s72, v3
	v_cmp_lt_i32_e64 s[64:65], 0, v8
	v_mov_b32_e32 v39, 0xff800000
	s_waitcnt lgkmcnt(0)
	v_mov_b32_e32 v3, s3
	v_writelane_b32 v49, s0, 0
	v_add_co_u32_e32 v6, vcc, s2, v0
	v_addc_co_u32_e32 v7, vcc, v3, v1, vcc
	v_writelane_b32 v49, s1, 1
	v_cmp_gt_i32_e32 vcc, s74, v2
	v_writelane_b32 v49, s2, 2
	s_and_b64 s[36:37], s[64:65], vcc
	v_mov_b32_e32 v40, 0xff800000
	v_writelane_b32 v49, s3, 3
	s_and_saveexec_b64 s[0:1], s[36:37]
	s_cbranch_execz .LBB742_4
; %bb.3:
	global_load_ushort v3, v[6:7], off
	s_waitcnt vmcnt(0)
	v_cvt_f32_f16_e32 v40, v3
.LBB742_4:
	s_or_b64 exec, exec, s[0:1]
	v_add_u32_e32 v3, 64, v2
	v_cmp_gt_i32_e64 s[62:63], s74, v3
	s_and_b64 s[34:35], s[64:65], s[62:63]
	s_and_saveexec_b64 s[0:1], s[34:35]
	s_cbranch_execz .LBB742_6
; %bb.5:
	global_load_ushort v3, v[6:7], off offset:128
	s_waitcnt vmcnt(0)
	v_cvt_f32_f16_e32 v39, v3
.LBB742_6:
	s_or_b64 exec, exec, s[0:1]
	v_add_u32_e32 v3, 0x80, v2
	v_cmp_gt_i32_e64 s[60:61], s74, v3
	s_and_b64 s[30:31], s[64:65], s[60:61]
	v_mov_b32_e32 v37, 0xff800000
	v_mov_b32_e32 v38, 0xff800000
	s_and_saveexec_b64 s[0:1], s[30:31]
	s_cbranch_execz .LBB742_8
; %bb.7:
	global_load_ushort v3, v[6:7], off offset:256
	s_waitcnt vmcnt(0)
	v_cvt_f32_f16_e32 v38, v3
.LBB742_8:
	s_or_b64 exec, exec, s[0:1]
	v_add_u32_e32 v3, 0xc0, v2
	v_cmp_gt_i32_e64 s[58:59], s74, v3
	s_and_b64 s[28:29], s[64:65], s[58:59]
	s_and_saveexec_b64 s[0:1], s[28:29]
	s_cbranch_execz .LBB742_10
; %bb.9:
	global_load_ushort v3, v[6:7], off offset:384
	s_waitcnt vmcnt(0)
	v_cvt_f32_f16_e32 v37, v3
.LBB742_10:
	s_or_b64 exec, exec, s[0:1]
	v_add_u32_e32 v3, 0x100, v2
	v_cmp_gt_i32_e64 s[56:57], s74, v3
	s_and_b64 s[26:27], s[64:65], s[56:57]
	v_mov_b32_e32 v35, 0xff800000
	v_mov_b32_e32 v36, 0xff800000
	s_and_saveexec_b64 s[0:1], s[26:27]
	s_cbranch_execz .LBB742_12
; %bb.11:
	global_load_ushort v3, v[6:7], off offset:512
	s_waitcnt vmcnt(0)
	v_cvt_f32_f16_e32 v36, v3
.LBB742_12:
	;; [unrolled: 24-line block ×5, first 2 shown]
	s_or_b64 exec, exec, s[0:1]
	v_add_u32_e32 v3, 0x2c0, v2
	v_cmp_gt_i32_e64 s[0:1], s74, v3
	v_writelane_b32 v49, s0, 4
	s_and_b64 s[12:13], s[64:65], s[0:1]
	v_writelane_b32 v49, s1, 5
	s_and_saveexec_b64 s[0:1], s[12:13]
	s_cbranch_execz .LBB742_26
; %bb.25:
	global_load_ushort v3, v[6:7], off offset:1408
	s_waitcnt vmcnt(0)
	v_cvt_f32_f16_e32 v29, v3
.LBB742_26:
	s_or_b64 exec, exec, s[0:1]
	v_add_u32_e32 v3, 0x300, v2
	v_cmp_gt_i32_e64 s[0:1], s74, v3
	v_writelane_b32 v49, s0, 6
	s_and_b64 s[10:11], s[64:65], s[0:1]
	v_mov_b32_e32 v27, 0xff800000
	v_mov_b32_e32 v28, 0xff800000
	v_writelane_b32 v49, s1, 7
	s_and_saveexec_b64 s[0:1], s[10:11]
	s_cbranch_execz .LBB742_28
; %bb.27:
	global_load_ushort v3, v[6:7], off offset:1536
	s_waitcnt vmcnt(0)
	v_cvt_f32_f16_e32 v28, v3
.LBB742_28:
	s_or_b64 exec, exec, s[0:1]
	v_add_u32_e32 v3, 0x340, v2
	v_cmp_gt_i32_e64 s[0:1], s74, v3
	v_writelane_b32 v49, s0, 8
	s_and_b64 s[8:9], s[64:65], s[0:1]
	v_writelane_b32 v49, s1, 9
	s_and_saveexec_b64 s[0:1], s[8:9]
	s_cbranch_execz .LBB742_30
; %bb.29:
	global_load_ushort v3, v[6:7], off offset:1664
	s_waitcnt vmcnt(0)
	v_cvt_f32_f16_e32 v27, v3
.LBB742_30:
	s_or_b64 exec, exec, s[0:1]
	v_add_u32_e32 v3, 0x380, v2
	v_cmp_gt_i32_e64 s[0:1], s74, v3
	v_writelane_b32 v49, s0, 10
	s_and_b64 s[68:69], s[64:65], s[0:1]
	v_mov_b32_e32 v25, 0xff800000
	v_mov_b32_e32 v26, 0xff800000
	v_writelane_b32 v49, s1, 11
	s_and_saveexec_b64 s[0:1], s[68:69]
	s_cbranch_execz .LBB742_32
; %bb.31:
	global_load_ushort v3, v[6:7], off offset:1792
	s_waitcnt vmcnt(0)
	v_cvt_f32_f16_e32 v26, v3
.LBB742_32:
	s_or_b64 exec, exec, s[0:1]
	v_add_u32_e32 v3, 0x3c0, v2
	v_cmp_gt_i32_e64 s[0:1], s74, v3
	v_writelane_b32 v49, s0, 12
	s_and_b64 s[6:7], s[64:65], s[0:1]
	v_writelane_b32 v49, s1, 13
	s_and_saveexec_b64 s[0:1], s[6:7]
	s_cbranch_execz .LBB742_34
; %bb.33:
	global_load_ushort v3, v[6:7], off offset:1920
	s_waitcnt vmcnt(0)
	v_cvt_f32_f16_e32 v25, v3
.LBB742_34:
	s_or_b64 exec, exec, s[0:1]
	v_or_b32_e32 v3, 0x400, v2
	v_cmp_gt_i32_e64 s[0:1], s74, v3
	v_writelane_b32 v49, s0, 14
	s_and_b64 s[66:67], s[64:65], s[0:1]
	v_mov_b32_e32 v23, 0xff800000
	v_mov_b32_e32 v24, 0xff800000
	v_writelane_b32 v49, s1, 15
	s_and_saveexec_b64 s[0:1], s[66:67]
	s_cbranch_execz .LBB742_36
; %bb.35:
	global_load_ushort v3, v[6:7], off offset:2048
	s_waitcnt vmcnt(0)
	v_cvt_f32_f16_e32 v24, v3
.LBB742_36:
	s_or_b64 exec, exec, s[0:1]
	v_add_u32_e32 v3, 0x440, v2
	v_cmp_gt_i32_e64 s[0:1], s74, v3
	v_writelane_b32 v49, s0, 16
	s_and_b64 s[2:3], s[64:65], s[0:1]
	v_writelane_b32 v49, s1, 17
	s_and_saveexec_b64 s[0:1], s[2:3]
	s_cbranch_execz .LBB742_38
; %bb.37:
	global_load_ushort v3, v[6:7], off offset:2176
	s_waitcnt vmcnt(0)
	v_cvt_f32_f16_e32 v23, v3
.LBB742_38:
	s_or_b64 exec, exec, s[0:1]
	v_add_u32_e32 v3, 0x480, v2
	v_cmp_gt_i32_e64 s[0:1], s74, v3
	v_writelane_b32 v49, s0, 18
	v_writelane_b32 v49, s1, 19
	s_and_b64 s[0:1], s[64:65], s[0:1]
	v_mov_b32_e32 v21, 0xff800000
	v_mov_b32_e32 v22, 0xff800000
	s_and_saveexec_b64 s[38:39], s[0:1]
	s_cbranch_execz .LBB742_40
; %bb.39:
	global_load_ushort v3, v[6:7], off offset:2304
	s_waitcnt vmcnt(0)
	v_cvt_f32_f16_e32 v22, v3
.LBB742_40:
	s_or_b64 exec, exec, s[38:39]
	v_add_u32_e32 v3, 0x4c0, v2
	v_cmp_gt_i32_e64 s[38:39], s74, v3
	v_writelane_b32 v49, s38, 20
	s_and_b64 s[94:95], s[64:65], s[38:39]
	v_writelane_b32 v49, s39, 21
	s_and_saveexec_b64 s[38:39], s[94:95]
	s_cbranch_execz .LBB742_42
; %bb.41:
	global_load_ushort v3, v[6:7], off offset:2432
	s_waitcnt vmcnt(0)
	v_cvt_f32_f16_e32 v21, v3
.LBB742_42:
	s_or_b64 exec, exec, s[38:39]
	v_add_u32_e32 v3, 0x500, v2
	v_cmp_gt_i32_e64 s[38:39], s74, v3
	v_writelane_b32 v49, s38, 22
	s_and_b64 s[92:93], s[64:65], s[38:39]
	v_mov_b32_e32 v19, 0xff800000
	v_mov_b32_e32 v20, 0xff800000
	v_writelane_b32 v49, s39, 23
	s_and_saveexec_b64 s[38:39], s[92:93]
	s_cbranch_execz .LBB742_44
; %bb.43:
	global_load_ushort v3, v[6:7], off offset:2560
	s_waitcnt vmcnt(0)
	v_cvt_f32_f16_e32 v20, v3
.LBB742_44:
	s_or_b64 exec, exec, s[38:39]
	v_add_u32_e32 v3, 0x540, v2
	v_cmp_gt_i32_e64 s[38:39], s74, v3
	v_writelane_b32 v49, s38, 24
	s_and_b64 s[90:91], s[64:65], s[38:39]
	v_writelane_b32 v49, s39, 25
	s_and_saveexec_b64 s[38:39], s[90:91]
	s_cbranch_execz .LBB742_46
; %bb.45:
	global_load_ushort v3, v[6:7], off offset:2688
	s_waitcnt vmcnt(0)
	v_cvt_f32_f16_e32 v19, v3
.LBB742_46:
	s_or_b64 exec, exec, s[38:39]
	v_add_u32_e32 v3, 0x580, v2
	v_cmp_gt_i32_e64 s[38:39], s74, v3
	v_writelane_b32 v49, s38, 26
	s_and_b64 s[88:89], s[64:65], s[38:39]
	v_mov_b32_e32 v17, 0xff800000
	v_mov_b32_e32 v18, 0xff800000
	v_writelane_b32 v49, s39, 27
	;; [unrolled: 28-line block ×6, first 2 shown]
	s_and_saveexec_b64 s[38:39], s[70:71]
	s_cbranch_execz .LBB742_64
; %bb.63:
	global_load_ushort v3, v[6:7], off offset:3840
	s_waitcnt vmcnt(0)
	v_cvt_f32_f16_e32 v10, v3
.LBB742_64:
	s_or_b64 exec, exec, s[38:39]
	v_add_u32_e32 v2, 0x7c0, v2
	v_cmp_gt_i32_e64 s[38:39], s74, v2
	v_writelane_b32 v49, s38, 44
	s_and_b64 s[64:65], s[64:65], s[38:39]
	v_writelane_b32 v49, s39, 45
	s_and_saveexec_b64 s[38:39], s[64:65]
	s_cbranch_execz .LBB742_66
; %bb.65:
	global_load_ushort v2, v[6:7], off offset:3968
	s_waitcnt vmcnt(0)
	v_cvt_f32_f16_e32 v9, v2
.LBB742_66:
	s_or_b64 exec, exec, s[38:39]
	s_load_dwordx2 s[4:5], s[4:5], 0x20
	s_mov_b64 s[74:75], 0
	s_waitcnt lgkmcnt(0)
	v_mov_b32_e32 v3, s5
	v_add_co_u32_e64 v2, s[4:5], s4, v4
	v_addc_co_u32_e64 v3, s[4:5], v3, v5, s[4:5]
	s_and_saveexec_b64 s[38:39], s[36:37]
	s_cbranch_execnz .LBB742_98
; %bb.67:
	s_or_b64 exec, exec, s[38:39]
	v_mov_b32_e32 v4, v40
	s_and_saveexec_b64 s[38:39], s[34:35]
	s_cbranch_execnz .LBB742_99
.LBB742_68:
	s_or_b64 exec, exec, s[38:39]
	s_and_saveexec_b64 s[38:39], s[30:31]
	s_cbranch_execnz .LBB742_102
.LBB742_69:
	s_or_b64 exec, exec, s[38:39]
	s_and_saveexec_b64 s[38:39], s[28:29]
	s_cbranch_execnz .LBB742_105
.LBB742_70:
	s_or_b64 exec, exec, s[38:39]
	s_and_saveexec_b64 s[38:39], s[26:27]
	s_cbranch_execnz .LBB742_108
.LBB742_71:
	s_or_b64 exec, exec, s[38:39]
	s_and_saveexec_b64 s[38:39], s[24:25]
	s_cbranch_execnz .LBB742_111
.LBB742_72:
	s_or_b64 exec, exec, s[38:39]
	s_and_saveexec_b64 s[38:39], s[22:23]
	s_cbranch_execnz .LBB742_114
.LBB742_73:
	s_or_b64 exec, exec, s[38:39]
	s_and_saveexec_b64 s[38:39], s[20:21]
	s_cbranch_execnz .LBB742_117
.LBB742_74:
	s_or_b64 exec, exec, s[38:39]
	s_and_saveexec_b64 s[38:39], s[18:19]
	s_cbranch_execnz .LBB742_120
.LBB742_75:
	s_or_b64 exec, exec, s[38:39]
	s_and_saveexec_b64 s[38:39], s[16:17]
	s_cbranch_execnz .LBB742_123
.LBB742_76:
	s_or_b64 exec, exec, s[38:39]
	s_and_saveexec_b64 s[38:39], s[14:15]
	s_cbranch_execnz .LBB742_126
.LBB742_77:
	s_or_b64 exec, exec, s[38:39]
	s_and_saveexec_b64 s[38:39], s[12:13]
	s_cbranch_execnz .LBB742_129
.LBB742_78:
	s_or_b64 exec, exec, s[38:39]
	s_and_saveexec_b64 s[38:39], s[10:11]
	s_cbranch_execnz .LBB742_132
.LBB742_79:
	s_or_b64 exec, exec, s[38:39]
	s_and_saveexec_b64 s[38:39], s[8:9]
	s_cbranch_execnz .LBB742_135
.LBB742_80:
	s_or_b64 exec, exec, s[38:39]
	s_and_saveexec_b64 s[38:39], s[68:69]
	s_cbranch_execnz .LBB742_138
.LBB742_81:
	s_or_b64 exec, exec, s[38:39]
	s_and_saveexec_b64 s[38:39], s[6:7]
	s_cbranch_execnz .LBB742_141
.LBB742_82:
	s_or_b64 exec, exec, s[38:39]
	s_and_saveexec_b64 s[38:39], s[66:67]
	s_cbranch_execnz .LBB742_144
.LBB742_83:
	s_or_b64 exec, exec, s[38:39]
	s_and_saveexec_b64 s[38:39], s[2:3]
	s_cbranch_execnz .LBB742_147
.LBB742_84:
	s_or_b64 exec, exec, s[38:39]
	s_and_saveexec_b64 s[38:39], s[0:1]
	s_cbranch_execnz .LBB742_150
.LBB742_85:
	s_or_b64 exec, exec, s[38:39]
	s_and_saveexec_b64 s[38:39], s[94:95]
	s_cbranch_execnz .LBB742_153
.LBB742_86:
	s_or_b64 exec, exec, s[38:39]
	s_and_saveexec_b64 s[38:39], s[92:93]
	s_cbranch_execnz .LBB742_156
.LBB742_87:
	s_or_b64 exec, exec, s[38:39]
	s_and_saveexec_b64 s[38:39], s[90:91]
	s_cbranch_execnz .LBB742_159
.LBB742_88:
	s_or_b64 exec, exec, s[38:39]
	s_and_saveexec_b64 s[38:39], s[88:89]
	s_cbranch_execnz .LBB742_162
.LBB742_89:
	s_or_b64 exec, exec, s[38:39]
	s_and_saveexec_b64 s[38:39], s[86:87]
	s_cbranch_execnz .LBB742_165
.LBB742_90:
	s_or_b64 exec, exec, s[38:39]
	s_and_saveexec_b64 s[38:39], s[84:85]
	s_cbranch_execnz .LBB742_168
.LBB742_91:
	s_or_b64 exec, exec, s[38:39]
	s_and_saveexec_b64 s[38:39], s[82:83]
	s_cbranch_execnz .LBB742_171
.LBB742_92:
	s_or_b64 exec, exec, s[38:39]
	s_and_saveexec_b64 s[38:39], s[80:81]
	s_cbranch_execnz .LBB742_174
.LBB742_93:
	s_or_b64 exec, exec, s[38:39]
	s_and_saveexec_b64 s[38:39], s[78:79]
	s_cbranch_execnz .LBB742_177
.LBB742_94:
	s_or_b64 exec, exec, s[38:39]
	s_and_saveexec_b64 s[38:39], s[76:77]
	s_cbranch_execnz .LBB742_180
.LBB742_95:
	s_or_b64 exec, exec, s[38:39]
	s_and_saveexec_b64 s[38:39], s[72:73]
	s_cbranch_execnz .LBB742_183
.LBB742_96:
	s_or_b64 exec, exec, s[38:39]
	s_and_saveexec_b64 s[38:39], s[70:71]
	s_cbranch_execnz .LBB742_186
.LBB742_97:
	s_or_b64 exec, exec, s[38:39]
	s_and_saveexec_b64 s[38:39], s[64:65]
	s_cbranch_execnz .LBB742_189
	s_branch .LBB742_192
.LBB742_98:
	global_load_ubyte v4, v[2:3], off
	s_waitcnt vmcnt(0)
	v_and_b32_e32 v4, 1, v4
	v_cmp_eq_u32_e64 s[4:5], 1, v4
	s_xor_b64 s[4:5], s[4:5], -1
	s_and_b64 s[74:75], s[4:5], exec
	s_or_b64 exec, exec, s[38:39]
	v_mov_b32_e32 v4, v40
	s_and_saveexec_b64 s[38:39], s[34:35]
	s_cbranch_execz .LBB742_68
.LBB742_99:
	global_load_ubyte v4, v[2:3], off offset:64
	s_mov_b64 s[40:41], s[74:75]
	s_waitcnt vmcnt(0)
	v_and_b32_e32 v4, 1, v4
	v_cmp_eq_u32_e64 s[4:5], 1, v4
	s_xor_b64 s[4:5], s[4:5], -1
	v_mov_b32_e32 v4, v40
	s_and_saveexec_b64 s[42:43], s[4:5]
; %bb.100:
	v_cmp_gt_f32_e64 s[4:5], v40, v39
	s_and_b64 s[4:5], s[74:75], s[4:5]
	v_cndmask_b32_e64 v4, v39, v40, s[4:5]
	s_or_b64 s[40:41], s[74:75], exec
; %bb.101:
	s_or_b64 exec, exec, s[42:43]
	s_andn2_b64 s[4:5], s[74:75], exec
	s_and_b64 s[40:41], s[40:41], exec
	s_or_b64 s[74:75], s[4:5], s[40:41]
	s_or_b64 exec, exec, s[38:39]
	s_and_saveexec_b64 s[38:39], s[30:31]
	s_cbranch_execz .LBB742_69
.LBB742_102:
	global_load_ubyte v5, v[2:3], off offset:128
	s_waitcnt vmcnt(0)
	v_and_b32_e32 v5, 1, v5
	v_cmp_eq_u32_e64 s[4:5], 1, v5
	s_xor_b64 s[42:43], s[4:5], -1
	s_mov_b64 s[4:5], s[74:75]
	s_and_saveexec_b64 s[40:41], s[42:43]
; %bb.103:
	v_cmp_gt_f32_e64 s[4:5], v4, v38
	s_and_b64 s[4:5], s[74:75], s[4:5]
	v_cndmask_b32_e64 v4, v38, v4, s[4:5]
	s_or_b64 s[4:5], s[74:75], exec
; %bb.104:
	s_or_b64 exec, exec, s[40:41]
	s_andn2_b64 s[40:41], s[74:75], exec
	s_and_b64 s[4:5], s[4:5], exec
	s_or_b64 s[74:75], s[40:41], s[4:5]
	s_or_b64 exec, exec, s[38:39]
	s_and_saveexec_b64 s[38:39], s[28:29]
	s_cbranch_execz .LBB742_70
.LBB742_105:
	global_load_ubyte v5, v[2:3], off offset:192
	s_waitcnt vmcnt(0)
	v_and_b32_e32 v5, 1, v5
	v_cmp_eq_u32_e64 s[4:5], 1, v5
	s_xor_b64 s[42:43], s[4:5], -1
	s_mov_b64 s[4:5], s[74:75]
	s_and_saveexec_b64 s[40:41], s[42:43]
; %bb.106:
	v_cmp_gt_f32_e64 s[4:5], v4, v37
	s_and_b64 s[4:5], s[74:75], s[4:5]
	v_cndmask_b32_e64 v4, v37, v4, s[4:5]
	s_or_b64 s[4:5], s[74:75], exec
; %bb.107:
	s_or_b64 exec, exec, s[40:41]
	s_andn2_b64 s[40:41], s[74:75], exec
	s_and_b64 s[4:5], s[4:5], exec
	s_or_b64 s[74:75], s[40:41], s[4:5]
	s_or_b64 exec, exec, s[38:39]
	s_and_saveexec_b64 s[38:39], s[26:27]
	s_cbranch_execz .LBB742_71
.LBB742_108:
	global_load_ubyte v5, v[2:3], off offset:256
	s_waitcnt vmcnt(0)
	v_and_b32_e32 v5, 1, v5
	v_cmp_eq_u32_e64 s[4:5], 1, v5
	s_xor_b64 s[42:43], s[4:5], -1
	s_mov_b64 s[4:5], s[74:75]
	s_and_saveexec_b64 s[40:41], s[42:43]
; %bb.109:
	v_cmp_gt_f32_e64 s[4:5], v4, v36
	s_and_b64 s[4:5], s[74:75], s[4:5]
	v_cndmask_b32_e64 v4, v36, v4, s[4:5]
	s_or_b64 s[4:5], s[74:75], exec
; %bb.110:
	s_or_b64 exec, exec, s[40:41]
	s_andn2_b64 s[40:41], s[74:75], exec
	s_and_b64 s[4:5], s[4:5], exec
	s_or_b64 s[74:75], s[40:41], s[4:5]
	s_or_b64 exec, exec, s[38:39]
	s_and_saveexec_b64 s[38:39], s[24:25]
	s_cbranch_execz .LBB742_72
.LBB742_111:
	global_load_ubyte v5, v[2:3], off offset:320
	s_waitcnt vmcnt(0)
	v_and_b32_e32 v5, 1, v5
	v_cmp_eq_u32_e64 s[4:5], 1, v5
	s_xor_b64 s[42:43], s[4:5], -1
	s_mov_b64 s[4:5], s[74:75]
	s_and_saveexec_b64 s[40:41], s[42:43]
; %bb.112:
	v_cmp_gt_f32_e64 s[4:5], v4, v35
	s_and_b64 s[4:5], s[74:75], s[4:5]
	v_cndmask_b32_e64 v4, v35, v4, s[4:5]
	s_or_b64 s[4:5], s[74:75], exec
; %bb.113:
	s_or_b64 exec, exec, s[40:41]
	s_andn2_b64 s[40:41], s[74:75], exec
	s_and_b64 s[4:5], s[4:5], exec
	s_or_b64 s[74:75], s[40:41], s[4:5]
	s_or_b64 exec, exec, s[38:39]
	s_and_saveexec_b64 s[38:39], s[22:23]
	s_cbranch_execz .LBB742_73
.LBB742_114:
	global_load_ubyte v5, v[2:3], off offset:384
	s_waitcnt vmcnt(0)
	v_and_b32_e32 v5, 1, v5
	v_cmp_eq_u32_e64 s[4:5], 1, v5
	s_xor_b64 s[42:43], s[4:5], -1
	s_mov_b64 s[4:5], s[74:75]
	s_and_saveexec_b64 s[40:41], s[42:43]
; %bb.115:
	v_cmp_gt_f32_e64 s[4:5], v4, v34
	s_and_b64 s[4:5], s[74:75], s[4:5]
	v_cndmask_b32_e64 v4, v34, v4, s[4:5]
	s_or_b64 s[4:5], s[74:75], exec
; %bb.116:
	s_or_b64 exec, exec, s[40:41]
	s_andn2_b64 s[40:41], s[74:75], exec
	s_and_b64 s[4:5], s[4:5], exec
	s_or_b64 s[74:75], s[40:41], s[4:5]
	s_or_b64 exec, exec, s[38:39]
	s_and_saveexec_b64 s[38:39], s[20:21]
	s_cbranch_execz .LBB742_74
.LBB742_117:
	global_load_ubyte v5, v[2:3], off offset:448
	s_waitcnt vmcnt(0)
	v_and_b32_e32 v5, 1, v5
	v_cmp_eq_u32_e64 s[4:5], 1, v5
	s_xor_b64 s[42:43], s[4:5], -1
	s_mov_b64 s[4:5], s[74:75]
	s_and_saveexec_b64 s[40:41], s[42:43]
; %bb.118:
	v_cmp_gt_f32_e64 s[4:5], v4, v33
	s_and_b64 s[4:5], s[74:75], s[4:5]
	v_cndmask_b32_e64 v4, v33, v4, s[4:5]
	s_or_b64 s[4:5], s[74:75], exec
; %bb.119:
	s_or_b64 exec, exec, s[40:41]
	s_andn2_b64 s[40:41], s[74:75], exec
	s_and_b64 s[4:5], s[4:5], exec
	s_or_b64 s[74:75], s[40:41], s[4:5]
	s_or_b64 exec, exec, s[38:39]
	s_and_saveexec_b64 s[38:39], s[18:19]
	s_cbranch_execz .LBB742_75
.LBB742_120:
	global_load_ubyte v5, v[2:3], off offset:512
	s_waitcnt vmcnt(0)
	v_and_b32_e32 v5, 1, v5
	v_cmp_eq_u32_e64 s[4:5], 1, v5
	s_xor_b64 s[42:43], s[4:5], -1
	s_mov_b64 s[4:5], s[74:75]
	s_and_saveexec_b64 s[40:41], s[42:43]
; %bb.121:
	v_cmp_gt_f32_e64 s[4:5], v4, v32
	s_and_b64 s[4:5], s[74:75], s[4:5]
	v_cndmask_b32_e64 v4, v32, v4, s[4:5]
	s_or_b64 s[4:5], s[74:75], exec
; %bb.122:
	s_or_b64 exec, exec, s[40:41]
	s_andn2_b64 s[40:41], s[74:75], exec
	s_and_b64 s[4:5], s[4:5], exec
	s_or_b64 s[74:75], s[40:41], s[4:5]
	s_or_b64 exec, exec, s[38:39]
	s_and_saveexec_b64 s[38:39], s[16:17]
	s_cbranch_execz .LBB742_76
.LBB742_123:
	global_load_ubyte v5, v[2:3], off offset:576
	s_waitcnt vmcnt(0)
	v_and_b32_e32 v5, 1, v5
	v_cmp_eq_u32_e64 s[4:5], 1, v5
	s_xor_b64 s[42:43], s[4:5], -1
	s_mov_b64 s[4:5], s[74:75]
	s_and_saveexec_b64 s[40:41], s[42:43]
; %bb.124:
	v_cmp_gt_f32_e64 s[4:5], v4, v31
	s_and_b64 s[4:5], s[74:75], s[4:5]
	v_cndmask_b32_e64 v4, v31, v4, s[4:5]
	s_or_b64 s[4:5], s[74:75], exec
; %bb.125:
	s_or_b64 exec, exec, s[40:41]
	s_andn2_b64 s[40:41], s[74:75], exec
	s_and_b64 s[4:5], s[4:5], exec
	s_or_b64 s[74:75], s[40:41], s[4:5]
	s_or_b64 exec, exec, s[38:39]
	s_and_saveexec_b64 s[38:39], s[14:15]
	s_cbranch_execz .LBB742_77
.LBB742_126:
	global_load_ubyte v5, v[2:3], off offset:640
	s_waitcnt vmcnt(0)
	v_and_b32_e32 v5, 1, v5
	v_cmp_eq_u32_e64 s[4:5], 1, v5
	s_xor_b64 s[42:43], s[4:5], -1
	s_mov_b64 s[4:5], s[74:75]
	s_and_saveexec_b64 s[40:41], s[42:43]
; %bb.127:
	v_cmp_gt_f32_e64 s[4:5], v4, v30
	s_and_b64 s[4:5], s[74:75], s[4:5]
	v_cndmask_b32_e64 v4, v30, v4, s[4:5]
	s_or_b64 s[4:5], s[74:75], exec
; %bb.128:
	s_or_b64 exec, exec, s[40:41]
	s_andn2_b64 s[40:41], s[74:75], exec
	s_and_b64 s[4:5], s[4:5], exec
	s_or_b64 s[74:75], s[40:41], s[4:5]
	s_or_b64 exec, exec, s[38:39]
	s_and_saveexec_b64 s[38:39], s[12:13]
	s_cbranch_execz .LBB742_78
.LBB742_129:
	global_load_ubyte v5, v[2:3], off offset:704
	s_waitcnt vmcnt(0)
	v_and_b32_e32 v5, 1, v5
	v_cmp_eq_u32_e64 s[4:5], 1, v5
	s_xor_b64 s[42:43], s[4:5], -1
	s_mov_b64 s[4:5], s[74:75]
	s_and_saveexec_b64 s[40:41], s[42:43]
; %bb.130:
	v_cmp_gt_f32_e64 s[4:5], v4, v29
	s_and_b64 s[4:5], s[74:75], s[4:5]
	v_cndmask_b32_e64 v4, v29, v4, s[4:5]
	s_or_b64 s[4:5], s[74:75], exec
; %bb.131:
	s_or_b64 exec, exec, s[40:41]
	s_andn2_b64 s[40:41], s[74:75], exec
	s_and_b64 s[4:5], s[4:5], exec
	s_or_b64 s[74:75], s[40:41], s[4:5]
	s_or_b64 exec, exec, s[38:39]
	s_and_saveexec_b64 s[38:39], s[10:11]
	s_cbranch_execz .LBB742_79
.LBB742_132:
	global_load_ubyte v5, v[2:3], off offset:768
	s_waitcnt vmcnt(0)
	v_and_b32_e32 v5, 1, v5
	v_cmp_eq_u32_e64 s[4:5], 1, v5
	s_xor_b64 s[42:43], s[4:5], -1
	s_mov_b64 s[4:5], s[74:75]
	s_and_saveexec_b64 s[40:41], s[42:43]
; %bb.133:
	v_cmp_gt_f32_e64 s[4:5], v4, v28
	s_and_b64 s[4:5], s[74:75], s[4:5]
	v_cndmask_b32_e64 v4, v28, v4, s[4:5]
	s_or_b64 s[4:5], s[74:75], exec
; %bb.134:
	s_or_b64 exec, exec, s[40:41]
	s_andn2_b64 s[40:41], s[74:75], exec
	s_and_b64 s[4:5], s[4:5], exec
	s_or_b64 s[74:75], s[40:41], s[4:5]
	s_or_b64 exec, exec, s[38:39]
	s_and_saveexec_b64 s[38:39], s[8:9]
	s_cbranch_execz .LBB742_80
.LBB742_135:
	global_load_ubyte v5, v[2:3], off offset:832
	s_waitcnt vmcnt(0)
	v_and_b32_e32 v5, 1, v5
	v_cmp_eq_u32_e64 s[4:5], 1, v5
	s_xor_b64 s[42:43], s[4:5], -1
	s_mov_b64 s[4:5], s[74:75]
	s_and_saveexec_b64 s[40:41], s[42:43]
; %bb.136:
	v_cmp_gt_f32_e64 s[4:5], v4, v27
	s_and_b64 s[4:5], s[74:75], s[4:5]
	v_cndmask_b32_e64 v4, v27, v4, s[4:5]
	s_or_b64 s[4:5], s[74:75], exec
; %bb.137:
	s_or_b64 exec, exec, s[40:41]
	s_andn2_b64 s[40:41], s[74:75], exec
	s_and_b64 s[4:5], s[4:5], exec
	s_or_b64 s[74:75], s[40:41], s[4:5]
	s_or_b64 exec, exec, s[38:39]
	s_and_saveexec_b64 s[38:39], s[68:69]
	s_cbranch_execz .LBB742_81
.LBB742_138:
	global_load_ubyte v5, v[2:3], off offset:896
	s_waitcnt vmcnt(0)
	v_and_b32_e32 v5, 1, v5
	v_cmp_eq_u32_e64 s[4:5], 1, v5
	s_xor_b64 s[42:43], s[4:5], -1
	s_mov_b64 s[4:5], s[74:75]
	s_and_saveexec_b64 s[40:41], s[42:43]
; %bb.139:
	v_cmp_gt_f32_e64 s[4:5], v4, v26
	s_and_b64 s[4:5], s[74:75], s[4:5]
	v_cndmask_b32_e64 v4, v26, v4, s[4:5]
	s_or_b64 s[4:5], s[74:75], exec
; %bb.140:
	s_or_b64 exec, exec, s[40:41]
	s_andn2_b64 s[40:41], s[74:75], exec
	s_and_b64 s[4:5], s[4:5], exec
	s_or_b64 s[74:75], s[40:41], s[4:5]
	s_or_b64 exec, exec, s[38:39]
	s_and_saveexec_b64 s[38:39], s[6:7]
	s_cbranch_execz .LBB742_82
.LBB742_141:
	global_load_ubyte v5, v[2:3], off offset:960
	s_waitcnt vmcnt(0)
	v_and_b32_e32 v5, 1, v5
	v_cmp_eq_u32_e64 s[4:5], 1, v5
	s_xor_b64 s[42:43], s[4:5], -1
	s_mov_b64 s[4:5], s[74:75]
	s_and_saveexec_b64 s[40:41], s[42:43]
; %bb.142:
	v_cmp_gt_f32_e64 s[4:5], v4, v25
	s_and_b64 s[4:5], s[74:75], s[4:5]
	v_cndmask_b32_e64 v4, v25, v4, s[4:5]
	s_or_b64 s[4:5], s[74:75], exec
; %bb.143:
	s_or_b64 exec, exec, s[40:41]
	s_andn2_b64 s[40:41], s[74:75], exec
	s_and_b64 s[4:5], s[4:5], exec
	s_or_b64 s[74:75], s[40:41], s[4:5]
	s_or_b64 exec, exec, s[38:39]
	s_and_saveexec_b64 s[38:39], s[66:67]
	s_cbranch_execz .LBB742_83
.LBB742_144:
	global_load_ubyte v5, v[2:3], off offset:1024
	s_waitcnt vmcnt(0)
	v_and_b32_e32 v5, 1, v5
	v_cmp_eq_u32_e64 s[4:5], 1, v5
	s_xor_b64 s[42:43], s[4:5], -1
	s_mov_b64 s[4:5], s[74:75]
	s_and_saveexec_b64 s[40:41], s[42:43]
; %bb.145:
	v_cmp_gt_f32_e64 s[4:5], v4, v24
	s_and_b64 s[4:5], s[74:75], s[4:5]
	v_cndmask_b32_e64 v4, v24, v4, s[4:5]
	s_or_b64 s[4:5], s[74:75], exec
; %bb.146:
	s_or_b64 exec, exec, s[40:41]
	s_andn2_b64 s[40:41], s[74:75], exec
	s_and_b64 s[4:5], s[4:5], exec
	s_or_b64 s[74:75], s[40:41], s[4:5]
	s_or_b64 exec, exec, s[38:39]
	s_and_saveexec_b64 s[38:39], s[2:3]
	s_cbranch_execz .LBB742_84
.LBB742_147:
	global_load_ubyte v5, v[2:3], off offset:1088
	s_waitcnt vmcnt(0)
	v_and_b32_e32 v5, 1, v5
	v_cmp_eq_u32_e64 s[4:5], 1, v5
	s_xor_b64 s[42:43], s[4:5], -1
	s_mov_b64 s[4:5], s[74:75]
	s_and_saveexec_b64 s[40:41], s[42:43]
; %bb.148:
	v_cmp_gt_f32_e64 s[4:5], v4, v23
	s_and_b64 s[4:5], s[74:75], s[4:5]
	v_cndmask_b32_e64 v4, v23, v4, s[4:5]
	s_or_b64 s[4:5], s[74:75], exec
; %bb.149:
	s_or_b64 exec, exec, s[40:41]
	s_andn2_b64 s[40:41], s[74:75], exec
	s_and_b64 s[4:5], s[4:5], exec
	s_or_b64 s[74:75], s[40:41], s[4:5]
	s_or_b64 exec, exec, s[38:39]
	s_and_saveexec_b64 s[38:39], s[0:1]
	s_cbranch_execz .LBB742_85
.LBB742_150:
	global_load_ubyte v5, v[2:3], off offset:1152
	s_waitcnt vmcnt(0)
	v_and_b32_e32 v5, 1, v5
	v_cmp_eq_u32_e64 s[4:5], 1, v5
	s_xor_b64 s[42:43], s[4:5], -1
	s_mov_b64 s[4:5], s[74:75]
	s_and_saveexec_b64 s[40:41], s[42:43]
; %bb.151:
	v_cmp_gt_f32_e64 s[4:5], v4, v22
	s_and_b64 s[4:5], s[74:75], s[4:5]
	v_cndmask_b32_e64 v4, v22, v4, s[4:5]
	s_or_b64 s[4:5], s[74:75], exec
; %bb.152:
	s_or_b64 exec, exec, s[40:41]
	s_andn2_b64 s[40:41], s[74:75], exec
	s_and_b64 s[4:5], s[4:5], exec
	s_or_b64 s[74:75], s[40:41], s[4:5]
	s_or_b64 exec, exec, s[38:39]
	s_and_saveexec_b64 s[38:39], s[94:95]
	s_cbranch_execz .LBB742_86
.LBB742_153:
	global_load_ubyte v5, v[2:3], off offset:1216
	s_waitcnt vmcnt(0)
	v_and_b32_e32 v5, 1, v5
	v_cmp_eq_u32_e64 s[4:5], 1, v5
	s_xor_b64 s[42:43], s[4:5], -1
	s_mov_b64 s[4:5], s[74:75]
	s_and_saveexec_b64 s[40:41], s[42:43]
; %bb.154:
	v_cmp_gt_f32_e64 s[4:5], v4, v21
	s_and_b64 s[4:5], s[74:75], s[4:5]
	v_cndmask_b32_e64 v4, v21, v4, s[4:5]
	s_or_b64 s[4:5], s[74:75], exec
; %bb.155:
	s_or_b64 exec, exec, s[40:41]
	s_andn2_b64 s[40:41], s[74:75], exec
	s_and_b64 s[4:5], s[4:5], exec
	s_or_b64 s[74:75], s[40:41], s[4:5]
	s_or_b64 exec, exec, s[38:39]
	s_and_saveexec_b64 s[38:39], s[92:93]
	s_cbranch_execz .LBB742_87
.LBB742_156:
	global_load_ubyte v5, v[2:3], off offset:1280
	s_waitcnt vmcnt(0)
	v_and_b32_e32 v5, 1, v5
	v_cmp_eq_u32_e64 s[4:5], 1, v5
	s_xor_b64 s[42:43], s[4:5], -1
	s_mov_b64 s[4:5], s[74:75]
	s_and_saveexec_b64 s[40:41], s[42:43]
; %bb.157:
	v_cmp_gt_f32_e64 s[4:5], v4, v20
	s_and_b64 s[4:5], s[74:75], s[4:5]
	v_cndmask_b32_e64 v4, v20, v4, s[4:5]
	s_or_b64 s[4:5], s[74:75], exec
; %bb.158:
	s_or_b64 exec, exec, s[40:41]
	s_andn2_b64 s[40:41], s[74:75], exec
	s_and_b64 s[4:5], s[4:5], exec
	s_or_b64 s[74:75], s[40:41], s[4:5]
	s_or_b64 exec, exec, s[38:39]
	s_and_saveexec_b64 s[38:39], s[90:91]
	s_cbranch_execz .LBB742_88
.LBB742_159:
	global_load_ubyte v5, v[2:3], off offset:1344
	s_waitcnt vmcnt(0)
	v_and_b32_e32 v5, 1, v5
	v_cmp_eq_u32_e64 s[4:5], 1, v5
	s_xor_b64 s[42:43], s[4:5], -1
	s_mov_b64 s[4:5], s[74:75]
	s_and_saveexec_b64 s[40:41], s[42:43]
; %bb.160:
	v_cmp_gt_f32_e64 s[4:5], v4, v19
	s_and_b64 s[4:5], s[74:75], s[4:5]
	v_cndmask_b32_e64 v4, v19, v4, s[4:5]
	s_or_b64 s[4:5], s[74:75], exec
; %bb.161:
	s_or_b64 exec, exec, s[40:41]
	s_andn2_b64 s[40:41], s[74:75], exec
	s_and_b64 s[4:5], s[4:5], exec
	s_or_b64 s[74:75], s[40:41], s[4:5]
	s_or_b64 exec, exec, s[38:39]
	s_and_saveexec_b64 s[38:39], s[88:89]
	s_cbranch_execz .LBB742_89
.LBB742_162:
	global_load_ubyte v5, v[2:3], off offset:1408
	s_waitcnt vmcnt(0)
	v_and_b32_e32 v5, 1, v5
	v_cmp_eq_u32_e64 s[4:5], 1, v5
	s_xor_b64 s[42:43], s[4:5], -1
	s_mov_b64 s[4:5], s[74:75]
	s_and_saveexec_b64 s[40:41], s[42:43]
; %bb.163:
	v_cmp_gt_f32_e64 s[4:5], v4, v18
	s_and_b64 s[4:5], s[74:75], s[4:5]
	v_cndmask_b32_e64 v4, v18, v4, s[4:5]
	s_or_b64 s[4:5], s[74:75], exec
; %bb.164:
	s_or_b64 exec, exec, s[40:41]
	s_andn2_b64 s[40:41], s[74:75], exec
	s_and_b64 s[4:5], s[4:5], exec
	s_or_b64 s[74:75], s[40:41], s[4:5]
	s_or_b64 exec, exec, s[38:39]
	s_and_saveexec_b64 s[38:39], s[86:87]
	s_cbranch_execz .LBB742_90
.LBB742_165:
	global_load_ubyte v5, v[2:3], off offset:1472
	s_waitcnt vmcnt(0)
	v_and_b32_e32 v5, 1, v5
	v_cmp_eq_u32_e64 s[4:5], 1, v5
	s_xor_b64 s[42:43], s[4:5], -1
	s_mov_b64 s[4:5], s[74:75]
	s_and_saveexec_b64 s[40:41], s[42:43]
; %bb.166:
	v_cmp_gt_f32_e64 s[4:5], v4, v17
	s_and_b64 s[4:5], s[74:75], s[4:5]
	v_cndmask_b32_e64 v4, v17, v4, s[4:5]
	s_or_b64 s[4:5], s[74:75], exec
; %bb.167:
	s_or_b64 exec, exec, s[40:41]
	s_andn2_b64 s[40:41], s[74:75], exec
	s_and_b64 s[4:5], s[4:5], exec
	s_or_b64 s[74:75], s[40:41], s[4:5]
	s_or_b64 exec, exec, s[38:39]
	s_and_saveexec_b64 s[38:39], s[84:85]
	s_cbranch_execz .LBB742_91
.LBB742_168:
	global_load_ubyte v5, v[2:3], off offset:1536
	s_waitcnt vmcnt(0)
	v_and_b32_e32 v5, 1, v5
	v_cmp_eq_u32_e64 s[4:5], 1, v5
	s_xor_b64 s[42:43], s[4:5], -1
	s_mov_b64 s[4:5], s[74:75]
	s_and_saveexec_b64 s[40:41], s[42:43]
; %bb.169:
	v_cmp_gt_f32_e64 s[4:5], v4, v16
	s_and_b64 s[4:5], s[74:75], s[4:5]
	v_cndmask_b32_e64 v4, v16, v4, s[4:5]
	s_or_b64 s[4:5], s[74:75], exec
; %bb.170:
	s_or_b64 exec, exec, s[40:41]
	s_andn2_b64 s[40:41], s[74:75], exec
	s_and_b64 s[4:5], s[4:5], exec
	s_or_b64 s[74:75], s[40:41], s[4:5]
	s_or_b64 exec, exec, s[38:39]
	s_and_saveexec_b64 s[38:39], s[82:83]
	s_cbranch_execz .LBB742_92
.LBB742_171:
	global_load_ubyte v5, v[2:3], off offset:1600
	s_waitcnt vmcnt(0)
	v_and_b32_e32 v5, 1, v5
	v_cmp_eq_u32_e64 s[4:5], 1, v5
	s_xor_b64 s[42:43], s[4:5], -1
	s_mov_b64 s[4:5], s[74:75]
	s_and_saveexec_b64 s[40:41], s[42:43]
; %bb.172:
	v_cmp_gt_f32_e64 s[4:5], v4, v15
	s_and_b64 s[4:5], s[74:75], s[4:5]
	v_cndmask_b32_e64 v4, v15, v4, s[4:5]
	s_or_b64 s[4:5], s[74:75], exec
; %bb.173:
	s_or_b64 exec, exec, s[40:41]
	s_andn2_b64 s[40:41], s[74:75], exec
	s_and_b64 s[4:5], s[4:5], exec
	s_or_b64 s[74:75], s[40:41], s[4:5]
	s_or_b64 exec, exec, s[38:39]
	s_and_saveexec_b64 s[38:39], s[80:81]
	s_cbranch_execz .LBB742_93
.LBB742_174:
	global_load_ubyte v5, v[2:3], off offset:1664
	s_waitcnt vmcnt(0)
	v_and_b32_e32 v5, 1, v5
	v_cmp_eq_u32_e64 s[4:5], 1, v5
	s_xor_b64 s[42:43], s[4:5], -1
	s_mov_b64 s[4:5], s[74:75]
	s_and_saveexec_b64 s[40:41], s[42:43]
; %bb.175:
	v_cmp_gt_f32_e64 s[4:5], v4, v14
	s_and_b64 s[4:5], s[74:75], s[4:5]
	v_cndmask_b32_e64 v4, v14, v4, s[4:5]
	s_or_b64 s[4:5], s[74:75], exec
; %bb.176:
	s_or_b64 exec, exec, s[40:41]
	s_andn2_b64 s[40:41], s[74:75], exec
	s_and_b64 s[4:5], s[4:5], exec
	s_or_b64 s[74:75], s[40:41], s[4:5]
	s_or_b64 exec, exec, s[38:39]
	s_and_saveexec_b64 s[38:39], s[78:79]
	s_cbranch_execz .LBB742_94
.LBB742_177:
	global_load_ubyte v5, v[2:3], off offset:1728
	s_waitcnt vmcnt(0)
	v_and_b32_e32 v5, 1, v5
	v_cmp_eq_u32_e64 s[4:5], 1, v5
	s_xor_b64 s[42:43], s[4:5], -1
	s_mov_b64 s[4:5], s[74:75]
	s_and_saveexec_b64 s[40:41], s[42:43]
; %bb.178:
	v_cmp_gt_f32_e64 s[4:5], v4, v13
	s_and_b64 s[4:5], s[74:75], s[4:5]
	v_cndmask_b32_e64 v4, v13, v4, s[4:5]
	s_or_b64 s[4:5], s[74:75], exec
; %bb.179:
	s_or_b64 exec, exec, s[40:41]
	s_andn2_b64 s[40:41], s[74:75], exec
	s_and_b64 s[4:5], s[4:5], exec
	s_or_b64 s[74:75], s[40:41], s[4:5]
	s_or_b64 exec, exec, s[38:39]
	s_and_saveexec_b64 s[38:39], s[76:77]
	s_cbranch_execz .LBB742_95
.LBB742_180:
	global_load_ubyte v5, v[2:3], off offset:1792
	s_waitcnt vmcnt(0)
	v_and_b32_e32 v5, 1, v5
	v_cmp_eq_u32_e64 s[4:5], 1, v5
	s_xor_b64 s[42:43], s[4:5], -1
	s_mov_b64 s[4:5], s[74:75]
	s_and_saveexec_b64 s[40:41], s[42:43]
; %bb.181:
	v_cmp_gt_f32_e64 s[4:5], v4, v12
	s_and_b64 s[4:5], s[74:75], s[4:5]
	v_cndmask_b32_e64 v4, v12, v4, s[4:5]
	s_or_b64 s[4:5], s[74:75], exec
; %bb.182:
	s_or_b64 exec, exec, s[40:41]
	s_andn2_b64 s[40:41], s[74:75], exec
	s_and_b64 s[4:5], s[4:5], exec
	s_or_b64 s[74:75], s[40:41], s[4:5]
	s_or_b64 exec, exec, s[38:39]
	s_and_saveexec_b64 s[38:39], s[72:73]
	s_cbranch_execz .LBB742_96
.LBB742_183:
	global_load_ubyte v5, v[2:3], off offset:1856
	s_waitcnt vmcnt(0)
	v_and_b32_e32 v5, 1, v5
	v_cmp_eq_u32_e64 s[4:5], 1, v5
	s_xor_b64 s[42:43], s[4:5], -1
	s_mov_b64 s[4:5], s[74:75]
	s_and_saveexec_b64 s[40:41], s[42:43]
; %bb.184:
	v_cmp_gt_f32_e64 s[4:5], v4, v11
	s_and_b64 s[4:5], s[74:75], s[4:5]
	v_cndmask_b32_e64 v4, v11, v4, s[4:5]
	s_or_b64 s[4:5], s[74:75], exec
; %bb.185:
	s_or_b64 exec, exec, s[40:41]
	s_andn2_b64 s[40:41], s[74:75], exec
	s_and_b64 s[4:5], s[4:5], exec
	s_or_b64 s[74:75], s[40:41], s[4:5]
	s_or_b64 exec, exec, s[38:39]
	s_and_saveexec_b64 s[38:39], s[70:71]
	s_cbranch_execz .LBB742_97
.LBB742_186:
	global_load_ubyte v5, v[2:3], off offset:1920
	s_waitcnt vmcnt(0)
	v_and_b32_e32 v5, 1, v5
	v_cmp_eq_u32_e64 s[4:5], 1, v5
	s_xor_b64 s[42:43], s[4:5], -1
	s_mov_b64 s[4:5], s[74:75]
	s_and_saveexec_b64 s[40:41], s[42:43]
; %bb.187:
	v_cmp_gt_f32_e64 s[4:5], v4, v10
	s_and_b64 s[4:5], s[74:75], s[4:5]
	v_cndmask_b32_e64 v4, v10, v4, s[4:5]
	s_or_b64 s[4:5], s[74:75], exec
; %bb.188:
	s_or_b64 exec, exec, s[40:41]
	s_andn2_b64 s[40:41], s[74:75], exec
	s_and_b64 s[4:5], s[4:5], exec
	s_or_b64 s[74:75], s[40:41], s[4:5]
	s_or_b64 exec, exec, s[38:39]
	s_and_saveexec_b64 s[38:39], s[64:65]
	s_cbranch_execz .LBB742_192
.LBB742_189:
	global_load_ubyte v5, v[2:3], off offset:1984
	s_waitcnt vmcnt(0)
	v_and_b32_e32 v5, 1, v5
	v_cmp_eq_u32_e64 s[4:5], 1, v5
	s_xor_b64 s[42:43], s[4:5], -1
	s_mov_b64 s[4:5], s[74:75]
	s_and_saveexec_b64 s[40:41], s[42:43]
; %bb.190:
	v_cmp_gt_f32_e64 s[4:5], v4, v9
	s_and_b64 s[4:5], s[74:75], s[4:5]
	v_cndmask_b32_e64 v4, v9, v4, s[4:5]
	s_or_b64 s[4:5], s[74:75], exec
; %bb.191:
	s_or_b64 exec, exec, s[40:41]
	s_andn2_b64 s[40:41], s[74:75], exec
	s_and_b64 s[4:5], s[4:5], exec
	s_or_b64 s[74:75], s[40:41], s[4:5]
.LBB742_192:
	s_or_b64 exec, exec, s[38:39]
	v_mov_b32_e32 v5, 0xff800000
	v_cndmask_b32_e64 v4, v5, v4, s[74:75]
	v_mbcnt_lo_u32_b32 v5, -1, 0
	v_mbcnt_hi_u32_b32 v7, -1, v5
	v_and_b32_e32 v5, 64, v7
	v_add_u32_e32 v44, 64, v5
	v_xor_b32_e32 v5, 32, v7
	v_cmp_lt_i32_e64 s[4:5], v5, v44
	v_cndmask_b32_e64 v5, v7, v5, s[4:5]
	v_lshlrev_b32_e32 v5, 2, v5
	ds_bpermute_b32 v6, v5, v4
	v_xor_b32_e32 v41, 16, v7
	v_xor_b32_e32 v42, 8, v7
	;; [unrolled: 1-line block ×4, first 2 shown]
	s_waitcnt lgkmcnt(0)
	v_cmp_lt_f32_e64 s[4:5], v4, v6
	v_cndmask_b32_e64 v4, v4, v6, s[4:5]
	v_cmp_lt_i32_e64 s[4:5], v41, v44
	v_cndmask_b32_e64 v6, v7, v41, s[4:5]
	v_lshlrev_b32_e32 v6, 2, v6
	ds_bpermute_b32 v41, v6, v4
	v_xor_b32_e32 v46, 1, v7
	s_waitcnt lgkmcnt(0)
	v_cmp_lt_f32_e64 s[4:5], v4, v41
	v_cndmask_b32_e64 v4, v4, v41, s[4:5]
	v_cmp_lt_i32_e64 s[4:5], v42, v44
	v_cndmask_b32_e64 v41, v7, v42, s[4:5]
	v_lshlrev_b32_e32 v41, 2, v41
	ds_bpermute_b32 v42, v41, v4
	s_waitcnt lgkmcnt(0)
	v_cmp_lt_f32_e64 s[4:5], v4, v42
	v_cndmask_b32_e64 v4, v4, v42, s[4:5]
	v_cmp_lt_i32_e64 s[4:5], v43, v44
	v_cndmask_b32_e64 v42, v7, v43, s[4:5]
	v_lshlrev_b32_e32 v42, 2, v42
	ds_bpermute_b32 v43, v42, v4
	s_waitcnt lgkmcnt(0)
	v_cmp_lt_f32_e64 s[4:5], v4, v43
	v_cndmask_b32_e64 v4, v4, v43, s[4:5]
	v_cmp_lt_i32_e64 s[4:5], v45, v44
	v_cndmask_b32_e64 v43, v7, v45, s[4:5]
	v_lshlrev_b32_e32 v43, 2, v43
	ds_bpermute_b32 v45, v43, v4
	s_waitcnt lgkmcnt(0)
	v_cmp_lt_f32_e64 s[4:5], v4, v45
	v_cndmask_b32_e64 v47, v4, v45, s[4:5]
	v_cmp_lt_i32_e64 s[4:5], v46, v44
	v_cndmask_b32_e64 v4, v7, v46, s[4:5]
	v_lshlrev_b32_e32 v45, 2, v4
	ds_bpermute_b32 v7, v45, v47
	v_mov_b32_e32 v4, 0
	v_mov_b32_e32 v44, 0
	s_waitcnt lgkmcnt(0)
	v_cmp_lt_f32_e64 s[4:5], v47, v7
	v_cndmask_b32_e64 v46, v47, v7, s[4:5]
	s_and_saveexec_b64 s[74:75], s[36:37]
	s_cbranch_execz .LBB742_196
; %bb.193:
	global_load_ubyte v7, v[2:3], off
	v_mov_b32_e32 v44, 0
	s_waitcnt vmcnt(0)
	v_and_b32_e32 v7, 1, v7
	v_cmp_eq_u32_e64 s[4:5], 1, v7
	s_xor_b64 s[4:5], s[4:5], -1
	s_and_saveexec_b64 s[36:37], s[4:5]
	s_cbranch_execz .LBB742_195
; %bb.194:
	v_sub_f32_e32 v7, v40, v46
	s_mov_b32 s4, 0x3fb8aa3b
	v_mul_f32_e32 v40, 0x3fb8aa3b, v7
	v_fma_f32 v44, v7, s4, -v40
	v_rndne_f32_e32 v47, v40
	v_fmac_f32_e32 v44, 0x32a5705f, v7
	v_sub_f32_e32 v40, v40, v47
	v_add_f32_e32 v40, v40, v44
	v_exp_f32_e32 v40, v40
	v_cvt_i32_f32_e32 v44, v47
	s_mov_b32 s4, 0xc2ce8ed0
	v_cmp_ngt_f32_e64 s[4:5], s4, v7
	v_ldexp_f32 v40, v40, v44
	v_cndmask_b32_e64 v40, 0, v40, s[4:5]
	s_mov_b32 s4, 0x42b17218
	v_mov_b32_e32 v44, 0x7f800000
	v_cmp_nlt_f32_e64 s[4:5], s4, v7
	v_cndmask_b32_e64 v44, v44, v40, s[4:5]
.LBB742_195:
	s_or_b64 exec, exec, s[36:37]
.LBB742_196:
	s_or_b64 exec, exec, s[74:75]
	v_mov_b32_e32 v40, v44
	s_and_saveexec_b64 s[36:37], s[34:35]
	s_cbranch_execz .LBB742_200
; %bb.197:
	global_load_ubyte v7, v[2:3], off offset:64
	v_mov_b32_e32 v4, 0
	v_mov_b32_e32 v40, v44
	s_waitcnt vmcnt(0)
	v_and_b32_e32 v7, 1, v7
	v_cmp_eq_u32_e64 s[4:5], 1, v7
	s_xor_b64 s[4:5], s[4:5], -1
	s_and_saveexec_b64 s[34:35], s[4:5]
	s_cbranch_execz .LBB742_199
; %bb.198:
	v_sub_f32_e32 v4, v39, v46
	s_mov_b32 s4, 0x3fb8aa3b
	v_mul_f32_e32 v7, 0x3fb8aa3b, v4
	v_fma_f32 v39, v4, s4, -v7
	v_rndne_f32_e32 v40, v7
	v_fmac_f32_e32 v39, 0x32a5705f, v4
	v_sub_f32_e32 v7, v7, v40
	v_add_f32_e32 v7, v7, v39
	v_exp_f32_e32 v7, v7
	v_cvt_i32_f32_e32 v39, v40
	s_mov_b32 s4, 0xc2ce8ed0
	v_cmp_ngt_f32_e64 s[4:5], s4, v4
	v_ldexp_f32 v7, v7, v39
	v_cndmask_b32_e64 v7, 0, v7, s[4:5]
	s_mov_b32 s4, 0x42b17218
	v_mov_b32_e32 v39, 0x7f800000
	v_cmp_nlt_f32_e64 s[4:5], s4, v4
	v_cndmask_b32_e64 v4, v39, v7, s[4:5]
	v_add_f32_e32 v40, v44, v4
.LBB742_199:
	s_or_b64 exec, exec, s[34:35]
.LBB742_200:
	s_or_b64 exec, exec, s[36:37]
	v_mov_b32_e32 v7, 0
	v_mov_b32_e32 v39, 0
	s_and_saveexec_b64 s[34:35], s[30:31]
	s_cbranch_execz .LBB742_204
; %bb.201:
	global_load_ubyte v39, v[2:3], off offset:128
	s_waitcnt vmcnt(0)
	v_and_b32_e32 v39, 1, v39
	v_cmp_eq_u32_e64 s[4:5], 1, v39
	s_xor_b64 s[4:5], s[4:5], -1
	v_mov_b32_e32 v39, 0
	s_and_saveexec_b64 s[30:31], s[4:5]
	s_cbranch_execz .LBB742_203
; %bb.202:
	v_sub_f32_e32 v38, v38, v46
	s_mov_b32 s4, 0x3fb8aa3b
	v_mul_f32_e32 v39, 0x3fb8aa3b, v38
	v_fma_f32 v47, v38, s4, -v39
	v_rndne_f32_e32 v48, v39
	v_fmac_f32_e32 v47, 0x32a5705f, v38
	v_sub_f32_e32 v39, v39, v48
	v_add_f32_e32 v39, v39, v47
	v_exp_f32_e32 v39, v39
	v_cvt_i32_f32_e32 v47, v48
	s_mov_b32 s4, 0xc2ce8ed0
	v_cmp_ngt_f32_e64 s[4:5], s4, v38
	v_ldexp_f32 v39, v39, v47
	v_cndmask_b32_e64 v39, 0, v39, s[4:5]
	s_mov_b32 s4, 0x42b17218
	v_mov_b32_e32 v47, 0x7f800000
	v_cmp_nlt_f32_e64 s[4:5], s4, v38
	v_cndmask_b32_e64 v39, v47, v39, s[4:5]
	v_add_f32_e32 v40, v40, v39
.LBB742_203:
	s_or_b64 exec, exec, s[30:31]
.LBB742_204:
	s_or_b64 exec, exec, s[34:35]
	s_and_saveexec_b64 s[30:31], s[28:29]
	s_cbranch_execz .LBB742_208
; %bb.205:
	global_load_ubyte v7, v[2:3], off offset:192
	s_waitcnt vmcnt(0)
	v_and_b32_e32 v7, 1, v7
	v_cmp_eq_u32_e64 s[4:5], 1, v7
	s_xor_b64 s[4:5], s[4:5], -1
	v_mov_b32_e32 v7, 0
	s_and_saveexec_b64 s[28:29], s[4:5]
	s_cbranch_execz .LBB742_207
; %bb.206:
	v_sub_f32_e32 v7, v37, v46
	s_mov_b32 s4, 0x3fb8aa3b
	v_mul_f32_e32 v37, 0x3fb8aa3b, v7
	v_fma_f32 v38, v7, s4, -v37
	v_rndne_f32_e32 v47, v37
	v_fmac_f32_e32 v38, 0x32a5705f, v7
	v_sub_f32_e32 v37, v37, v47
	v_add_f32_e32 v37, v37, v38
	v_exp_f32_e32 v37, v37
	v_cvt_i32_f32_e32 v38, v47
	s_mov_b32 s4, 0xc2ce8ed0
	v_cmp_ngt_f32_e64 s[4:5], s4, v7
	v_ldexp_f32 v37, v37, v38
	v_cndmask_b32_e64 v37, 0, v37, s[4:5]
	s_mov_b32 s4, 0x42b17218
	v_mov_b32_e32 v38, 0x7f800000
	v_cmp_nlt_f32_e64 s[4:5], s4, v7
	v_cndmask_b32_e64 v7, v38, v37, s[4:5]
	v_add_f32_e32 v40, v40, v7
.LBB742_207:
	s_or_b64 exec, exec, s[28:29]
.LBB742_208:
	s_or_b64 exec, exec, s[30:31]
	v_mov_b32_e32 v37, 0
	v_mov_b32_e32 v38, 0
	s_and_saveexec_b64 s[28:29], s[26:27]
	s_cbranch_execz .LBB742_212
; %bb.209:
	global_load_ubyte v38, v[2:3], off offset:256
	s_waitcnt vmcnt(0)
	v_and_b32_e32 v38, 1, v38
	v_cmp_eq_u32_e64 s[4:5], 1, v38
	s_xor_b64 s[4:5], s[4:5], -1
	v_mov_b32_e32 v38, 0
	s_and_saveexec_b64 s[26:27], s[4:5]
	s_cbranch_execz .LBB742_211
; %bb.210:
	v_sub_f32_e32 v36, v36, v46
	s_mov_b32 s4, 0x3fb8aa3b
	v_mul_f32_e32 v38, 0x3fb8aa3b, v36
	v_fma_f32 v47, v36, s4, -v38
	v_rndne_f32_e32 v48, v38
	v_fmac_f32_e32 v47, 0x32a5705f, v36
	v_sub_f32_e32 v38, v38, v48
	v_add_f32_e32 v38, v38, v47
	v_exp_f32_e32 v38, v38
	v_cvt_i32_f32_e32 v47, v48
	s_mov_b32 s4, 0xc2ce8ed0
	v_cmp_ngt_f32_e64 s[4:5], s4, v36
	v_ldexp_f32 v38, v38, v47
	v_cndmask_b32_e64 v38, 0, v38, s[4:5]
	s_mov_b32 s4, 0x42b17218
	v_mov_b32_e32 v47, 0x7f800000
	v_cmp_nlt_f32_e64 s[4:5], s4, v36
	v_cndmask_b32_e64 v38, v47, v38, s[4:5]
	v_add_f32_e32 v40, v40, v38
.LBB742_211:
	s_or_b64 exec, exec, s[26:27]
.LBB742_212:
	s_or_b64 exec, exec, s[28:29]
	s_and_saveexec_b64 s[26:27], s[24:25]
	s_cbranch_execz .LBB742_216
; %bb.213:
	global_load_ubyte v36, v[2:3], off offset:320
	v_mov_b32_e32 v37, 0
	s_waitcnt vmcnt(0)
	v_and_b32_e32 v36, 1, v36
	v_cmp_eq_u32_e64 s[4:5], 1, v36
	s_xor_b64 s[4:5], s[4:5], -1
	s_and_saveexec_b64 s[24:25], s[4:5]
	s_cbranch_execz .LBB742_215
; %bb.214:
	v_sub_f32_e32 v35, v35, v46
	s_mov_b32 s4, 0x3fb8aa3b
	v_mul_f32_e32 v36, 0x3fb8aa3b, v35
	v_fma_f32 v37, v35, s4, -v36
	v_rndne_f32_e32 v47, v36
	v_fmac_f32_e32 v37, 0x32a5705f, v35
	v_sub_f32_e32 v36, v36, v47
	v_add_f32_e32 v36, v36, v37
	v_exp_f32_e32 v36, v36
	v_cvt_i32_f32_e32 v37, v47
	s_mov_b32 s4, 0xc2ce8ed0
	v_cmp_ngt_f32_e64 s[4:5], s4, v35
	v_ldexp_f32 v36, v36, v37
	v_cndmask_b32_e64 v36, 0, v36, s[4:5]
	s_mov_b32 s4, 0x42b17218
	v_mov_b32_e32 v37, 0x7f800000
	v_cmp_nlt_f32_e64 s[4:5], s4, v35
	v_cndmask_b32_e64 v37, v37, v36, s[4:5]
	v_add_f32_e32 v40, v40, v37
.LBB742_215:
	s_or_b64 exec, exec, s[24:25]
.LBB742_216:
	s_or_b64 exec, exec, s[26:27]
	v_mov_b32_e32 v35, 0
	v_mov_b32_e32 v36, 0
	s_and_saveexec_b64 s[24:25], s[22:23]
	s_cbranch_execz .LBB742_220
; %bb.217:
	global_load_ubyte v36, v[2:3], off offset:384
	s_waitcnt vmcnt(0)
	v_and_b32_e32 v36, 1, v36
	v_cmp_eq_u32_e64 s[4:5], 1, v36
	s_xor_b64 s[4:5], s[4:5], -1
	v_mov_b32_e32 v36, 0
	s_and_saveexec_b64 s[22:23], s[4:5]
	s_cbranch_execz .LBB742_219
; %bb.218:
	v_sub_f32_e32 v34, v34, v46
	s_mov_b32 s4, 0x3fb8aa3b
	v_mul_f32_e32 v36, 0x3fb8aa3b, v34
	v_fma_f32 v47, v34, s4, -v36
	v_rndne_f32_e32 v48, v36
	v_fmac_f32_e32 v47, 0x32a5705f, v34
	v_sub_f32_e32 v36, v36, v48
	v_add_f32_e32 v36, v36, v47
	v_exp_f32_e32 v36, v36
	v_cvt_i32_f32_e32 v47, v48
	s_mov_b32 s4, 0xc2ce8ed0
	v_cmp_ngt_f32_e64 s[4:5], s4, v34
	v_ldexp_f32 v36, v36, v47
	v_cndmask_b32_e64 v36, 0, v36, s[4:5]
	s_mov_b32 s4, 0x42b17218
	v_mov_b32_e32 v47, 0x7f800000
	v_cmp_nlt_f32_e64 s[4:5], s4, v34
	v_cndmask_b32_e64 v36, v47, v36, s[4:5]
	v_add_f32_e32 v40, v40, v36
.LBB742_219:
	s_or_b64 exec, exec, s[22:23]
.LBB742_220:
	s_or_b64 exec, exec, s[24:25]
	s_and_saveexec_b64 s[22:23], s[20:21]
	s_cbranch_execz .LBB742_224
; %bb.221:
	global_load_ubyte v34, v[2:3], off offset:448
	v_mov_b32_e32 v35, 0
	s_waitcnt vmcnt(0)
	v_and_b32_e32 v34, 1, v34
	v_cmp_eq_u32_e64 s[4:5], 1, v34
	s_xor_b64 s[4:5], s[4:5], -1
	s_and_saveexec_b64 s[20:21], s[4:5]
	s_cbranch_execz .LBB742_223
; %bb.222:
	v_sub_f32_e32 v33, v33, v46
	s_mov_b32 s4, 0x3fb8aa3b
	v_mul_f32_e32 v34, 0x3fb8aa3b, v33
	v_fma_f32 v35, v33, s4, -v34
	v_rndne_f32_e32 v47, v34
	v_fmac_f32_e32 v35, 0x32a5705f, v33
	v_sub_f32_e32 v34, v34, v47
	v_add_f32_e32 v34, v34, v35
	v_exp_f32_e32 v34, v34
	v_cvt_i32_f32_e32 v35, v47
	s_mov_b32 s4, 0xc2ce8ed0
	v_cmp_ngt_f32_e64 s[4:5], s4, v33
	v_ldexp_f32 v34, v34, v35
	v_cndmask_b32_e64 v34, 0, v34, s[4:5]
	s_mov_b32 s4, 0x42b17218
	v_mov_b32_e32 v35, 0x7f800000
	v_cmp_nlt_f32_e64 s[4:5], s4, v33
	v_cndmask_b32_e64 v35, v35, v34, s[4:5]
	v_add_f32_e32 v40, v40, v35
.LBB742_223:
	s_or_b64 exec, exec, s[20:21]
.LBB742_224:
	s_or_b64 exec, exec, s[22:23]
	v_mov_b32_e32 v33, 0
	v_mov_b32_e32 v34, 0
	s_and_saveexec_b64 s[20:21], s[18:19]
	s_cbranch_execz .LBB742_228
; %bb.225:
	global_load_ubyte v34, v[2:3], off offset:512
	s_waitcnt vmcnt(0)
	v_and_b32_e32 v34, 1, v34
	v_cmp_eq_u32_e64 s[4:5], 1, v34
	s_xor_b64 s[4:5], s[4:5], -1
	v_mov_b32_e32 v34, 0
	s_and_saveexec_b64 s[18:19], s[4:5]
	s_cbranch_execz .LBB742_227
; %bb.226:
	v_sub_f32_e32 v32, v32, v46
	s_mov_b32 s4, 0x3fb8aa3b
	v_mul_f32_e32 v34, 0x3fb8aa3b, v32
	v_fma_f32 v47, v32, s4, -v34
	v_rndne_f32_e32 v48, v34
	v_fmac_f32_e32 v47, 0x32a5705f, v32
	v_sub_f32_e32 v34, v34, v48
	v_add_f32_e32 v34, v34, v47
	v_exp_f32_e32 v34, v34
	v_cvt_i32_f32_e32 v47, v48
	s_mov_b32 s4, 0xc2ce8ed0
	v_cmp_ngt_f32_e64 s[4:5], s4, v32
	v_ldexp_f32 v34, v34, v47
	v_cndmask_b32_e64 v34, 0, v34, s[4:5]
	s_mov_b32 s4, 0x42b17218
	v_mov_b32_e32 v47, 0x7f800000
	v_cmp_nlt_f32_e64 s[4:5], s4, v32
	v_cndmask_b32_e64 v34, v47, v34, s[4:5]
	v_add_f32_e32 v40, v40, v34
.LBB742_227:
	s_or_b64 exec, exec, s[18:19]
.LBB742_228:
	s_or_b64 exec, exec, s[20:21]
	s_and_saveexec_b64 s[18:19], s[16:17]
	s_cbranch_execz .LBB742_232
; %bb.229:
	global_load_ubyte v32, v[2:3], off offset:576
	v_mov_b32_e32 v33, 0
	s_waitcnt vmcnt(0)
	v_and_b32_e32 v32, 1, v32
	v_cmp_eq_u32_e64 s[4:5], 1, v32
	s_xor_b64 s[4:5], s[4:5], -1
	s_and_saveexec_b64 s[16:17], s[4:5]
	s_cbranch_execz .LBB742_231
; %bb.230:
	v_sub_f32_e32 v31, v31, v46
	s_mov_b32 s4, 0x3fb8aa3b
	v_mul_f32_e32 v32, 0x3fb8aa3b, v31
	v_fma_f32 v33, v31, s4, -v32
	v_rndne_f32_e32 v47, v32
	v_fmac_f32_e32 v33, 0x32a5705f, v31
	v_sub_f32_e32 v32, v32, v47
	v_add_f32_e32 v32, v32, v33
	v_exp_f32_e32 v32, v32
	v_cvt_i32_f32_e32 v33, v47
	s_mov_b32 s4, 0xc2ce8ed0
	v_cmp_ngt_f32_e64 s[4:5], s4, v31
	v_ldexp_f32 v32, v32, v33
	v_cndmask_b32_e64 v32, 0, v32, s[4:5]
	s_mov_b32 s4, 0x42b17218
	v_mov_b32_e32 v33, 0x7f800000
	v_cmp_nlt_f32_e64 s[4:5], s4, v31
	v_cndmask_b32_e64 v33, v33, v32, s[4:5]
	v_add_f32_e32 v40, v40, v33
.LBB742_231:
	s_or_b64 exec, exec, s[16:17]
.LBB742_232:
	s_or_b64 exec, exec, s[18:19]
	v_mov_b32_e32 v31, 0
	v_mov_b32_e32 v32, 0
	s_and_saveexec_b64 s[16:17], s[14:15]
	s_cbranch_execz .LBB742_236
; %bb.233:
	global_load_ubyte v32, v[2:3], off offset:640
	s_waitcnt vmcnt(0)
	v_and_b32_e32 v32, 1, v32
	v_cmp_eq_u32_e64 s[4:5], 1, v32
	s_xor_b64 s[4:5], s[4:5], -1
	v_mov_b32_e32 v32, 0
	s_and_saveexec_b64 s[14:15], s[4:5]
	s_cbranch_execz .LBB742_235
; %bb.234:
	v_sub_f32_e32 v30, v30, v46
	s_mov_b32 s4, 0x3fb8aa3b
	v_mul_f32_e32 v32, 0x3fb8aa3b, v30
	v_fma_f32 v47, v30, s4, -v32
	v_rndne_f32_e32 v48, v32
	v_fmac_f32_e32 v47, 0x32a5705f, v30
	v_sub_f32_e32 v32, v32, v48
	v_add_f32_e32 v32, v32, v47
	v_exp_f32_e32 v32, v32
	v_cvt_i32_f32_e32 v47, v48
	s_mov_b32 s4, 0xc2ce8ed0
	v_cmp_ngt_f32_e64 s[4:5], s4, v30
	v_ldexp_f32 v32, v32, v47
	v_cndmask_b32_e64 v32, 0, v32, s[4:5]
	s_mov_b32 s4, 0x42b17218
	v_mov_b32_e32 v47, 0x7f800000
	v_cmp_nlt_f32_e64 s[4:5], s4, v30
	v_cndmask_b32_e64 v32, v47, v32, s[4:5]
	v_add_f32_e32 v40, v40, v32
.LBB742_235:
	s_or_b64 exec, exec, s[14:15]
.LBB742_236:
	s_or_b64 exec, exec, s[16:17]
	s_and_saveexec_b64 s[14:15], s[12:13]
	s_cbranch_execz .LBB742_240
; %bb.237:
	global_load_ubyte v30, v[2:3], off offset:704
	v_mov_b32_e32 v31, 0
	s_waitcnt vmcnt(0)
	v_and_b32_e32 v30, 1, v30
	v_cmp_eq_u32_e64 s[4:5], 1, v30
	s_xor_b64 s[4:5], s[4:5], -1
	s_and_saveexec_b64 s[12:13], s[4:5]
	s_cbranch_execz .LBB742_239
; %bb.238:
	v_sub_f32_e32 v29, v29, v46
	s_mov_b32 s4, 0x3fb8aa3b
	v_mul_f32_e32 v30, 0x3fb8aa3b, v29
	v_fma_f32 v31, v29, s4, -v30
	v_rndne_f32_e32 v47, v30
	v_fmac_f32_e32 v31, 0x32a5705f, v29
	v_sub_f32_e32 v30, v30, v47
	v_add_f32_e32 v30, v30, v31
	v_exp_f32_e32 v30, v30
	v_cvt_i32_f32_e32 v31, v47
	s_mov_b32 s4, 0xc2ce8ed0
	v_cmp_ngt_f32_e64 s[4:5], s4, v29
	v_ldexp_f32 v30, v30, v31
	v_cndmask_b32_e64 v30, 0, v30, s[4:5]
	s_mov_b32 s4, 0x42b17218
	v_mov_b32_e32 v31, 0x7f800000
	v_cmp_nlt_f32_e64 s[4:5], s4, v29
	v_cndmask_b32_e64 v31, v31, v30, s[4:5]
	v_add_f32_e32 v40, v40, v31
.LBB742_239:
	s_or_b64 exec, exec, s[12:13]
.LBB742_240:
	s_or_b64 exec, exec, s[14:15]
	v_mov_b32_e32 v29, 0
	v_mov_b32_e32 v30, 0
	s_and_saveexec_b64 s[12:13], s[10:11]
	s_cbranch_execz .LBB742_244
; %bb.241:
	global_load_ubyte v30, v[2:3], off offset:768
	s_waitcnt vmcnt(0)
	v_and_b32_e32 v30, 1, v30
	v_cmp_eq_u32_e64 s[4:5], 1, v30
	s_xor_b64 s[4:5], s[4:5], -1
	v_mov_b32_e32 v30, 0
	s_and_saveexec_b64 s[10:11], s[4:5]
	s_cbranch_execz .LBB742_243
; %bb.242:
	v_sub_f32_e32 v28, v28, v46
	s_mov_b32 s4, 0x3fb8aa3b
	v_mul_f32_e32 v30, 0x3fb8aa3b, v28
	v_fma_f32 v47, v28, s4, -v30
	v_rndne_f32_e32 v48, v30
	v_fmac_f32_e32 v47, 0x32a5705f, v28
	v_sub_f32_e32 v30, v30, v48
	v_add_f32_e32 v30, v30, v47
	v_exp_f32_e32 v30, v30
	v_cvt_i32_f32_e32 v47, v48
	s_mov_b32 s4, 0xc2ce8ed0
	v_cmp_ngt_f32_e64 s[4:5], s4, v28
	v_ldexp_f32 v30, v30, v47
	v_cndmask_b32_e64 v30, 0, v30, s[4:5]
	s_mov_b32 s4, 0x42b17218
	v_mov_b32_e32 v47, 0x7f800000
	v_cmp_nlt_f32_e64 s[4:5], s4, v28
	v_cndmask_b32_e64 v30, v47, v30, s[4:5]
	v_add_f32_e32 v40, v40, v30
.LBB742_243:
	s_or_b64 exec, exec, s[10:11]
.LBB742_244:
	s_or_b64 exec, exec, s[12:13]
	s_and_saveexec_b64 s[10:11], s[8:9]
	s_cbranch_execz .LBB742_248
; %bb.245:
	global_load_ubyte v28, v[2:3], off offset:832
	v_mov_b32_e32 v29, 0
	s_waitcnt vmcnt(0)
	v_and_b32_e32 v28, 1, v28
	v_cmp_eq_u32_e64 s[4:5], 1, v28
	s_xor_b64 s[4:5], s[4:5], -1
	s_and_saveexec_b64 s[8:9], s[4:5]
	s_cbranch_execz .LBB742_247
; %bb.246:
	v_sub_f32_e32 v27, v27, v46
	s_mov_b32 s4, 0x3fb8aa3b
	v_mul_f32_e32 v28, 0x3fb8aa3b, v27
	v_fma_f32 v29, v27, s4, -v28
	v_rndne_f32_e32 v47, v28
	v_fmac_f32_e32 v29, 0x32a5705f, v27
	v_sub_f32_e32 v28, v28, v47
	v_add_f32_e32 v28, v28, v29
	v_exp_f32_e32 v28, v28
	v_cvt_i32_f32_e32 v29, v47
	s_mov_b32 s4, 0xc2ce8ed0
	v_cmp_ngt_f32_e64 s[4:5], s4, v27
	v_ldexp_f32 v28, v28, v29
	v_cndmask_b32_e64 v28, 0, v28, s[4:5]
	s_mov_b32 s4, 0x42b17218
	v_mov_b32_e32 v29, 0x7f800000
	v_cmp_nlt_f32_e64 s[4:5], s4, v27
	v_cndmask_b32_e64 v29, v29, v28, s[4:5]
	v_add_f32_e32 v40, v40, v29
.LBB742_247:
	s_or_b64 exec, exec, s[8:9]
.LBB742_248:
	s_or_b64 exec, exec, s[10:11]
	v_mov_b32_e32 v27, 0
	v_mov_b32_e32 v28, 0
	s_and_saveexec_b64 s[8:9], s[68:69]
	s_cbranch_execz .LBB742_252
; %bb.249:
	global_load_ubyte v28, v[2:3], off offset:896
	s_waitcnt vmcnt(0)
	v_and_b32_e32 v28, 1, v28
	v_cmp_eq_u32_e64 s[4:5], 1, v28
	s_xor_b64 s[4:5], s[4:5], -1
	v_mov_b32_e32 v28, 0
	s_and_saveexec_b64 s[10:11], s[4:5]
	s_cbranch_execz .LBB742_251
; %bb.250:
	v_sub_f32_e32 v26, v26, v46
	s_mov_b32 s4, 0x3fb8aa3b
	v_mul_f32_e32 v28, 0x3fb8aa3b, v26
	v_fma_f32 v47, v26, s4, -v28
	v_rndne_f32_e32 v48, v28
	v_fmac_f32_e32 v47, 0x32a5705f, v26
	v_sub_f32_e32 v28, v28, v48
	v_add_f32_e32 v28, v28, v47
	v_exp_f32_e32 v28, v28
	v_cvt_i32_f32_e32 v47, v48
	s_mov_b32 s4, 0xc2ce8ed0
	v_cmp_ngt_f32_e64 s[4:5], s4, v26
	v_ldexp_f32 v28, v28, v47
	v_cndmask_b32_e64 v28, 0, v28, s[4:5]
	s_mov_b32 s4, 0x42b17218
	v_mov_b32_e32 v47, 0x7f800000
	v_cmp_nlt_f32_e64 s[4:5], s4, v26
	v_cndmask_b32_e64 v28, v47, v28, s[4:5]
	v_add_f32_e32 v40, v40, v28
.LBB742_251:
	s_or_b64 exec, exec, s[10:11]
.LBB742_252:
	s_or_b64 exec, exec, s[8:9]
	s_and_saveexec_b64 s[8:9], s[6:7]
	s_cbranch_execz .LBB742_256
; %bb.253:
	global_load_ubyte v26, v[2:3], off offset:960
	v_mov_b32_e32 v27, 0
	s_waitcnt vmcnt(0)
	v_and_b32_e32 v26, 1, v26
	v_cmp_eq_u32_e64 s[4:5], 1, v26
	s_xor_b64 s[4:5], s[4:5], -1
	s_and_saveexec_b64 s[6:7], s[4:5]
	s_cbranch_execz .LBB742_255
; %bb.254:
	v_sub_f32_e32 v25, v25, v46
	s_mov_b32 s4, 0x3fb8aa3b
	v_mul_f32_e32 v26, 0x3fb8aa3b, v25
	v_fma_f32 v27, v25, s4, -v26
	v_rndne_f32_e32 v47, v26
	v_fmac_f32_e32 v27, 0x32a5705f, v25
	v_sub_f32_e32 v26, v26, v47
	v_add_f32_e32 v26, v26, v27
	v_exp_f32_e32 v26, v26
	v_cvt_i32_f32_e32 v27, v47
	s_mov_b32 s4, 0xc2ce8ed0
	v_cmp_ngt_f32_e64 s[4:5], s4, v25
	v_ldexp_f32 v26, v26, v27
	v_cndmask_b32_e64 v26, 0, v26, s[4:5]
	s_mov_b32 s4, 0x42b17218
	v_mov_b32_e32 v27, 0x7f800000
	v_cmp_nlt_f32_e64 s[4:5], s4, v25
	v_cndmask_b32_e64 v27, v27, v26, s[4:5]
	v_add_f32_e32 v40, v40, v27
.LBB742_255:
	s_or_b64 exec, exec, s[6:7]
.LBB742_256:
	s_or_b64 exec, exec, s[8:9]
	v_mov_b32_e32 v25, 0
	v_mov_b32_e32 v26, 0
	s_and_saveexec_b64 s[6:7], s[66:67]
	s_cbranch_execz .LBB742_260
; %bb.257:
	global_load_ubyte v26, v[2:3], off offset:1024
	s_waitcnt vmcnt(0)
	v_and_b32_e32 v26, 1, v26
	v_cmp_eq_u32_e64 s[4:5], 1, v26
	s_xor_b64 s[4:5], s[4:5], -1
	v_mov_b32_e32 v26, 0
	s_and_saveexec_b64 s[8:9], s[4:5]
	s_cbranch_execz .LBB742_259
; %bb.258:
	v_sub_f32_e32 v24, v24, v46
	s_mov_b32 s4, 0x3fb8aa3b
	v_mul_f32_e32 v26, 0x3fb8aa3b, v24
	v_fma_f32 v47, v24, s4, -v26
	v_rndne_f32_e32 v48, v26
	v_fmac_f32_e32 v47, 0x32a5705f, v24
	v_sub_f32_e32 v26, v26, v48
	v_add_f32_e32 v26, v26, v47
	v_exp_f32_e32 v26, v26
	v_cvt_i32_f32_e32 v47, v48
	s_mov_b32 s4, 0xc2ce8ed0
	v_cmp_ngt_f32_e64 s[4:5], s4, v24
	v_ldexp_f32 v26, v26, v47
	v_cndmask_b32_e64 v26, 0, v26, s[4:5]
	s_mov_b32 s4, 0x42b17218
	v_mov_b32_e32 v47, 0x7f800000
	v_cmp_nlt_f32_e64 s[4:5], s4, v24
	v_cndmask_b32_e64 v26, v47, v26, s[4:5]
	v_add_f32_e32 v40, v40, v26
.LBB742_259:
	s_or_b64 exec, exec, s[8:9]
.LBB742_260:
	s_or_b64 exec, exec, s[6:7]
	s_and_saveexec_b64 s[6:7], s[2:3]
	s_cbranch_execz .LBB742_264
; %bb.261:
	global_load_ubyte v24, v[2:3], off offset:1088
	v_mov_b32_e32 v25, 0
	s_waitcnt vmcnt(0)
	v_and_b32_e32 v24, 1, v24
	v_cmp_eq_u32_e64 s[4:5], 1, v24
	s_xor_b64 s[4:5], s[4:5], -1
	s_and_saveexec_b64 s[2:3], s[4:5]
	s_cbranch_execz .LBB742_263
; %bb.262:
	v_sub_f32_e32 v23, v23, v46
	s_mov_b32 s4, 0x3fb8aa3b
	v_mul_f32_e32 v24, 0x3fb8aa3b, v23
	v_fma_f32 v25, v23, s4, -v24
	v_rndne_f32_e32 v47, v24
	v_fmac_f32_e32 v25, 0x32a5705f, v23
	v_sub_f32_e32 v24, v24, v47
	v_add_f32_e32 v24, v24, v25
	v_exp_f32_e32 v24, v24
	v_cvt_i32_f32_e32 v25, v47
	s_mov_b32 s4, 0xc2ce8ed0
	v_cmp_ngt_f32_e64 s[4:5], s4, v23
	v_ldexp_f32 v24, v24, v25
	v_cndmask_b32_e64 v24, 0, v24, s[4:5]
	s_mov_b32 s4, 0x42b17218
	v_mov_b32_e32 v25, 0x7f800000
	v_cmp_nlt_f32_e64 s[4:5], s4, v23
	v_cndmask_b32_e64 v25, v25, v24, s[4:5]
	v_add_f32_e32 v40, v40, v25
.LBB742_263:
	s_or_b64 exec, exec, s[2:3]
.LBB742_264:
	s_or_b64 exec, exec, s[6:7]
	v_mov_b32_e32 v23, 0
	v_mov_b32_e32 v24, 0
	s_and_saveexec_b64 s[2:3], s[0:1]
	s_cbranch_execz .LBB742_268
; %bb.265:
	global_load_ubyte v24, v[2:3], off offset:1152
	s_waitcnt vmcnt(0)
	v_and_b32_e32 v24, 1, v24
	v_cmp_eq_u32_e64 s[4:5], 1, v24
	s_xor_b64 s[4:5], s[4:5], -1
	v_mov_b32_e32 v24, 0
	s_and_saveexec_b64 s[0:1], s[4:5]
	s_cbranch_execz .LBB742_267
; %bb.266:
	v_sub_f32_e32 v22, v22, v46
	s_mov_b32 s4, 0x3fb8aa3b
	v_mul_f32_e32 v24, 0x3fb8aa3b, v22
	v_fma_f32 v47, v22, s4, -v24
	v_rndne_f32_e32 v48, v24
	v_fmac_f32_e32 v47, 0x32a5705f, v22
	v_sub_f32_e32 v24, v24, v48
	v_add_f32_e32 v24, v24, v47
	v_exp_f32_e32 v24, v24
	v_cvt_i32_f32_e32 v47, v48
	s_mov_b32 s4, 0xc2ce8ed0
	v_cmp_ngt_f32_e64 s[4:5], s4, v22
	v_ldexp_f32 v24, v24, v47
	v_cndmask_b32_e64 v24, 0, v24, s[4:5]
	s_mov_b32 s4, 0x42b17218
	v_mov_b32_e32 v47, 0x7f800000
	v_cmp_nlt_f32_e64 s[4:5], s4, v22
	v_cndmask_b32_e64 v24, v47, v24, s[4:5]
	v_add_f32_e32 v40, v40, v24
.LBB742_267:
	s_or_b64 exec, exec, s[0:1]
.LBB742_268:
	s_or_b64 exec, exec, s[2:3]
	s_and_saveexec_b64 s[0:1], s[94:95]
	s_cbranch_execz .LBB742_272
; %bb.269:
	global_load_ubyte v22, v[2:3], off offset:1216
	v_mov_b32_e32 v23, 0
	s_waitcnt vmcnt(0)
	v_and_b32_e32 v22, 1, v22
	v_cmp_eq_u32_e64 s[4:5], 1, v22
	s_xor_b64 s[4:5], s[4:5], -1
	s_and_saveexec_b64 s[2:3], s[4:5]
	s_cbranch_execz .LBB742_271
; %bb.270:
	v_sub_f32_e32 v21, v21, v46
	s_mov_b32 s4, 0x3fb8aa3b
	v_mul_f32_e32 v22, 0x3fb8aa3b, v21
	v_fma_f32 v23, v21, s4, -v22
	v_rndne_f32_e32 v47, v22
	v_fmac_f32_e32 v23, 0x32a5705f, v21
	v_sub_f32_e32 v22, v22, v47
	v_add_f32_e32 v22, v22, v23
	v_exp_f32_e32 v22, v22
	v_cvt_i32_f32_e32 v23, v47
	s_mov_b32 s4, 0xc2ce8ed0
	v_cmp_ngt_f32_e64 s[4:5], s4, v21
	v_ldexp_f32 v22, v22, v23
	v_cndmask_b32_e64 v22, 0, v22, s[4:5]
	s_mov_b32 s4, 0x42b17218
	v_mov_b32_e32 v23, 0x7f800000
	v_cmp_nlt_f32_e64 s[4:5], s4, v21
	v_cndmask_b32_e64 v23, v23, v22, s[4:5]
	v_add_f32_e32 v40, v40, v23
.LBB742_271:
	s_or_b64 exec, exec, s[2:3]
.LBB742_272:
	s_or_b64 exec, exec, s[0:1]
	v_mov_b32_e32 v21, 0
	v_mov_b32_e32 v22, 0
	s_and_saveexec_b64 s[0:1], s[92:93]
	s_cbranch_execz .LBB742_276
; %bb.273:
	global_load_ubyte v22, v[2:3], off offset:1280
	s_waitcnt vmcnt(0)
	v_and_b32_e32 v22, 1, v22
	v_cmp_eq_u32_e64 s[4:5], 1, v22
	s_xor_b64 s[4:5], s[4:5], -1
	v_mov_b32_e32 v22, 0
	s_and_saveexec_b64 s[2:3], s[4:5]
	s_cbranch_execz .LBB742_275
; %bb.274:
	v_sub_f32_e32 v20, v20, v46
	s_mov_b32 s4, 0x3fb8aa3b
	v_mul_f32_e32 v22, 0x3fb8aa3b, v20
	v_fma_f32 v47, v20, s4, -v22
	v_rndne_f32_e32 v48, v22
	v_fmac_f32_e32 v47, 0x32a5705f, v20
	v_sub_f32_e32 v22, v22, v48
	v_add_f32_e32 v22, v22, v47
	v_exp_f32_e32 v22, v22
	v_cvt_i32_f32_e32 v47, v48
	s_mov_b32 s4, 0xc2ce8ed0
	v_cmp_ngt_f32_e64 s[4:5], s4, v20
	v_ldexp_f32 v22, v22, v47
	v_cndmask_b32_e64 v22, 0, v22, s[4:5]
	s_mov_b32 s4, 0x42b17218
	v_mov_b32_e32 v47, 0x7f800000
	v_cmp_nlt_f32_e64 s[4:5], s4, v20
	v_cndmask_b32_e64 v22, v47, v22, s[4:5]
	v_add_f32_e32 v40, v40, v22
.LBB742_275:
	s_or_b64 exec, exec, s[2:3]
.LBB742_276:
	s_or_b64 exec, exec, s[0:1]
	s_and_saveexec_b64 s[0:1], s[90:91]
	s_cbranch_execz .LBB742_280
; %bb.277:
	global_load_ubyte v20, v[2:3], off offset:1344
	v_mov_b32_e32 v21, 0
	s_waitcnt vmcnt(0)
	v_and_b32_e32 v20, 1, v20
	v_cmp_eq_u32_e64 s[4:5], 1, v20
	s_xor_b64 s[4:5], s[4:5], -1
	s_and_saveexec_b64 s[2:3], s[4:5]
	s_cbranch_execz .LBB742_279
; %bb.278:
	v_sub_f32_e32 v19, v19, v46
	s_mov_b32 s4, 0x3fb8aa3b
	v_mul_f32_e32 v20, 0x3fb8aa3b, v19
	v_fma_f32 v21, v19, s4, -v20
	v_rndne_f32_e32 v47, v20
	v_fmac_f32_e32 v21, 0x32a5705f, v19
	v_sub_f32_e32 v20, v20, v47
	v_add_f32_e32 v20, v20, v21
	v_exp_f32_e32 v20, v20
	v_cvt_i32_f32_e32 v21, v47
	s_mov_b32 s4, 0xc2ce8ed0
	v_cmp_ngt_f32_e64 s[4:5], s4, v19
	v_ldexp_f32 v20, v20, v21
	v_cndmask_b32_e64 v20, 0, v20, s[4:5]
	s_mov_b32 s4, 0x42b17218
	v_mov_b32_e32 v21, 0x7f800000
	v_cmp_nlt_f32_e64 s[4:5], s4, v19
	v_cndmask_b32_e64 v21, v21, v20, s[4:5]
	v_add_f32_e32 v40, v40, v21
.LBB742_279:
	s_or_b64 exec, exec, s[2:3]
.LBB742_280:
	s_or_b64 exec, exec, s[0:1]
	v_mov_b32_e32 v19, 0
	v_mov_b32_e32 v20, 0
	s_and_saveexec_b64 s[0:1], s[88:89]
	s_cbranch_execz .LBB742_284
; %bb.281:
	global_load_ubyte v20, v[2:3], off offset:1408
	s_waitcnt vmcnt(0)
	v_and_b32_e32 v20, 1, v20
	v_cmp_eq_u32_e64 s[4:5], 1, v20
	s_xor_b64 s[4:5], s[4:5], -1
	v_mov_b32_e32 v20, 0
	s_and_saveexec_b64 s[2:3], s[4:5]
	s_cbranch_execz .LBB742_283
; %bb.282:
	v_sub_f32_e32 v18, v18, v46
	s_mov_b32 s4, 0x3fb8aa3b
	v_mul_f32_e32 v20, 0x3fb8aa3b, v18
	v_fma_f32 v47, v18, s4, -v20
	v_rndne_f32_e32 v48, v20
	v_fmac_f32_e32 v47, 0x32a5705f, v18
	v_sub_f32_e32 v20, v20, v48
	v_add_f32_e32 v20, v20, v47
	v_exp_f32_e32 v20, v20
	v_cvt_i32_f32_e32 v47, v48
	s_mov_b32 s4, 0xc2ce8ed0
	v_cmp_ngt_f32_e64 s[4:5], s4, v18
	v_ldexp_f32 v20, v20, v47
	v_cndmask_b32_e64 v20, 0, v20, s[4:5]
	s_mov_b32 s4, 0x42b17218
	v_mov_b32_e32 v47, 0x7f800000
	v_cmp_nlt_f32_e64 s[4:5], s4, v18
	v_cndmask_b32_e64 v20, v47, v20, s[4:5]
	v_add_f32_e32 v40, v40, v20
.LBB742_283:
	s_or_b64 exec, exec, s[2:3]
.LBB742_284:
	s_or_b64 exec, exec, s[0:1]
	s_and_saveexec_b64 s[0:1], s[86:87]
	s_cbranch_execz .LBB742_288
; %bb.285:
	global_load_ubyte v18, v[2:3], off offset:1472
	v_mov_b32_e32 v19, 0
	s_waitcnt vmcnt(0)
	v_and_b32_e32 v18, 1, v18
	v_cmp_eq_u32_e64 s[4:5], 1, v18
	s_xor_b64 s[4:5], s[4:5], -1
	s_and_saveexec_b64 s[2:3], s[4:5]
	s_cbranch_execz .LBB742_287
; %bb.286:
	v_sub_f32_e32 v17, v17, v46
	s_mov_b32 s4, 0x3fb8aa3b
	v_mul_f32_e32 v18, 0x3fb8aa3b, v17
	v_fma_f32 v19, v17, s4, -v18
	v_rndne_f32_e32 v47, v18
	v_fmac_f32_e32 v19, 0x32a5705f, v17
	v_sub_f32_e32 v18, v18, v47
	v_add_f32_e32 v18, v18, v19
	v_exp_f32_e32 v18, v18
	v_cvt_i32_f32_e32 v19, v47
	s_mov_b32 s4, 0xc2ce8ed0
	v_cmp_ngt_f32_e64 s[4:5], s4, v17
	v_ldexp_f32 v18, v18, v19
	v_cndmask_b32_e64 v18, 0, v18, s[4:5]
	s_mov_b32 s4, 0x42b17218
	v_mov_b32_e32 v19, 0x7f800000
	v_cmp_nlt_f32_e64 s[4:5], s4, v17
	v_cndmask_b32_e64 v19, v19, v18, s[4:5]
	v_add_f32_e32 v40, v40, v19
.LBB742_287:
	s_or_b64 exec, exec, s[2:3]
.LBB742_288:
	s_or_b64 exec, exec, s[0:1]
	v_mov_b32_e32 v17, 0
	v_mov_b32_e32 v18, 0
	s_and_saveexec_b64 s[0:1], s[84:85]
	s_cbranch_execz .LBB742_292
; %bb.289:
	global_load_ubyte v18, v[2:3], off offset:1536
	s_waitcnt vmcnt(0)
	v_and_b32_e32 v18, 1, v18
	v_cmp_eq_u32_e64 s[4:5], 1, v18
	s_xor_b64 s[4:5], s[4:5], -1
	v_mov_b32_e32 v18, 0
	s_and_saveexec_b64 s[2:3], s[4:5]
	s_cbranch_execz .LBB742_291
; %bb.290:
	v_sub_f32_e32 v16, v16, v46
	s_mov_b32 s4, 0x3fb8aa3b
	v_mul_f32_e32 v18, 0x3fb8aa3b, v16
	v_fma_f32 v47, v16, s4, -v18
	v_rndne_f32_e32 v48, v18
	v_fmac_f32_e32 v47, 0x32a5705f, v16
	v_sub_f32_e32 v18, v18, v48
	v_add_f32_e32 v18, v18, v47
	v_exp_f32_e32 v18, v18
	v_cvt_i32_f32_e32 v47, v48
	s_mov_b32 s4, 0xc2ce8ed0
	v_cmp_ngt_f32_e64 s[4:5], s4, v16
	v_ldexp_f32 v18, v18, v47
	v_cndmask_b32_e64 v18, 0, v18, s[4:5]
	s_mov_b32 s4, 0x42b17218
	v_mov_b32_e32 v47, 0x7f800000
	v_cmp_nlt_f32_e64 s[4:5], s4, v16
	v_cndmask_b32_e64 v18, v47, v18, s[4:5]
	v_add_f32_e32 v40, v40, v18
.LBB742_291:
	s_or_b64 exec, exec, s[2:3]
.LBB742_292:
	s_or_b64 exec, exec, s[0:1]
	s_and_saveexec_b64 s[0:1], s[82:83]
	s_cbranch_execz .LBB742_296
; %bb.293:
	global_load_ubyte v16, v[2:3], off offset:1600
	v_mov_b32_e32 v17, 0
	s_waitcnt vmcnt(0)
	v_and_b32_e32 v16, 1, v16
	v_cmp_eq_u32_e64 s[4:5], 1, v16
	s_xor_b64 s[4:5], s[4:5], -1
	s_and_saveexec_b64 s[2:3], s[4:5]
	s_cbranch_execz .LBB742_295
; %bb.294:
	v_sub_f32_e32 v15, v15, v46
	s_mov_b32 s4, 0x3fb8aa3b
	v_mul_f32_e32 v16, 0x3fb8aa3b, v15
	v_fma_f32 v17, v15, s4, -v16
	v_rndne_f32_e32 v47, v16
	v_fmac_f32_e32 v17, 0x32a5705f, v15
	v_sub_f32_e32 v16, v16, v47
	v_add_f32_e32 v16, v16, v17
	v_exp_f32_e32 v16, v16
	v_cvt_i32_f32_e32 v17, v47
	s_mov_b32 s4, 0xc2ce8ed0
	v_cmp_ngt_f32_e64 s[4:5], s4, v15
	v_ldexp_f32 v16, v16, v17
	v_cndmask_b32_e64 v16, 0, v16, s[4:5]
	s_mov_b32 s4, 0x42b17218
	v_mov_b32_e32 v17, 0x7f800000
	v_cmp_nlt_f32_e64 s[4:5], s4, v15
	v_cndmask_b32_e64 v17, v17, v16, s[4:5]
	v_add_f32_e32 v40, v40, v17
.LBB742_295:
	s_or_b64 exec, exec, s[2:3]
.LBB742_296:
	s_or_b64 exec, exec, s[0:1]
	v_mov_b32_e32 v15, 0
	v_mov_b32_e32 v16, 0
	s_and_saveexec_b64 s[0:1], s[80:81]
	s_cbranch_execz .LBB742_300
; %bb.297:
	global_load_ubyte v16, v[2:3], off offset:1664
	s_waitcnt vmcnt(0)
	v_and_b32_e32 v16, 1, v16
	v_cmp_eq_u32_e64 s[4:5], 1, v16
	s_xor_b64 s[4:5], s[4:5], -1
	v_mov_b32_e32 v16, 0
	s_and_saveexec_b64 s[2:3], s[4:5]
	s_cbranch_execz .LBB742_299
; %bb.298:
	v_sub_f32_e32 v14, v14, v46
	s_mov_b32 s4, 0x3fb8aa3b
	v_mul_f32_e32 v16, 0x3fb8aa3b, v14
	v_fma_f32 v47, v14, s4, -v16
	v_rndne_f32_e32 v48, v16
	v_fmac_f32_e32 v47, 0x32a5705f, v14
	v_sub_f32_e32 v16, v16, v48
	v_add_f32_e32 v16, v16, v47
	v_exp_f32_e32 v16, v16
	v_cvt_i32_f32_e32 v47, v48
	s_mov_b32 s4, 0xc2ce8ed0
	v_cmp_ngt_f32_e64 s[4:5], s4, v14
	v_ldexp_f32 v16, v16, v47
	v_cndmask_b32_e64 v16, 0, v16, s[4:5]
	s_mov_b32 s4, 0x42b17218
	v_mov_b32_e32 v47, 0x7f800000
	v_cmp_nlt_f32_e64 s[4:5], s4, v14
	v_cndmask_b32_e64 v16, v47, v16, s[4:5]
	v_add_f32_e32 v40, v40, v16
.LBB742_299:
	s_or_b64 exec, exec, s[2:3]
.LBB742_300:
	s_or_b64 exec, exec, s[0:1]
	s_and_saveexec_b64 s[0:1], s[78:79]
	s_cbranch_execz .LBB742_304
; %bb.301:
	global_load_ubyte v14, v[2:3], off offset:1728
	v_mov_b32_e32 v15, 0
	s_waitcnt vmcnt(0)
	v_and_b32_e32 v14, 1, v14
	v_cmp_eq_u32_e64 s[4:5], 1, v14
	s_xor_b64 s[4:5], s[4:5], -1
	s_and_saveexec_b64 s[2:3], s[4:5]
	s_cbranch_execz .LBB742_303
; %bb.302:
	v_sub_f32_e32 v13, v13, v46
	s_mov_b32 s4, 0x3fb8aa3b
	v_mul_f32_e32 v14, 0x3fb8aa3b, v13
	v_fma_f32 v15, v13, s4, -v14
	v_rndne_f32_e32 v47, v14
	v_fmac_f32_e32 v15, 0x32a5705f, v13
	v_sub_f32_e32 v14, v14, v47
	v_add_f32_e32 v14, v14, v15
	v_exp_f32_e32 v14, v14
	v_cvt_i32_f32_e32 v15, v47
	s_mov_b32 s4, 0xc2ce8ed0
	v_cmp_ngt_f32_e64 s[4:5], s4, v13
	v_ldexp_f32 v14, v14, v15
	v_cndmask_b32_e64 v14, 0, v14, s[4:5]
	s_mov_b32 s4, 0x42b17218
	v_mov_b32_e32 v15, 0x7f800000
	v_cmp_nlt_f32_e64 s[4:5], s4, v13
	v_cndmask_b32_e64 v15, v15, v14, s[4:5]
	v_add_f32_e32 v40, v40, v15
.LBB742_303:
	s_or_b64 exec, exec, s[2:3]
.LBB742_304:
	s_or_b64 exec, exec, s[0:1]
	v_mov_b32_e32 v13, 0
	v_mov_b32_e32 v14, 0
	s_and_saveexec_b64 s[0:1], s[76:77]
	s_cbranch_execz .LBB742_308
; %bb.305:
	global_load_ubyte v14, v[2:3], off offset:1792
	s_waitcnt vmcnt(0)
	v_and_b32_e32 v14, 1, v14
	v_cmp_eq_u32_e64 s[4:5], 1, v14
	s_xor_b64 s[4:5], s[4:5], -1
	v_mov_b32_e32 v14, 0
	s_and_saveexec_b64 s[2:3], s[4:5]
	s_cbranch_execz .LBB742_307
; %bb.306:
	v_sub_f32_e32 v12, v12, v46
	s_mov_b32 s4, 0x3fb8aa3b
	v_mul_f32_e32 v14, 0x3fb8aa3b, v12
	v_fma_f32 v47, v12, s4, -v14
	v_rndne_f32_e32 v48, v14
	v_fmac_f32_e32 v47, 0x32a5705f, v12
	v_sub_f32_e32 v14, v14, v48
	v_add_f32_e32 v14, v14, v47
	v_exp_f32_e32 v14, v14
	v_cvt_i32_f32_e32 v47, v48
	s_mov_b32 s4, 0xc2ce8ed0
	v_cmp_ngt_f32_e64 s[4:5], s4, v12
	v_ldexp_f32 v14, v14, v47
	v_cndmask_b32_e64 v14, 0, v14, s[4:5]
	s_mov_b32 s4, 0x42b17218
	v_mov_b32_e32 v47, 0x7f800000
	v_cmp_nlt_f32_e64 s[4:5], s4, v12
	v_cndmask_b32_e64 v14, v47, v14, s[4:5]
	v_add_f32_e32 v40, v40, v14
.LBB742_307:
	s_or_b64 exec, exec, s[2:3]
.LBB742_308:
	s_or_b64 exec, exec, s[0:1]
	s_and_saveexec_b64 s[0:1], s[72:73]
	s_cbranch_execz .LBB742_312
; %bb.309:
	global_load_ubyte v12, v[2:3], off offset:1856
	v_mov_b32_e32 v13, 0
	s_waitcnt vmcnt(0)
	v_and_b32_e32 v12, 1, v12
	v_cmp_eq_u32_e64 s[4:5], 1, v12
	s_xor_b64 s[4:5], s[4:5], -1
	s_and_saveexec_b64 s[2:3], s[4:5]
	s_cbranch_execz .LBB742_311
; %bb.310:
	v_sub_f32_e32 v11, v11, v46
	s_mov_b32 s4, 0x3fb8aa3b
	v_mul_f32_e32 v12, 0x3fb8aa3b, v11
	v_fma_f32 v13, v11, s4, -v12
	v_rndne_f32_e32 v47, v12
	v_fmac_f32_e32 v13, 0x32a5705f, v11
	v_sub_f32_e32 v12, v12, v47
	v_add_f32_e32 v12, v12, v13
	v_exp_f32_e32 v12, v12
	v_cvt_i32_f32_e32 v13, v47
	s_mov_b32 s4, 0xc2ce8ed0
	v_cmp_ngt_f32_e64 s[4:5], s4, v11
	v_ldexp_f32 v12, v12, v13
	v_cndmask_b32_e64 v12, 0, v12, s[4:5]
	s_mov_b32 s4, 0x42b17218
	v_mov_b32_e32 v13, 0x7f800000
	v_cmp_nlt_f32_e64 s[4:5], s4, v11
	v_cndmask_b32_e64 v13, v13, v12, s[4:5]
	v_add_f32_e32 v40, v40, v13
.LBB742_311:
	s_or_b64 exec, exec, s[2:3]
.LBB742_312:
	s_or_b64 exec, exec, s[0:1]
	v_mov_b32_e32 v11, 0
	v_mov_b32_e32 v12, 0
	s_and_saveexec_b64 s[0:1], s[70:71]
	s_cbranch_execz .LBB742_316
; %bb.313:
	global_load_ubyte v12, v[2:3], off offset:1920
	s_waitcnt vmcnt(0)
	v_and_b32_e32 v12, 1, v12
	v_cmp_eq_u32_e64 s[4:5], 1, v12
	s_xor_b64 s[4:5], s[4:5], -1
	v_mov_b32_e32 v12, 0
	s_and_saveexec_b64 s[2:3], s[4:5]
	s_cbranch_execz .LBB742_315
; %bb.314:
	v_sub_f32_e32 v10, v10, v46
	s_mov_b32 s4, 0x3fb8aa3b
	v_mul_f32_e32 v12, 0x3fb8aa3b, v10
	v_fma_f32 v47, v10, s4, -v12
	v_rndne_f32_e32 v48, v12
	v_fmac_f32_e32 v47, 0x32a5705f, v10
	v_sub_f32_e32 v12, v12, v48
	v_add_f32_e32 v12, v12, v47
	v_exp_f32_e32 v12, v12
	v_cvt_i32_f32_e32 v47, v48
	s_mov_b32 s4, 0xc2ce8ed0
	v_cmp_ngt_f32_e64 s[4:5], s4, v10
	v_ldexp_f32 v12, v12, v47
	v_cndmask_b32_e64 v12, 0, v12, s[4:5]
	s_mov_b32 s4, 0x42b17218
	v_mov_b32_e32 v47, 0x7f800000
	v_cmp_nlt_f32_e64 s[4:5], s4, v10
	v_cndmask_b32_e64 v12, v47, v12, s[4:5]
	v_add_f32_e32 v40, v40, v12
.LBB742_315:
	s_or_b64 exec, exec, s[2:3]
.LBB742_316:
	s_or_b64 exec, exec, s[0:1]
	s_and_saveexec_b64 s[0:1], s[64:65]
	s_cbranch_execz .LBB742_320
; %bb.317:
	global_load_ubyte v2, v[2:3], off offset:1984
	v_mov_b32_e32 v11, 0
	s_waitcnt vmcnt(0)
	v_and_b32_e32 v2, 1, v2
	v_cmp_eq_u32_e64 s[4:5], 1, v2
	s_xor_b64 s[4:5], s[4:5], -1
	s_and_saveexec_b64 s[2:3], s[4:5]
	s_cbranch_execz .LBB742_319
; %bb.318:
	v_sub_f32_e32 v2, v9, v46
	s_mov_b32 s4, 0x3fb8aa3b
	v_mul_f32_e32 v3, 0x3fb8aa3b, v2
	v_fma_f32 v9, v2, s4, -v3
	v_rndne_f32_e32 v10, v3
	v_fmac_f32_e32 v9, 0x32a5705f, v2
	v_sub_f32_e32 v3, v3, v10
	v_add_f32_e32 v3, v3, v9
	v_exp_f32_e32 v3, v3
	v_cvt_i32_f32_e32 v9, v10
	s_mov_b32 s4, 0xc2ce8ed0
	v_cmp_ngt_f32_e64 s[4:5], s4, v2
	v_ldexp_f32 v3, v3, v9
	v_cndmask_b32_e64 v3, 0, v3, s[4:5]
	s_mov_b32 s4, 0x42b17218
	v_mov_b32_e32 v9, 0x7f800000
	v_cmp_nlt_f32_e64 s[4:5], s4, v2
	v_cndmask_b32_e64 v11, v9, v3, s[4:5]
	v_add_f32_e32 v40, v40, v11
.LBB742_319:
	s_or_b64 exec, exec, s[2:3]
.LBB742_320:
	s_or_b64 exec, exec, s[0:1]
	ds_bpermute_b32 v2, v5, v40
	v_cmp_lt_i32_e64 s[4:5], 0, v8
	s_waitcnt lgkmcnt(0)
	v_add_f32_e32 v2, v40, v2
	ds_bpermute_b32 v3, v6, v2
	s_waitcnt lgkmcnt(0)
	v_add_f32_e32 v2, v2, v3
	ds_bpermute_b32 v3, v41, v2
	;; [unrolled: 3-line block ×5, first 2 shown]
	s_and_saveexec_b64 s[0:1], s[4:5]
	s_cbranch_execz .LBB742_418
; %bb.321:
	s_and_b64 exec, exec, vcc
	s_cbranch_execz .LBB742_418
; %bb.322:
	s_waitcnt lgkmcnt(0)
	v_add_f32_e32 v2, v2, v3
	v_cmp_neq_f32_e64 s[64:65], 0, v2
	v_mov_b32_e32 v3, 0x7e00
	s_and_saveexec_b64 s[0:1], s[64:65]
	s_cbranch_execz .LBB742_324
; %bb.323:
	v_div_scale_f32 v3, s[2:3], v2, v2, v44
	v_rcp_f32_e32 v5, v3
	v_div_scale_f32 v6, vcc, v44, v2, v44
	v_fma_f32 v8, -v3, v5, 1.0
	v_fmac_f32_e32 v5, v8, v5
	v_mul_f32_e32 v8, v6, v5
	v_fma_f32 v9, -v3, v8, v6
	v_fmac_f32_e32 v8, v9, v5
	v_fma_f32 v3, -v3, v8, v6
	v_div_fmas_f32 v3, v3, v5, v8
	v_div_fixup_f32 v3, v3, v2, v44
	v_cvt_f16_f32_e32 v3, v3
.LBB742_324:
	s_or_b64 exec, exec, s[0:1]
	v_readlane_b32 s0, v49, 0
	v_readlane_b32 s1, v49, 1
	v_mov_b32_e32 v5, s1
	v_add_co_u32_e32 v0, vcc, s0, v0
	v_addc_co_u32_e32 v1, vcc, v5, v1, vcc
	v_readlane_b32 s2, v49, 2
	v_readlane_b32 s3, v49, 3
	global_store_short v[0:1], v3, off
	s_and_b64 exec, exec, s[62:63]
	s_cbranch_execz .LBB742_418
; %bb.325:
	v_mov_b32_e32 v3, 0x7e00
	s_and_saveexec_b64 s[0:1], s[64:65]
	s_cbranch_execz .LBB742_327
; %bb.326:
	v_div_scale_f32 v3, s[2:3], v2, v2, v4
	v_rcp_f32_e32 v5, v3
	v_div_scale_f32 v6, vcc, v4, v2, v4
	v_fma_f32 v8, -v3, v5, 1.0
	v_fmac_f32_e32 v5, v8, v5
	v_mul_f32_e32 v8, v6, v5
	v_fma_f32 v9, -v3, v8, v6
	v_fmac_f32_e32 v8, v9, v5
	v_fma_f32 v3, -v3, v8, v6
	v_div_fmas_f32 v3, v3, v5, v8
	v_div_fixup_f32 v3, v3, v2, v4
	v_cvt_f16_f32_e32 v3, v3
.LBB742_327:
	s_or_b64 exec, exec, s[0:1]
	global_store_short v[0:1], v3, off offset:128
	s_and_b64 exec, exec, s[60:61]
	s_cbranch_execz .LBB742_418
; %bb.328:
	v_mov_b32_e32 v3, 0x7e00
	s_and_saveexec_b64 s[0:1], s[64:65]
	s_cbranch_execz .LBB742_330
; %bb.329:
	v_div_scale_f32 v3, s[2:3], v2, v2, v39
	v_rcp_f32_e32 v4, v3
	v_div_scale_f32 v5, vcc, v39, v2, v39
	v_fma_f32 v6, -v3, v4, 1.0
	v_fmac_f32_e32 v4, v6, v4
	v_mul_f32_e32 v6, v5, v4
	v_fma_f32 v8, -v3, v6, v5
	v_fmac_f32_e32 v6, v8, v4
	v_fma_f32 v3, -v3, v6, v5
	v_div_fmas_f32 v3, v3, v4, v6
	v_div_fixup_f32 v3, v3, v2, v39
	v_cvt_f16_f32_e32 v3, v3
.LBB742_330:
	s_or_b64 exec, exec, s[0:1]
	global_store_short v[0:1], v3, off offset:256
	;; [unrolled: 22-line block ×9, first 2 shown]
	s_and_b64 exec, exec, s[44:45]
	s_cbranch_execz .LBB742_418
; %bb.352:
	v_mov_b32_e32 v3, 0x7e00
	s_and_saveexec_b64 s[0:1], s[64:65]
	s_cbranch_execz .LBB742_354
; %bb.353:
	v_div_scale_f32 v3, s[2:3], v2, v2, v32
	v_rcp_f32_e32 v4, v3
	v_div_scale_f32 v5, vcc, v32, v2, v32
	v_fma_f32 v6, -v3, v4, 1.0
	v_fmac_f32_e32 v4, v6, v4
	v_mul_f32_e32 v6, v5, v4
	v_fma_f32 v7, -v3, v6, v5
	v_fmac_f32_e32 v6, v7, v4
	v_fma_f32 v3, -v3, v6, v5
	v_div_fmas_f32 v3, v3, v4, v6
	v_div_fixup_f32 v3, v3, v2, v32
	v_cvt_f16_f32_e32 v3, v3
.LBB742_354:
	s_or_b64 exec, exec, s[0:1]
	v_readlane_b32 s0, v49, 4
	v_readlane_b32 s1, v49, 5
	global_store_short v[0:1], v3, off offset:1280
	s_and_b64 exec, exec, s[0:1]
	s_cbranch_execz .LBB742_418
; %bb.355:
	v_mov_b32_e32 v3, 0x7e00
	s_and_saveexec_b64 s[0:1], s[64:65]
	s_cbranch_execz .LBB742_357
; %bb.356:
	v_div_scale_f32 v3, s[2:3], v2, v2, v31
	v_rcp_f32_e32 v4, v3
	v_div_scale_f32 v5, vcc, v31, v2, v31
	v_fma_f32 v6, -v3, v4, 1.0
	v_fmac_f32_e32 v4, v6, v4
	v_mul_f32_e32 v6, v5, v4
	v_fma_f32 v7, -v3, v6, v5
	v_fmac_f32_e32 v6, v7, v4
	v_fma_f32 v3, -v3, v6, v5
	v_div_fmas_f32 v3, v3, v4, v6
	v_div_fixup_f32 v3, v3, v2, v31
	v_cvt_f16_f32_e32 v3, v3
.LBB742_357:
	s_or_b64 exec, exec, s[0:1]
	v_readlane_b32 s0, v49, 6
	v_readlane_b32 s1, v49, 7
	global_store_short v[0:1], v3, off offset:1408
	;; [unrolled: 24-line block ×21, first 2 shown]
	s_and_b64 exec, exec, s[0:1]
	s_cbranch_execz .LBB742_418
; %bb.415:
	v_mov_b32_e32 v3, 0x7e00
	s_and_saveexec_b64 s[0:1], s[64:65]
	s_cbranch_execz .LBB742_417
; %bb.416:
	v_div_scale_f32 v3, s[2:3], v2, v2, v11
	v_rcp_f32_e32 v4, v3
	v_div_scale_f32 v5, vcc, v11, v2, v11
	v_fma_f32 v6, -v3, v4, 1.0
	v_fmac_f32_e32 v4, v6, v4
	v_mul_f32_e32 v6, v5, v4
	v_fma_f32 v7, -v3, v6, v5
	v_fmac_f32_e32 v6, v7, v4
	v_fma_f32 v3, -v3, v6, v5
	v_div_fmas_f32 v3, v3, v4, v6
	v_div_fixup_f32 v2, v3, v2, v11
	v_cvt_f16_f32_e32 v3, v2
.LBB742_417:
	s_or_b64 exec, exec, s[0:1]
	global_store_short v[0:1], v3, off offset:3968
.LBB742_418:
	s_endpgm
	.section	.rodata,"a",@progbits
	.p2align	6, 0x0
	.amdhsa_kernel _ZN12_GLOBAL__N_120softmax_warp_forwardIN3c104HalfES2_fLi11ELb0ELb1ELi64EEEvPT0_PKT_iiiPKbib
		.amdhsa_group_segment_fixed_size 0
		.amdhsa_private_segment_fixed_size 0
		.amdhsa_kernarg_size 304
		.amdhsa_user_sgpr_count 6
		.amdhsa_user_sgpr_private_segment_buffer 1
		.amdhsa_user_sgpr_dispatch_ptr 0
		.amdhsa_user_sgpr_queue_ptr 0
		.amdhsa_user_sgpr_kernarg_segment_ptr 1
		.amdhsa_user_sgpr_dispatch_id 0
		.amdhsa_user_sgpr_flat_scratch_init 0
		.amdhsa_user_sgpr_kernarg_preload_length 0
		.amdhsa_user_sgpr_kernarg_preload_offset 0
		.amdhsa_user_sgpr_private_segment_size 0
		.amdhsa_uses_dynamic_stack 0
		.amdhsa_system_sgpr_private_segment_wavefront_offset 0
		.amdhsa_system_sgpr_workgroup_id_x 1
		.amdhsa_system_sgpr_workgroup_id_y 0
		.amdhsa_system_sgpr_workgroup_id_z 0
		.amdhsa_system_sgpr_workgroup_info 0
		.amdhsa_system_vgpr_workitem_id 1
		.amdhsa_next_free_vgpr 50
		.amdhsa_next_free_sgpr 96
		.amdhsa_accum_offset 52
		.amdhsa_reserve_vcc 1
		.amdhsa_reserve_flat_scratch 0
		.amdhsa_float_round_mode_32 0
		.amdhsa_float_round_mode_16_64 0
		.amdhsa_float_denorm_mode_32 3
		.amdhsa_float_denorm_mode_16_64 3
		.amdhsa_dx10_clamp 1
		.amdhsa_ieee_mode 1
		.amdhsa_fp16_overflow 0
		.amdhsa_tg_split 0
		.amdhsa_exception_fp_ieee_invalid_op 0
		.amdhsa_exception_fp_denorm_src 0
		.amdhsa_exception_fp_ieee_div_zero 0
		.amdhsa_exception_fp_ieee_overflow 0
		.amdhsa_exception_fp_ieee_underflow 0
		.amdhsa_exception_fp_ieee_inexact 0
		.amdhsa_exception_int_div_zero 0
	.end_amdhsa_kernel
	.section	.text._ZN12_GLOBAL__N_120softmax_warp_forwardIN3c104HalfES2_fLi11ELb0ELb1ELi64EEEvPT0_PKT_iiiPKbib,"axG",@progbits,_ZN12_GLOBAL__N_120softmax_warp_forwardIN3c104HalfES2_fLi11ELb0ELb1ELi64EEEvPT0_PKT_iiiPKbib,comdat
.Lfunc_end742:
	.size	_ZN12_GLOBAL__N_120softmax_warp_forwardIN3c104HalfES2_fLi11ELb0ELb1ELi64EEEvPT0_PKT_iiiPKbib, .Lfunc_end742-_ZN12_GLOBAL__N_120softmax_warp_forwardIN3c104HalfES2_fLi11ELb0ELb1ELi64EEEvPT0_PKT_iiiPKbib
                                        ; -- End function
	.section	.AMDGPU.csdata,"",@progbits
; Kernel info:
; codeLenInByte = 15940
; NumSgprs: 100
; NumVgprs: 50
; NumAgprs: 0
; TotalNumVgprs: 50
; ScratchSize: 0
; MemoryBound: 0
; FloatMode: 240
; IeeeMode: 1
; LDSByteSize: 0 bytes/workgroup (compile time only)
; SGPRBlocks: 12
; VGPRBlocks: 6
; NumSGPRsForWavesPerEU: 100
; NumVGPRsForWavesPerEU: 50
; AccumOffset: 52
; Occupancy: 8
; WaveLimiterHint : 0
; COMPUTE_PGM_RSRC2:SCRATCH_EN: 0
; COMPUTE_PGM_RSRC2:USER_SGPR: 6
; COMPUTE_PGM_RSRC2:TRAP_HANDLER: 0
; COMPUTE_PGM_RSRC2:TGID_X_EN: 1
; COMPUTE_PGM_RSRC2:TGID_Y_EN: 0
; COMPUTE_PGM_RSRC2:TGID_Z_EN: 0
; COMPUTE_PGM_RSRC2:TIDIG_COMP_CNT: 1
; COMPUTE_PGM_RSRC3_GFX90A:ACCUM_OFFSET: 12
; COMPUTE_PGM_RSRC3_GFX90A:TG_SPLIT: 0
	.section	.text._ZN12_GLOBAL__N_120softmax_warp_forwardIN3c104HalfES2_fLi11ELb0ELb1ELi32EEEvPT0_PKT_iiiPKbib,"axG",@progbits,_ZN12_GLOBAL__N_120softmax_warp_forwardIN3c104HalfES2_fLi11ELb0ELb1ELi32EEEvPT0_PKT_iiiPKbib,comdat
	.globl	_ZN12_GLOBAL__N_120softmax_warp_forwardIN3c104HalfES2_fLi11ELb0ELb1ELi32EEEvPT0_PKT_iiiPKbib ; -- Begin function _ZN12_GLOBAL__N_120softmax_warp_forwardIN3c104HalfES2_fLi11ELb0ELb1ELi32EEEvPT0_PKT_iiiPKbib
	.p2align	8
	.type	_ZN12_GLOBAL__N_120softmax_warp_forwardIN3c104HalfES2_fLi11ELb0ELb1ELi32EEEvPT0_PKT_iiiPKbib,@function
_ZN12_GLOBAL__N_120softmax_warp_forwardIN3c104HalfES2_fLi11ELb0ELb1ELi32EEEvPT0_PKT_iiiPKbib: ; @_ZN12_GLOBAL__N_120softmax_warp_forwardIN3c104HalfES2_fLi11ELb0ELb1ELi32EEEvPT0_PKT_iiiPKbib
; %bb.0:
	s_load_dword s2, s[4:5], 0x3c
	s_load_dwordx4 s[40:43], s[4:5], 0x10
	s_load_dwordx2 s[0:1], s[4:5], 0x28
	v_bfe_u32 v1, v0, 10, 10
	v_and_b32_e32 v2, 0x3ff, v0
	s_waitcnt lgkmcnt(0)
	s_lshr_b32 s2, s2, 16
	s_mul_i32 s6, s6, s2
	v_add_u32_e32 v3, s6, v1
	v_mul_lo_u32 v6, v3, s41
	v_add_u32_e32 v0, v6, v2
	v_ashrrev_i32_e32 v1, 31, v0
	s_bitcmp0_b32 s1, 0
	v_pk_mov_b32 v[4:5], v[0:1], v[0:1] op_sel:[0,1]
	s_cbranch_scc1 .LBB743_2
; %bb.1:
	s_abs_i32 s1, s0
	v_cvt_f32_u32_e32 v4, s1
	v_xor_b32_e32 v5, s0, v6
	v_sub_u32_e32 v7, 0, v6
	s_sub_i32 s0, 0, s1
	v_rcp_iflag_f32_e32 v4, v4
	v_max_i32_e32 v6, v6, v7
	v_ashrrev_i32_e32 v5, 31, v5
	v_mul_f32_e32 v4, 0x4f7ffffe, v4
	v_cvt_u32_f32_e32 v4, v4
	v_mul_lo_u32 v7, s0, v4
	v_mul_hi_u32 v7, v4, v7
	v_add_u32_e32 v4, v4, v7
	v_mul_hi_u32 v4, v6, v4
	v_mul_lo_u32 v7, v4, s1
	v_sub_u32_e32 v6, v6, v7
	v_add_u32_e32 v8, 1, v4
	v_cmp_le_u32_e32 vcc, s1, v6
	v_subrev_u32_e32 v7, s1, v6
	v_cndmask_b32_e32 v4, v4, v8, vcc
	v_cndmask_b32_e32 v6, v6, v7, vcc
	v_add_u32_e32 v7, 1, v4
	v_cmp_le_u32_e32 vcc, s1, v6
	v_cndmask_b32_e32 v4, v4, v7, vcc
	v_xor_b32_e32 v4, v4, v5
	v_sub_u32_e32 v4, v4, v5
	v_mad_u64_u32 v[4:5], s[0:1], v4, s41, v[2:3]
	v_ashrrev_i32_e32 v5, 31, v4
.LBB743_2:
	s_load_dwordx4 s[0:3], s[4:5], 0x0
                                        ; implicit-def: $vgpr80 : SGPR spill to VGPR lane
	v_sub_u32_e32 v8, s40, v3
	v_lshlrev_b64 v[0:1], 1, v[0:1]
	v_cmp_lt_i32_e64 s[34:35], 0, v8
	v_mov_b32_e32 v71, 0xff800000
	s_waitcnt lgkmcnt(0)
	v_mov_b32_e32 v3, s3
	v_writelane_b32 v80, s0, 0
	v_writelane_b32 v80, s1, 1
	v_writelane_b32 v80, s2, 2
	v_writelane_b32 v80, s3, 3
	v_add_co_u32_e32 v6, vcc, s2, v0
	v_cmp_gt_i32_e64 s[0:1], s42, v2
	v_addc_co_u32_e32 v7, vcc, v3, v1, vcc
	v_writelane_b32 v80, s0, 4
	s_and_b64 s[74:75], s[34:35], s[0:1]
	v_mov_b32_e32 v72, 0xff800000
	v_writelane_b32 v80, s1, 5
	s_and_saveexec_b64 s[0:1], s[74:75]
	s_cbranch_execz .LBB743_4
; %bb.3:
	global_load_ushort v3, v[6:7], off
	s_waitcnt vmcnt(0)
	v_cvt_f32_f16_e32 v72, v3
.LBB743_4:
	s_or_b64 exec, exec, s[0:1]
	v_add_u32_e32 v3, 32, v2
	v_cmp_gt_i32_e64 s[0:1], s42, v3
	v_writelane_b32 v80, s0, 6
	s_and_b64 s[72:73], s[34:35], s[0:1]
	v_writelane_b32 v80, s1, 7
	s_and_saveexec_b64 s[0:1], s[72:73]
	s_cbranch_execz .LBB743_6
; %bb.5:
	global_load_ushort v3, v[6:7], off offset:64
	s_waitcnt vmcnt(0)
	v_cvt_f32_f16_e32 v71, v3
.LBB743_6:
	s_or_b64 exec, exec, s[0:1]
	v_add_u32_e32 v3, 64, v2
	v_cmp_gt_i32_e64 s[0:1], s42, v3
	v_writelane_b32 v80, s0, 8
	s_and_b64 s[70:71], s[34:35], s[0:1]
	v_mov_b32_e32 v69, 0xff800000
	v_mov_b32_e32 v70, 0xff800000
	v_writelane_b32 v80, s1, 9
	s_and_saveexec_b64 s[0:1], s[70:71]
	s_cbranch_execz .LBB743_8
; %bb.7:
	global_load_ushort v3, v[6:7], off offset:128
	s_waitcnt vmcnt(0)
	v_cvt_f32_f16_e32 v70, v3
.LBB743_8:
	s_or_b64 exec, exec, s[0:1]
	v_add_u32_e32 v3, 0x60, v2
	v_cmp_gt_i32_e64 s[0:1], s42, v3
	v_writelane_b32 v80, s0, 10
	s_and_b64 s[68:69], s[34:35], s[0:1]
	v_writelane_b32 v80, s1, 11
	s_and_saveexec_b64 s[0:1], s[68:69]
	s_cbranch_execz .LBB743_10
; %bb.9:
	global_load_ushort v3, v[6:7], off offset:192
	s_waitcnt vmcnt(0)
	v_cvt_f32_f16_e32 v69, v3
.LBB743_10:
	s_or_b64 exec, exec, s[0:1]
	v_add_u32_e32 v3, 0x80, v2
	v_cmp_gt_i32_e64 s[0:1], s42, v3
	v_writelane_b32 v80, s0, 12
	s_and_b64 s[66:67], s[34:35], s[0:1]
	v_mov_b32_e32 v67, 0xff800000
	v_mov_b32_e32 v68, 0xff800000
	v_writelane_b32 v80, s1, 13
	s_and_saveexec_b64 s[0:1], s[66:67]
	s_cbranch_execz .LBB743_12
; %bb.11:
	global_load_ushort v3, v[6:7], off offset:256
	s_waitcnt vmcnt(0)
	v_cvt_f32_f16_e32 v68, v3
.LBB743_12:
	;; [unrolled: 28-line block ×8, first 2 shown]
	s_or_b64 exec, exec, s[0:1]
	v_add_u32_e32 v3, 0x220, v2
	v_cmp_gt_i32_e64 s[0:1], s42, v3
	v_writelane_b32 v80, s0, 38
	s_and_b64 vcc, s[34:35], s[0:1]
	v_writelane_b32 v80, s1, 39
	s_and_saveexec_b64 s[0:1], vcc
	s_cbranch_execz .LBB743_38
; %bb.37:
	global_load_ushort v3, v[6:7], off offset:1088
	s_waitcnt vmcnt(0)
	v_cvt_f32_f16_e32 v55, v3
.LBB743_38:
	s_or_b64 exec, exec, s[0:1]
	v_add_u32_e32 v3, 0x240, v2
	v_cmp_gt_i32_e64 s[0:1], s42, v3
	v_writelane_b32 v80, s0, 40
	s_and_b64 s[40:41], s[34:35], s[0:1]
	v_mov_b32_e32 v53, 0xff800000
	v_mov_b32_e32 v54, 0xff800000
	v_writelane_b32 v80, s1, 41
	s_and_saveexec_b64 s[0:1], s[40:41]
	s_cbranch_execz .LBB743_40
; %bb.39:
	global_load_ushort v3, v[6:7], off offset:1152
	s_waitcnt vmcnt(0)
	v_cvt_f32_f16_e32 v54, v3
.LBB743_40:
	s_or_b64 exec, exec, s[0:1]
	v_add_u32_e32 v3, 0x260, v2
	v_cmp_gt_i32_e64 s[0:1], s42, v3
	v_writelane_b32 v80, s0, 42
	s_and_b64 s[30:31], s[34:35], s[0:1]
	v_writelane_b32 v80, s1, 43
	s_and_saveexec_b64 s[0:1], s[30:31]
	s_cbranch_execz .LBB743_42
; %bb.41:
	global_load_ushort v3, v[6:7], off offset:1216
	s_waitcnt vmcnt(0)
	v_cvt_f32_f16_e32 v53, v3
.LBB743_42:
	s_or_b64 exec, exec, s[0:1]
	v_add_u32_e32 v3, 0x280, v2
	v_cmp_gt_i32_e64 s[0:1], s42, v3
	v_writelane_b32 v80, s0, 44
	s_and_b64 s[28:29], s[34:35], s[0:1]
	v_mov_b32_e32 v51, 0xff800000
	v_mov_b32_e32 v52, 0xff800000
	v_writelane_b32 v80, s1, 45
	s_and_saveexec_b64 s[0:1], s[28:29]
	s_cbranch_execz .LBB743_44
; %bb.43:
	global_load_ushort v3, v[6:7], off offset:1280
	s_waitcnt vmcnt(0)
	v_cvt_f32_f16_e32 v52, v3
.LBB743_44:
	s_or_b64 exec, exec, s[0:1]
	v_add_u32_e32 v3, 0x2a0, v2
	v_cmp_gt_i32_e64 s[0:1], s42, v3
	v_writelane_b32 v80, s0, 46
	s_and_b64 s[26:27], s[34:35], s[0:1]
	v_writelane_b32 v80, s1, 47
	s_and_saveexec_b64 s[0:1], s[26:27]
	;; [unrolled: 28-line block ×6, first 2 shown]
	s_cbranch_execz .LBB743_62
; %bb.61:
	global_load_ushort v3, v[6:7], off offset:1856
	s_waitcnt vmcnt(0)
	v_cvt_f32_f16_e32 v43, v3
.LBB743_62:
	s_or_b64 exec, exec, s[0:1]
	v_add_u32_e32 v3, 0x3c0, v2
	v_cmp_gt_i32_e64 s[0:1], s42, v3
                                        ; implicit-def: $vgpr82 : SGPR spill to VGPR lane
	v_mov_b32_e32 v41, 0xff800000
	v_writelane_b32 v82, s0, 0
	s_and_b64 s[8:9], s[34:35], s[0:1]
	v_mov_b32_e32 v42, 0xff800000
	v_writelane_b32 v82, s1, 1
	s_and_saveexec_b64 s[0:1], s[8:9]
	s_cbranch_execz .LBB743_64
; %bb.63:
	global_load_ushort v3, v[6:7], off offset:1920
	s_waitcnt vmcnt(0)
	v_cvt_f32_f16_e32 v42, v3
.LBB743_64:
	s_or_b64 exec, exec, s[0:1]
	v_add_u32_e32 v3, 0x3e0, v2
	v_cmp_gt_i32_e64 s[0:1], s42, v3
	v_writelane_b32 v82, s0, 2
	s_and_b64 s[6:7], s[34:35], s[0:1]
	v_writelane_b32 v82, s1, 3
	s_and_saveexec_b64 s[0:1], s[6:7]
	s_cbranch_execz .LBB743_66
; %bb.65:
	global_load_ushort v3, v[6:7], off offset:1984
	s_waitcnt vmcnt(0)
	v_cvt_f32_f16_e32 v41, v3
.LBB743_66:
	s_or_b64 exec, exec, s[0:1]
	v_or_b32_e32 v3, 0x400, v2
	v_cmp_gt_i32_e64 s[0:1], s42, v3
	v_writelane_b32 v82, s0, 4
	s_and_b64 s[36:37], s[34:35], s[0:1]
	v_mov_b32_e32 v39, 0xff800000
	v_mov_b32_e32 v40, 0xff800000
	v_writelane_b32 v82, s1, 5
	s_and_saveexec_b64 s[0:1], s[36:37]
	s_cbranch_execz .LBB743_68
; %bb.67:
	global_load_ushort v3, v[6:7], off offset:2048
	s_waitcnt vmcnt(0)
	v_cvt_f32_f16_e32 v40, v3
.LBB743_68:
	s_or_b64 exec, exec, s[0:1]
	v_add_u32_e32 v3, 0x420, v2
	v_cmp_gt_i32_e64 s[0:1], s42, v3
	v_writelane_b32 v82, s0, 6
	s_and_b64 s[2:3], s[34:35], s[0:1]
	v_writelane_b32 v82, s1, 7
	s_and_saveexec_b64 s[0:1], s[2:3]
	s_cbranch_execz .LBB743_70
; %bb.69:
	global_load_ushort v3, v[6:7], off offset:2112
	s_waitcnt vmcnt(0)
	v_cvt_f32_f16_e32 v39, v3
.LBB743_70:
	s_or_b64 exec, exec, s[0:1]
	v_add_u32_e32 v3, 0x440, v2
	v_cmp_gt_i32_e64 s[0:1], s42, v3
	v_writelane_b32 v82, s0, 8
	v_writelane_b32 v82, s1, 9
	s_and_b64 s[0:1], s[34:35], s[0:1]
	v_mov_b32_e32 v37, 0xff800000
	v_mov_b32_e32 v38, 0xff800000
	s_and_saveexec_b64 s[76:77], s[0:1]
	s_cbranch_execz .LBB743_72
; %bb.71:
	global_load_ushort v3, v[6:7], off offset:2176
	s_waitcnt vmcnt(0)
	v_cvt_f32_f16_e32 v38, v3
.LBB743_72:
	s_or_b64 exec, exec, s[76:77]
	v_add_u32_e32 v3, 0x460, v2
	v_cmp_gt_i32_e64 s[76:77], s42, v3
	v_writelane_b32 v82, s76, 10
	s_and_b64 s[94:95], s[34:35], s[76:77]
	v_writelane_b32 v82, s77, 11
	s_and_saveexec_b64 s[76:77], s[94:95]
	s_cbranch_execz .LBB743_74
; %bb.73:
	global_load_ushort v3, v[6:7], off offset:2240
	s_waitcnt vmcnt(0)
	v_cvt_f32_f16_e32 v37, v3
.LBB743_74:
	s_or_b64 exec, exec, s[76:77]
	v_add_u32_e32 v3, 0x480, v2
	v_cmp_gt_i32_e64 s[76:77], s42, v3
	v_writelane_b32 v82, s76, 12
	s_and_b64 s[92:93], s[34:35], s[76:77]
	v_mov_b32_e32 v35, 0xff800000
	v_mov_b32_e32 v36, 0xff800000
	v_writelane_b32 v82, s77, 13
	s_and_saveexec_b64 s[76:77], s[92:93]
	s_cbranch_execz .LBB743_76
; %bb.75:
	global_load_ushort v3, v[6:7], off offset:2304
	s_waitcnt vmcnt(0)
	v_cvt_f32_f16_e32 v36, v3
.LBB743_76:
	s_or_b64 exec, exec, s[76:77]
	v_add_u32_e32 v3, 0x4a0, v2
	v_cmp_gt_i32_e64 s[76:77], s42, v3
	v_writelane_b32 v82, s76, 14
	s_and_b64 s[90:91], s[34:35], s[76:77]
	v_writelane_b32 v82, s77, 15
	s_and_saveexec_b64 s[76:77], s[90:91]
	s_cbranch_execz .LBB743_78
; %bb.77:
	global_load_ushort v3, v[6:7], off offset:2368
	s_waitcnt vmcnt(0)
	v_cvt_f32_f16_e32 v35, v3
.LBB743_78:
	s_or_b64 exec, exec, s[76:77]
	v_add_u32_e32 v3, 0x4c0, v2
	v_cmp_gt_i32_e64 s[76:77], s42, v3
	v_writelane_b32 v82, s76, 16
	s_and_b64 s[88:89], s[34:35], s[76:77]
	v_mov_b32_e32 v33, 0xff800000
	v_mov_b32_e32 v34, 0xff800000
	v_writelane_b32 v82, s77, 17
	s_and_saveexec_b64 s[76:77], s[88:89]
	s_cbranch_execz .LBB743_80
; %bb.79:
	global_load_ushort v3, v[6:7], off offset:2432
	s_waitcnt vmcnt(0)
	v_cvt_f32_f16_e32 v34, v3
.LBB743_80:
	s_or_b64 exec, exec, s[76:77]
	v_add_u32_e32 v3, 0x4e0, v2
	v_cmp_gt_i32_e64 s[76:77], s42, v3
	v_writelane_b32 v82, s76, 18
	s_and_b64 s[86:87], s[34:35], s[76:77]
	v_writelane_b32 v82, s77, 19
	s_and_saveexec_b64 s[76:77], s[86:87]
	s_cbranch_execz .LBB743_82
; %bb.81:
	global_load_ushort v3, v[6:7], off offset:2496
	s_waitcnt vmcnt(0)
	v_cvt_f32_f16_e32 v33, v3
.LBB743_82:
	s_or_b64 exec, exec, s[76:77]
	v_add_u32_e32 v3, 0x500, v2
	v_cmp_gt_i32_e64 s[76:77], s42, v3
	v_writelane_b32 v82, s76, 20
	s_and_b64 s[84:85], s[34:35], s[76:77]
	v_mov_b32_e32 v31, 0xff800000
	v_mov_b32_e32 v32, 0xff800000
	v_writelane_b32 v82, s77, 21
	s_and_saveexec_b64 s[76:77], s[84:85]
	s_cbranch_execz .LBB743_84
; %bb.83:
	global_load_ushort v3, v[6:7], off offset:2560
	s_waitcnt vmcnt(0)
	v_cvt_f32_f16_e32 v32, v3
.LBB743_84:
	s_or_b64 exec, exec, s[76:77]
	v_add_u32_e32 v3, 0x520, v2
	v_cmp_gt_i32_e64 s[76:77], s42, v3
	v_writelane_b32 v82, s76, 22
	s_and_b64 s[82:83], s[34:35], s[76:77]
	v_writelane_b32 v82, s77, 23
	s_and_saveexec_b64 s[76:77], s[82:83]
	s_cbranch_execz .LBB743_86
; %bb.85:
	global_load_ushort v3, v[6:7], off offset:2624
	s_waitcnt vmcnt(0)
	v_cvt_f32_f16_e32 v31, v3
.LBB743_86:
	s_or_b64 exec, exec, s[76:77]
	v_add_u32_e32 v3, 0x540, v2
	v_cmp_gt_i32_e64 s[76:77], s42, v3
	v_writelane_b32 v82, s76, 24
	s_and_b64 s[80:81], s[34:35], s[76:77]
	v_mov_b32_e32 v29, 0xff800000
	v_mov_b32_e32 v30, 0xff800000
	v_writelane_b32 v82, s77, 25
	s_and_saveexec_b64 s[76:77], s[80:81]
	s_cbranch_execz .LBB743_88
; %bb.87:
	global_load_ushort v3, v[6:7], off offset:2688
	s_waitcnt vmcnt(0)
	v_cvt_f32_f16_e32 v30, v3
.LBB743_88:
	s_or_b64 exec, exec, s[76:77]
	v_add_u32_e32 v3, 0x560, v2
	v_cmp_gt_i32_e64 s[76:77], s42, v3
	v_writelane_b32 v82, s76, 26
	v_writelane_b32 v82, s77, 27
	s_and_b64 s[78:79], s[34:35], s[76:77]
	s_mov_b64 s[76:77], exec
	v_writelane_b32 v82, s78, 28
	v_writelane_b32 v82, s79, 29
	s_and_b64 s[78:79], s[76:77], s[78:79]
	s_mov_b64 exec, s[78:79]
	s_cbranch_execz .LBB743_90
; %bb.89:
	global_load_ushort v3, v[6:7], off offset:2752
	s_waitcnt vmcnt(0)
	v_cvt_f32_f16_e32 v29, v3
.LBB743_90:
	s_or_b64 exec, exec, s[76:77]
	v_add_u32_e32 v3, 0x580, v2
	v_cmp_gt_i32_e64 s[76:77], s42, v3
	v_writelane_b32 v82, s76, 30
	v_mov_b32_e32 v27, 0xff800000
	v_mov_b32_e32 v28, 0xff800000
	v_writelane_b32 v82, s77, 31
	s_and_b64 s[78:79], s[34:35], s[76:77]
	s_mov_b64 s[76:77], exec
	v_writelane_b32 v82, s78, 32
	v_writelane_b32 v82, s79, 33
	s_and_b64 s[78:79], s[76:77], s[78:79]
	s_mov_b64 exec, s[78:79]
	s_cbranch_execz .LBB743_92
; %bb.91:
	global_load_ushort v3, v[6:7], off offset:2816
	s_waitcnt vmcnt(0)
	v_cvt_f32_f16_e32 v28, v3
.LBB743_92:
	s_or_b64 exec, exec, s[76:77]
	v_add_u32_e32 v3, 0x5a0, v2
	v_cmp_gt_i32_e64 s[76:77], s42, v3
	v_writelane_b32 v82, s76, 34
	v_writelane_b32 v82, s77, 35
	s_and_b64 s[78:79], s[34:35], s[76:77]
	s_mov_b64 s[76:77], exec
	v_writelane_b32 v82, s78, 36
	v_writelane_b32 v82, s79, 37
	s_and_b64 s[78:79], s[76:77], s[78:79]
	s_mov_b64 exec, s[78:79]
	s_cbranch_execz .LBB743_94
; %bb.93:
	global_load_ushort v3, v[6:7], off offset:2880
	s_waitcnt vmcnt(0)
	v_cvt_f32_f16_e32 v27, v3
.LBB743_94:
	s_or_b64 exec, exec, s[76:77]
	v_add_u32_e32 v3, 0x5c0, v2
	v_cmp_gt_i32_e64 s[76:77], s42, v3
	v_writelane_b32 v82, s76, 38
	v_mov_b32_e32 v25, 0xff800000
	v_mov_b32_e32 v26, 0xff800000
	v_writelane_b32 v82, s77, 39
	s_and_b64 s[78:79], s[34:35], s[76:77]
	s_mov_b64 s[76:77], exec
	v_writelane_b32 v82, s78, 40
	v_writelane_b32 v82, s79, 41
	s_and_b64 s[78:79], s[76:77], s[78:79]
	s_mov_b64 exec, s[78:79]
	;; [unrolled: 36-line block ×4, first 2 shown]
	s_cbranch_execz .LBB743_104
; %bb.103:
	global_load_ushort v3, v[6:7], off offset:3200
	s_waitcnt vmcnt(0)
	v_cvt_f32_f16_e32 v22, v3
.LBB743_104:
	s_or_b64 exec, exec, s[76:77]
	v_add_u32_e32 v3, 0x660, v2
	v_cmp_gt_i32_e64 s[76:77], s42, v3
	v_writelane_b32 v82, s76, 58
	v_writelane_b32 v82, s77, 59
	s_and_b64 s[78:79], s[34:35], s[76:77]
	s_mov_b64 s[76:77], exec
	v_writelane_b32 v82, s78, 60
	v_writelane_b32 v82, s79, 61
	s_and_b64 s[78:79], s[76:77], s[78:79]
	s_mov_b64 exec, s[78:79]
	s_cbranch_execz .LBB743_106
; %bb.105:
	global_load_ushort v3, v[6:7], off offset:3264
	s_waitcnt vmcnt(0)
	v_cvt_f32_f16_e32 v21, v3
.LBB743_106:
	s_or_b64 exec, exec, s[76:77]
	v_add_u32_e32 v3, 0x680, v2
	v_cmp_gt_i32_e64 s[76:77], s42, v3
	v_writelane_b32 v82, s76, 62
	v_mov_b32_e32 v19, 0xff800000
	v_mov_b32_e32 v20, 0xff800000
	v_writelane_b32 v82, s77, 63
	s_and_b64 s[78:79], s[34:35], s[76:77]
	s_mov_b64 s[76:77], exec
                                        ; implicit-def: $vgpr81 : SGPR spill to VGPR lane
	v_writelane_b32 v81, s78, 0
	v_writelane_b32 v81, s79, 1
	s_and_b64 s[78:79], s[76:77], s[78:79]
	s_mov_b64 exec, s[78:79]
	s_cbranch_execz .LBB743_108
; %bb.107:
	global_load_ushort v3, v[6:7], off offset:3328
	s_waitcnt vmcnt(0)
	v_cvt_f32_f16_e32 v20, v3
.LBB743_108:
	s_or_b64 exec, exec, s[76:77]
	v_add_u32_e32 v3, 0x6a0, v2
	v_cmp_gt_i32_e64 s[76:77], s42, v3
	v_writelane_b32 v81, s76, 2
	v_writelane_b32 v81, s77, 3
	s_and_b64 s[78:79], s[34:35], s[76:77]
	s_mov_b64 s[76:77], exec
	v_writelane_b32 v81, s78, 4
	v_writelane_b32 v81, s79, 5
	s_and_b64 s[78:79], s[76:77], s[78:79]
	s_mov_b64 exec, s[78:79]
	s_cbranch_execz .LBB743_110
; %bb.109:
	global_load_ushort v3, v[6:7], off offset:3392
	s_waitcnt vmcnt(0)
	v_cvt_f32_f16_e32 v19, v3
.LBB743_110:
	s_or_b64 exec, exec, s[76:77]
	v_add_u32_e32 v3, 0x6c0, v2
	v_cmp_gt_i32_e64 s[76:77], s42, v3
	v_writelane_b32 v81, s76, 6
	v_mov_b32_e32 v17, 0xff800000
	v_mov_b32_e32 v18, 0xff800000
	v_writelane_b32 v81, s77, 7
	s_and_b64 s[78:79], s[34:35], s[76:77]
	s_mov_b64 s[76:77], exec
	v_writelane_b32 v81, s78, 8
	v_writelane_b32 v81, s79, 9
	s_and_b64 s[78:79], s[76:77], s[78:79]
	s_mov_b64 exec, s[78:79]
	s_cbranch_execz .LBB743_112
; %bb.111:
	global_load_ushort v3, v[6:7], off offset:3456
	s_waitcnt vmcnt(0)
	v_cvt_f32_f16_e32 v18, v3
.LBB743_112:
	s_or_b64 exec, exec, s[76:77]
	v_add_u32_e32 v3, 0x6e0, v2
	v_cmp_gt_i32_e64 s[76:77], s42, v3
	v_writelane_b32 v81, s76, 10
	v_writelane_b32 v81, s77, 11
	s_and_b64 s[78:79], s[34:35], s[76:77]
	s_mov_b64 s[76:77], exec
	v_writelane_b32 v81, s78, 12
	v_writelane_b32 v81, s79, 13
	s_and_b64 s[78:79], s[76:77], s[78:79]
	s_mov_b64 exec, s[78:79]
	s_cbranch_execz .LBB743_114
; %bb.113:
	global_load_ushort v3, v[6:7], off offset:3520
	s_waitcnt vmcnt(0)
	v_cvt_f32_f16_e32 v17, v3
.LBB743_114:
	s_or_b64 exec, exec, s[76:77]
	v_add_u32_e32 v3, 0x700, v2
	v_cmp_gt_i32_e64 s[76:77], s42, v3
	v_writelane_b32 v81, s76, 14
	v_mov_b32_e32 v15, 0xff800000
	v_mov_b32_e32 v16, 0xff800000
	v_writelane_b32 v81, s77, 15
	s_and_b64 s[78:79], s[34:35], s[76:77]
	s_mov_b64 s[76:77], exec
	;; [unrolled: 36-line block ×5, first 2 shown]
	v_writelane_b32 v81, s78, 40
	v_writelane_b32 v81, s79, 41
	s_and_b64 s[78:79], s[76:77], s[78:79]
	s_mov_b64 exec, s[78:79]
	s_cbranch_execz .LBB743_128
; %bb.127:
	global_load_ushort v3, v[6:7], off offset:3968
	s_waitcnt vmcnt(0)
	v_cvt_f32_f16_e32 v10, v3
.LBB743_128:
	s_or_b64 exec, exec, s[76:77]
	v_add_u32_e32 v2, 0x7e0, v2
	v_cmp_gt_i32_e64 s[42:43], s42, v2
	v_writelane_b32 v81, s42, 42
	v_writelane_b32 v81, s43, 43
	s_and_b64 s[42:43], s[34:35], s[42:43]
	s_mov_b64 s[34:35], exec
	v_writelane_b32 v81, s42, 44
	v_writelane_b32 v81, s43, 45
	s_and_b64 s[42:43], s[34:35], s[42:43]
	s_mov_b64 exec, s[42:43]
	s_cbranch_execz .LBB743_130
; %bb.129:
	global_load_ushort v2, v[6:7], off offset:4032
	s_waitcnt vmcnt(0)
	v_cvt_f32_f16_e32 v9, v2
.LBB743_130:
	s_or_b64 exec, exec, s[34:35]
	s_load_dwordx2 s[4:5], s[4:5], 0x20
	s_mov_b64 s[42:43], 0
	s_waitcnt lgkmcnt(0)
	v_mov_b32_e32 v3, s5
	v_add_co_u32_e64 v2, s[4:5], s4, v4
	v_addc_co_u32_e64 v3, s[4:5], v3, v5, s[4:5]
	s_and_saveexec_b64 s[34:35], s[74:75]
	s_cbranch_execnz .LBB743_173
; %bb.131:
	s_or_b64 exec, exec, s[34:35]
	v_mov_b32_e32 v4, v72
	s_and_saveexec_b64 s[34:35], s[72:73]
	s_cbranch_execnz .LBB743_174
.LBB743_132:
	s_or_b64 exec, exec, s[34:35]
	s_and_saveexec_b64 s[34:35], s[70:71]
	s_cbranch_execnz .LBB743_177
.LBB743_133:
	s_or_b64 exec, exec, s[34:35]
	s_and_saveexec_b64 s[34:35], s[68:69]
	s_cbranch_execnz .LBB743_180
.LBB743_134:
	s_or_b64 exec, exec, s[34:35]
	s_and_saveexec_b64 s[34:35], s[66:67]
	s_cbranch_execnz .LBB743_183
.LBB743_135:
	s_or_b64 exec, exec, s[34:35]
	s_and_saveexec_b64 s[34:35], s[64:65]
	s_cbranch_execnz .LBB743_186
.LBB743_136:
	s_or_b64 exec, exec, s[34:35]
	s_and_saveexec_b64 s[34:35], s[62:63]
	s_cbranch_execnz .LBB743_189
.LBB743_137:
	s_or_b64 exec, exec, s[34:35]
	s_and_saveexec_b64 s[34:35], s[60:61]
	s_cbranch_execnz .LBB743_192
.LBB743_138:
	s_or_b64 exec, exec, s[34:35]
	s_and_saveexec_b64 s[34:35], s[58:59]
	s_cbranch_execnz .LBB743_195
.LBB743_139:
	s_or_b64 exec, exec, s[34:35]
	s_and_saveexec_b64 s[34:35], s[56:57]
	s_cbranch_execnz .LBB743_198
.LBB743_140:
	s_or_b64 exec, exec, s[34:35]
	s_and_saveexec_b64 s[34:35], s[54:55]
	s_cbranch_execnz .LBB743_201
.LBB743_141:
	s_or_b64 exec, exec, s[34:35]
	s_and_saveexec_b64 s[34:35], s[52:53]
	s_cbranch_execnz .LBB743_204
.LBB743_142:
	s_or_b64 exec, exec, s[34:35]
	s_and_saveexec_b64 s[34:35], s[50:51]
	s_cbranch_execnz .LBB743_207
.LBB743_143:
	s_or_b64 exec, exec, s[34:35]
	s_and_saveexec_b64 s[34:35], s[48:49]
	s_cbranch_execnz .LBB743_210
.LBB743_144:
	s_or_b64 exec, exec, s[34:35]
	s_and_saveexec_b64 s[34:35], s[46:47]
	s_cbranch_execnz .LBB743_213
.LBB743_145:
	s_or_b64 exec, exec, s[34:35]
	s_and_saveexec_b64 s[34:35], s[44:45]
	s_cbranch_execnz .LBB743_216
.LBB743_146:
	s_or_b64 exec, exec, s[34:35]
	s_and_saveexec_b64 s[34:35], s[38:39]
	s_cbranch_execnz .LBB743_219
.LBB743_147:
	s_or_b64 exec, exec, s[34:35]
	s_and_saveexec_b64 s[34:35], vcc
	s_cbranch_execnz .LBB743_222
.LBB743_148:
	s_or_b64 exec, exec, s[34:35]
	s_and_saveexec_b64 s[34:35], s[40:41]
	s_cbranch_execnz .LBB743_225
.LBB743_149:
	s_or_b64 exec, exec, s[34:35]
	s_and_saveexec_b64 s[34:35], s[30:31]
	s_cbranch_execnz .LBB743_228
.LBB743_150:
	s_or_b64 exec, exec, s[34:35]
	s_and_saveexec_b64 s[34:35], s[28:29]
	s_cbranch_execnz .LBB743_231
.LBB743_151:
	s_or_b64 exec, exec, s[34:35]
	s_and_saveexec_b64 s[34:35], s[26:27]
	s_cbranch_execnz .LBB743_234
.LBB743_152:
	s_or_b64 exec, exec, s[34:35]
	s_and_saveexec_b64 s[34:35], s[24:25]
	s_cbranch_execnz .LBB743_237
.LBB743_153:
	s_or_b64 exec, exec, s[34:35]
	s_and_saveexec_b64 s[34:35], s[22:23]
	s_cbranch_execnz .LBB743_240
.LBB743_154:
	s_or_b64 exec, exec, s[34:35]
	s_and_saveexec_b64 s[34:35], s[20:21]
	s_cbranch_execnz .LBB743_243
.LBB743_155:
	s_or_b64 exec, exec, s[34:35]
	s_and_saveexec_b64 s[34:35], s[18:19]
	s_cbranch_execnz .LBB743_246
.LBB743_156:
	s_or_b64 exec, exec, s[34:35]
	s_and_saveexec_b64 s[34:35], s[16:17]
	s_cbranch_execnz .LBB743_249
.LBB743_157:
	s_or_b64 exec, exec, s[34:35]
	s_and_saveexec_b64 s[34:35], s[14:15]
	s_cbranch_execnz .LBB743_252
.LBB743_158:
	s_or_b64 exec, exec, s[34:35]
	s_and_saveexec_b64 s[34:35], s[12:13]
	s_cbranch_execnz .LBB743_255
.LBB743_159:
	s_or_b64 exec, exec, s[34:35]
	s_and_saveexec_b64 s[34:35], s[10:11]
	s_cbranch_execnz .LBB743_258
.LBB743_160:
	s_or_b64 exec, exec, s[34:35]
	s_and_saveexec_b64 s[34:35], s[8:9]
	s_cbranch_execnz .LBB743_261
.LBB743_161:
	s_or_b64 exec, exec, s[34:35]
	s_and_saveexec_b64 s[34:35], s[6:7]
	s_cbranch_execnz .LBB743_264
.LBB743_162:
	s_or_b64 exec, exec, s[34:35]
	s_and_saveexec_b64 s[34:35], s[36:37]
	s_cbranch_execnz .LBB743_267
.LBB743_163:
	s_or_b64 exec, exec, s[34:35]
	s_and_saveexec_b64 s[34:35], s[2:3]
	s_cbranch_execnz .LBB743_270
.LBB743_164:
	s_or_b64 exec, exec, s[34:35]
	s_and_saveexec_b64 s[34:35], s[0:1]
	s_cbranch_execnz .LBB743_273
.LBB743_165:
	s_or_b64 exec, exec, s[34:35]
	s_and_saveexec_b64 s[34:35], s[94:95]
	s_cbranch_execnz .LBB743_276
.LBB743_166:
	s_or_b64 exec, exec, s[34:35]
	s_and_saveexec_b64 s[34:35], s[92:93]
	s_cbranch_execnz .LBB743_279
.LBB743_167:
	s_or_b64 exec, exec, s[34:35]
	s_and_saveexec_b64 s[34:35], s[90:91]
	s_cbranch_execnz .LBB743_282
.LBB743_168:
	s_or_b64 exec, exec, s[34:35]
	s_and_saveexec_b64 s[34:35], s[88:89]
	s_cbranch_execnz .LBB743_285
.LBB743_169:
	s_or_b64 exec, exec, s[34:35]
	s_and_saveexec_b64 s[34:35], s[86:87]
	s_cbranch_execnz .LBB743_288
.LBB743_170:
	s_or_b64 exec, exec, s[34:35]
	s_and_saveexec_b64 s[34:35], s[84:85]
	s_cbranch_execnz .LBB743_291
.LBB743_171:
	s_or_b64 exec, exec, s[34:35]
	s_and_saveexec_b64 s[34:35], s[82:83]
	s_cbranch_execnz .LBB743_294
.LBB743_172:
	s_or_b64 exec, exec, s[34:35]
	s_and_saveexec_b64 s[34:35], s[80:81]
	s_cbranch_execnz .LBB743_297
	s_branch .LBB743_300
.LBB743_173:
	global_load_ubyte v4, v[2:3], off
	s_waitcnt vmcnt(0)
	v_and_b32_e32 v4, 1, v4
	v_cmp_eq_u32_e64 s[4:5], 1, v4
	s_xor_b64 s[4:5], s[4:5], -1
	s_and_b64 s[42:43], s[4:5], exec
	s_or_b64 exec, exec, s[34:35]
	v_mov_b32_e32 v4, v72
	s_and_saveexec_b64 s[34:35], s[72:73]
	s_cbranch_execz .LBB743_132
.LBB743_174:
	global_load_ubyte v4, v[2:3], off offset:32
	s_mov_b64 s[76:77], s[42:43]
	s_waitcnt vmcnt(0)
	v_and_b32_e32 v4, 1, v4
	v_cmp_eq_u32_e64 s[4:5], 1, v4
	s_xor_b64 s[4:5], s[4:5], -1
	v_mov_b32_e32 v4, v72
	s_and_saveexec_b64 s[78:79], s[4:5]
; %bb.175:
	v_cmp_gt_f32_e64 s[4:5], v72, v71
	s_and_b64 s[4:5], s[42:43], s[4:5]
	v_cndmask_b32_e64 v4, v71, v72, s[4:5]
	s_or_b64 s[76:77], s[42:43], exec
; %bb.176:
	s_or_b64 exec, exec, s[78:79]
	s_andn2_b64 s[4:5], s[42:43], exec
	s_and_b64 s[42:43], s[76:77], exec
	s_or_b64 s[42:43], s[4:5], s[42:43]
	s_or_b64 exec, exec, s[34:35]
	s_and_saveexec_b64 s[34:35], s[70:71]
	s_cbranch_execz .LBB743_133
.LBB743_177:
	global_load_ubyte v5, v[2:3], off offset:64
	s_waitcnt vmcnt(0)
	v_and_b32_e32 v5, 1, v5
	v_cmp_eq_u32_e64 s[4:5], 1, v5
	s_xor_b64 s[78:79], s[4:5], -1
	s_mov_b64 s[4:5], s[42:43]
	s_and_saveexec_b64 s[76:77], s[78:79]
; %bb.178:
	v_cmp_gt_f32_e64 s[4:5], v4, v70
	s_and_b64 s[4:5], s[42:43], s[4:5]
	v_cndmask_b32_e64 v4, v70, v4, s[4:5]
	s_or_b64 s[4:5], s[42:43], exec
; %bb.179:
	s_or_b64 exec, exec, s[76:77]
	s_andn2_b64 s[42:43], s[42:43], exec
	s_and_b64 s[4:5], s[4:5], exec
	s_or_b64 s[42:43], s[42:43], s[4:5]
	s_or_b64 exec, exec, s[34:35]
	s_and_saveexec_b64 s[34:35], s[68:69]
	s_cbranch_execz .LBB743_134
.LBB743_180:
	global_load_ubyte v5, v[2:3], off offset:96
	s_waitcnt vmcnt(0)
	v_and_b32_e32 v5, 1, v5
	v_cmp_eq_u32_e64 s[4:5], 1, v5
	s_xor_b64 s[78:79], s[4:5], -1
	s_mov_b64 s[4:5], s[42:43]
	s_and_saveexec_b64 s[76:77], s[78:79]
; %bb.181:
	v_cmp_gt_f32_e64 s[4:5], v4, v69
	s_and_b64 s[4:5], s[42:43], s[4:5]
	v_cndmask_b32_e64 v4, v69, v4, s[4:5]
	s_or_b64 s[4:5], s[42:43], exec
; %bb.182:
	s_or_b64 exec, exec, s[76:77]
	s_andn2_b64 s[42:43], s[42:43], exec
	s_and_b64 s[4:5], s[4:5], exec
	s_or_b64 s[42:43], s[42:43], s[4:5]
	s_or_b64 exec, exec, s[34:35]
	s_and_saveexec_b64 s[34:35], s[66:67]
	s_cbranch_execz .LBB743_135
.LBB743_183:
	global_load_ubyte v5, v[2:3], off offset:128
	s_waitcnt vmcnt(0)
	v_and_b32_e32 v5, 1, v5
	v_cmp_eq_u32_e64 s[4:5], 1, v5
	s_xor_b64 s[78:79], s[4:5], -1
	s_mov_b64 s[4:5], s[42:43]
	s_and_saveexec_b64 s[76:77], s[78:79]
; %bb.184:
	v_cmp_gt_f32_e64 s[4:5], v4, v68
	s_and_b64 s[4:5], s[42:43], s[4:5]
	v_cndmask_b32_e64 v4, v68, v4, s[4:5]
	s_or_b64 s[4:5], s[42:43], exec
; %bb.185:
	s_or_b64 exec, exec, s[76:77]
	s_andn2_b64 s[42:43], s[42:43], exec
	s_and_b64 s[4:5], s[4:5], exec
	s_or_b64 s[42:43], s[42:43], s[4:5]
	s_or_b64 exec, exec, s[34:35]
	s_and_saveexec_b64 s[34:35], s[64:65]
	s_cbranch_execz .LBB743_136
.LBB743_186:
	global_load_ubyte v5, v[2:3], off offset:160
	s_waitcnt vmcnt(0)
	v_and_b32_e32 v5, 1, v5
	v_cmp_eq_u32_e64 s[4:5], 1, v5
	s_xor_b64 s[78:79], s[4:5], -1
	s_mov_b64 s[4:5], s[42:43]
	s_and_saveexec_b64 s[76:77], s[78:79]
; %bb.187:
	v_cmp_gt_f32_e64 s[4:5], v4, v67
	s_and_b64 s[4:5], s[42:43], s[4:5]
	v_cndmask_b32_e64 v4, v67, v4, s[4:5]
	s_or_b64 s[4:5], s[42:43], exec
; %bb.188:
	s_or_b64 exec, exec, s[76:77]
	s_andn2_b64 s[42:43], s[42:43], exec
	s_and_b64 s[4:5], s[4:5], exec
	s_or_b64 s[42:43], s[42:43], s[4:5]
	s_or_b64 exec, exec, s[34:35]
	s_and_saveexec_b64 s[34:35], s[62:63]
	s_cbranch_execz .LBB743_137
.LBB743_189:
	global_load_ubyte v5, v[2:3], off offset:192
	s_waitcnt vmcnt(0)
	v_and_b32_e32 v5, 1, v5
	v_cmp_eq_u32_e64 s[4:5], 1, v5
	s_xor_b64 s[78:79], s[4:5], -1
	s_mov_b64 s[4:5], s[42:43]
	s_and_saveexec_b64 s[76:77], s[78:79]
; %bb.190:
	v_cmp_gt_f32_e64 s[4:5], v4, v66
	s_and_b64 s[4:5], s[42:43], s[4:5]
	v_cndmask_b32_e64 v4, v66, v4, s[4:5]
	s_or_b64 s[4:5], s[42:43], exec
; %bb.191:
	s_or_b64 exec, exec, s[76:77]
	s_andn2_b64 s[42:43], s[42:43], exec
	s_and_b64 s[4:5], s[4:5], exec
	s_or_b64 s[42:43], s[42:43], s[4:5]
	s_or_b64 exec, exec, s[34:35]
	s_and_saveexec_b64 s[34:35], s[60:61]
	s_cbranch_execz .LBB743_138
.LBB743_192:
	global_load_ubyte v5, v[2:3], off offset:224
	s_waitcnt vmcnt(0)
	v_and_b32_e32 v5, 1, v5
	v_cmp_eq_u32_e64 s[4:5], 1, v5
	s_xor_b64 s[78:79], s[4:5], -1
	s_mov_b64 s[4:5], s[42:43]
	s_and_saveexec_b64 s[76:77], s[78:79]
; %bb.193:
	v_cmp_gt_f32_e64 s[4:5], v4, v65
	s_and_b64 s[4:5], s[42:43], s[4:5]
	v_cndmask_b32_e64 v4, v65, v4, s[4:5]
	s_or_b64 s[4:5], s[42:43], exec
; %bb.194:
	s_or_b64 exec, exec, s[76:77]
	s_andn2_b64 s[42:43], s[42:43], exec
	s_and_b64 s[4:5], s[4:5], exec
	s_or_b64 s[42:43], s[42:43], s[4:5]
	s_or_b64 exec, exec, s[34:35]
	s_and_saveexec_b64 s[34:35], s[58:59]
	s_cbranch_execz .LBB743_139
.LBB743_195:
	global_load_ubyte v5, v[2:3], off offset:256
	s_waitcnt vmcnt(0)
	v_and_b32_e32 v5, 1, v5
	v_cmp_eq_u32_e64 s[4:5], 1, v5
	s_xor_b64 s[78:79], s[4:5], -1
	s_mov_b64 s[4:5], s[42:43]
	s_and_saveexec_b64 s[76:77], s[78:79]
; %bb.196:
	v_cmp_gt_f32_e64 s[4:5], v4, v64
	s_and_b64 s[4:5], s[42:43], s[4:5]
	v_cndmask_b32_e64 v4, v64, v4, s[4:5]
	s_or_b64 s[4:5], s[42:43], exec
; %bb.197:
	s_or_b64 exec, exec, s[76:77]
	s_andn2_b64 s[42:43], s[42:43], exec
	s_and_b64 s[4:5], s[4:5], exec
	s_or_b64 s[42:43], s[42:43], s[4:5]
	s_or_b64 exec, exec, s[34:35]
	s_and_saveexec_b64 s[34:35], s[56:57]
	s_cbranch_execz .LBB743_140
.LBB743_198:
	global_load_ubyte v5, v[2:3], off offset:288
	s_waitcnt vmcnt(0)
	v_and_b32_e32 v5, 1, v5
	v_cmp_eq_u32_e64 s[4:5], 1, v5
	s_xor_b64 s[78:79], s[4:5], -1
	s_mov_b64 s[4:5], s[42:43]
	s_and_saveexec_b64 s[76:77], s[78:79]
; %bb.199:
	v_cmp_gt_f32_e64 s[4:5], v4, v63
	s_and_b64 s[4:5], s[42:43], s[4:5]
	v_cndmask_b32_e64 v4, v63, v4, s[4:5]
	s_or_b64 s[4:5], s[42:43], exec
; %bb.200:
	s_or_b64 exec, exec, s[76:77]
	s_andn2_b64 s[42:43], s[42:43], exec
	s_and_b64 s[4:5], s[4:5], exec
	s_or_b64 s[42:43], s[42:43], s[4:5]
	s_or_b64 exec, exec, s[34:35]
	s_and_saveexec_b64 s[34:35], s[54:55]
	s_cbranch_execz .LBB743_141
.LBB743_201:
	global_load_ubyte v5, v[2:3], off offset:320
	s_waitcnt vmcnt(0)
	v_and_b32_e32 v5, 1, v5
	v_cmp_eq_u32_e64 s[4:5], 1, v5
	s_xor_b64 s[78:79], s[4:5], -1
	s_mov_b64 s[4:5], s[42:43]
	s_and_saveexec_b64 s[76:77], s[78:79]
; %bb.202:
	v_cmp_gt_f32_e64 s[4:5], v4, v62
	s_and_b64 s[4:5], s[42:43], s[4:5]
	v_cndmask_b32_e64 v4, v62, v4, s[4:5]
	s_or_b64 s[4:5], s[42:43], exec
; %bb.203:
	s_or_b64 exec, exec, s[76:77]
	s_andn2_b64 s[42:43], s[42:43], exec
	s_and_b64 s[4:5], s[4:5], exec
	s_or_b64 s[42:43], s[42:43], s[4:5]
	s_or_b64 exec, exec, s[34:35]
	s_and_saveexec_b64 s[34:35], s[52:53]
	s_cbranch_execz .LBB743_142
.LBB743_204:
	global_load_ubyte v5, v[2:3], off offset:352
	s_waitcnt vmcnt(0)
	v_and_b32_e32 v5, 1, v5
	v_cmp_eq_u32_e64 s[4:5], 1, v5
	s_xor_b64 s[78:79], s[4:5], -1
	s_mov_b64 s[4:5], s[42:43]
	s_and_saveexec_b64 s[76:77], s[78:79]
; %bb.205:
	v_cmp_gt_f32_e64 s[4:5], v4, v61
	s_and_b64 s[4:5], s[42:43], s[4:5]
	v_cndmask_b32_e64 v4, v61, v4, s[4:5]
	s_or_b64 s[4:5], s[42:43], exec
; %bb.206:
	s_or_b64 exec, exec, s[76:77]
	s_andn2_b64 s[42:43], s[42:43], exec
	s_and_b64 s[4:5], s[4:5], exec
	s_or_b64 s[42:43], s[42:43], s[4:5]
	s_or_b64 exec, exec, s[34:35]
	s_and_saveexec_b64 s[34:35], s[50:51]
	s_cbranch_execz .LBB743_143
.LBB743_207:
	global_load_ubyte v5, v[2:3], off offset:384
	s_waitcnt vmcnt(0)
	v_and_b32_e32 v5, 1, v5
	v_cmp_eq_u32_e64 s[4:5], 1, v5
	s_xor_b64 s[78:79], s[4:5], -1
	s_mov_b64 s[4:5], s[42:43]
	s_and_saveexec_b64 s[76:77], s[78:79]
; %bb.208:
	v_cmp_gt_f32_e64 s[4:5], v4, v60
	s_and_b64 s[4:5], s[42:43], s[4:5]
	v_cndmask_b32_e64 v4, v60, v4, s[4:5]
	s_or_b64 s[4:5], s[42:43], exec
; %bb.209:
	s_or_b64 exec, exec, s[76:77]
	s_andn2_b64 s[42:43], s[42:43], exec
	s_and_b64 s[4:5], s[4:5], exec
	s_or_b64 s[42:43], s[42:43], s[4:5]
	s_or_b64 exec, exec, s[34:35]
	s_and_saveexec_b64 s[34:35], s[48:49]
	s_cbranch_execz .LBB743_144
.LBB743_210:
	global_load_ubyte v5, v[2:3], off offset:416
	s_waitcnt vmcnt(0)
	v_and_b32_e32 v5, 1, v5
	v_cmp_eq_u32_e64 s[4:5], 1, v5
	s_xor_b64 s[78:79], s[4:5], -1
	s_mov_b64 s[4:5], s[42:43]
	s_and_saveexec_b64 s[76:77], s[78:79]
; %bb.211:
	v_cmp_gt_f32_e64 s[4:5], v4, v59
	s_and_b64 s[4:5], s[42:43], s[4:5]
	v_cndmask_b32_e64 v4, v59, v4, s[4:5]
	s_or_b64 s[4:5], s[42:43], exec
; %bb.212:
	s_or_b64 exec, exec, s[76:77]
	s_andn2_b64 s[42:43], s[42:43], exec
	s_and_b64 s[4:5], s[4:5], exec
	s_or_b64 s[42:43], s[42:43], s[4:5]
	s_or_b64 exec, exec, s[34:35]
	s_and_saveexec_b64 s[34:35], s[46:47]
	s_cbranch_execz .LBB743_145
.LBB743_213:
	global_load_ubyte v5, v[2:3], off offset:448
	s_waitcnt vmcnt(0)
	v_and_b32_e32 v5, 1, v5
	v_cmp_eq_u32_e64 s[4:5], 1, v5
	s_xor_b64 s[78:79], s[4:5], -1
	s_mov_b64 s[4:5], s[42:43]
	s_and_saveexec_b64 s[76:77], s[78:79]
; %bb.214:
	v_cmp_gt_f32_e64 s[4:5], v4, v58
	s_and_b64 s[4:5], s[42:43], s[4:5]
	v_cndmask_b32_e64 v4, v58, v4, s[4:5]
	s_or_b64 s[4:5], s[42:43], exec
; %bb.215:
	s_or_b64 exec, exec, s[76:77]
	s_andn2_b64 s[42:43], s[42:43], exec
	s_and_b64 s[4:5], s[4:5], exec
	s_or_b64 s[42:43], s[42:43], s[4:5]
	s_or_b64 exec, exec, s[34:35]
	s_and_saveexec_b64 s[34:35], s[44:45]
	s_cbranch_execz .LBB743_146
.LBB743_216:
	global_load_ubyte v5, v[2:3], off offset:480
	s_waitcnt vmcnt(0)
	v_and_b32_e32 v5, 1, v5
	v_cmp_eq_u32_e64 s[4:5], 1, v5
	s_xor_b64 s[78:79], s[4:5], -1
	s_mov_b64 s[4:5], s[42:43]
	s_and_saveexec_b64 s[76:77], s[78:79]
; %bb.217:
	v_cmp_gt_f32_e64 s[4:5], v4, v57
	s_and_b64 s[4:5], s[42:43], s[4:5]
	v_cndmask_b32_e64 v4, v57, v4, s[4:5]
	s_or_b64 s[4:5], s[42:43], exec
; %bb.218:
	s_or_b64 exec, exec, s[76:77]
	s_andn2_b64 s[42:43], s[42:43], exec
	s_and_b64 s[4:5], s[4:5], exec
	s_or_b64 s[42:43], s[42:43], s[4:5]
	s_or_b64 exec, exec, s[34:35]
	s_and_saveexec_b64 s[34:35], s[38:39]
	s_cbranch_execz .LBB743_147
.LBB743_219:
	global_load_ubyte v5, v[2:3], off offset:512
	s_waitcnt vmcnt(0)
	v_and_b32_e32 v5, 1, v5
	v_cmp_eq_u32_e64 s[4:5], 1, v5
	s_xor_b64 s[78:79], s[4:5], -1
	s_mov_b64 s[4:5], s[42:43]
	s_and_saveexec_b64 s[76:77], s[78:79]
; %bb.220:
	v_cmp_gt_f32_e64 s[4:5], v4, v56
	s_and_b64 s[4:5], s[42:43], s[4:5]
	v_cndmask_b32_e64 v4, v56, v4, s[4:5]
	s_or_b64 s[4:5], s[42:43], exec
; %bb.221:
	s_or_b64 exec, exec, s[76:77]
	s_andn2_b64 s[42:43], s[42:43], exec
	s_and_b64 s[4:5], s[4:5], exec
	s_or_b64 s[42:43], s[42:43], s[4:5]
	s_or_b64 exec, exec, s[34:35]
	s_and_saveexec_b64 s[34:35], vcc
	s_cbranch_execz .LBB743_148
.LBB743_222:
	global_load_ubyte v5, v[2:3], off offset:544
	s_waitcnt vmcnt(0)
	v_and_b32_e32 v5, 1, v5
	v_cmp_eq_u32_e64 s[4:5], 1, v5
	s_xor_b64 s[78:79], s[4:5], -1
	s_mov_b64 s[4:5], s[42:43]
	s_and_saveexec_b64 s[76:77], s[78:79]
; %bb.223:
	v_cmp_gt_f32_e64 s[4:5], v4, v55
	s_and_b64 s[4:5], s[42:43], s[4:5]
	v_cndmask_b32_e64 v4, v55, v4, s[4:5]
	s_or_b64 s[4:5], s[42:43], exec
; %bb.224:
	s_or_b64 exec, exec, s[76:77]
	s_andn2_b64 s[42:43], s[42:43], exec
	s_and_b64 s[4:5], s[4:5], exec
	s_or_b64 s[42:43], s[42:43], s[4:5]
	s_or_b64 exec, exec, s[34:35]
	s_and_saveexec_b64 s[34:35], s[40:41]
	s_cbranch_execz .LBB743_149
.LBB743_225:
	global_load_ubyte v5, v[2:3], off offset:576
	s_waitcnt vmcnt(0)
	v_and_b32_e32 v5, 1, v5
	v_cmp_eq_u32_e64 s[4:5], 1, v5
	s_xor_b64 s[78:79], s[4:5], -1
	s_mov_b64 s[4:5], s[42:43]
	s_and_saveexec_b64 s[76:77], s[78:79]
; %bb.226:
	v_cmp_gt_f32_e64 s[4:5], v4, v54
	s_and_b64 s[4:5], s[42:43], s[4:5]
	v_cndmask_b32_e64 v4, v54, v4, s[4:5]
	s_or_b64 s[4:5], s[42:43], exec
; %bb.227:
	s_or_b64 exec, exec, s[76:77]
	s_andn2_b64 s[42:43], s[42:43], exec
	s_and_b64 s[4:5], s[4:5], exec
	s_or_b64 s[42:43], s[42:43], s[4:5]
	s_or_b64 exec, exec, s[34:35]
	s_and_saveexec_b64 s[34:35], s[30:31]
	s_cbranch_execz .LBB743_150
.LBB743_228:
	global_load_ubyte v5, v[2:3], off offset:608
	s_waitcnt vmcnt(0)
	v_and_b32_e32 v5, 1, v5
	v_cmp_eq_u32_e64 s[4:5], 1, v5
	s_xor_b64 s[78:79], s[4:5], -1
	s_mov_b64 s[4:5], s[42:43]
	s_and_saveexec_b64 s[76:77], s[78:79]
; %bb.229:
	v_cmp_gt_f32_e64 s[4:5], v4, v53
	s_and_b64 s[4:5], s[42:43], s[4:5]
	v_cndmask_b32_e64 v4, v53, v4, s[4:5]
	s_or_b64 s[4:5], s[42:43], exec
; %bb.230:
	s_or_b64 exec, exec, s[76:77]
	s_andn2_b64 s[42:43], s[42:43], exec
	s_and_b64 s[4:5], s[4:5], exec
	s_or_b64 s[42:43], s[42:43], s[4:5]
	s_or_b64 exec, exec, s[34:35]
	s_and_saveexec_b64 s[34:35], s[28:29]
	s_cbranch_execz .LBB743_151
.LBB743_231:
	global_load_ubyte v5, v[2:3], off offset:640
	s_waitcnt vmcnt(0)
	v_and_b32_e32 v5, 1, v5
	v_cmp_eq_u32_e64 s[4:5], 1, v5
	s_xor_b64 s[78:79], s[4:5], -1
	s_mov_b64 s[4:5], s[42:43]
	s_and_saveexec_b64 s[76:77], s[78:79]
; %bb.232:
	v_cmp_gt_f32_e64 s[4:5], v4, v52
	s_and_b64 s[4:5], s[42:43], s[4:5]
	v_cndmask_b32_e64 v4, v52, v4, s[4:5]
	s_or_b64 s[4:5], s[42:43], exec
; %bb.233:
	s_or_b64 exec, exec, s[76:77]
	s_andn2_b64 s[42:43], s[42:43], exec
	s_and_b64 s[4:5], s[4:5], exec
	s_or_b64 s[42:43], s[42:43], s[4:5]
	s_or_b64 exec, exec, s[34:35]
	s_and_saveexec_b64 s[34:35], s[26:27]
	s_cbranch_execz .LBB743_152
.LBB743_234:
	global_load_ubyte v5, v[2:3], off offset:672
	s_waitcnt vmcnt(0)
	v_and_b32_e32 v5, 1, v5
	v_cmp_eq_u32_e64 s[4:5], 1, v5
	s_xor_b64 s[78:79], s[4:5], -1
	s_mov_b64 s[4:5], s[42:43]
	s_and_saveexec_b64 s[76:77], s[78:79]
; %bb.235:
	v_cmp_gt_f32_e64 s[4:5], v4, v51
	s_and_b64 s[4:5], s[42:43], s[4:5]
	v_cndmask_b32_e64 v4, v51, v4, s[4:5]
	s_or_b64 s[4:5], s[42:43], exec
; %bb.236:
	s_or_b64 exec, exec, s[76:77]
	s_andn2_b64 s[42:43], s[42:43], exec
	s_and_b64 s[4:5], s[4:5], exec
	s_or_b64 s[42:43], s[42:43], s[4:5]
	s_or_b64 exec, exec, s[34:35]
	s_and_saveexec_b64 s[34:35], s[24:25]
	s_cbranch_execz .LBB743_153
.LBB743_237:
	global_load_ubyte v5, v[2:3], off offset:704
	s_waitcnt vmcnt(0)
	v_and_b32_e32 v5, 1, v5
	v_cmp_eq_u32_e64 s[4:5], 1, v5
	s_xor_b64 s[78:79], s[4:5], -1
	s_mov_b64 s[4:5], s[42:43]
	s_and_saveexec_b64 s[76:77], s[78:79]
; %bb.238:
	v_cmp_gt_f32_e64 s[4:5], v4, v50
	s_and_b64 s[4:5], s[42:43], s[4:5]
	v_cndmask_b32_e64 v4, v50, v4, s[4:5]
	s_or_b64 s[4:5], s[42:43], exec
; %bb.239:
	s_or_b64 exec, exec, s[76:77]
	s_andn2_b64 s[42:43], s[42:43], exec
	s_and_b64 s[4:5], s[4:5], exec
	s_or_b64 s[42:43], s[42:43], s[4:5]
	s_or_b64 exec, exec, s[34:35]
	s_and_saveexec_b64 s[34:35], s[22:23]
	s_cbranch_execz .LBB743_154
.LBB743_240:
	global_load_ubyte v5, v[2:3], off offset:736
	s_waitcnt vmcnt(0)
	v_and_b32_e32 v5, 1, v5
	v_cmp_eq_u32_e64 s[4:5], 1, v5
	s_xor_b64 s[78:79], s[4:5], -1
	s_mov_b64 s[4:5], s[42:43]
	s_and_saveexec_b64 s[76:77], s[78:79]
; %bb.241:
	v_cmp_gt_f32_e64 s[4:5], v4, v49
	s_and_b64 s[4:5], s[42:43], s[4:5]
	v_cndmask_b32_e64 v4, v49, v4, s[4:5]
	s_or_b64 s[4:5], s[42:43], exec
; %bb.242:
	s_or_b64 exec, exec, s[76:77]
	s_andn2_b64 s[42:43], s[42:43], exec
	s_and_b64 s[4:5], s[4:5], exec
	s_or_b64 s[42:43], s[42:43], s[4:5]
	s_or_b64 exec, exec, s[34:35]
	s_and_saveexec_b64 s[34:35], s[20:21]
	s_cbranch_execz .LBB743_155
.LBB743_243:
	global_load_ubyte v5, v[2:3], off offset:768
	s_waitcnt vmcnt(0)
	v_and_b32_e32 v5, 1, v5
	v_cmp_eq_u32_e64 s[4:5], 1, v5
	s_xor_b64 s[78:79], s[4:5], -1
	s_mov_b64 s[4:5], s[42:43]
	s_and_saveexec_b64 s[76:77], s[78:79]
; %bb.244:
	v_cmp_gt_f32_e64 s[4:5], v4, v48
	s_and_b64 s[4:5], s[42:43], s[4:5]
	v_cndmask_b32_e64 v4, v48, v4, s[4:5]
	s_or_b64 s[4:5], s[42:43], exec
; %bb.245:
	s_or_b64 exec, exec, s[76:77]
	s_andn2_b64 s[42:43], s[42:43], exec
	s_and_b64 s[4:5], s[4:5], exec
	s_or_b64 s[42:43], s[42:43], s[4:5]
	s_or_b64 exec, exec, s[34:35]
	s_and_saveexec_b64 s[34:35], s[18:19]
	s_cbranch_execz .LBB743_156
.LBB743_246:
	global_load_ubyte v5, v[2:3], off offset:800
	s_waitcnt vmcnt(0)
	v_and_b32_e32 v5, 1, v5
	v_cmp_eq_u32_e64 s[4:5], 1, v5
	s_xor_b64 s[78:79], s[4:5], -1
	s_mov_b64 s[4:5], s[42:43]
	s_and_saveexec_b64 s[76:77], s[78:79]
; %bb.247:
	v_cmp_gt_f32_e64 s[4:5], v4, v47
	s_and_b64 s[4:5], s[42:43], s[4:5]
	v_cndmask_b32_e64 v4, v47, v4, s[4:5]
	s_or_b64 s[4:5], s[42:43], exec
; %bb.248:
	s_or_b64 exec, exec, s[76:77]
	s_andn2_b64 s[42:43], s[42:43], exec
	s_and_b64 s[4:5], s[4:5], exec
	s_or_b64 s[42:43], s[42:43], s[4:5]
	s_or_b64 exec, exec, s[34:35]
	s_and_saveexec_b64 s[34:35], s[16:17]
	s_cbranch_execz .LBB743_157
.LBB743_249:
	global_load_ubyte v5, v[2:3], off offset:832
	s_waitcnt vmcnt(0)
	v_and_b32_e32 v5, 1, v5
	v_cmp_eq_u32_e64 s[4:5], 1, v5
	s_xor_b64 s[78:79], s[4:5], -1
	s_mov_b64 s[4:5], s[42:43]
	s_and_saveexec_b64 s[76:77], s[78:79]
; %bb.250:
	v_cmp_gt_f32_e64 s[4:5], v4, v46
	s_and_b64 s[4:5], s[42:43], s[4:5]
	v_cndmask_b32_e64 v4, v46, v4, s[4:5]
	s_or_b64 s[4:5], s[42:43], exec
; %bb.251:
	s_or_b64 exec, exec, s[76:77]
	s_andn2_b64 s[42:43], s[42:43], exec
	s_and_b64 s[4:5], s[4:5], exec
	s_or_b64 s[42:43], s[42:43], s[4:5]
	s_or_b64 exec, exec, s[34:35]
	s_and_saveexec_b64 s[34:35], s[14:15]
	s_cbranch_execz .LBB743_158
.LBB743_252:
	global_load_ubyte v5, v[2:3], off offset:864
	s_waitcnt vmcnt(0)
	v_and_b32_e32 v5, 1, v5
	v_cmp_eq_u32_e64 s[4:5], 1, v5
	s_xor_b64 s[78:79], s[4:5], -1
	s_mov_b64 s[4:5], s[42:43]
	s_and_saveexec_b64 s[76:77], s[78:79]
; %bb.253:
	v_cmp_gt_f32_e64 s[4:5], v4, v45
	s_and_b64 s[4:5], s[42:43], s[4:5]
	v_cndmask_b32_e64 v4, v45, v4, s[4:5]
	s_or_b64 s[4:5], s[42:43], exec
; %bb.254:
	s_or_b64 exec, exec, s[76:77]
	s_andn2_b64 s[42:43], s[42:43], exec
	s_and_b64 s[4:5], s[4:5], exec
	s_or_b64 s[42:43], s[42:43], s[4:5]
	s_or_b64 exec, exec, s[34:35]
	s_and_saveexec_b64 s[34:35], s[12:13]
	s_cbranch_execz .LBB743_159
.LBB743_255:
	global_load_ubyte v5, v[2:3], off offset:896
	s_waitcnt vmcnt(0)
	v_and_b32_e32 v5, 1, v5
	v_cmp_eq_u32_e64 s[4:5], 1, v5
	s_xor_b64 s[78:79], s[4:5], -1
	s_mov_b64 s[4:5], s[42:43]
	s_and_saveexec_b64 s[76:77], s[78:79]
; %bb.256:
	v_cmp_gt_f32_e64 s[4:5], v4, v44
	s_and_b64 s[4:5], s[42:43], s[4:5]
	v_cndmask_b32_e64 v4, v44, v4, s[4:5]
	s_or_b64 s[4:5], s[42:43], exec
; %bb.257:
	s_or_b64 exec, exec, s[76:77]
	s_andn2_b64 s[42:43], s[42:43], exec
	s_and_b64 s[4:5], s[4:5], exec
	s_or_b64 s[42:43], s[42:43], s[4:5]
	s_or_b64 exec, exec, s[34:35]
	s_and_saveexec_b64 s[34:35], s[10:11]
	s_cbranch_execz .LBB743_160
.LBB743_258:
	global_load_ubyte v5, v[2:3], off offset:928
	s_waitcnt vmcnt(0)
	v_and_b32_e32 v5, 1, v5
	v_cmp_eq_u32_e64 s[4:5], 1, v5
	s_xor_b64 s[78:79], s[4:5], -1
	s_mov_b64 s[4:5], s[42:43]
	s_and_saveexec_b64 s[76:77], s[78:79]
; %bb.259:
	v_cmp_gt_f32_e64 s[4:5], v4, v43
	s_and_b64 s[4:5], s[42:43], s[4:5]
	v_cndmask_b32_e64 v4, v43, v4, s[4:5]
	s_or_b64 s[4:5], s[42:43], exec
; %bb.260:
	s_or_b64 exec, exec, s[76:77]
	s_andn2_b64 s[42:43], s[42:43], exec
	s_and_b64 s[4:5], s[4:5], exec
	s_or_b64 s[42:43], s[42:43], s[4:5]
	s_or_b64 exec, exec, s[34:35]
	s_and_saveexec_b64 s[34:35], s[8:9]
	s_cbranch_execz .LBB743_161
.LBB743_261:
	global_load_ubyte v5, v[2:3], off offset:960
	s_waitcnt vmcnt(0)
	v_and_b32_e32 v5, 1, v5
	v_cmp_eq_u32_e64 s[4:5], 1, v5
	s_xor_b64 s[78:79], s[4:5], -1
	s_mov_b64 s[4:5], s[42:43]
	s_and_saveexec_b64 s[76:77], s[78:79]
; %bb.262:
	v_cmp_gt_f32_e64 s[4:5], v4, v42
	s_and_b64 s[4:5], s[42:43], s[4:5]
	v_cndmask_b32_e64 v4, v42, v4, s[4:5]
	s_or_b64 s[4:5], s[42:43], exec
; %bb.263:
	s_or_b64 exec, exec, s[76:77]
	s_andn2_b64 s[42:43], s[42:43], exec
	s_and_b64 s[4:5], s[4:5], exec
	s_or_b64 s[42:43], s[42:43], s[4:5]
	s_or_b64 exec, exec, s[34:35]
	s_and_saveexec_b64 s[34:35], s[6:7]
	s_cbranch_execz .LBB743_162
.LBB743_264:
	global_load_ubyte v5, v[2:3], off offset:992
	s_waitcnt vmcnt(0)
	v_and_b32_e32 v5, 1, v5
	v_cmp_eq_u32_e64 s[4:5], 1, v5
	s_xor_b64 s[78:79], s[4:5], -1
	s_mov_b64 s[4:5], s[42:43]
	s_and_saveexec_b64 s[76:77], s[78:79]
; %bb.265:
	v_cmp_gt_f32_e64 s[4:5], v4, v41
	s_and_b64 s[4:5], s[42:43], s[4:5]
	v_cndmask_b32_e64 v4, v41, v4, s[4:5]
	s_or_b64 s[4:5], s[42:43], exec
; %bb.266:
	s_or_b64 exec, exec, s[76:77]
	s_andn2_b64 s[42:43], s[42:43], exec
	s_and_b64 s[4:5], s[4:5], exec
	s_or_b64 s[42:43], s[42:43], s[4:5]
	s_or_b64 exec, exec, s[34:35]
	s_and_saveexec_b64 s[34:35], s[36:37]
	s_cbranch_execz .LBB743_163
.LBB743_267:
	global_load_ubyte v5, v[2:3], off offset:1024
	s_waitcnt vmcnt(0)
	v_and_b32_e32 v5, 1, v5
	v_cmp_eq_u32_e64 s[4:5], 1, v5
	s_xor_b64 s[78:79], s[4:5], -1
	s_mov_b64 s[4:5], s[42:43]
	s_and_saveexec_b64 s[76:77], s[78:79]
; %bb.268:
	v_cmp_gt_f32_e64 s[4:5], v4, v40
	s_and_b64 s[4:5], s[42:43], s[4:5]
	v_cndmask_b32_e64 v4, v40, v4, s[4:5]
	s_or_b64 s[4:5], s[42:43], exec
; %bb.269:
	s_or_b64 exec, exec, s[76:77]
	s_andn2_b64 s[42:43], s[42:43], exec
	s_and_b64 s[4:5], s[4:5], exec
	s_or_b64 s[42:43], s[42:43], s[4:5]
	s_or_b64 exec, exec, s[34:35]
	s_and_saveexec_b64 s[34:35], s[2:3]
	s_cbranch_execz .LBB743_164
.LBB743_270:
	global_load_ubyte v5, v[2:3], off offset:1056
	s_waitcnt vmcnt(0)
	v_and_b32_e32 v5, 1, v5
	v_cmp_eq_u32_e64 s[4:5], 1, v5
	s_xor_b64 s[78:79], s[4:5], -1
	s_mov_b64 s[4:5], s[42:43]
	s_and_saveexec_b64 s[76:77], s[78:79]
; %bb.271:
	v_cmp_gt_f32_e64 s[4:5], v4, v39
	s_and_b64 s[4:5], s[42:43], s[4:5]
	v_cndmask_b32_e64 v4, v39, v4, s[4:5]
	s_or_b64 s[4:5], s[42:43], exec
; %bb.272:
	s_or_b64 exec, exec, s[76:77]
	s_andn2_b64 s[42:43], s[42:43], exec
	s_and_b64 s[4:5], s[4:5], exec
	s_or_b64 s[42:43], s[42:43], s[4:5]
	s_or_b64 exec, exec, s[34:35]
	s_and_saveexec_b64 s[34:35], s[0:1]
	s_cbranch_execz .LBB743_165
.LBB743_273:
	global_load_ubyte v5, v[2:3], off offset:1088
	s_waitcnt vmcnt(0)
	v_and_b32_e32 v5, 1, v5
	v_cmp_eq_u32_e64 s[4:5], 1, v5
	s_xor_b64 s[78:79], s[4:5], -1
	s_mov_b64 s[4:5], s[42:43]
	s_and_saveexec_b64 s[76:77], s[78:79]
; %bb.274:
	v_cmp_gt_f32_e64 s[4:5], v4, v38
	s_and_b64 s[4:5], s[42:43], s[4:5]
	v_cndmask_b32_e64 v4, v38, v4, s[4:5]
	s_or_b64 s[4:5], s[42:43], exec
; %bb.275:
	s_or_b64 exec, exec, s[76:77]
	s_andn2_b64 s[42:43], s[42:43], exec
	s_and_b64 s[4:5], s[4:5], exec
	s_or_b64 s[42:43], s[42:43], s[4:5]
	s_or_b64 exec, exec, s[34:35]
	s_and_saveexec_b64 s[34:35], s[94:95]
	s_cbranch_execz .LBB743_166
.LBB743_276:
	global_load_ubyte v5, v[2:3], off offset:1120
	s_waitcnt vmcnt(0)
	v_and_b32_e32 v5, 1, v5
	v_cmp_eq_u32_e64 s[4:5], 1, v5
	s_xor_b64 s[78:79], s[4:5], -1
	s_mov_b64 s[4:5], s[42:43]
	s_and_saveexec_b64 s[76:77], s[78:79]
; %bb.277:
	v_cmp_gt_f32_e64 s[4:5], v4, v37
	s_and_b64 s[4:5], s[42:43], s[4:5]
	v_cndmask_b32_e64 v4, v37, v4, s[4:5]
	s_or_b64 s[4:5], s[42:43], exec
; %bb.278:
	s_or_b64 exec, exec, s[76:77]
	s_andn2_b64 s[42:43], s[42:43], exec
	s_and_b64 s[4:5], s[4:5], exec
	s_or_b64 s[42:43], s[42:43], s[4:5]
	s_or_b64 exec, exec, s[34:35]
	s_and_saveexec_b64 s[34:35], s[92:93]
	s_cbranch_execz .LBB743_167
.LBB743_279:
	global_load_ubyte v5, v[2:3], off offset:1152
	s_waitcnt vmcnt(0)
	v_and_b32_e32 v5, 1, v5
	v_cmp_eq_u32_e64 s[4:5], 1, v5
	s_xor_b64 s[78:79], s[4:5], -1
	s_mov_b64 s[4:5], s[42:43]
	s_and_saveexec_b64 s[76:77], s[78:79]
; %bb.280:
	v_cmp_gt_f32_e64 s[4:5], v4, v36
	s_and_b64 s[4:5], s[42:43], s[4:5]
	v_cndmask_b32_e64 v4, v36, v4, s[4:5]
	s_or_b64 s[4:5], s[42:43], exec
; %bb.281:
	s_or_b64 exec, exec, s[76:77]
	s_andn2_b64 s[42:43], s[42:43], exec
	s_and_b64 s[4:5], s[4:5], exec
	s_or_b64 s[42:43], s[42:43], s[4:5]
	s_or_b64 exec, exec, s[34:35]
	s_and_saveexec_b64 s[34:35], s[90:91]
	s_cbranch_execz .LBB743_168
.LBB743_282:
	global_load_ubyte v5, v[2:3], off offset:1184
	s_waitcnt vmcnt(0)
	v_and_b32_e32 v5, 1, v5
	v_cmp_eq_u32_e64 s[4:5], 1, v5
	s_xor_b64 s[78:79], s[4:5], -1
	s_mov_b64 s[4:5], s[42:43]
	s_and_saveexec_b64 s[76:77], s[78:79]
; %bb.283:
	v_cmp_gt_f32_e64 s[4:5], v4, v35
	s_and_b64 s[4:5], s[42:43], s[4:5]
	v_cndmask_b32_e64 v4, v35, v4, s[4:5]
	s_or_b64 s[4:5], s[42:43], exec
; %bb.284:
	s_or_b64 exec, exec, s[76:77]
	s_andn2_b64 s[42:43], s[42:43], exec
	s_and_b64 s[4:5], s[4:5], exec
	s_or_b64 s[42:43], s[42:43], s[4:5]
	s_or_b64 exec, exec, s[34:35]
	s_and_saveexec_b64 s[34:35], s[88:89]
	s_cbranch_execz .LBB743_169
.LBB743_285:
	global_load_ubyte v5, v[2:3], off offset:1216
	s_waitcnt vmcnt(0)
	v_and_b32_e32 v5, 1, v5
	v_cmp_eq_u32_e64 s[4:5], 1, v5
	s_xor_b64 s[78:79], s[4:5], -1
	s_mov_b64 s[4:5], s[42:43]
	s_and_saveexec_b64 s[76:77], s[78:79]
; %bb.286:
	v_cmp_gt_f32_e64 s[4:5], v4, v34
	s_and_b64 s[4:5], s[42:43], s[4:5]
	v_cndmask_b32_e64 v4, v34, v4, s[4:5]
	s_or_b64 s[4:5], s[42:43], exec
; %bb.287:
	s_or_b64 exec, exec, s[76:77]
	s_andn2_b64 s[42:43], s[42:43], exec
	s_and_b64 s[4:5], s[4:5], exec
	s_or_b64 s[42:43], s[42:43], s[4:5]
	s_or_b64 exec, exec, s[34:35]
	s_and_saveexec_b64 s[34:35], s[86:87]
	s_cbranch_execz .LBB743_170
.LBB743_288:
	global_load_ubyte v5, v[2:3], off offset:1248
	s_waitcnt vmcnt(0)
	v_and_b32_e32 v5, 1, v5
	v_cmp_eq_u32_e64 s[4:5], 1, v5
	s_xor_b64 s[78:79], s[4:5], -1
	s_mov_b64 s[4:5], s[42:43]
	s_and_saveexec_b64 s[76:77], s[78:79]
; %bb.289:
	v_cmp_gt_f32_e64 s[4:5], v4, v33
	s_and_b64 s[4:5], s[42:43], s[4:5]
	v_cndmask_b32_e64 v4, v33, v4, s[4:5]
	s_or_b64 s[4:5], s[42:43], exec
; %bb.290:
	s_or_b64 exec, exec, s[76:77]
	s_andn2_b64 s[42:43], s[42:43], exec
	s_and_b64 s[4:5], s[4:5], exec
	s_or_b64 s[42:43], s[42:43], s[4:5]
	s_or_b64 exec, exec, s[34:35]
	s_and_saveexec_b64 s[34:35], s[84:85]
	s_cbranch_execz .LBB743_171
.LBB743_291:
	global_load_ubyte v5, v[2:3], off offset:1280
	s_waitcnt vmcnt(0)
	v_and_b32_e32 v5, 1, v5
	v_cmp_eq_u32_e64 s[4:5], 1, v5
	s_xor_b64 s[78:79], s[4:5], -1
	s_mov_b64 s[4:5], s[42:43]
	s_and_saveexec_b64 s[76:77], s[78:79]
; %bb.292:
	v_cmp_gt_f32_e64 s[4:5], v4, v32
	s_and_b64 s[4:5], s[42:43], s[4:5]
	v_cndmask_b32_e64 v4, v32, v4, s[4:5]
	s_or_b64 s[4:5], s[42:43], exec
; %bb.293:
	s_or_b64 exec, exec, s[76:77]
	s_andn2_b64 s[42:43], s[42:43], exec
	s_and_b64 s[4:5], s[4:5], exec
	s_or_b64 s[42:43], s[42:43], s[4:5]
	s_or_b64 exec, exec, s[34:35]
	s_and_saveexec_b64 s[34:35], s[82:83]
	s_cbranch_execz .LBB743_172
.LBB743_294:
	global_load_ubyte v5, v[2:3], off offset:1312
	s_waitcnt vmcnt(0)
	v_and_b32_e32 v5, 1, v5
	v_cmp_eq_u32_e64 s[4:5], 1, v5
	s_xor_b64 s[78:79], s[4:5], -1
	s_mov_b64 s[4:5], s[42:43]
	s_and_saveexec_b64 s[76:77], s[78:79]
; %bb.295:
	v_cmp_gt_f32_e64 s[4:5], v4, v31
	s_and_b64 s[4:5], s[42:43], s[4:5]
	v_cndmask_b32_e64 v4, v31, v4, s[4:5]
	s_or_b64 s[4:5], s[42:43], exec
; %bb.296:
	s_or_b64 exec, exec, s[76:77]
	s_andn2_b64 s[42:43], s[42:43], exec
	s_and_b64 s[4:5], s[4:5], exec
	s_or_b64 s[42:43], s[42:43], s[4:5]
	s_or_b64 exec, exec, s[34:35]
	s_and_saveexec_b64 s[34:35], s[80:81]
	s_cbranch_execz .LBB743_300
.LBB743_297:
	global_load_ubyte v5, v[2:3], off offset:1344
	s_waitcnt vmcnt(0)
	v_and_b32_e32 v5, 1, v5
	v_cmp_eq_u32_e64 s[4:5], 1, v5
	s_xor_b64 s[78:79], s[4:5], -1
	s_mov_b64 s[4:5], s[42:43]
	s_and_saveexec_b64 s[76:77], s[78:79]
; %bb.298:
	v_cmp_gt_f32_e64 s[4:5], v4, v30
	s_and_b64 s[4:5], s[42:43], s[4:5]
	v_cndmask_b32_e64 v4, v30, v4, s[4:5]
	s_or_b64 s[4:5], s[42:43], exec
; %bb.299:
	s_or_b64 exec, exec, s[76:77]
	s_andn2_b64 s[42:43], s[42:43], exec
	s_and_b64 s[4:5], s[4:5], exec
	s_or_b64 s[42:43], s[42:43], s[4:5]
.LBB743_300:
	s_or_b64 exec, exec, s[34:35]
	s_mov_b64 s[34:35], exec
	v_readlane_b32 s4, v82, 28
	v_readlane_b32 s5, v82, 29
	s_and_b64 s[4:5], s[34:35], s[4:5]
	s_mov_b64 exec, s[4:5]
	s_cbranch_execz .LBB743_304
; %bb.301:
	global_load_ubyte v5, v[2:3], off offset:1376
	s_waitcnt vmcnt(0)
	v_and_b32_e32 v5, 1, v5
	v_cmp_eq_u32_e64 s[4:5], 1, v5
	s_xor_b64 s[78:79], s[4:5], -1
	s_mov_b64 s[4:5], s[42:43]
	s_and_saveexec_b64 s[76:77], s[78:79]
; %bb.302:
	v_cmp_gt_f32_e64 s[4:5], v4, v29
	s_and_b64 s[4:5], s[42:43], s[4:5]
	v_cndmask_b32_e64 v4, v29, v4, s[4:5]
	s_or_b64 s[4:5], s[42:43], exec
; %bb.303:
	s_or_b64 exec, exec, s[76:77]
	s_andn2_b64 s[42:43], s[42:43], exec
	s_and_b64 s[4:5], s[4:5], exec
	s_or_b64 s[42:43], s[42:43], s[4:5]
.LBB743_304:
	s_or_b64 exec, exec, s[34:35]
	s_mov_b64 s[34:35], exec
	v_readlane_b32 s4, v82, 32
	v_readlane_b32 s5, v82, 33
	s_and_b64 s[4:5], s[34:35], s[4:5]
	s_mov_b64 exec, s[4:5]
	s_cbranch_execz .LBB743_308
; %bb.305:
	global_load_ubyte v5, v[2:3], off offset:1408
	s_waitcnt vmcnt(0)
	v_and_b32_e32 v5, 1, v5
	v_cmp_eq_u32_e64 s[4:5], 1, v5
	s_xor_b64 s[78:79], s[4:5], -1
	s_mov_b64 s[4:5], s[42:43]
	s_and_saveexec_b64 s[76:77], s[78:79]
; %bb.306:
	v_cmp_gt_f32_e64 s[4:5], v4, v28
	s_and_b64 s[4:5], s[42:43], s[4:5]
	v_cndmask_b32_e64 v4, v28, v4, s[4:5]
	s_or_b64 s[4:5], s[42:43], exec
; %bb.307:
	s_or_b64 exec, exec, s[76:77]
	s_andn2_b64 s[42:43], s[42:43], exec
	s_and_b64 s[4:5], s[4:5], exec
	s_or_b64 s[42:43], s[42:43], s[4:5]
.LBB743_308:
	;; [unrolled: 26-line block ×21, first 2 shown]
	s_or_b64 exec, exec, s[34:35]
	v_mov_b32_e32 v5, 0xff800000
	v_cndmask_b32_e64 v4, v5, v4, s[42:43]
	v_mbcnt_lo_u32_b32 v5, -1, 0
	v_mbcnt_hi_u32_b32 v5, -1, v5
	v_and_b32_e32 v6, 0x60, v5
	v_add_u32_e32 v74, 32, v6
	v_xor_b32_e32 v6, 16, v5
	v_cmp_lt_i32_e64 s[4:5], v6, v74
	v_cndmask_b32_e64 v6, v5, v6, s[4:5]
	v_lshlrev_b32_e32 v6, 2, v6
	ds_bpermute_b32 v7, v6, v4
	v_xor_b32_e32 v73, 8, v5
	v_xor_b32_e32 v75, 4, v5
	;; [unrolled: 1-line block ×4, first 2 shown]
	s_waitcnt lgkmcnt(0)
	v_cmp_lt_f32_e64 s[4:5], v4, v7
	v_cndmask_b32_e64 v4, v4, v7, s[4:5]
	v_cmp_lt_i32_e64 s[4:5], v73, v74
	v_cndmask_b32_e64 v7, v5, v73, s[4:5]
	v_lshlrev_b32_e32 v7, 2, v7
	ds_bpermute_b32 v73, v7, v4
	s_waitcnt lgkmcnt(0)
	v_cmp_lt_f32_e64 s[4:5], v4, v73
	v_cndmask_b32_e64 v4, v4, v73, s[4:5]
	v_cmp_lt_i32_e64 s[4:5], v75, v74
	v_cndmask_b32_e64 v73, v5, v75, s[4:5]
	v_lshlrev_b32_e32 v73, 2, v73
	ds_bpermute_b32 v75, v73, v4
	;; [unrolled: 7-line block ×4, first 2 shown]
	v_mov_b32_e32 v4, 0
	v_mov_b32_e32 v74, 0
	s_waitcnt lgkmcnt(0)
	v_cmp_lt_f32_e64 s[4:5], v78, v5
	v_cndmask_b32_e64 v77, v78, v5, s[4:5]
	s_and_saveexec_b64 s[42:43], s[74:75]
	s_cbranch_execz .LBB743_388
; %bb.385:
	global_load_ubyte v5, v[2:3], off
	v_mov_b32_e32 v74, 0
	s_waitcnt vmcnt(0)
	v_and_b32_e32 v5, 1, v5
	v_cmp_eq_u32_e64 s[4:5], 1, v5
	s_xor_b64 s[4:5], s[4:5], -1
	s_and_saveexec_b64 s[34:35], s[4:5]
	s_cbranch_execz .LBB743_387
; %bb.386:
	v_sub_f32_e32 v5, v72, v77
	s_mov_b32 s4, 0x3fb8aa3b
	v_mul_f32_e32 v72, 0x3fb8aa3b, v5
	v_fma_f32 v74, v5, s4, -v72
	v_rndne_f32_e32 v78, v72
	v_fmac_f32_e32 v74, 0x32a5705f, v5
	v_sub_f32_e32 v72, v72, v78
	v_add_f32_e32 v72, v72, v74
	v_exp_f32_e32 v72, v72
	v_cvt_i32_f32_e32 v74, v78
	s_mov_b32 s4, 0xc2ce8ed0
	v_cmp_ngt_f32_e64 s[4:5], s4, v5
	v_ldexp_f32 v72, v72, v74
	v_cndmask_b32_e64 v72, 0, v72, s[4:5]
	s_mov_b32 s4, 0x42b17218
	v_mov_b32_e32 v74, 0x7f800000
	v_cmp_nlt_f32_e64 s[4:5], s4, v5
	v_cndmask_b32_e64 v74, v74, v72, s[4:5]
.LBB743_387:
	s_or_b64 exec, exec, s[34:35]
.LBB743_388:
	s_or_b64 exec, exec, s[42:43]
	v_mov_b32_e32 v72, v74
	s_and_saveexec_b64 s[42:43], s[72:73]
	s_cbranch_execz .LBB743_392
; %bb.389:
	global_load_ubyte v5, v[2:3], off offset:32
	v_mov_b32_e32 v4, 0
	v_mov_b32_e32 v72, v74
	s_waitcnt vmcnt(0)
	v_and_b32_e32 v5, 1, v5
	v_cmp_eq_u32_e64 s[4:5], 1, v5
	s_xor_b64 s[4:5], s[4:5], -1
	s_and_saveexec_b64 s[34:35], s[4:5]
	s_cbranch_execz .LBB743_391
; %bb.390:
	v_sub_f32_e32 v4, v71, v77
	s_mov_b32 s4, 0x3fb8aa3b
	v_mul_f32_e32 v5, 0x3fb8aa3b, v4
	v_fma_f32 v71, v4, s4, -v5
	v_rndne_f32_e32 v72, v5
	v_fmac_f32_e32 v71, 0x32a5705f, v4
	v_sub_f32_e32 v5, v5, v72
	v_add_f32_e32 v5, v5, v71
	v_exp_f32_e32 v5, v5
	v_cvt_i32_f32_e32 v71, v72
	s_mov_b32 s4, 0xc2ce8ed0
	v_cmp_ngt_f32_e64 s[4:5], s4, v4
	v_ldexp_f32 v5, v5, v71
	v_cndmask_b32_e64 v5, 0, v5, s[4:5]
	s_mov_b32 s4, 0x42b17218
	v_mov_b32_e32 v71, 0x7f800000
	v_cmp_nlt_f32_e64 s[4:5], s4, v4
	v_cndmask_b32_e64 v4, v71, v5, s[4:5]
	v_add_f32_e32 v72, v74, v4
.LBB743_391:
	s_or_b64 exec, exec, s[34:35]
.LBB743_392:
	s_or_b64 exec, exec, s[42:43]
	v_mov_b32_e32 v5, 0
	v_mov_b32_e32 v71, 0
	s_and_saveexec_b64 s[42:43], s[70:71]
	s_cbranch_execz .LBB743_396
; %bb.393:
	global_load_ubyte v71, v[2:3], off offset:64
	s_waitcnt vmcnt(0)
	v_and_b32_e32 v71, 1, v71
	v_cmp_eq_u32_e64 s[4:5], 1, v71
	s_xor_b64 s[4:5], s[4:5], -1
	v_mov_b32_e32 v71, 0
	s_and_saveexec_b64 s[34:35], s[4:5]
	s_cbranch_execz .LBB743_395
; %bb.394:
	v_sub_f32_e32 v70, v70, v77
	s_mov_b32 s4, 0x3fb8aa3b
	v_mul_f32_e32 v71, 0x3fb8aa3b, v70
	v_fma_f32 v78, v70, s4, -v71
	v_rndne_f32_e32 v79, v71
	v_fmac_f32_e32 v78, 0x32a5705f, v70
	v_sub_f32_e32 v71, v71, v79
	v_add_f32_e32 v71, v71, v78
	v_exp_f32_e32 v71, v71
	v_cvt_i32_f32_e32 v78, v79
	s_mov_b32 s4, 0xc2ce8ed0
	v_cmp_ngt_f32_e64 s[4:5], s4, v70
	v_ldexp_f32 v71, v71, v78
	v_cndmask_b32_e64 v71, 0, v71, s[4:5]
	s_mov_b32 s4, 0x42b17218
	v_mov_b32_e32 v78, 0x7f800000
	v_cmp_nlt_f32_e64 s[4:5], s4, v70
	v_cndmask_b32_e64 v71, v78, v71, s[4:5]
	v_add_f32_e32 v72, v72, v71
.LBB743_395:
	s_or_b64 exec, exec, s[34:35]
.LBB743_396:
	s_or_b64 exec, exec, s[42:43]
	s_and_saveexec_b64 s[42:43], s[68:69]
	s_cbranch_execz .LBB743_400
; %bb.397:
	global_load_ubyte v5, v[2:3], off offset:96
	s_waitcnt vmcnt(0)
	v_and_b32_e32 v5, 1, v5
	v_cmp_eq_u32_e64 s[4:5], 1, v5
	s_xor_b64 s[4:5], s[4:5], -1
	v_mov_b32_e32 v5, 0
	s_and_saveexec_b64 s[34:35], s[4:5]
	s_cbranch_execz .LBB743_399
; %bb.398:
	v_sub_f32_e32 v5, v69, v77
	s_mov_b32 s4, 0x3fb8aa3b
	v_mul_f32_e32 v69, 0x3fb8aa3b, v5
	v_fma_f32 v70, v5, s4, -v69
	v_rndne_f32_e32 v78, v69
	v_fmac_f32_e32 v70, 0x32a5705f, v5
	v_sub_f32_e32 v69, v69, v78
	v_add_f32_e32 v69, v69, v70
	v_exp_f32_e32 v69, v69
	v_cvt_i32_f32_e32 v70, v78
	s_mov_b32 s4, 0xc2ce8ed0
	v_cmp_ngt_f32_e64 s[4:5], s4, v5
	v_ldexp_f32 v69, v69, v70
	v_cndmask_b32_e64 v69, 0, v69, s[4:5]
	s_mov_b32 s4, 0x42b17218
	v_mov_b32_e32 v70, 0x7f800000
	v_cmp_nlt_f32_e64 s[4:5], s4, v5
	v_cndmask_b32_e64 v5, v70, v69, s[4:5]
	v_add_f32_e32 v72, v72, v5
.LBB743_399:
	s_or_b64 exec, exec, s[34:35]
.LBB743_400:
	s_or_b64 exec, exec, s[42:43]
	v_mov_b32_e32 v69, 0
	v_mov_b32_e32 v70, 0
	s_and_saveexec_b64 s[42:43], s[66:67]
	s_cbranch_execz .LBB743_404
; %bb.401:
	global_load_ubyte v70, v[2:3], off offset:128
	s_waitcnt vmcnt(0)
	v_and_b32_e32 v70, 1, v70
	v_cmp_eq_u32_e64 s[4:5], 1, v70
	s_xor_b64 s[4:5], s[4:5], -1
	v_mov_b32_e32 v70, 0
	s_and_saveexec_b64 s[34:35], s[4:5]
	s_cbranch_execz .LBB743_403
; %bb.402:
	v_sub_f32_e32 v68, v68, v77
	s_mov_b32 s4, 0x3fb8aa3b
	v_mul_f32_e32 v70, 0x3fb8aa3b, v68
	v_fma_f32 v78, v68, s4, -v70
	v_rndne_f32_e32 v79, v70
	v_fmac_f32_e32 v78, 0x32a5705f, v68
	v_sub_f32_e32 v70, v70, v79
	v_add_f32_e32 v70, v70, v78
	v_exp_f32_e32 v70, v70
	v_cvt_i32_f32_e32 v78, v79
	s_mov_b32 s4, 0xc2ce8ed0
	v_cmp_ngt_f32_e64 s[4:5], s4, v68
	v_ldexp_f32 v70, v70, v78
	v_cndmask_b32_e64 v70, 0, v70, s[4:5]
	s_mov_b32 s4, 0x42b17218
	v_mov_b32_e32 v78, 0x7f800000
	v_cmp_nlt_f32_e64 s[4:5], s4, v68
	v_cndmask_b32_e64 v70, v78, v70, s[4:5]
	v_add_f32_e32 v72, v72, v70
.LBB743_403:
	s_or_b64 exec, exec, s[34:35]
.LBB743_404:
	s_or_b64 exec, exec, s[42:43]
	s_and_saveexec_b64 s[42:43], s[64:65]
	s_cbranch_execz .LBB743_408
; %bb.405:
	global_load_ubyte v68, v[2:3], off offset:160
	v_mov_b32_e32 v69, 0
	s_waitcnt vmcnt(0)
	v_and_b32_e32 v68, 1, v68
	v_cmp_eq_u32_e64 s[4:5], 1, v68
	s_xor_b64 s[4:5], s[4:5], -1
	s_and_saveexec_b64 s[34:35], s[4:5]
	s_cbranch_execz .LBB743_407
; %bb.406:
	v_sub_f32_e32 v67, v67, v77
	s_mov_b32 s4, 0x3fb8aa3b
	v_mul_f32_e32 v68, 0x3fb8aa3b, v67
	v_fma_f32 v69, v67, s4, -v68
	v_rndne_f32_e32 v78, v68
	v_fmac_f32_e32 v69, 0x32a5705f, v67
	v_sub_f32_e32 v68, v68, v78
	v_add_f32_e32 v68, v68, v69
	v_exp_f32_e32 v68, v68
	v_cvt_i32_f32_e32 v69, v78
	s_mov_b32 s4, 0xc2ce8ed0
	v_cmp_ngt_f32_e64 s[4:5], s4, v67
	v_ldexp_f32 v68, v68, v69
	v_cndmask_b32_e64 v68, 0, v68, s[4:5]
	s_mov_b32 s4, 0x42b17218
	v_mov_b32_e32 v69, 0x7f800000
	v_cmp_nlt_f32_e64 s[4:5], s4, v67
	v_cndmask_b32_e64 v69, v69, v68, s[4:5]
	v_add_f32_e32 v72, v72, v69
.LBB743_407:
	s_or_b64 exec, exec, s[34:35]
.LBB743_408:
	s_or_b64 exec, exec, s[42:43]
	v_mov_b32_e32 v67, 0
	v_mov_b32_e32 v68, 0
	s_and_saveexec_b64 s[42:43], s[62:63]
	s_cbranch_execz .LBB743_412
; %bb.409:
	global_load_ubyte v68, v[2:3], off offset:192
	s_waitcnt vmcnt(0)
	v_and_b32_e32 v68, 1, v68
	v_cmp_eq_u32_e64 s[4:5], 1, v68
	s_xor_b64 s[4:5], s[4:5], -1
	v_mov_b32_e32 v68, 0
	s_and_saveexec_b64 s[34:35], s[4:5]
	s_cbranch_execz .LBB743_411
; %bb.410:
	v_sub_f32_e32 v66, v66, v77
	s_mov_b32 s4, 0x3fb8aa3b
	v_mul_f32_e32 v68, 0x3fb8aa3b, v66
	v_fma_f32 v78, v66, s4, -v68
	v_rndne_f32_e32 v79, v68
	v_fmac_f32_e32 v78, 0x32a5705f, v66
	v_sub_f32_e32 v68, v68, v79
	v_add_f32_e32 v68, v68, v78
	v_exp_f32_e32 v68, v68
	v_cvt_i32_f32_e32 v78, v79
	s_mov_b32 s4, 0xc2ce8ed0
	v_cmp_ngt_f32_e64 s[4:5], s4, v66
	v_ldexp_f32 v68, v68, v78
	v_cndmask_b32_e64 v68, 0, v68, s[4:5]
	s_mov_b32 s4, 0x42b17218
	v_mov_b32_e32 v78, 0x7f800000
	v_cmp_nlt_f32_e64 s[4:5], s4, v66
	v_cndmask_b32_e64 v68, v78, v68, s[4:5]
	v_add_f32_e32 v72, v72, v68
.LBB743_411:
	s_or_b64 exec, exec, s[34:35]
.LBB743_412:
	s_or_b64 exec, exec, s[42:43]
	s_and_saveexec_b64 s[42:43], s[60:61]
	s_cbranch_execz .LBB743_416
; %bb.413:
	global_load_ubyte v66, v[2:3], off offset:224
	v_mov_b32_e32 v67, 0
	s_waitcnt vmcnt(0)
	v_and_b32_e32 v66, 1, v66
	v_cmp_eq_u32_e64 s[4:5], 1, v66
	s_xor_b64 s[4:5], s[4:5], -1
	s_and_saveexec_b64 s[34:35], s[4:5]
	s_cbranch_execz .LBB743_415
; %bb.414:
	v_sub_f32_e32 v65, v65, v77
	s_mov_b32 s4, 0x3fb8aa3b
	v_mul_f32_e32 v66, 0x3fb8aa3b, v65
	v_fma_f32 v67, v65, s4, -v66
	v_rndne_f32_e32 v78, v66
	v_fmac_f32_e32 v67, 0x32a5705f, v65
	v_sub_f32_e32 v66, v66, v78
	v_add_f32_e32 v66, v66, v67
	v_exp_f32_e32 v66, v66
	v_cvt_i32_f32_e32 v67, v78
	s_mov_b32 s4, 0xc2ce8ed0
	v_cmp_ngt_f32_e64 s[4:5], s4, v65
	v_ldexp_f32 v66, v66, v67
	v_cndmask_b32_e64 v66, 0, v66, s[4:5]
	s_mov_b32 s4, 0x42b17218
	v_mov_b32_e32 v67, 0x7f800000
	v_cmp_nlt_f32_e64 s[4:5], s4, v65
	v_cndmask_b32_e64 v67, v67, v66, s[4:5]
	v_add_f32_e32 v72, v72, v67
.LBB743_415:
	s_or_b64 exec, exec, s[34:35]
.LBB743_416:
	s_or_b64 exec, exec, s[42:43]
	v_mov_b32_e32 v65, 0
	v_mov_b32_e32 v66, 0
	s_and_saveexec_b64 s[42:43], s[58:59]
	s_cbranch_execz .LBB743_420
; %bb.417:
	global_load_ubyte v66, v[2:3], off offset:256
	s_waitcnt vmcnt(0)
	v_and_b32_e32 v66, 1, v66
	v_cmp_eq_u32_e64 s[4:5], 1, v66
	s_xor_b64 s[4:5], s[4:5], -1
	v_mov_b32_e32 v66, 0
	s_and_saveexec_b64 s[34:35], s[4:5]
	s_cbranch_execz .LBB743_419
; %bb.418:
	v_sub_f32_e32 v64, v64, v77
	s_mov_b32 s4, 0x3fb8aa3b
	v_mul_f32_e32 v66, 0x3fb8aa3b, v64
	v_fma_f32 v78, v64, s4, -v66
	v_rndne_f32_e32 v79, v66
	v_fmac_f32_e32 v78, 0x32a5705f, v64
	v_sub_f32_e32 v66, v66, v79
	v_add_f32_e32 v66, v66, v78
	v_exp_f32_e32 v66, v66
	v_cvt_i32_f32_e32 v78, v79
	s_mov_b32 s4, 0xc2ce8ed0
	v_cmp_ngt_f32_e64 s[4:5], s4, v64
	v_ldexp_f32 v66, v66, v78
	v_cndmask_b32_e64 v66, 0, v66, s[4:5]
	s_mov_b32 s4, 0x42b17218
	v_mov_b32_e32 v78, 0x7f800000
	v_cmp_nlt_f32_e64 s[4:5], s4, v64
	v_cndmask_b32_e64 v66, v78, v66, s[4:5]
	v_add_f32_e32 v72, v72, v66
.LBB743_419:
	s_or_b64 exec, exec, s[34:35]
.LBB743_420:
	s_or_b64 exec, exec, s[42:43]
	s_and_saveexec_b64 s[42:43], s[56:57]
	s_cbranch_execz .LBB743_424
; %bb.421:
	global_load_ubyte v64, v[2:3], off offset:288
	v_mov_b32_e32 v65, 0
	s_waitcnt vmcnt(0)
	v_and_b32_e32 v64, 1, v64
	v_cmp_eq_u32_e64 s[4:5], 1, v64
	s_xor_b64 s[4:5], s[4:5], -1
	s_and_saveexec_b64 s[34:35], s[4:5]
	s_cbranch_execz .LBB743_423
; %bb.422:
	v_sub_f32_e32 v63, v63, v77
	s_mov_b32 s4, 0x3fb8aa3b
	v_mul_f32_e32 v64, 0x3fb8aa3b, v63
	v_fma_f32 v65, v63, s4, -v64
	v_rndne_f32_e32 v78, v64
	v_fmac_f32_e32 v65, 0x32a5705f, v63
	v_sub_f32_e32 v64, v64, v78
	v_add_f32_e32 v64, v64, v65
	v_exp_f32_e32 v64, v64
	v_cvt_i32_f32_e32 v65, v78
	s_mov_b32 s4, 0xc2ce8ed0
	v_cmp_ngt_f32_e64 s[4:5], s4, v63
	v_ldexp_f32 v64, v64, v65
	v_cndmask_b32_e64 v64, 0, v64, s[4:5]
	s_mov_b32 s4, 0x42b17218
	v_mov_b32_e32 v65, 0x7f800000
	v_cmp_nlt_f32_e64 s[4:5], s4, v63
	v_cndmask_b32_e64 v65, v65, v64, s[4:5]
	v_add_f32_e32 v72, v72, v65
.LBB743_423:
	s_or_b64 exec, exec, s[34:35]
.LBB743_424:
	s_or_b64 exec, exec, s[42:43]
	v_mov_b32_e32 v63, 0
	v_mov_b32_e32 v64, 0
	s_and_saveexec_b64 s[42:43], s[54:55]
	s_cbranch_execz .LBB743_428
; %bb.425:
	global_load_ubyte v64, v[2:3], off offset:320
	s_waitcnt vmcnt(0)
	v_and_b32_e32 v64, 1, v64
	v_cmp_eq_u32_e64 s[4:5], 1, v64
	s_xor_b64 s[4:5], s[4:5], -1
	v_mov_b32_e32 v64, 0
	s_and_saveexec_b64 s[34:35], s[4:5]
	s_cbranch_execz .LBB743_427
; %bb.426:
	v_sub_f32_e32 v62, v62, v77
	s_mov_b32 s4, 0x3fb8aa3b
	v_mul_f32_e32 v64, 0x3fb8aa3b, v62
	v_fma_f32 v78, v62, s4, -v64
	v_rndne_f32_e32 v79, v64
	v_fmac_f32_e32 v78, 0x32a5705f, v62
	v_sub_f32_e32 v64, v64, v79
	v_add_f32_e32 v64, v64, v78
	v_exp_f32_e32 v64, v64
	v_cvt_i32_f32_e32 v78, v79
	s_mov_b32 s4, 0xc2ce8ed0
	v_cmp_ngt_f32_e64 s[4:5], s4, v62
	v_ldexp_f32 v64, v64, v78
	v_cndmask_b32_e64 v64, 0, v64, s[4:5]
	s_mov_b32 s4, 0x42b17218
	v_mov_b32_e32 v78, 0x7f800000
	v_cmp_nlt_f32_e64 s[4:5], s4, v62
	v_cndmask_b32_e64 v64, v78, v64, s[4:5]
	v_add_f32_e32 v72, v72, v64
.LBB743_427:
	s_or_b64 exec, exec, s[34:35]
.LBB743_428:
	s_or_b64 exec, exec, s[42:43]
	s_and_saveexec_b64 s[42:43], s[52:53]
	s_cbranch_execz .LBB743_432
; %bb.429:
	global_load_ubyte v62, v[2:3], off offset:352
	v_mov_b32_e32 v63, 0
	s_waitcnt vmcnt(0)
	v_and_b32_e32 v62, 1, v62
	v_cmp_eq_u32_e64 s[4:5], 1, v62
	s_xor_b64 s[4:5], s[4:5], -1
	s_and_saveexec_b64 s[34:35], s[4:5]
	s_cbranch_execz .LBB743_431
; %bb.430:
	v_sub_f32_e32 v61, v61, v77
	s_mov_b32 s4, 0x3fb8aa3b
	v_mul_f32_e32 v62, 0x3fb8aa3b, v61
	v_fma_f32 v63, v61, s4, -v62
	v_rndne_f32_e32 v78, v62
	v_fmac_f32_e32 v63, 0x32a5705f, v61
	v_sub_f32_e32 v62, v62, v78
	v_add_f32_e32 v62, v62, v63
	v_exp_f32_e32 v62, v62
	v_cvt_i32_f32_e32 v63, v78
	s_mov_b32 s4, 0xc2ce8ed0
	v_cmp_ngt_f32_e64 s[4:5], s4, v61
	v_ldexp_f32 v62, v62, v63
	v_cndmask_b32_e64 v62, 0, v62, s[4:5]
	s_mov_b32 s4, 0x42b17218
	v_mov_b32_e32 v63, 0x7f800000
	v_cmp_nlt_f32_e64 s[4:5], s4, v61
	v_cndmask_b32_e64 v63, v63, v62, s[4:5]
	v_add_f32_e32 v72, v72, v63
.LBB743_431:
	s_or_b64 exec, exec, s[34:35]
.LBB743_432:
	s_or_b64 exec, exec, s[42:43]
	v_mov_b32_e32 v61, 0
	v_mov_b32_e32 v62, 0
	s_and_saveexec_b64 s[42:43], s[50:51]
	s_cbranch_execz .LBB743_436
; %bb.433:
	global_load_ubyte v62, v[2:3], off offset:384
	s_waitcnt vmcnt(0)
	v_and_b32_e32 v62, 1, v62
	v_cmp_eq_u32_e64 s[4:5], 1, v62
	s_xor_b64 s[4:5], s[4:5], -1
	v_mov_b32_e32 v62, 0
	s_and_saveexec_b64 s[34:35], s[4:5]
	s_cbranch_execz .LBB743_435
; %bb.434:
	v_sub_f32_e32 v60, v60, v77
	s_mov_b32 s4, 0x3fb8aa3b
	v_mul_f32_e32 v62, 0x3fb8aa3b, v60
	v_fma_f32 v78, v60, s4, -v62
	v_rndne_f32_e32 v79, v62
	v_fmac_f32_e32 v78, 0x32a5705f, v60
	v_sub_f32_e32 v62, v62, v79
	v_add_f32_e32 v62, v62, v78
	v_exp_f32_e32 v62, v62
	v_cvt_i32_f32_e32 v78, v79
	s_mov_b32 s4, 0xc2ce8ed0
	v_cmp_ngt_f32_e64 s[4:5], s4, v60
	v_ldexp_f32 v62, v62, v78
	v_cndmask_b32_e64 v62, 0, v62, s[4:5]
	s_mov_b32 s4, 0x42b17218
	v_mov_b32_e32 v78, 0x7f800000
	v_cmp_nlt_f32_e64 s[4:5], s4, v60
	v_cndmask_b32_e64 v62, v78, v62, s[4:5]
	v_add_f32_e32 v72, v72, v62
.LBB743_435:
	s_or_b64 exec, exec, s[34:35]
.LBB743_436:
	s_or_b64 exec, exec, s[42:43]
	s_and_saveexec_b64 s[42:43], s[48:49]
	s_cbranch_execz .LBB743_440
; %bb.437:
	global_load_ubyte v60, v[2:3], off offset:416
	v_mov_b32_e32 v61, 0
	s_waitcnt vmcnt(0)
	v_and_b32_e32 v60, 1, v60
	v_cmp_eq_u32_e64 s[4:5], 1, v60
	s_xor_b64 s[4:5], s[4:5], -1
	s_and_saveexec_b64 s[34:35], s[4:5]
	s_cbranch_execz .LBB743_439
; %bb.438:
	v_sub_f32_e32 v59, v59, v77
	s_mov_b32 s4, 0x3fb8aa3b
	v_mul_f32_e32 v60, 0x3fb8aa3b, v59
	v_fma_f32 v61, v59, s4, -v60
	v_rndne_f32_e32 v78, v60
	v_fmac_f32_e32 v61, 0x32a5705f, v59
	v_sub_f32_e32 v60, v60, v78
	v_add_f32_e32 v60, v60, v61
	v_exp_f32_e32 v60, v60
	v_cvt_i32_f32_e32 v61, v78
	s_mov_b32 s4, 0xc2ce8ed0
	v_cmp_ngt_f32_e64 s[4:5], s4, v59
	v_ldexp_f32 v60, v60, v61
	v_cndmask_b32_e64 v60, 0, v60, s[4:5]
	s_mov_b32 s4, 0x42b17218
	v_mov_b32_e32 v61, 0x7f800000
	v_cmp_nlt_f32_e64 s[4:5], s4, v59
	v_cndmask_b32_e64 v61, v61, v60, s[4:5]
	v_add_f32_e32 v72, v72, v61
.LBB743_439:
	s_or_b64 exec, exec, s[34:35]
.LBB743_440:
	s_or_b64 exec, exec, s[42:43]
	v_mov_b32_e32 v59, 0
	v_mov_b32_e32 v60, 0
	s_and_saveexec_b64 s[42:43], s[46:47]
	s_cbranch_execz .LBB743_444
; %bb.441:
	global_load_ubyte v60, v[2:3], off offset:448
	s_waitcnt vmcnt(0)
	v_and_b32_e32 v60, 1, v60
	v_cmp_eq_u32_e64 s[4:5], 1, v60
	s_xor_b64 s[4:5], s[4:5], -1
	v_mov_b32_e32 v60, 0
	s_and_saveexec_b64 s[34:35], s[4:5]
	s_cbranch_execz .LBB743_443
; %bb.442:
	v_sub_f32_e32 v58, v58, v77
	s_mov_b32 s4, 0x3fb8aa3b
	v_mul_f32_e32 v60, 0x3fb8aa3b, v58
	v_fma_f32 v78, v58, s4, -v60
	v_rndne_f32_e32 v79, v60
	v_fmac_f32_e32 v78, 0x32a5705f, v58
	v_sub_f32_e32 v60, v60, v79
	v_add_f32_e32 v60, v60, v78
	v_exp_f32_e32 v60, v60
	v_cvt_i32_f32_e32 v78, v79
	s_mov_b32 s4, 0xc2ce8ed0
	v_cmp_ngt_f32_e64 s[4:5], s4, v58
	v_ldexp_f32 v60, v60, v78
	v_cndmask_b32_e64 v60, 0, v60, s[4:5]
	s_mov_b32 s4, 0x42b17218
	v_mov_b32_e32 v78, 0x7f800000
	v_cmp_nlt_f32_e64 s[4:5], s4, v58
	v_cndmask_b32_e64 v60, v78, v60, s[4:5]
	v_add_f32_e32 v72, v72, v60
.LBB743_443:
	s_or_b64 exec, exec, s[34:35]
.LBB743_444:
	s_or_b64 exec, exec, s[42:43]
	s_and_saveexec_b64 s[42:43], s[44:45]
	s_cbranch_execz .LBB743_448
; %bb.445:
	global_load_ubyte v58, v[2:3], off offset:480
	v_mov_b32_e32 v59, 0
	s_waitcnt vmcnt(0)
	v_and_b32_e32 v58, 1, v58
	v_cmp_eq_u32_e64 s[4:5], 1, v58
	s_xor_b64 s[4:5], s[4:5], -1
	s_and_saveexec_b64 s[34:35], s[4:5]
	s_cbranch_execz .LBB743_447
; %bb.446:
	v_sub_f32_e32 v57, v57, v77
	s_mov_b32 s4, 0x3fb8aa3b
	v_mul_f32_e32 v58, 0x3fb8aa3b, v57
	v_fma_f32 v59, v57, s4, -v58
	v_rndne_f32_e32 v78, v58
	v_fmac_f32_e32 v59, 0x32a5705f, v57
	v_sub_f32_e32 v58, v58, v78
	v_add_f32_e32 v58, v58, v59
	v_exp_f32_e32 v58, v58
	v_cvt_i32_f32_e32 v59, v78
	s_mov_b32 s4, 0xc2ce8ed0
	v_cmp_ngt_f32_e64 s[4:5], s4, v57
	v_ldexp_f32 v58, v58, v59
	v_cndmask_b32_e64 v58, 0, v58, s[4:5]
	s_mov_b32 s4, 0x42b17218
	v_mov_b32_e32 v59, 0x7f800000
	v_cmp_nlt_f32_e64 s[4:5], s4, v57
	v_cndmask_b32_e64 v59, v59, v58, s[4:5]
	v_add_f32_e32 v72, v72, v59
.LBB743_447:
	s_or_b64 exec, exec, s[34:35]
.LBB743_448:
	s_or_b64 exec, exec, s[42:43]
	v_mov_b32_e32 v57, 0
	v_mov_b32_e32 v58, 0
	s_and_saveexec_b64 s[42:43], s[38:39]
	s_cbranch_execz .LBB743_452
; %bb.449:
	global_load_ubyte v58, v[2:3], off offset:512
	s_waitcnt vmcnt(0)
	v_and_b32_e32 v58, 1, v58
	v_cmp_eq_u32_e64 s[4:5], 1, v58
	s_xor_b64 s[4:5], s[4:5], -1
	v_mov_b32_e32 v58, 0
	s_and_saveexec_b64 s[34:35], s[4:5]
	s_cbranch_execz .LBB743_451
; %bb.450:
	v_sub_f32_e32 v56, v56, v77
	s_mov_b32 s4, 0x3fb8aa3b
	v_mul_f32_e32 v58, 0x3fb8aa3b, v56
	v_fma_f32 v78, v56, s4, -v58
	v_rndne_f32_e32 v79, v58
	v_fmac_f32_e32 v78, 0x32a5705f, v56
	v_sub_f32_e32 v58, v58, v79
	v_add_f32_e32 v58, v58, v78
	v_exp_f32_e32 v58, v58
	v_cvt_i32_f32_e32 v78, v79
	s_mov_b32 s4, 0xc2ce8ed0
	v_cmp_ngt_f32_e64 s[4:5], s4, v56
	v_ldexp_f32 v58, v58, v78
	v_cndmask_b32_e64 v58, 0, v58, s[4:5]
	s_mov_b32 s4, 0x42b17218
	v_mov_b32_e32 v78, 0x7f800000
	v_cmp_nlt_f32_e64 s[4:5], s4, v56
	v_cndmask_b32_e64 v58, v78, v58, s[4:5]
	v_add_f32_e32 v72, v72, v58
.LBB743_451:
	s_or_b64 exec, exec, s[34:35]
.LBB743_452:
	s_or_b64 exec, exec, s[42:43]
	s_and_saveexec_b64 s[38:39], vcc
	s_cbranch_execz .LBB743_456
; %bb.453:
	global_load_ubyte v56, v[2:3], off offset:544
	v_mov_b32_e32 v57, 0
	s_waitcnt vmcnt(0)
	v_and_b32_e32 v56, 1, v56
	v_cmp_eq_u32_e64 s[4:5], 1, v56
	s_xor_b64 s[4:5], s[4:5], -1
	s_and_saveexec_b64 s[34:35], s[4:5]
	s_cbranch_execz .LBB743_455
; %bb.454:
	v_sub_f32_e32 v55, v55, v77
	s_mov_b32 s4, 0x3fb8aa3b
	v_mul_f32_e32 v56, 0x3fb8aa3b, v55
	v_fma_f32 v57, v55, s4, -v56
	v_rndne_f32_e32 v78, v56
	v_fmac_f32_e32 v57, 0x32a5705f, v55
	v_sub_f32_e32 v56, v56, v78
	v_add_f32_e32 v56, v56, v57
	v_exp_f32_e32 v56, v56
	v_cvt_i32_f32_e32 v57, v78
	s_mov_b32 s4, 0xc2ce8ed0
	v_cmp_ngt_f32_e64 s[4:5], s4, v55
	v_ldexp_f32 v56, v56, v57
	v_cndmask_b32_e64 v56, 0, v56, s[4:5]
	s_mov_b32 s4, 0x42b17218
	v_mov_b32_e32 v57, 0x7f800000
	v_cmp_nlt_f32_e64 s[4:5], s4, v55
	v_cndmask_b32_e64 v57, v57, v56, s[4:5]
	v_add_f32_e32 v72, v72, v57
.LBB743_455:
	s_or_b64 exec, exec, s[34:35]
.LBB743_456:
	s_or_b64 exec, exec, s[38:39]
	v_mov_b32_e32 v55, 0
	v_mov_b32_e32 v56, 0
	s_and_saveexec_b64 s[38:39], s[40:41]
	s_cbranch_execz .LBB743_460
; %bb.457:
	global_load_ubyte v56, v[2:3], off offset:576
	s_waitcnt vmcnt(0)
	v_and_b32_e32 v56, 1, v56
	v_cmp_eq_u32_e64 s[4:5], 1, v56
	s_xor_b64 s[4:5], s[4:5], -1
	v_mov_b32_e32 v56, 0
	s_and_saveexec_b64 s[34:35], s[4:5]
	s_cbranch_execz .LBB743_459
; %bb.458:
	v_sub_f32_e32 v54, v54, v77
	s_mov_b32 s4, 0x3fb8aa3b
	v_mul_f32_e32 v56, 0x3fb8aa3b, v54
	v_fma_f32 v78, v54, s4, -v56
	v_rndne_f32_e32 v79, v56
	v_fmac_f32_e32 v78, 0x32a5705f, v54
	v_sub_f32_e32 v56, v56, v79
	v_add_f32_e32 v56, v56, v78
	v_exp_f32_e32 v56, v56
	v_cvt_i32_f32_e32 v78, v79
	s_mov_b32 s4, 0xc2ce8ed0
	v_cmp_ngt_f32_e64 s[4:5], s4, v54
	v_ldexp_f32 v56, v56, v78
	v_cndmask_b32_e64 v56, 0, v56, s[4:5]
	s_mov_b32 s4, 0x42b17218
	v_mov_b32_e32 v78, 0x7f800000
	v_cmp_nlt_f32_e64 s[4:5], s4, v54
	v_cndmask_b32_e64 v56, v78, v56, s[4:5]
	v_add_f32_e32 v72, v72, v56
.LBB743_459:
	s_or_b64 exec, exec, s[34:35]
.LBB743_460:
	s_or_b64 exec, exec, s[38:39]
	s_and_saveexec_b64 s[38:39], s[30:31]
	s_cbranch_execz .LBB743_464
; %bb.461:
	global_load_ubyte v54, v[2:3], off offset:608
	v_mov_b32_e32 v55, 0
	s_waitcnt vmcnt(0)
	v_and_b32_e32 v54, 1, v54
	v_cmp_eq_u32_e64 s[4:5], 1, v54
	s_xor_b64 s[4:5], s[4:5], -1
	s_and_saveexec_b64 s[30:31], s[4:5]
	s_cbranch_execz .LBB743_463
; %bb.462:
	v_sub_f32_e32 v53, v53, v77
	s_mov_b32 s4, 0x3fb8aa3b
	v_mul_f32_e32 v54, 0x3fb8aa3b, v53
	v_fma_f32 v55, v53, s4, -v54
	v_rndne_f32_e32 v78, v54
	v_fmac_f32_e32 v55, 0x32a5705f, v53
	v_sub_f32_e32 v54, v54, v78
	v_add_f32_e32 v54, v54, v55
	v_exp_f32_e32 v54, v54
	v_cvt_i32_f32_e32 v55, v78
	s_mov_b32 s4, 0xc2ce8ed0
	v_cmp_ngt_f32_e64 s[4:5], s4, v53
	v_ldexp_f32 v54, v54, v55
	v_cndmask_b32_e64 v54, 0, v54, s[4:5]
	s_mov_b32 s4, 0x42b17218
	v_mov_b32_e32 v55, 0x7f800000
	v_cmp_nlt_f32_e64 s[4:5], s4, v53
	v_cndmask_b32_e64 v55, v55, v54, s[4:5]
	v_add_f32_e32 v72, v72, v55
.LBB743_463:
	s_or_b64 exec, exec, s[30:31]
.LBB743_464:
	s_or_b64 exec, exec, s[38:39]
	v_mov_b32_e32 v53, 0
	v_mov_b32_e32 v54, 0
	s_and_saveexec_b64 s[30:31], s[28:29]
	s_cbranch_execz .LBB743_468
; %bb.465:
	global_load_ubyte v54, v[2:3], off offset:640
	s_waitcnt vmcnt(0)
	v_and_b32_e32 v54, 1, v54
	v_cmp_eq_u32_e64 s[4:5], 1, v54
	s_xor_b64 s[4:5], s[4:5], -1
	v_mov_b32_e32 v54, 0
	s_and_saveexec_b64 s[28:29], s[4:5]
	s_cbranch_execz .LBB743_467
; %bb.466:
	v_sub_f32_e32 v52, v52, v77
	s_mov_b32 s4, 0x3fb8aa3b
	v_mul_f32_e32 v54, 0x3fb8aa3b, v52
	v_fma_f32 v78, v52, s4, -v54
	v_rndne_f32_e32 v79, v54
	v_fmac_f32_e32 v78, 0x32a5705f, v52
	v_sub_f32_e32 v54, v54, v79
	v_add_f32_e32 v54, v54, v78
	v_exp_f32_e32 v54, v54
	v_cvt_i32_f32_e32 v78, v79
	s_mov_b32 s4, 0xc2ce8ed0
	v_cmp_ngt_f32_e64 s[4:5], s4, v52
	v_ldexp_f32 v54, v54, v78
	v_cndmask_b32_e64 v54, 0, v54, s[4:5]
	s_mov_b32 s4, 0x42b17218
	v_mov_b32_e32 v78, 0x7f800000
	v_cmp_nlt_f32_e64 s[4:5], s4, v52
	v_cndmask_b32_e64 v54, v78, v54, s[4:5]
	v_add_f32_e32 v72, v72, v54
.LBB743_467:
	s_or_b64 exec, exec, s[28:29]
.LBB743_468:
	s_or_b64 exec, exec, s[30:31]
	s_and_saveexec_b64 s[28:29], s[26:27]
	s_cbranch_execz .LBB743_472
; %bb.469:
	global_load_ubyte v52, v[2:3], off offset:672
	v_mov_b32_e32 v53, 0
	s_waitcnt vmcnt(0)
	v_and_b32_e32 v52, 1, v52
	v_cmp_eq_u32_e64 s[4:5], 1, v52
	s_xor_b64 s[4:5], s[4:5], -1
	s_and_saveexec_b64 s[26:27], s[4:5]
	s_cbranch_execz .LBB743_471
; %bb.470:
	v_sub_f32_e32 v51, v51, v77
	s_mov_b32 s4, 0x3fb8aa3b
	v_mul_f32_e32 v52, 0x3fb8aa3b, v51
	v_fma_f32 v53, v51, s4, -v52
	v_rndne_f32_e32 v78, v52
	v_fmac_f32_e32 v53, 0x32a5705f, v51
	v_sub_f32_e32 v52, v52, v78
	v_add_f32_e32 v52, v52, v53
	v_exp_f32_e32 v52, v52
	v_cvt_i32_f32_e32 v53, v78
	s_mov_b32 s4, 0xc2ce8ed0
	v_cmp_ngt_f32_e64 s[4:5], s4, v51
	v_ldexp_f32 v52, v52, v53
	v_cndmask_b32_e64 v52, 0, v52, s[4:5]
	s_mov_b32 s4, 0x42b17218
	v_mov_b32_e32 v53, 0x7f800000
	v_cmp_nlt_f32_e64 s[4:5], s4, v51
	v_cndmask_b32_e64 v53, v53, v52, s[4:5]
	v_add_f32_e32 v72, v72, v53
.LBB743_471:
	s_or_b64 exec, exec, s[26:27]
.LBB743_472:
	s_or_b64 exec, exec, s[28:29]
	v_mov_b32_e32 v51, 0
	v_mov_b32_e32 v52, 0
	s_and_saveexec_b64 s[26:27], s[24:25]
	s_cbranch_execz .LBB743_476
; %bb.473:
	global_load_ubyte v52, v[2:3], off offset:704
	s_waitcnt vmcnt(0)
	v_and_b32_e32 v52, 1, v52
	v_cmp_eq_u32_e64 s[4:5], 1, v52
	s_xor_b64 s[4:5], s[4:5], -1
	v_mov_b32_e32 v52, 0
	s_and_saveexec_b64 s[24:25], s[4:5]
	s_cbranch_execz .LBB743_475
; %bb.474:
	v_sub_f32_e32 v50, v50, v77
	s_mov_b32 s4, 0x3fb8aa3b
	v_mul_f32_e32 v52, 0x3fb8aa3b, v50
	v_fma_f32 v78, v50, s4, -v52
	v_rndne_f32_e32 v79, v52
	v_fmac_f32_e32 v78, 0x32a5705f, v50
	v_sub_f32_e32 v52, v52, v79
	v_add_f32_e32 v52, v52, v78
	v_exp_f32_e32 v52, v52
	v_cvt_i32_f32_e32 v78, v79
	s_mov_b32 s4, 0xc2ce8ed0
	v_cmp_ngt_f32_e64 s[4:5], s4, v50
	v_ldexp_f32 v52, v52, v78
	v_cndmask_b32_e64 v52, 0, v52, s[4:5]
	s_mov_b32 s4, 0x42b17218
	v_mov_b32_e32 v78, 0x7f800000
	v_cmp_nlt_f32_e64 s[4:5], s4, v50
	v_cndmask_b32_e64 v52, v78, v52, s[4:5]
	v_add_f32_e32 v72, v72, v52
.LBB743_475:
	s_or_b64 exec, exec, s[24:25]
.LBB743_476:
	s_or_b64 exec, exec, s[26:27]
	s_and_saveexec_b64 s[24:25], s[22:23]
	s_cbranch_execz .LBB743_480
; %bb.477:
	global_load_ubyte v50, v[2:3], off offset:736
	v_mov_b32_e32 v51, 0
	s_waitcnt vmcnt(0)
	v_and_b32_e32 v50, 1, v50
	v_cmp_eq_u32_e64 s[4:5], 1, v50
	s_xor_b64 s[4:5], s[4:5], -1
	s_and_saveexec_b64 s[22:23], s[4:5]
	s_cbranch_execz .LBB743_479
; %bb.478:
	v_sub_f32_e32 v49, v49, v77
	s_mov_b32 s4, 0x3fb8aa3b
	v_mul_f32_e32 v50, 0x3fb8aa3b, v49
	v_fma_f32 v51, v49, s4, -v50
	v_rndne_f32_e32 v78, v50
	v_fmac_f32_e32 v51, 0x32a5705f, v49
	v_sub_f32_e32 v50, v50, v78
	v_add_f32_e32 v50, v50, v51
	v_exp_f32_e32 v50, v50
	v_cvt_i32_f32_e32 v51, v78
	s_mov_b32 s4, 0xc2ce8ed0
	v_cmp_ngt_f32_e64 s[4:5], s4, v49
	v_ldexp_f32 v50, v50, v51
	v_cndmask_b32_e64 v50, 0, v50, s[4:5]
	s_mov_b32 s4, 0x42b17218
	v_mov_b32_e32 v51, 0x7f800000
	v_cmp_nlt_f32_e64 s[4:5], s4, v49
	v_cndmask_b32_e64 v51, v51, v50, s[4:5]
	v_add_f32_e32 v72, v72, v51
.LBB743_479:
	s_or_b64 exec, exec, s[22:23]
.LBB743_480:
	s_or_b64 exec, exec, s[24:25]
	v_mov_b32_e32 v49, 0
	v_mov_b32_e32 v50, 0
	s_and_saveexec_b64 s[22:23], s[20:21]
	s_cbranch_execz .LBB743_484
; %bb.481:
	global_load_ubyte v50, v[2:3], off offset:768
	s_waitcnt vmcnt(0)
	v_and_b32_e32 v50, 1, v50
	v_cmp_eq_u32_e64 s[4:5], 1, v50
	s_xor_b64 s[4:5], s[4:5], -1
	v_mov_b32_e32 v50, 0
	s_and_saveexec_b64 s[20:21], s[4:5]
	s_cbranch_execz .LBB743_483
; %bb.482:
	v_sub_f32_e32 v48, v48, v77
	s_mov_b32 s4, 0x3fb8aa3b
	v_mul_f32_e32 v50, 0x3fb8aa3b, v48
	v_fma_f32 v78, v48, s4, -v50
	v_rndne_f32_e32 v79, v50
	v_fmac_f32_e32 v78, 0x32a5705f, v48
	v_sub_f32_e32 v50, v50, v79
	v_add_f32_e32 v50, v50, v78
	v_exp_f32_e32 v50, v50
	v_cvt_i32_f32_e32 v78, v79
	s_mov_b32 s4, 0xc2ce8ed0
	v_cmp_ngt_f32_e64 s[4:5], s4, v48
	v_ldexp_f32 v50, v50, v78
	v_cndmask_b32_e64 v50, 0, v50, s[4:5]
	s_mov_b32 s4, 0x42b17218
	v_mov_b32_e32 v78, 0x7f800000
	v_cmp_nlt_f32_e64 s[4:5], s4, v48
	v_cndmask_b32_e64 v50, v78, v50, s[4:5]
	v_add_f32_e32 v72, v72, v50
.LBB743_483:
	s_or_b64 exec, exec, s[20:21]
.LBB743_484:
	s_or_b64 exec, exec, s[22:23]
	s_and_saveexec_b64 s[20:21], s[18:19]
	s_cbranch_execz .LBB743_488
; %bb.485:
	global_load_ubyte v48, v[2:3], off offset:800
	v_mov_b32_e32 v49, 0
	s_waitcnt vmcnt(0)
	v_and_b32_e32 v48, 1, v48
	v_cmp_eq_u32_e64 s[4:5], 1, v48
	s_xor_b64 s[4:5], s[4:5], -1
	s_and_saveexec_b64 s[18:19], s[4:5]
	s_cbranch_execz .LBB743_487
; %bb.486:
	v_sub_f32_e32 v47, v47, v77
	s_mov_b32 s4, 0x3fb8aa3b
	v_mul_f32_e32 v48, 0x3fb8aa3b, v47
	v_fma_f32 v49, v47, s4, -v48
	v_rndne_f32_e32 v78, v48
	v_fmac_f32_e32 v49, 0x32a5705f, v47
	v_sub_f32_e32 v48, v48, v78
	v_add_f32_e32 v48, v48, v49
	v_exp_f32_e32 v48, v48
	v_cvt_i32_f32_e32 v49, v78
	s_mov_b32 s4, 0xc2ce8ed0
	v_cmp_ngt_f32_e64 s[4:5], s4, v47
	v_ldexp_f32 v48, v48, v49
	v_cndmask_b32_e64 v48, 0, v48, s[4:5]
	s_mov_b32 s4, 0x42b17218
	v_mov_b32_e32 v49, 0x7f800000
	v_cmp_nlt_f32_e64 s[4:5], s4, v47
	v_cndmask_b32_e64 v49, v49, v48, s[4:5]
	v_add_f32_e32 v72, v72, v49
.LBB743_487:
	s_or_b64 exec, exec, s[18:19]
.LBB743_488:
	s_or_b64 exec, exec, s[20:21]
	v_mov_b32_e32 v47, 0
	v_mov_b32_e32 v48, 0
	s_and_saveexec_b64 s[18:19], s[16:17]
	s_cbranch_execz .LBB743_492
; %bb.489:
	global_load_ubyte v48, v[2:3], off offset:832
	s_waitcnt vmcnt(0)
	v_and_b32_e32 v48, 1, v48
	v_cmp_eq_u32_e64 s[4:5], 1, v48
	s_xor_b64 s[4:5], s[4:5], -1
	v_mov_b32_e32 v48, 0
	s_and_saveexec_b64 s[16:17], s[4:5]
	s_cbranch_execz .LBB743_491
; %bb.490:
	v_sub_f32_e32 v46, v46, v77
	s_mov_b32 s4, 0x3fb8aa3b
	v_mul_f32_e32 v48, 0x3fb8aa3b, v46
	v_fma_f32 v78, v46, s4, -v48
	v_rndne_f32_e32 v79, v48
	v_fmac_f32_e32 v78, 0x32a5705f, v46
	v_sub_f32_e32 v48, v48, v79
	v_add_f32_e32 v48, v48, v78
	v_exp_f32_e32 v48, v48
	v_cvt_i32_f32_e32 v78, v79
	s_mov_b32 s4, 0xc2ce8ed0
	v_cmp_ngt_f32_e64 s[4:5], s4, v46
	v_ldexp_f32 v48, v48, v78
	v_cndmask_b32_e64 v48, 0, v48, s[4:5]
	s_mov_b32 s4, 0x42b17218
	v_mov_b32_e32 v78, 0x7f800000
	v_cmp_nlt_f32_e64 s[4:5], s4, v46
	v_cndmask_b32_e64 v48, v78, v48, s[4:5]
	v_add_f32_e32 v72, v72, v48
.LBB743_491:
	s_or_b64 exec, exec, s[16:17]
.LBB743_492:
	s_or_b64 exec, exec, s[18:19]
	s_and_saveexec_b64 s[16:17], s[14:15]
	s_cbranch_execz .LBB743_496
; %bb.493:
	global_load_ubyte v46, v[2:3], off offset:864
	v_mov_b32_e32 v47, 0
	s_waitcnt vmcnt(0)
	v_and_b32_e32 v46, 1, v46
	v_cmp_eq_u32_e64 s[4:5], 1, v46
	s_xor_b64 s[4:5], s[4:5], -1
	s_and_saveexec_b64 s[14:15], s[4:5]
	s_cbranch_execz .LBB743_495
; %bb.494:
	v_sub_f32_e32 v45, v45, v77
	s_mov_b32 s4, 0x3fb8aa3b
	v_mul_f32_e32 v46, 0x3fb8aa3b, v45
	v_fma_f32 v47, v45, s4, -v46
	v_rndne_f32_e32 v78, v46
	v_fmac_f32_e32 v47, 0x32a5705f, v45
	v_sub_f32_e32 v46, v46, v78
	v_add_f32_e32 v46, v46, v47
	v_exp_f32_e32 v46, v46
	v_cvt_i32_f32_e32 v47, v78
	s_mov_b32 s4, 0xc2ce8ed0
	v_cmp_ngt_f32_e64 s[4:5], s4, v45
	v_ldexp_f32 v46, v46, v47
	v_cndmask_b32_e64 v46, 0, v46, s[4:5]
	s_mov_b32 s4, 0x42b17218
	v_mov_b32_e32 v47, 0x7f800000
	v_cmp_nlt_f32_e64 s[4:5], s4, v45
	v_cndmask_b32_e64 v47, v47, v46, s[4:5]
	v_add_f32_e32 v72, v72, v47
.LBB743_495:
	s_or_b64 exec, exec, s[14:15]
.LBB743_496:
	s_or_b64 exec, exec, s[16:17]
	v_mov_b32_e32 v45, 0
	v_mov_b32_e32 v46, 0
	s_and_saveexec_b64 s[14:15], s[12:13]
	s_cbranch_execz .LBB743_500
; %bb.497:
	global_load_ubyte v46, v[2:3], off offset:896
	s_waitcnt vmcnt(0)
	v_and_b32_e32 v46, 1, v46
	v_cmp_eq_u32_e64 s[4:5], 1, v46
	s_xor_b64 s[4:5], s[4:5], -1
	v_mov_b32_e32 v46, 0
	s_and_saveexec_b64 s[12:13], s[4:5]
	s_cbranch_execz .LBB743_499
; %bb.498:
	v_sub_f32_e32 v44, v44, v77
	s_mov_b32 s4, 0x3fb8aa3b
	v_mul_f32_e32 v46, 0x3fb8aa3b, v44
	v_fma_f32 v78, v44, s4, -v46
	v_rndne_f32_e32 v79, v46
	v_fmac_f32_e32 v78, 0x32a5705f, v44
	v_sub_f32_e32 v46, v46, v79
	v_add_f32_e32 v46, v46, v78
	v_exp_f32_e32 v46, v46
	v_cvt_i32_f32_e32 v78, v79
	s_mov_b32 s4, 0xc2ce8ed0
	v_cmp_ngt_f32_e64 s[4:5], s4, v44
	v_ldexp_f32 v46, v46, v78
	v_cndmask_b32_e64 v46, 0, v46, s[4:5]
	s_mov_b32 s4, 0x42b17218
	v_mov_b32_e32 v78, 0x7f800000
	v_cmp_nlt_f32_e64 s[4:5], s4, v44
	v_cndmask_b32_e64 v46, v78, v46, s[4:5]
	v_add_f32_e32 v72, v72, v46
.LBB743_499:
	s_or_b64 exec, exec, s[12:13]
.LBB743_500:
	s_or_b64 exec, exec, s[14:15]
	s_and_saveexec_b64 s[12:13], s[10:11]
	s_cbranch_execz .LBB743_504
; %bb.501:
	global_load_ubyte v44, v[2:3], off offset:928
	v_mov_b32_e32 v45, 0
	s_waitcnt vmcnt(0)
	v_and_b32_e32 v44, 1, v44
	v_cmp_eq_u32_e64 s[4:5], 1, v44
	s_xor_b64 s[4:5], s[4:5], -1
	s_and_saveexec_b64 s[10:11], s[4:5]
	s_cbranch_execz .LBB743_503
; %bb.502:
	v_sub_f32_e32 v43, v43, v77
	s_mov_b32 s4, 0x3fb8aa3b
	v_mul_f32_e32 v44, 0x3fb8aa3b, v43
	v_fma_f32 v45, v43, s4, -v44
	v_rndne_f32_e32 v78, v44
	v_fmac_f32_e32 v45, 0x32a5705f, v43
	v_sub_f32_e32 v44, v44, v78
	v_add_f32_e32 v44, v44, v45
	v_exp_f32_e32 v44, v44
	v_cvt_i32_f32_e32 v45, v78
	s_mov_b32 s4, 0xc2ce8ed0
	v_cmp_ngt_f32_e64 s[4:5], s4, v43
	v_ldexp_f32 v44, v44, v45
	v_cndmask_b32_e64 v44, 0, v44, s[4:5]
	s_mov_b32 s4, 0x42b17218
	v_mov_b32_e32 v45, 0x7f800000
	v_cmp_nlt_f32_e64 s[4:5], s4, v43
	v_cndmask_b32_e64 v45, v45, v44, s[4:5]
	v_add_f32_e32 v72, v72, v45
.LBB743_503:
	s_or_b64 exec, exec, s[10:11]
.LBB743_504:
	s_or_b64 exec, exec, s[12:13]
	v_mov_b32_e32 v43, 0
	v_mov_b32_e32 v44, 0
	s_and_saveexec_b64 s[10:11], s[8:9]
	s_cbranch_execz .LBB743_508
; %bb.505:
	global_load_ubyte v44, v[2:3], off offset:960
	s_waitcnt vmcnt(0)
	v_and_b32_e32 v44, 1, v44
	v_cmp_eq_u32_e64 s[4:5], 1, v44
	s_xor_b64 s[4:5], s[4:5], -1
	v_mov_b32_e32 v44, 0
	s_and_saveexec_b64 s[8:9], s[4:5]
	s_cbranch_execz .LBB743_507
; %bb.506:
	v_sub_f32_e32 v42, v42, v77
	s_mov_b32 s4, 0x3fb8aa3b
	v_mul_f32_e32 v44, 0x3fb8aa3b, v42
	v_fma_f32 v78, v42, s4, -v44
	v_rndne_f32_e32 v79, v44
	v_fmac_f32_e32 v78, 0x32a5705f, v42
	v_sub_f32_e32 v44, v44, v79
	v_add_f32_e32 v44, v44, v78
	v_exp_f32_e32 v44, v44
	v_cvt_i32_f32_e32 v78, v79
	s_mov_b32 s4, 0xc2ce8ed0
	v_cmp_ngt_f32_e64 s[4:5], s4, v42
	v_ldexp_f32 v44, v44, v78
	v_cndmask_b32_e64 v44, 0, v44, s[4:5]
	s_mov_b32 s4, 0x42b17218
	v_mov_b32_e32 v78, 0x7f800000
	v_cmp_nlt_f32_e64 s[4:5], s4, v42
	v_cndmask_b32_e64 v44, v78, v44, s[4:5]
	v_add_f32_e32 v72, v72, v44
.LBB743_507:
	s_or_b64 exec, exec, s[8:9]
.LBB743_508:
	s_or_b64 exec, exec, s[10:11]
	s_and_saveexec_b64 s[8:9], s[6:7]
	s_cbranch_execz .LBB743_512
; %bb.509:
	global_load_ubyte v42, v[2:3], off offset:992
	v_mov_b32_e32 v43, 0
	s_waitcnt vmcnt(0)
	v_and_b32_e32 v42, 1, v42
	v_cmp_eq_u32_e64 s[4:5], 1, v42
	s_xor_b64 s[4:5], s[4:5], -1
	s_and_saveexec_b64 s[6:7], s[4:5]
	s_cbranch_execz .LBB743_511
; %bb.510:
	v_sub_f32_e32 v41, v41, v77
	s_mov_b32 s4, 0x3fb8aa3b
	v_mul_f32_e32 v42, 0x3fb8aa3b, v41
	v_fma_f32 v43, v41, s4, -v42
	v_rndne_f32_e32 v78, v42
	v_fmac_f32_e32 v43, 0x32a5705f, v41
	v_sub_f32_e32 v42, v42, v78
	v_add_f32_e32 v42, v42, v43
	v_exp_f32_e32 v42, v42
	v_cvt_i32_f32_e32 v43, v78
	s_mov_b32 s4, 0xc2ce8ed0
	v_cmp_ngt_f32_e64 s[4:5], s4, v41
	v_ldexp_f32 v42, v42, v43
	v_cndmask_b32_e64 v42, 0, v42, s[4:5]
	s_mov_b32 s4, 0x42b17218
	v_mov_b32_e32 v43, 0x7f800000
	v_cmp_nlt_f32_e64 s[4:5], s4, v41
	v_cndmask_b32_e64 v43, v43, v42, s[4:5]
	v_add_f32_e32 v72, v72, v43
.LBB743_511:
	s_or_b64 exec, exec, s[6:7]
.LBB743_512:
	s_or_b64 exec, exec, s[8:9]
	v_mov_b32_e32 v41, 0
	v_mov_b32_e32 v42, 0
	s_and_saveexec_b64 s[6:7], s[36:37]
	s_cbranch_execz .LBB743_516
; %bb.513:
	global_load_ubyte v42, v[2:3], off offset:1024
	s_waitcnt vmcnt(0)
	v_and_b32_e32 v42, 1, v42
	v_cmp_eq_u32_e64 s[4:5], 1, v42
	s_xor_b64 s[4:5], s[4:5], -1
	v_mov_b32_e32 v42, 0
	s_and_saveexec_b64 s[8:9], s[4:5]
	s_cbranch_execz .LBB743_515
; %bb.514:
	v_sub_f32_e32 v40, v40, v77
	s_mov_b32 s4, 0x3fb8aa3b
	v_mul_f32_e32 v42, 0x3fb8aa3b, v40
	v_fma_f32 v78, v40, s4, -v42
	v_rndne_f32_e32 v79, v42
	v_fmac_f32_e32 v78, 0x32a5705f, v40
	v_sub_f32_e32 v42, v42, v79
	v_add_f32_e32 v42, v42, v78
	v_exp_f32_e32 v42, v42
	v_cvt_i32_f32_e32 v78, v79
	s_mov_b32 s4, 0xc2ce8ed0
	v_cmp_ngt_f32_e64 s[4:5], s4, v40
	v_ldexp_f32 v42, v42, v78
	v_cndmask_b32_e64 v42, 0, v42, s[4:5]
	s_mov_b32 s4, 0x42b17218
	v_mov_b32_e32 v78, 0x7f800000
	v_cmp_nlt_f32_e64 s[4:5], s4, v40
	v_cndmask_b32_e64 v42, v78, v42, s[4:5]
	v_add_f32_e32 v72, v72, v42
.LBB743_515:
	s_or_b64 exec, exec, s[8:9]
.LBB743_516:
	s_or_b64 exec, exec, s[6:7]
	s_and_saveexec_b64 s[6:7], s[2:3]
	s_cbranch_execz .LBB743_520
; %bb.517:
	global_load_ubyte v40, v[2:3], off offset:1056
	v_mov_b32_e32 v41, 0
	s_waitcnt vmcnt(0)
	v_and_b32_e32 v40, 1, v40
	v_cmp_eq_u32_e64 s[4:5], 1, v40
	s_xor_b64 s[4:5], s[4:5], -1
	s_and_saveexec_b64 s[2:3], s[4:5]
	s_cbranch_execz .LBB743_519
; %bb.518:
	v_sub_f32_e32 v39, v39, v77
	s_mov_b32 s4, 0x3fb8aa3b
	v_mul_f32_e32 v40, 0x3fb8aa3b, v39
	v_fma_f32 v41, v39, s4, -v40
	v_rndne_f32_e32 v78, v40
	v_fmac_f32_e32 v41, 0x32a5705f, v39
	v_sub_f32_e32 v40, v40, v78
	v_add_f32_e32 v40, v40, v41
	v_exp_f32_e32 v40, v40
	v_cvt_i32_f32_e32 v41, v78
	s_mov_b32 s4, 0xc2ce8ed0
	v_cmp_ngt_f32_e64 s[4:5], s4, v39
	v_ldexp_f32 v40, v40, v41
	v_cndmask_b32_e64 v40, 0, v40, s[4:5]
	s_mov_b32 s4, 0x42b17218
	v_mov_b32_e32 v41, 0x7f800000
	v_cmp_nlt_f32_e64 s[4:5], s4, v39
	v_cndmask_b32_e64 v41, v41, v40, s[4:5]
	v_add_f32_e32 v72, v72, v41
.LBB743_519:
	s_or_b64 exec, exec, s[2:3]
.LBB743_520:
	s_or_b64 exec, exec, s[6:7]
	v_mov_b32_e32 v39, 0
	v_mov_b32_e32 v40, 0
	s_and_saveexec_b64 s[2:3], s[0:1]
	s_cbranch_execz .LBB743_524
; %bb.521:
	global_load_ubyte v40, v[2:3], off offset:1088
	s_waitcnt vmcnt(0)
	v_and_b32_e32 v40, 1, v40
	v_cmp_eq_u32_e64 s[4:5], 1, v40
	s_xor_b64 s[4:5], s[4:5], -1
	v_mov_b32_e32 v40, 0
	s_and_saveexec_b64 s[0:1], s[4:5]
	s_cbranch_execz .LBB743_523
; %bb.522:
	v_sub_f32_e32 v38, v38, v77
	s_mov_b32 s4, 0x3fb8aa3b
	v_mul_f32_e32 v40, 0x3fb8aa3b, v38
	v_fma_f32 v78, v38, s4, -v40
	v_rndne_f32_e32 v79, v40
	v_fmac_f32_e32 v78, 0x32a5705f, v38
	v_sub_f32_e32 v40, v40, v79
	v_add_f32_e32 v40, v40, v78
	v_exp_f32_e32 v40, v40
	v_cvt_i32_f32_e32 v78, v79
	s_mov_b32 s4, 0xc2ce8ed0
	v_cmp_ngt_f32_e64 s[4:5], s4, v38
	v_ldexp_f32 v40, v40, v78
	v_cndmask_b32_e64 v40, 0, v40, s[4:5]
	s_mov_b32 s4, 0x42b17218
	v_mov_b32_e32 v78, 0x7f800000
	v_cmp_nlt_f32_e64 s[4:5], s4, v38
	v_cndmask_b32_e64 v40, v78, v40, s[4:5]
	v_add_f32_e32 v72, v72, v40
.LBB743_523:
	s_or_b64 exec, exec, s[0:1]
.LBB743_524:
	s_or_b64 exec, exec, s[2:3]
	s_and_saveexec_b64 s[0:1], s[94:95]
	s_cbranch_execz .LBB743_528
; %bb.525:
	global_load_ubyte v38, v[2:3], off offset:1120
	v_mov_b32_e32 v39, 0
	s_waitcnt vmcnt(0)
	v_and_b32_e32 v38, 1, v38
	v_cmp_eq_u32_e64 s[4:5], 1, v38
	s_xor_b64 s[4:5], s[4:5], -1
	s_and_saveexec_b64 s[2:3], s[4:5]
	s_cbranch_execz .LBB743_527
; %bb.526:
	v_sub_f32_e32 v37, v37, v77
	s_mov_b32 s4, 0x3fb8aa3b
	v_mul_f32_e32 v38, 0x3fb8aa3b, v37
	v_fma_f32 v39, v37, s4, -v38
	v_rndne_f32_e32 v78, v38
	v_fmac_f32_e32 v39, 0x32a5705f, v37
	v_sub_f32_e32 v38, v38, v78
	v_add_f32_e32 v38, v38, v39
	v_exp_f32_e32 v38, v38
	v_cvt_i32_f32_e32 v39, v78
	s_mov_b32 s4, 0xc2ce8ed0
	v_cmp_ngt_f32_e64 s[4:5], s4, v37
	v_ldexp_f32 v38, v38, v39
	v_cndmask_b32_e64 v38, 0, v38, s[4:5]
	s_mov_b32 s4, 0x42b17218
	v_mov_b32_e32 v39, 0x7f800000
	v_cmp_nlt_f32_e64 s[4:5], s4, v37
	v_cndmask_b32_e64 v39, v39, v38, s[4:5]
	v_add_f32_e32 v72, v72, v39
.LBB743_527:
	s_or_b64 exec, exec, s[2:3]
.LBB743_528:
	s_or_b64 exec, exec, s[0:1]
	v_mov_b32_e32 v37, 0
	v_mov_b32_e32 v38, 0
	s_and_saveexec_b64 s[0:1], s[92:93]
	s_cbranch_execz .LBB743_532
; %bb.529:
	global_load_ubyte v38, v[2:3], off offset:1152
	s_waitcnt vmcnt(0)
	v_and_b32_e32 v38, 1, v38
	v_cmp_eq_u32_e64 s[4:5], 1, v38
	s_xor_b64 s[4:5], s[4:5], -1
	v_mov_b32_e32 v38, 0
	s_and_saveexec_b64 s[2:3], s[4:5]
	s_cbranch_execz .LBB743_531
; %bb.530:
	v_sub_f32_e32 v36, v36, v77
	s_mov_b32 s4, 0x3fb8aa3b
	v_mul_f32_e32 v38, 0x3fb8aa3b, v36
	v_fma_f32 v78, v36, s4, -v38
	v_rndne_f32_e32 v79, v38
	v_fmac_f32_e32 v78, 0x32a5705f, v36
	v_sub_f32_e32 v38, v38, v79
	v_add_f32_e32 v38, v38, v78
	v_exp_f32_e32 v38, v38
	v_cvt_i32_f32_e32 v78, v79
	s_mov_b32 s4, 0xc2ce8ed0
	v_cmp_ngt_f32_e64 s[4:5], s4, v36
	v_ldexp_f32 v38, v38, v78
	v_cndmask_b32_e64 v38, 0, v38, s[4:5]
	s_mov_b32 s4, 0x42b17218
	v_mov_b32_e32 v78, 0x7f800000
	v_cmp_nlt_f32_e64 s[4:5], s4, v36
	v_cndmask_b32_e64 v38, v78, v38, s[4:5]
	v_add_f32_e32 v72, v72, v38
.LBB743_531:
	s_or_b64 exec, exec, s[2:3]
.LBB743_532:
	s_or_b64 exec, exec, s[0:1]
	s_and_saveexec_b64 s[0:1], s[90:91]
	s_cbranch_execz .LBB743_536
; %bb.533:
	global_load_ubyte v36, v[2:3], off offset:1184
	v_mov_b32_e32 v37, 0
	s_waitcnt vmcnt(0)
	v_and_b32_e32 v36, 1, v36
	v_cmp_eq_u32_e64 s[4:5], 1, v36
	s_xor_b64 s[4:5], s[4:5], -1
	s_and_saveexec_b64 s[2:3], s[4:5]
	s_cbranch_execz .LBB743_535
; %bb.534:
	v_sub_f32_e32 v35, v35, v77
	s_mov_b32 s4, 0x3fb8aa3b
	v_mul_f32_e32 v36, 0x3fb8aa3b, v35
	v_fma_f32 v37, v35, s4, -v36
	v_rndne_f32_e32 v78, v36
	v_fmac_f32_e32 v37, 0x32a5705f, v35
	v_sub_f32_e32 v36, v36, v78
	v_add_f32_e32 v36, v36, v37
	v_exp_f32_e32 v36, v36
	v_cvt_i32_f32_e32 v37, v78
	s_mov_b32 s4, 0xc2ce8ed0
	v_cmp_ngt_f32_e64 s[4:5], s4, v35
	v_ldexp_f32 v36, v36, v37
	v_cndmask_b32_e64 v36, 0, v36, s[4:5]
	s_mov_b32 s4, 0x42b17218
	v_mov_b32_e32 v37, 0x7f800000
	v_cmp_nlt_f32_e64 s[4:5], s4, v35
	v_cndmask_b32_e64 v37, v37, v36, s[4:5]
	v_add_f32_e32 v72, v72, v37
.LBB743_535:
	s_or_b64 exec, exec, s[2:3]
.LBB743_536:
	s_or_b64 exec, exec, s[0:1]
	v_mov_b32_e32 v35, 0
	v_mov_b32_e32 v36, 0
	s_and_saveexec_b64 s[0:1], s[88:89]
	s_cbranch_execz .LBB743_540
; %bb.537:
	global_load_ubyte v36, v[2:3], off offset:1216
	s_waitcnt vmcnt(0)
	v_and_b32_e32 v36, 1, v36
	v_cmp_eq_u32_e64 s[4:5], 1, v36
	s_xor_b64 s[4:5], s[4:5], -1
	v_mov_b32_e32 v36, 0
	s_and_saveexec_b64 s[2:3], s[4:5]
	s_cbranch_execz .LBB743_539
; %bb.538:
	v_sub_f32_e32 v34, v34, v77
	s_mov_b32 s4, 0x3fb8aa3b
	v_mul_f32_e32 v36, 0x3fb8aa3b, v34
	v_fma_f32 v78, v34, s4, -v36
	v_rndne_f32_e32 v79, v36
	v_fmac_f32_e32 v78, 0x32a5705f, v34
	v_sub_f32_e32 v36, v36, v79
	v_add_f32_e32 v36, v36, v78
	v_exp_f32_e32 v36, v36
	v_cvt_i32_f32_e32 v78, v79
	s_mov_b32 s4, 0xc2ce8ed0
	v_cmp_ngt_f32_e64 s[4:5], s4, v34
	v_ldexp_f32 v36, v36, v78
	v_cndmask_b32_e64 v36, 0, v36, s[4:5]
	s_mov_b32 s4, 0x42b17218
	v_mov_b32_e32 v78, 0x7f800000
	v_cmp_nlt_f32_e64 s[4:5], s4, v34
	v_cndmask_b32_e64 v36, v78, v36, s[4:5]
	v_add_f32_e32 v72, v72, v36
.LBB743_539:
	s_or_b64 exec, exec, s[2:3]
.LBB743_540:
	s_or_b64 exec, exec, s[0:1]
	s_and_saveexec_b64 s[0:1], s[86:87]
	s_cbranch_execz .LBB743_544
; %bb.541:
	global_load_ubyte v34, v[2:3], off offset:1248
	v_mov_b32_e32 v35, 0
	s_waitcnt vmcnt(0)
	v_and_b32_e32 v34, 1, v34
	v_cmp_eq_u32_e64 s[4:5], 1, v34
	s_xor_b64 s[4:5], s[4:5], -1
	s_and_saveexec_b64 s[2:3], s[4:5]
	s_cbranch_execz .LBB743_543
; %bb.542:
	v_sub_f32_e32 v33, v33, v77
	s_mov_b32 s4, 0x3fb8aa3b
	v_mul_f32_e32 v34, 0x3fb8aa3b, v33
	v_fma_f32 v35, v33, s4, -v34
	v_rndne_f32_e32 v78, v34
	v_fmac_f32_e32 v35, 0x32a5705f, v33
	v_sub_f32_e32 v34, v34, v78
	v_add_f32_e32 v34, v34, v35
	v_exp_f32_e32 v34, v34
	v_cvt_i32_f32_e32 v35, v78
	s_mov_b32 s4, 0xc2ce8ed0
	v_cmp_ngt_f32_e64 s[4:5], s4, v33
	v_ldexp_f32 v34, v34, v35
	v_cndmask_b32_e64 v34, 0, v34, s[4:5]
	s_mov_b32 s4, 0x42b17218
	v_mov_b32_e32 v35, 0x7f800000
	v_cmp_nlt_f32_e64 s[4:5], s4, v33
	v_cndmask_b32_e64 v35, v35, v34, s[4:5]
	v_add_f32_e32 v72, v72, v35
.LBB743_543:
	s_or_b64 exec, exec, s[2:3]
.LBB743_544:
	s_or_b64 exec, exec, s[0:1]
	v_mov_b32_e32 v33, 0
	v_mov_b32_e32 v34, 0
	s_and_saveexec_b64 s[0:1], s[84:85]
	s_cbranch_execz .LBB743_548
; %bb.545:
	global_load_ubyte v34, v[2:3], off offset:1280
	s_waitcnt vmcnt(0)
	v_and_b32_e32 v34, 1, v34
	v_cmp_eq_u32_e64 s[4:5], 1, v34
	s_xor_b64 s[4:5], s[4:5], -1
	v_mov_b32_e32 v34, 0
	s_and_saveexec_b64 s[2:3], s[4:5]
	s_cbranch_execz .LBB743_547
; %bb.546:
	v_sub_f32_e32 v32, v32, v77
	s_mov_b32 s4, 0x3fb8aa3b
	v_mul_f32_e32 v34, 0x3fb8aa3b, v32
	v_fma_f32 v78, v32, s4, -v34
	v_rndne_f32_e32 v79, v34
	v_fmac_f32_e32 v78, 0x32a5705f, v32
	v_sub_f32_e32 v34, v34, v79
	v_add_f32_e32 v34, v34, v78
	v_exp_f32_e32 v34, v34
	v_cvt_i32_f32_e32 v78, v79
	s_mov_b32 s4, 0xc2ce8ed0
	v_cmp_ngt_f32_e64 s[4:5], s4, v32
	v_ldexp_f32 v34, v34, v78
	v_cndmask_b32_e64 v34, 0, v34, s[4:5]
	s_mov_b32 s4, 0x42b17218
	v_mov_b32_e32 v78, 0x7f800000
	v_cmp_nlt_f32_e64 s[4:5], s4, v32
	v_cndmask_b32_e64 v34, v78, v34, s[4:5]
	v_add_f32_e32 v72, v72, v34
.LBB743_547:
	s_or_b64 exec, exec, s[2:3]
.LBB743_548:
	s_or_b64 exec, exec, s[0:1]
	s_and_saveexec_b64 s[0:1], s[82:83]
	s_cbranch_execz .LBB743_552
; %bb.549:
	global_load_ubyte v32, v[2:3], off offset:1312
	v_mov_b32_e32 v33, 0
	s_waitcnt vmcnt(0)
	v_and_b32_e32 v32, 1, v32
	v_cmp_eq_u32_e64 s[4:5], 1, v32
	s_xor_b64 s[4:5], s[4:5], -1
	s_and_saveexec_b64 s[2:3], s[4:5]
	s_cbranch_execz .LBB743_551
; %bb.550:
	v_sub_f32_e32 v31, v31, v77
	s_mov_b32 s4, 0x3fb8aa3b
	v_mul_f32_e32 v32, 0x3fb8aa3b, v31
	v_fma_f32 v33, v31, s4, -v32
	v_rndne_f32_e32 v78, v32
	v_fmac_f32_e32 v33, 0x32a5705f, v31
	v_sub_f32_e32 v32, v32, v78
	v_add_f32_e32 v32, v32, v33
	v_exp_f32_e32 v32, v32
	v_cvt_i32_f32_e32 v33, v78
	s_mov_b32 s4, 0xc2ce8ed0
	v_cmp_ngt_f32_e64 s[4:5], s4, v31
	v_ldexp_f32 v32, v32, v33
	v_cndmask_b32_e64 v32, 0, v32, s[4:5]
	s_mov_b32 s4, 0x42b17218
	v_mov_b32_e32 v33, 0x7f800000
	v_cmp_nlt_f32_e64 s[4:5], s4, v31
	v_cndmask_b32_e64 v33, v33, v32, s[4:5]
	v_add_f32_e32 v72, v72, v33
.LBB743_551:
	s_or_b64 exec, exec, s[2:3]
.LBB743_552:
	s_or_b64 exec, exec, s[0:1]
	v_mov_b32_e32 v31, 0
	v_mov_b32_e32 v32, 0
	s_and_saveexec_b64 s[0:1], s[80:81]
	s_cbranch_execz .LBB743_556
; %bb.553:
	global_load_ubyte v32, v[2:3], off offset:1344
	s_waitcnt vmcnt(0)
	v_and_b32_e32 v32, 1, v32
	v_cmp_eq_u32_e64 s[4:5], 1, v32
	s_xor_b64 s[4:5], s[4:5], -1
	v_mov_b32_e32 v32, 0
	s_and_saveexec_b64 s[2:3], s[4:5]
	s_cbranch_execz .LBB743_555
; %bb.554:
	v_sub_f32_e32 v30, v30, v77
	s_mov_b32 s4, 0x3fb8aa3b
	v_mul_f32_e32 v32, 0x3fb8aa3b, v30
	v_fma_f32 v78, v30, s4, -v32
	v_rndne_f32_e32 v79, v32
	v_fmac_f32_e32 v78, 0x32a5705f, v30
	v_sub_f32_e32 v32, v32, v79
	v_add_f32_e32 v32, v32, v78
	v_exp_f32_e32 v32, v32
	v_cvt_i32_f32_e32 v78, v79
	s_mov_b32 s4, 0xc2ce8ed0
	v_cmp_ngt_f32_e64 s[4:5], s4, v30
	v_ldexp_f32 v32, v32, v78
	v_cndmask_b32_e64 v32, 0, v32, s[4:5]
	s_mov_b32 s4, 0x42b17218
	v_mov_b32_e32 v78, 0x7f800000
	v_cmp_nlt_f32_e64 s[4:5], s4, v30
	v_cndmask_b32_e64 v32, v78, v32, s[4:5]
	v_add_f32_e32 v72, v72, v32
.LBB743_555:
	s_or_b64 exec, exec, s[2:3]
.LBB743_556:
	s_or_b64 exec, exec, s[0:1]
	s_mov_b64 s[0:1], exec
	v_readlane_b32 s2, v82, 28
	v_readlane_b32 s3, v82, 29
	s_and_b64 s[2:3], s[0:1], s[2:3]
	s_mov_b64 exec, s[2:3]
	s_cbranch_execz .LBB743_560
; %bb.557:
	global_load_ubyte v30, v[2:3], off offset:1376
	v_mov_b32_e32 v31, 0
	s_waitcnt vmcnt(0)
	v_and_b32_e32 v30, 1, v30
	v_cmp_eq_u32_e64 s[4:5], 1, v30
	s_xor_b64 s[4:5], s[4:5], -1
	s_and_saveexec_b64 s[2:3], s[4:5]
	s_cbranch_execz .LBB743_559
; %bb.558:
	v_sub_f32_e32 v29, v29, v77
	s_mov_b32 s4, 0x3fb8aa3b
	v_mul_f32_e32 v30, 0x3fb8aa3b, v29
	v_fma_f32 v31, v29, s4, -v30
	v_rndne_f32_e32 v78, v30
	v_fmac_f32_e32 v31, 0x32a5705f, v29
	v_sub_f32_e32 v30, v30, v78
	v_add_f32_e32 v30, v30, v31
	v_exp_f32_e32 v30, v30
	v_cvt_i32_f32_e32 v31, v78
	s_mov_b32 s4, 0xc2ce8ed0
	v_cmp_ngt_f32_e64 s[4:5], s4, v29
	v_ldexp_f32 v30, v30, v31
	v_cndmask_b32_e64 v30, 0, v30, s[4:5]
	s_mov_b32 s4, 0x42b17218
	v_mov_b32_e32 v31, 0x7f800000
	v_cmp_nlt_f32_e64 s[4:5], s4, v29
	v_cndmask_b32_e64 v31, v31, v30, s[4:5]
	v_add_f32_e32 v72, v72, v31
.LBB743_559:
	s_or_b64 exec, exec, s[2:3]
.LBB743_560:
	s_or_b64 exec, exec, s[0:1]
	v_mov_b32_e32 v29, 0
	v_mov_b32_e32 v30, 0
	s_mov_b64 s[0:1], exec
	v_readlane_b32 s2, v82, 32
	v_readlane_b32 s3, v82, 33
	s_and_b64 s[2:3], s[0:1], s[2:3]
	s_mov_b64 exec, s[2:3]
	s_cbranch_execz .LBB743_564
; %bb.561:
	global_load_ubyte v30, v[2:3], off offset:1408
	s_waitcnt vmcnt(0)
	v_and_b32_e32 v30, 1, v30
	v_cmp_eq_u32_e64 s[4:5], 1, v30
	s_xor_b64 s[4:5], s[4:5], -1
	v_mov_b32_e32 v30, 0
	s_and_saveexec_b64 s[2:3], s[4:5]
	s_cbranch_execz .LBB743_563
; %bb.562:
	v_sub_f32_e32 v28, v28, v77
	s_mov_b32 s4, 0x3fb8aa3b
	v_mul_f32_e32 v30, 0x3fb8aa3b, v28
	v_fma_f32 v78, v28, s4, -v30
	v_rndne_f32_e32 v79, v30
	v_fmac_f32_e32 v78, 0x32a5705f, v28
	v_sub_f32_e32 v30, v30, v79
	v_add_f32_e32 v30, v30, v78
	v_exp_f32_e32 v30, v30
	v_cvt_i32_f32_e32 v78, v79
	s_mov_b32 s4, 0xc2ce8ed0
	v_cmp_ngt_f32_e64 s[4:5], s4, v28
	v_ldexp_f32 v30, v30, v78
	v_cndmask_b32_e64 v30, 0, v30, s[4:5]
	s_mov_b32 s4, 0x42b17218
	v_mov_b32_e32 v78, 0x7f800000
	v_cmp_nlt_f32_e64 s[4:5], s4, v28
	v_cndmask_b32_e64 v30, v78, v30, s[4:5]
	v_add_f32_e32 v72, v72, v30
.LBB743_563:
	s_or_b64 exec, exec, s[2:3]
.LBB743_564:
	s_or_b64 exec, exec, s[0:1]
	s_mov_b64 s[0:1], exec
	v_readlane_b32 s2, v82, 36
	v_readlane_b32 s3, v82, 37
	s_and_b64 s[2:3], s[0:1], s[2:3]
	s_mov_b64 exec, s[2:3]
	s_cbranch_execz .LBB743_568
; %bb.565:
	global_load_ubyte v28, v[2:3], off offset:1440
	v_mov_b32_e32 v29, 0
	s_waitcnt vmcnt(0)
	v_and_b32_e32 v28, 1, v28
	v_cmp_eq_u32_e64 s[4:5], 1, v28
	s_xor_b64 s[4:5], s[4:5], -1
	s_and_saveexec_b64 s[2:3], s[4:5]
	s_cbranch_execz .LBB743_567
; %bb.566:
	v_sub_f32_e32 v27, v27, v77
	s_mov_b32 s4, 0x3fb8aa3b
	v_mul_f32_e32 v28, 0x3fb8aa3b, v27
	v_fma_f32 v29, v27, s4, -v28
	v_rndne_f32_e32 v78, v28
	v_fmac_f32_e32 v29, 0x32a5705f, v27
	v_sub_f32_e32 v28, v28, v78
	v_add_f32_e32 v28, v28, v29
	v_exp_f32_e32 v28, v28
	v_cvt_i32_f32_e32 v29, v78
	s_mov_b32 s4, 0xc2ce8ed0
	v_cmp_ngt_f32_e64 s[4:5], s4, v27
	v_ldexp_f32 v28, v28, v29
	v_cndmask_b32_e64 v28, 0, v28, s[4:5]
	s_mov_b32 s4, 0x42b17218
	v_mov_b32_e32 v29, 0x7f800000
	v_cmp_nlt_f32_e64 s[4:5], s4, v27
	v_cndmask_b32_e64 v29, v29, v28, s[4:5]
	v_add_f32_e32 v72, v72, v29
.LBB743_567:
	s_or_b64 exec, exec, s[2:3]
.LBB743_568:
	s_or_b64 exec, exec, s[0:1]
	v_mov_b32_e32 v27, 0
	v_mov_b32_e32 v28, 0
	s_mov_b64 s[0:1], exec
	v_readlane_b32 s2, v82, 40
	v_readlane_b32 s3, v82, 41
	s_and_b64 s[2:3], s[0:1], s[2:3]
	s_mov_b64 exec, s[2:3]
	s_cbranch_execz .LBB743_572
; %bb.569:
	global_load_ubyte v28, v[2:3], off offset:1472
	s_waitcnt vmcnt(0)
	v_and_b32_e32 v28, 1, v28
	v_cmp_eq_u32_e64 s[4:5], 1, v28
	s_xor_b64 s[4:5], s[4:5], -1
	v_mov_b32_e32 v28, 0
	s_and_saveexec_b64 s[2:3], s[4:5]
	s_cbranch_execz .LBB743_571
; %bb.570:
	v_sub_f32_e32 v26, v26, v77
	s_mov_b32 s4, 0x3fb8aa3b
	v_mul_f32_e32 v28, 0x3fb8aa3b, v26
	v_fma_f32 v78, v26, s4, -v28
	v_rndne_f32_e32 v79, v28
	v_fmac_f32_e32 v78, 0x32a5705f, v26
	v_sub_f32_e32 v28, v28, v79
	v_add_f32_e32 v28, v28, v78
	v_exp_f32_e32 v28, v28
	v_cvt_i32_f32_e32 v78, v79
	s_mov_b32 s4, 0xc2ce8ed0
	v_cmp_ngt_f32_e64 s[4:5], s4, v26
	v_ldexp_f32 v28, v28, v78
	v_cndmask_b32_e64 v28, 0, v28, s[4:5]
	s_mov_b32 s4, 0x42b17218
	v_mov_b32_e32 v78, 0x7f800000
	v_cmp_nlt_f32_e64 s[4:5], s4, v26
	v_cndmask_b32_e64 v28, v78, v28, s[4:5]
	v_add_f32_e32 v72, v72, v28
.LBB743_571:
	s_or_b64 exec, exec, s[2:3]
.LBB743_572:
	s_or_b64 exec, exec, s[0:1]
	s_mov_b64 s[0:1], exec
	v_readlane_b32 s2, v82, 44
	v_readlane_b32 s3, v82, 45
	s_and_b64 s[2:3], s[0:1], s[2:3]
	s_mov_b64 exec, s[2:3]
	s_cbranch_execz .LBB743_576
; %bb.573:
	global_load_ubyte v26, v[2:3], off offset:1504
	v_mov_b32_e32 v27, 0
	s_waitcnt vmcnt(0)
	v_and_b32_e32 v26, 1, v26
	v_cmp_eq_u32_e64 s[4:5], 1, v26
	s_xor_b64 s[4:5], s[4:5], -1
	s_and_saveexec_b64 s[2:3], s[4:5]
	s_cbranch_execz .LBB743_575
; %bb.574:
	v_sub_f32_e32 v25, v25, v77
	s_mov_b32 s4, 0x3fb8aa3b
	v_mul_f32_e32 v26, 0x3fb8aa3b, v25
	v_fma_f32 v27, v25, s4, -v26
	v_rndne_f32_e32 v78, v26
	v_fmac_f32_e32 v27, 0x32a5705f, v25
	v_sub_f32_e32 v26, v26, v78
	v_add_f32_e32 v26, v26, v27
	v_exp_f32_e32 v26, v26
	v_cvt_i32_f32_e32 v27, v78
	s_mov_b32 s4, 0xc2ce8ed0
	v_cmp_ngt_f32_e64 s[4:5], s4, v25
	v_ldexp_f32 v26, v26, v27
	v_cndmask_b32_e64 v26, 0, v26, s[4:5]
	s_mov_b32 s4, 0x42b17218
	v_mov_b32_e32 v27, 0x7f800000
	v_cmp_nlt_f32_e64 s[4:5], s4, v25
	v_cndmask_b32_e64 v27, v27, v26, s[4:5]
	v_add_f32_e32 v72, v72, v27
.LBB743_575:
	s_or_b64 exec, exec, s[2:3]
.LBB743_576:
	s_or_b64 exec, exec, s[0:1]
	v_mov_b32_e32 v25, 0
	v_mov_b32_e32 v26, 0
	s_mov_b64 s[0:1], exec
	v_readlane_b32 s2, v82, 48
	v_readlane_b32 s3, v82, 49
	s_and_b64 s[2:3], s[0:1], s[2:3]
	s_mov_b64 exec, s[2:3]
	s_cbranch_execz .LBB743_580
; %bb.577:
	global_load_ubyte v26, v[2:3], off offset:1536
	s_waitcnt vmcnt(0)
	v_and_b32_e32 v26, 1, v26
	v_cmp_eq_u32_e64 s[4:5], 1, v26
	s_xor_b64 s[4:5], s[4:5], -1
	v_mov_b32_e32 v26, 0
	s_and_saveexec_b64 s[2:3], s[4:5]
	s_cbranch_execz .LBB743_579
; %bb.578:
	v_sub_f32_e32 v24, v24, v77
	s_mov_b32 s4, 0x3fb8aa3b
	v_mul_f32_e32 v26, 0x3fb8aa3b, v24
	v_fma_f32 v78, v24, s4, -v26
	v_rndne_f32_e32 v79, v26
	v_fmac_f32_e32 v78, 0x32a5705f, v24
	v_sub_f32_e32 v26, v26, v79
	v_add_f32_e32 v26, v26, v78
	v_exp_f32_e32 v26, v26
	v_cvt_i32_f32_e32 v78, v79
	s_mov_b32 s4, 0xc2ce8ed0
	v_cmp_ngt_f32_e64 s[4:5], s4, v24
	v_ldexp_f32 v26, v26, v78
	v_cndmask_b32_e64 v26, 0, v26, s[4:5]
	s_mov_b32 s4, 0x42b17218
	v_mov_b32_e32 v78, 0x7f800000
	v_cmp_nlt_f32_e64 s[4:5], s4, v24
	v_cndmask_b32_e64 v26, v78, v26, s[4:5]
	v_add_f32_e32 v72, v72, v26
.LBB743_579:
	s_or_b64 exec, exec, s[2:3]
.LBB743_580:
	s_or_b64 exec, exec, s[0:1]
	s_mov_b64 s[0:1], exec
	v_readlane_b32 s2, v82, 52
	v_readlane_b32 s3, v82, 53
	s_and_b64 s[2:3], s[0:1], s[2:3]
	s_mov_b64 exec, s[2:3]
	s_cbranch_execz .LBB743_584
; %bb.581:
	global_load_ubyte v24, v[2:3], off offset:1568
	v_mov_b32_e32 v25, 0
	s_waitcnt vmcnt(0)
	v_and_b32_e32 v24, 1, v24
	v_cmp_eq_u32_e64 s[4:5], 1, v24
	s_xor_b64 s[4:5], s[4:5], -1
	s_and_saveexec_b64 s[2:3], s[4:5]
	s_cbranch_execz .LBB743_583
; %bb.582:
	v_sub_f32_e32 v23, v23, v77
	s_mov_b32 s4, 0x3fb8aa3b
	v_mul_f32_e32 v24, 0x3fb8aa3b, v23
	v_fma_f32 v25, v23, s4, -v24
	v_rndne_f32_e32 v78, v24
	v_fmac_f32_e32 v25, 0x32a5705f, v23
	v_sub_f32_e32 v24, v24, v78
	v_add_f32_e32 v24, v24, v25
	v_exp_f32_e32 v24, v24
	v_cvt_i32_f32_e32 v25, v78
	s_mov_b32 s4, 0xc2ce8ed0
	v_cmp_ngt_f32_e64 s[4:5], s4, v23
	v_ldexp_f32 v24, v24, v25
	v_cndmask_b32_e64 v24, 0, v24, s[4:5]
	s_mov_b32 s4, 0x42b17218
	v_mov_b32_e32 v25, 0x7f800000
	v_cmp_nlt_f32_e64 s[4:5], s4, v23
	v_cndmask_b32_e64 v25, v25, v24, s[4:5]
	v_add_f32_e32 v72, v72, v25
.LBB743_583:
	s_or_b64 exec, exec, s[2:3]
.LBB743_584:
	s_or_b64 exec, exec, s[0:1]
	v_mov_b32_e32 v23, 0
	v_mov_b32_e32 v24, 0
	s_mov_b64 s[0:1], exec
	v_readlane_b32 s2, v82, 56
	v_readlane_b32 s3, v82, 57
	s_and_b64 s[2:3], s[0:1], s[2:3]
	s_mov_b64 exec, s[2:3]
	s_cbranch_execz .LBB743_588
; %bb.585:
	global_load_ubyte v24, v[2:3], off offset:1600
	s_waitcnt vmcnt(0)
	v_and_b32_e32 v24, 1, v24
	v_cmp_eq_u32_e64 s[4:5], 1, v24
	s_xor_b64 s[4:5], s[4:5], -1
	v_mov_b32_e32 v24, 0
	s_and_saveexec_b64 s[2:3], s[4:5]
	s_cbranch_execz .LBB743_587
; %bb.586:
	v_sub_f32_e32 v22, v22, v77
	s_mov_b32 s4, 0x3fb8aa3b
	v_mul_f32_e32 v24, 0x3fb8aa3b, v22
	v_fma_f32 v78, v22, s4, -v24
	v_rndne_f32_e32 v79, v24
	v_fmac_f32_e32 v78, 0x32a5705f, v22
	v_sub_f32_e32 v24, v24, v79
	v_add_f32_e32 v24, v24, v78
	v_exp_f32_e32 v24, v24
	v_cvt_i32_f32_e32 v78, v79
	s_mov_b32 s4, 0xc2ce8ed0
	v_cmp_ngt_f32_e64 s[4:5], s4, v22
	v_ldexp_f32 v24, v24, v78
	v_cndmask_b32_e64 v24, 0, v24, s[4:5]
	s_mov_b32 s4, 0x42b17218
	v_mov_b32_e32 v78, 0x7f800000
	v_cmp_nlt_f32_e64 s[4:5], s4, v22
	v_cndmask_b32_e64 v24, v78, v24, s[4:5]
	v_add_f32_e32 v72, v72, v24
.LBB743_587:
	s_or_b64 exec, exec, s[2:3]
.LBB743_588:
	s_or_b64 exec, exec, s[0:1]
	s_mov_b64 s[0:1], exec
	v_readlane_b32 s2, v82, 60
	v_readlane_b32 s3, v82, 61
	s_and_b64 s[2:3], s[0:1], s[2:3]
	s_mov_b64 exec, s[2:3]
	s_cbranch_execz .LBB743_592
; %bb.589:
	global_load_ubyte v22, v[2:3], off offset:1632
	v_mov_b32_e32 v23, 0
	s_waitcnt vmcnt(0)
	v_and_b32_e32 v22, 1, v22
	v_cmp_eq_u32_e64 s[4:5], 1, v22
	s_xor_b64 s[4:5], s[4:5], -1
	s_and_saveexec_b64 s[2:3], s[4:5]
	s_cbranch_execz .LBB743_591
; %bb.590:
	v_sub_f32_e32 v21, v21, v77
	s_mov_b32 s4, 0x3fb8aa3b
	v_mul_f32_e32 v22, 0x3fb8aa3b, v21
	v_fma_f32 v23, v21, s4, -v22
	v_rndne_f32_e32 v78, v22
	v_fmac_f32_e32 v23, 0x32a5705f, v21
	v_sub_f32_e32 v22, v22, v78
	v_add_f32_e32 v22, v22, v23
	v_exp_f32_e32 v22, v22
	v_cvt_i32_f32_e32 v23, v78
	s_mov_b32 s4, 0xc2ce8ed0
	v_cmp_ngt_f32_e64 s[4:5], s4, v21
	v_ldexp_f32 v22, v22, v23
	v_cndmask_b32_e64 v22, 0, v22, s[4:5]
	s_mov_b32 s4, 0x42b17218
	v_mov_b32_e32 v23, 0x7f800000
	v_cmp_nlt_f32_e64 s[4:5], s4, v21
	v_cndmask_b32_e64 v23, v23, v22, s[4:5]
	v_add_f32_e32 v72, v72, v23
.LBB743_591:
	s_or_b64 exec, exec, s[2:3]
.LBB743_592:
	s_or_b64 exec, exec, s[0:1]
	v_mov_b32_e32 v21, 0
	v_mov_b32_e32 v22, 0
	s_mov_b64 s[0:1], exec
	v_readlane_b32 s2, v81, 0
	v_readlane_b32 s3, v81, 1
	s_and_b64 s[2:3], s[0:1], s[2:3]
	s_mov_b64 exec, s[2:3]
	s_cbranch_execz .LBB743_596
; %bb.593:
	global_load_ubyte v22, v[2:3], off offset:1664
	s_waitcnt vmcnt(0)
	v_and_b32_e32 v22, 1, v22
	v_cmp_eq_u32_e64 s[4:5], 1, v22
	s_xor_b64 s[4:5], s[4:5], -1
	v_mov_b32_e32 v22, 0
	s_and_saveexec_b64 s[2:3], s[4:5]
	s_cbranch_execz .LBB743_595
; %bb.594:
	v_sub_f32_e32 v20, v20, v77
	s_mov_b32 s4, 0x3fb8aa3b
	v_mul_f32_e32 v22, 0x3fb8aa3b, v20
	v_fma_f32 v78, v20, s4, -v22
	v_rndne_f32_e32 v79, v22
	v_fmac_f32_e32 v78, 0x32a5705f, v20
	v_sub_f32_e32 v22, v22, v79
	v_add_f32_e32 v22, v22, v78
	v_exp_f32_e32 v22, v22
	v_cvt_i32_f32_e32 v78, v79
	s_mov_b32 s4, 0xc2ce8ed0
	v_cmp_ngt_f32_e64 s[4:5], s4, v20
	v_ldexp_f32 v22, v22, v78
	v_cndmask_b32_e64 v22, 0, v22, s[4:5]
	s_mov_b32 s4, 0x42b17218
	v_mov_b32_e32 v78, 0x7f800000
	v_cmp_nlt_f32_e64 s[4:5], s4, v20
	v_cndmask_b32_e64 v22, v78, v22, s[4:5]
	v_add_f32_e32 v72, v72, v22
.LBB743_595:
	s_or_b64 exec, exec, s[2:3]
.LBB743_596:
	s_or_b64 exec, exec, s[0:1]
	s_mov_b64 s[0:1], exec
	v_readlane_b32 s2, v81, 4
	v_readlane_b32 s3, v81, 5
	s_and_b64 s[2:3], s[0:1], s[2:3]
	s_mov_b64 exec, s[2:3]
	s_cbranch_execz .LBB743_600
; %bb.597:
	global_load_ubyte v20, v[2:3], off offset:1696
	v_mov_b32_e32 v21, 0
	s_waitcnt vmcnt(0)
	v_and_b32_e32 v20, 1, v20
	v_cmp_eq_u32_e64 s[4:5], 1, v20
	s_xor_b64 s[4:5], s[4:5], -1
	s_and_saveexec_b64 s[2:3], s[4:5]
	s_cbranch_execz .LBB743_599
; %bb.598:
	v_sub_f32_e32 v19, v19, v77
	s_mov_b32 s4, 0x3fb8aa3b
	v_mul_f32_e32 v20, 0x3fb8aa3b, v19
	v_fma_f32 v21, v19, s4, -v20
	v_rndne_f32_e32 v78, v20
	v_fmac_f32_e32 v21, 0x32a5705f, v19
	v_sub_f32_e32 v20, v20, v78
	v_add_f32_e32 v20, v20, v21
	v_exp_f32_e32 v20, v20
	v_cvt_i32_f32_e32 v21, v78
	s_mov_b32 s4, 0xc2ce8ed0
	v_cmp_ngt_f32_e64 s[4:5], s4, v19
	v_ldexp_f32 v20, v20, v21
	v_cndmask_b32_e64 v20, 0, v20, s[4:5]
	s_mov_b32 s4, 0x42b17218
	v_mov_b32_e32 v21, 0x7f800000
	v_cmp_nlt_f32_e64 s[4:5], s4, v19
	v_cndmask_b32_e64 v21, v21, v20, s[4:5]
	v_add_f32_e32 v72, v72, v21
.LBB743_599:
	s_or_b64 exec, exec, s[2:3]
.LBB743_600:
	s_or_b64 exec, exec, s[0:1]
	v_mov_b32_e32 v19, 0
	v_mov_b32_e32 v20, 0
	s_mov_b64 s[0:1], exec
	v_readlane_b32 s2, v81, 8
	v_readlane_b32 s3, v81, 9
	s_and_b64 s[2:3], s[0:1], s[2:3]
	s_mov_b64 exec, s[2:3]
	s_cbranch_execz .LBB743_604
; %bb.601:
	global_load_ubyte v20, v[2:3], off offset:1728
	s_waitcnt vmcnt(0)
	v_and_b32_e32 v20, 1, v20
	v_cmp_eq_u32_e64 s[4:5], 1, v20
	s_xor_b64 s[4:5], s[4:5], -1
	v_mov_b32_e32 v20, 0
	s_and_saveexec_b64 s[2:3], s[4:5]
	s_cbranch_execz .LBB743_603
; %bb.602:
	v_sub_f32_e32 v18, v18, v77
	s_mov_b32 s4, 0x3fb8aa3b
	v_mul_f32_e32 v20, 0x3fb8aa3b, v18
	v_fma_f32 v78, v18, s4, -v20
	v_rndne_f32_e32 v79, v20
	v_fmac_f32_e32 v78, 0x32a5705f, v18
	v_sub_f32_e32 v20, v20, v79
	v_add_f32_e32 v20, v20, v78
	v_exp_f32_e32 v20, v20
	v_cvt_i32_f32_e32 v78, v79
	s_mov_b32 s4, 0xc2ce8ed0
	v_cmp_ngt_f32_e64 s[4:5], s4, v18
	v_ldexp_f32 v20, v20, v78
	v_cndmask_b32_e64 v20, 0, v20, s[4:5]
	s_mov_b32 s4, 0x42b17218
	v_mov_b32_e32 v78, 0x7f800000
	v_cmp_nlt_f32_e64 s[4:5], s4, v18
	v_cndmask_b32_e64 v20, v78, v20, s[4:5]
	v_add_f32_e32 v72, v72, v20
.LBB743_603:
	s_or_b64 exec, exec, s[2:3]
.LBB743_604:
	s_or_b64 exec, exec, s[0:1]
	s_mov_b64 s[0:1], exec
	v_readlane_b32 s2, v81, 12
	v_readlane_b32 s3, v81, 13
	s_and_b64 s[2:3], s[0:1], s[2:3]
	s_mov_b64 exec, s[2:3]
	s_cbranch_execz .LBB743_608
; %bb.605:
	global_load_ubyte v18, v[2:3], off offset:1760
	v_mov_b32_e32 v19, 0
	s_waitcnt vmcnt(0)
	v_and_b32_e32 v18, 1, v18
	v_cmp_eq_u32_e64 s[4:5], 1, v18
	s_xor_b64 s[4:5], s[4:5], -1
	s_and_saveexec_b64 s[2:3], s[4:5]
	s_cbranch_execz .LBB743_607
; %bb.606:
	v_sub_f32_e32 v17, v17, v77
	s_mov_b32 s4, 0x3fb8aa3b
	v_mul_f32_e32 v18, 0x3fb8aa3b, v17
	v_fma_f32 v19, v17, s4, -v18
	v_rndne_f32_e32 v78, v18
	v_fmac_f32_e32 v19, 0x32a5705f, v17
	v_sub_f32_e32 v18, v18, v78
	v_add_f32_e32 v18, v18, v19
	v_exp_f32_e32 v18, v18
	v_cvt_i32_f32_e32 v19, v78
	s_mov_b32 s4, 0xc2ce8ed0
	v_cmp_ngt_f32_e64 s[4:5], s4, v17
	v_ldexp_f32 v18, v18, v19
	v_cndmask_b32_e64 v18, 0, v18, s[4:5]
	s_mov_b32 s4, 0x42b17218
	v_mov_b32_e32 v19, 0x7f800000
	v_cmp_nlt_f32_e64 s[4:5], s4, v17
	v_cndmask_b32_e64 v19, v19, v18, s[4:5]
	v_add_f32_e32 v72, v72, v19
.LBB743_607:
	s_or_b64 exec, exec, s[2:3]
.LBB743_608:
	s_or_b64 exec, exec, s[0:1]
	v_mov_b32_e32 v17, 0
	v_mov_b32_e32 v18, 0
	s_mov_b64 s[0:1], exec
	v_readlane_b32 s2, v81, 16
	v_readlane_b32 s3, v81, 17
	s_and_b64 s[2:3], s[0:1], s[2:3]
	s_mov_b64 exec, s[2:3]
	s_cbranch_execz .LBB743_612
; %bb.609:
	global_load_ubyte v18, v[2:3], off offset:1792
	s_waitcnt vmcnt(0)
	v_and_b32_e32 v18, 1, v18
	v_cmp_eq_u32_e64 s[4:5], 1, v18
	s_xor_b64 s[4:5], s[4:5], -1
	v_mov_b32_e32 v18, 0
	s_and_saveexec_b64 s[2:3], s[4:5]
	s_cbranch_execz .LBB743_611
; %bb.610:
	v_sub_f32_e32 v16, v16, v77
	s_mov_b32 s4, 0x3fb8aa3b
	v_mul_f32_e32 v18, 0x3fb8aa3b, v16
	v_fma_f32 v78, v16, s4, -v18
	v_rndne_f32_e32 v79, v18
	v_fmac_f32_e32 v78, 0x32a5705f, v16
	v_sub_f32_e32 v18, v18, v79
	v_add_f32_e32 v18, v18, v78
	v_exp_f32_e32 v18, v18
	v_cvt_i32_f32_e32 v78, v79
	s_mov_b32 s4, 0xc2ce8ed0
	v_cmp_ngt_f32_e64 s[4:5], s4, v16
	v_ldexp_f32 v18, v18, v78
	v_cndmask_b32_e64 v18, 0, v18, s[4:5]
	s_mov_b32 s4, 0x42b17218
	v_mov_b32_e32 v78, 0x7f800000
	v_cmp_nlt_f32_e64 s[4:5], s4, v16
	v_cndmask_b32_e64 v18, v78, v18, s[4:5]
	v_add_f32_e32 v72, v72, v18
.LBB743_611:
	s_or_b64 exec, exec, s[2:3]
.LBB743_612:
	s_or_b64 exec, exec, s[0:1]
	s_mov_b64 s[0:1], exec
	v_readlane_b32 s2, v81, 20
	v_readlane_b32 s3, v81, 21
	s_and_b64 s[2:3], s[0:1], s[2:3]
	s_mov_b64 exec, s[2:3]
	s_cbranch_execz .LBB743_616
; %bb.613:
	global_load_ubyte v16, v[2:3], off offset:1824
	v_mov_b32_e32 v17, 0
	s_waitcnt vmcnt(0)
	v_and_b32_e32 v16, 1, v16
	v_cmp_eq_u32_e64 s[4:5], 1, v16
	s_xor_b64 s[4:5], s[4:5], -1
	s_and_saveexec_b64 s[2:3], s[4:5]
	s_cbranch_execz .LBB743_615
; %bb.614:
	v_sub_f32_e32 v15, v15, v77
	s_mov_b32 s4, 0x3fb8aa3b
	v_mul_f32_e32 v16, 0x3fb8aa3b, v15
	v_fma_f32 v17, v15, s4, -v16
	v_rndne_f32_e32 v78, v16
	v_fmac_f32_e32 v17, 0x32a5705f, v15
	v_sub_f32_e32 v16, v16, v78
	v_add_f32_e32 v16, v16, v17
	v_exp_f32_e32 v16, v16
	v_cvt_i32_f32_e32 v17, v78
	s_mov_b32 s4, 0xc2ce8ed0
	v_cmp_ngt_f32_e64 s[4:5], s4, v15
	v_ldexp_f32 v16, v16, v17
	v_cndmask_b32_e64 v16, 0, v16, s[4:5]
	s_mov_b32 s4, 0x42b17218
	v_mov_b32_e32 v17, 0x7f800000
	v_cmp_nlt_f32_e64 s[4:5], s4, v15
	v_cndmask_b32_e64 v17, v17, v16, s[4:5]
	v_add_f32_e32 v72, v72, v17
.LBB743_615:
	s_or_b64 exec, exec, s[2:3]
.LBB743_616:
	s_or_b64 exec, exec, s[0:1]
	v_mov_b32_e32 v15, 0
	v_mov_b32_e32 v16, 0
	s_mov_b64 s[0:1], exec
	v_readlane_b32 s2, v81, 24
	v_readlane_b32 s3, v81, 25
	s_and_b64 s[2:3], s[0:1], s[2:3]
	s_mov_b64 exec, s[2:3]
	s_cbranch_execz .LBB743_620
; %bb.617:
	global_load_ubyte v16, v[2:3], off offset:1856
	s_waitcnt vmcnt(0)
	v_and_b32_e32 v16, 1, v16
	v_cmp_eq_u32_e64 s[4:5], 1, v16
	s_xor_b64 s[4:5], s[4:5], -1
	v_mov_b32_e32 v16, 0
	s_and_saveexec_b64 s[2:3], s[4:5]
	s_cbranch_execz .LBB743_619
; %bb.618:
	v_sub_f32_e32 v14, v14, v77
	s_mov_b32 s4, 0x3fb8aa3b
	v_mul_f32_e32 v16, 0x3fb8aa3b, v14
	v_fma_f32 v78, v14, s4, -v16
	v_rndne_f32_e32 v79, v16
	v_fmac_f32_e32 v78, 0x32a5705f, v14
	v_sub_f32_e32 v16, v16, v79
	v_add_f32_e32 v16, v16, v78
	v_exp_f32_e32 v16, v16
	v_cvt_i32_f32_e32 v78, v79
	s_mov_b32 s4, 0xc2ce8ed0
	v_cmp_ngt_f32_e64 s[4:5], s4, v14
	v_ldexp_f32 v16, v16, v78
	v_cndmask_b32_e64 v16, 0, v16, s[4:5]
	s_mov_b32 s4, 0x42b17218
	v_mov_b32_e32 v78, 0x7f800000
	v_cmp_nlt_f32_e64 s[4:5], s4, v14
	v_cndmask_b32_e64 v16, v78, v16, s[4:5]
	v_add_f32_e32 v72, v72, v16
.LBB743_619:
	s_or_b64 exec, exec, s[2:3]
.LBB743_620:
	s_or_b64 exec, exec, s[0:1]
	s_mov_b64 s[0:1], exec
	v_readlane_b32 s2, v81, 28
	v_readlane_b32 s3, v81, 29
	s_and_b64 s[2:3], s[0:1], s[2:3]
	s_mov_b64 exec, s[2:3]
	s_cbranch_execz .LBB743_624
; %bb.621:
	global_load_ubyte v14, v[2:3], off offset:1888
	v_mov_b32_e32 v15, 0
	s_waitcnt vmcnt(0)
	v_and_b32_e32 v14, 1, v14
	v_cmp_eq_u32_e64 s[4:5], 1, v14
	s_xor_b64 s[4:5], s[4:5], -1
	s_and_saveexec_b64 s[2:3], s[4:5]
	s_cbranch_execz .LBB743_623
; %bb.622:
	v_sub_f32_e32 v13, v13, v77
	s_mov_b32 s4, 0x3fb8aa3b
	v_mul_f32_e32 v14, 0x3fb8aa3b, v13
	v_fma_f32 v15, v13, s4, -v14
	v_rndne_f32_e32 v78, v14
	v_fmac_f32_e32 v15, 0x32a5705f, v13
	v_sub_f32_e32 v14, v14, v78
	v_add_f32_e32 v14, v14, v15
	v_exp_f32_e32 v14, v14
	v_cvt_i32_f32_e32 v15, v78
	s_mov_b32 s4, 0xc2ce8ed0
	v_cmp_ngt_f32_e64 s[4:5], s4, v13
	v_ldexp_f32 v14, v14, v15
	v_cndmask_b32_e64 v14, 0, v14, s[4:5]
	s_mov_b32 s4, 0x42b17218
	v_mov_b32_e32 v15, 0x7f800000
	v_cmp_nlt_f32_e64 s[4:5], s4, v13
	v_cndmask_b32_e64 v15, v15, v14, s[4:5]
	v_add_f32_e32 v72, v72, v15
.LBB743_623:
	s_or_b64 exec, exec, s[2:3]
.LBB743_624:
	s_or_b64 exec, exec, s[0:1]
	v_mov_b32_e32 v13, 0
	v_mov_b32_e32 v14, 0
	s_mov_b64 s[0:1], exec
	v_readlane_b32 s2, v81, 32
	v_readlane_b32 s3, v81, 33
	s_and_b64 s[2:3], s[0:1], s[2:3]
	s_mov_b64 exec, s[2:3]
	s_cbranch_execz .LBB743_628
; %bb.625:
	global_load_ubyte v14, v[2:3], off offset:1920
	s_waitcnt vmcnt(0)
	v_and_b32_e32 v14, 1, v14
	v_cmp_eq_u32_e64 s[4:5], 1, v14
	s_xor_b64 s[4:5], s[4:5], -1
	v_mov_b32_e32 v14, 0
	s_and_saveexec_b64 s[2:3], s[4:5]
	s_cbranch_execz .LBB743_627
; %bb.626:
	v_sub_f32_e32 v12, v12, v77
	s_mov_b32 s4, 0x3fb8aa3b
	v_mul_f32_e32 v14, 0x3fb8aa3b, v12
	v_fma_f32 v78, v12, s4, -v14
	v_rndne_f32_e32 v79, v14
	v_fmac_f32_e32 v78, 0x32a5705f, v12
	v_sub_f32_e32 v14, v14, v79
	v_add_f32_e32 v14, v14, v78
	v_exp_f32_e32 v14, v14
	v_cvt_i32_f32_e32 v78, v79
	s_mov_b32 s4, 0xc2ce8ed0
	v_cmp_ngt_f32_e64 s[4:5], s4, v12
	v_ldexp_f32 v14, v14, v78
	v_cndmask_b32_e64 v14, 0, v14, s[4:5]
	s_mov_b32 s4, 0x42b17218
	v_mov_b32_e32 v78, 0x7f800000
	v_cmp_nlt_f32_e64 s[4:5], s4, v12
	v_cndmask_b32_e64 v14, v78, v14, s[4:5]
	v_add_f32_e32 v72, v72, v14
.LBB743_627:
	s_or_b64 exec, exec, s[2:3]
.LBB743_628:
	s_or_b64 exec, exec, s[0:1]
	s_mov_b64 s[0:1], exec
	v_readlane_b32 s2, v81, 36
	v_readlane_b32 s3, v81, 37
	s_and_b64 s[2:3], s[0:1], s[2:3]
	s_mov_b64 exec, s[2:3]
	s_cbranch_execz .LBB743_632
; %bb.629:
	global_load_ubyte v12, v[2:3], off offset:1952
	v_mov_b32_e32 v13, 0
	s_waitcnt vmcnt(0)
	v_and_b32_e32 v12, 1, v12
	v_cmp_eq_u32_e64 s[4:5], 1, v12
	s_xor_b64 s[4:5], s[4:5], -1
	s_and_saveexec_b64 s[2:3], s[4:5]
	s_cbranch_execz .LBB743_631
; %bb.630:
	v_sub_f32_e32 v11, v11, v77
	s_mov_b32 s4, 0x3fb8aa3b
	v_mul_f32_e32 v12, 0x3fb8aa3b, v11
	v_fma_f32 v13, v11, s4, -v12
	v_rndne_f32_e32 v78, v12
	v_fmac_f32_e32 v13, 0x32a5705f, v11
	v_sub_f32_e32 v12, v12, v78
	v_add_f32_e32 v12, v12, v13
	v_exp_f32_e32 v12, v12
	v_cvt_i32_f32_e32 v13, v78
	s_mov_b32 s4, 0xc2ce8ed0
	v_cmp_ngt_f32_e64 s[4:5], s4, v11
	v_ldexp_f32 v12, v12, v13
	v_cndmask_b32_e64 v12, 0, v12, s[4:5]
	s_mov_b32 s4, 0x42b17218
	v_mov_b32_e32 v13, 0x7f800000
	v_cmp_nlt_f32_e64 s[4:5], s4, v11
	v_cndmask_b32_e64 v13, v13, v12, s[4:5]
	v_add_f32_e32 v72, v72, v13
.LBB743_631:
	s_or_b64 exec, exec, s[2:3]
.LBB743_632:
	s_or_b64 exec, exec, s[0:1]
	v_mov_b32_e32 v11, 0
	v_mov_b32_e32 v12, 0
	s_mov_b64 s[0:1], exec
	v_readlane_b32 s2, v81, 40
	v_readlane_b32 s3, v81, 41
	s_and_b64 s[2:3], s[0:1], s[2:3]
	s_mov_b64 exec, s[2:3]
	s_cbranch_execz .LBB743_636
; %bb.633:
	global_load_ubyte v12, v[2:3], off offset:1984
	s_waitcnt vmcnt(0)
	v_and_b32_e32 v12, 1, v12
	v_cmp_eq_u32_e64 s[4:5], 1, v12
	s_xor_b64 s[4:5], s[4:5], -1
	v_mov_b32_e32 v12, 0
	s_and_saveexec_b64 s[2:3], s[4:5]
	s_cbranch_execz .LBB743_635
; %bb.634:
	v_sub_f32_e32 v10, v10, v77
	s_mov_b32 s4, 0x3fb8aa3b
	v_mul_f32_e32 v12, 0x3fb8aa3b, v10
	v_fma_f32 v78, v10, s4, -v12
	v_rndne_f32_e32 v79, v12
	v_fmac_f32_e32 v78, 0x32a5705f, v10
	v_sub_f32_e32 v12, v12, v79
	v_add_f32_e32 v12, v12, v78
	v_exp_f32_e32 v12, v12
	v_cvt_i32_f32_e32 v78, v79
	s_mov_b32 s4, 0xc2ce8ed0
	v_cmp_ngt_f32_e64 s[4:5], s4, v10
	v_ldexp_f32 v12, v12, v78
	v_cndmask_b32_e64 v12, 0, v12, s[4:5]
	s_mov_b32 s4, 0x42b17218
	v_mov_b32_e32 v78, 0x7f800000
	v_cmp_nlt_f32_e64 s[4:5], s4, v10
	v_cndmask_b32_e64 v12, v78, v12, s[4:5]
	v_add_f32_e32 v72, v72, v12
.LBB743_635:
	s_or_b64 exec, exec, s[2:3]
.LBB743_636:
	s_or_b64 exec, exec, s[0:1]
	s_mov_b64 s[0:1], exec
	v_readlane_b32 s2, v81, 44
	v_readlane_b32 s3, v81, 45
	s_and_b64 s[2:3], s[0:1], s[2:3]
	s_mov_b64 exec, s[2:3]
	s_cbranch_execz .LBB743_640
; %bb.637:
	global_load_ubyte v2, v[2:3], off offset:2016
	v_mov_b32_e32 v11, 0
	s_waitcnt vmcnt(0)
	v_and_b32_e32 v2, 1, v2
	v_cmp_eq_u32_e64 s[4:5], 1, v2
	s_xor_b64 s[4:5], s[4:5], -1
	s_and_saveexec_b64 s[2:3], s[4:5]
	s_cbranch_execz .LBB743_639
; %bb.638:
	v_sub_f32_e32 v2, v9, v77
	s_mov_b32 s4, 0x3fb8aa3b
	v_mul_f32_e32 v3, 0x3fb8aa3b, v2
	v_fma_f32 v9, v2, s4, -v3
	v_rndne_f32_e32 v10, v3
	v_fmac_f32_e32 v9, 0x32a5705f, v2
	v_sub_f32_e32 v3, v3, v10
	v_add_f32_e32 v3, v3, v9
	v_exp_f32_e32 v3, v3
	v_cvt_i32_f32_e32 v9, v10
	s_mov_b32 s4, 0xc2ce8ed0
	v_cmp_ngt_f32_e64 s[4:5], s4, v2
	v_ldexp_f32 v3, v3, v9
	v_cndmask_b32_e64 v3, 0, v3, s[4:5]
	s_mov_b32 s4, 0x42b17218
	v_mov_b32_e32 v9, 0x7f800000
	v_cmp_nlt_f32_e64 s[4:5], s4, v2
	v_cndmask_b32_e64 v11, v9, v3, s[4:5]
	v_add_f32_e32 v72, v72, v11
.LBB743_639:
	s_or_b64 exec, exec, s[2:3]
.LBB743_640:
	s_or_b64 exec, exec, s[0:1]
	ds_bpermute_b32 v2, v6, v72
	v_cmp_lt_i32_e64 s[4:5], 0, v8
	s_waitcnt lgkmcnt(0)
	v_add_f32_e32 v2, v72, v2
	ds_bpermute_b32 v3, v7, v2
	s_waitcnt lgkmcnt(0)
	v_add_f32_e32 v2, v2, v3
	ds_bpermute_b32 v3, v73, v2
	s_waitcnt lgkmcnt(0)
	v_add_f32_e32 v2, v2, v3
	ds_bpermute_b32 v3, v75, v2
	s_waitcnt lgkmcnt(0)
	v_add_f32_e32 v2, v2, v3
	ds_bpermute_b32 v3, v76, v2
	s_and_saveexec_b64 s[0:1], s[4:5]
	s_cbranch_execz .LBB743_834
; %bb.641:
	v_readlane_b32 s0, v80, 4
	v_readlane_b32 s1, v80, 5
	s_and_b64 exec, exec, s[0:1]
	s_cbranch_execz .LBB743_834
; %bb.642:
	s_waitcnt lgkmcnt(0)
	v_add_f32_e32 v2, v2, v3
	v_cmp_neq_f32_e64 s[34:35], 0, v2
	v_mov_b32_e32 v3, 0x7e00
	s_and_saveexec_b64 s[0:1], s[34:35]
	s_cbranch_execz .LBB743_644
; %bb.643:
	v_div_scale_f32 v3, s[2:3], v2, v2, v74
	v_rcp_f32_e32 v6, v3
	v_div_scale_f32 v7, vcc, v74, v2, v74
	v_fma_f32 v8, -v3, v6, 1.0
	v_fmac_f32_e32 v6, v8, v6
	v_mul_f32_e32 v8, v7, v6
	v_fma_f32 v9, -v3, v8, v7
	v_fmac_f32_e32 v8, v9, v6
	v_fma_f32 v3, -v3, v8, v7
	v_div_fmas_f32 v3, v3, v6, v8
	v_div_fixup_f32 v3, v3, v2, v74
	v_cvt_f16_f32_e32 v3, v3
.LBB743_644:
	s_or_b64 exec, exec, s[0:1]
	v_readlane_b32 s0, v80, 0
	v_readlane_b32 s1, v80, 1
	v_mov_b32_e32 v6, s1
	v_add_co_u32_e32 v0, vcc, s0, v0
	v_readlane_b32 s0, v80, 6
	v_addc_co_u32_e32 v1, vcc, v6, v1, vcc
	v_readlane_b32 s1, v80, 7
	v_readlane_b32 s2, v80, 2
	;; [unrolled: 1-line block ×3, first 2 shown]
	global_store_short v[0:1], v3, off
	s_and_b64 exec, exec, s[0:1]
	s_cbranch_execz .LBB743_834
; %bb.645:
	v_mov_b32_e32 v3, 0x7e00
	s_and_saveexec_b64 s[0:1], s[34:35]
	s_cbranch_execz .LBB743_647
; %bb.646:
	v_div_scale_f32 v3, s[2:3], v2, v2, v4
	v_rcp_f32_e32 v6, v3
	v_div_scale_f32 v7, vcc, v4, v2, v4
	v_fma_f32 v8, -v3, v6, 1.0
	v_fmac_f32_e32 v6, v8, v6
	v_mul_f32_e32 v8, v7, v6
	v_fma_f32 v9, -v3, v8, v7
	v_fmac_f32_e32 v8, v9, v6
	v_fma_f32 v3, -v3, v8, v7
	v_div_fmas_f32 v3, v3, v6, v8
	v_div_fixup_f32 v3, v3, v2, v4
	v_cvt_f16_f32_e32 v3, v3
.LBB743_647:
	s_or_b64 exec, exec, s[0:1]
	v_readlane_b32 s0, v80, 8
	v_readlane_b32 s1, v80, 9
	global_store_short v[0:1], v3, off offset:64
	s_and_b64 exec, exec, s[0:1]
	s_cbranch_execz .LBB743_834
; %bb.648:
	v_mov_b32_e32 v3, 0x7e00
	s_and_saveexec_b64 s[0:1], s[34:35]
	s_cbranch_execz .LBB743_650
; %bb.649:
	v_div_scale_f32 v3, s[2:3], v2, v2, v71
	v_rcp_f32_e32 v4, v3
	v_div_scale_f32 v6, vcc, v71, v2, v71
	v_fma_f32 v7, -v3, v4, 1.0
	v_fmac_f32_e32 v4, v7, v4
	v_mul_f32_e32 v7, v6, v4
	v_fma_f32 v8, -v3, v7, v6
	v_fmac_f32_e32 v7, v8, v4
	v_fma_f32 v3, -v3, v7, v6
	v_div_fmas_f32 v3, v3, v4, v7
	v_div_fixup_f32 v3, v3, v2, v71
	v_cvt_f16_f32_e32 v3, v3
.LBB743_650:
	s_or_b64 exec, exec, s[0:1]
	v_readlane_b32 s0, v80, 10
	v_readlane_b32 s1, v80, 11
	global_store_short v[0:1], v3, off offset:128
	;; [unrolled: 24-line block ×62, first 2 shown]
	s_and_b64 exec, exec, s[0:1]
	s_cbranch_execz .LBB743_834
; %bb.831:
	v_mov_b32_e32 v3, 0x7e00
	s_and_saveexec_b64 s[0:1], s[34:35]
	s_cbranch_execz .LBB743_833
; %bb.832:
	v_div_scale_f32 v3, s[2:3], v2, v2, v11
	v_rcp_f32_e32 v4, v3
	v_div_scale_f32 v5, vcc, v11, v2, v11
	v_fma_f32 v6, -v3, v4, 1.0
	v_fmac_f32_e32 v4, v6, v4
	v_mul_f32_e32 v6, v5, v4
	v_fma_f32 v7, -v3, v6, v5
	v_fmac_f32_e32 v6, v7, v4
	v_fma_f32 v3, -v3, v6, v5
	v_div_fmas_f32 v3, v3, v4, v6
	v_div_fixup_f32 v2, v3, v2, v11
	v_cvt_f16_f32_e32 v3, v2
.LBB743_833:
	s_or_b64 exec, exec, s[0:1]
	global_store_short v[0:1], v3, off offset:4032
.LBB743_834:
	s_endpgm
	.section	.rodata,"a",@progbits
	.p2align	6, 0x0
	.amdhsa_kernel _ZN12_GLOBAL__N_120softmax_warp_forwardIN3c104HalfES2_fLi11ELb0ELb1ELi32EEEvPT0_PKT_iiiPKbib
		.amdhsa_group_segment_fixed_size 0
		.amdhsa_private_segment_fixed_size 0
		.amdhsa_kernarg_size 304
		.amdhsa_user_sgpr_count 6
		.amdhsa_user_sgpr_private_segment_buffer 1
		.amdhsa_user_sgpr_dispatch_ptr 0
		.amdhsa_user_sgpr_queue_ptr 0
		.amdhsa_user_sgpr_kernarg_segment_ptr 1
		.amdhsa_user_sgpr_dispatch_id 0
		.amdhsa_user_sgpr_flat_scratch_init 0
		.amdhsa_user_sgpr_kernarg_preload_length 0
		.amdhsa_user_sgpr_kernarg_preload_offset 0
		.amdhsa_user_sgpr_private_segment_size 0
		.amdhsa_uses_dynamic_stack 0
		.amdhsa_system_sgpr_private_segment_wavefront_offset 0
		.amdhsa_system_sgpr_workgroup_id_x 1
		.amdhsa_system_sgpr_workgroup_id_y 0
		.amdhsa_system_sgpr_workgroup_id_z 0
		.amdhsa_system_sgpr_workgroup_info 0
		.amdhsa_system_vgpr_workitem_id 1
		.amdhsa_next_free_vgpr 83
		.amdhsa_next_free_sgpr 96
		.amdhsa_accum_offset 84
		.amdhsa_reserve_vcc 1
		.amdhsa_reserve_flat_scratch 0
		.amdhsa_float_round_mode_32 0
		.amdhsa_float_round_mode_16_64 0
		.amdhsa_float_denorm_mode_32 3
		.amdhsa_float_denorm_mode_16_64 3
		.amdhsa_dx10_clamp 1
		.amdhsa_ieee_mode 1
		.amdhsa_fp16_overflow 0
		.amdhsa_tg_split 0
		.amdhsa_exception_fp_ieee_invalid_op 0
		.amdhsa_exception_fp_denorm_src 0
		.amdhsa_exception_fp_ieee_div_zero 0
		.amdhsa_exception_fp_ieee_overflow 0
		.amdhsa_exception_fp_ieee_underflow 0
		.amdhsa_exception_fp_ieee_inexact 0
		.amdhsa_exception_int_div_zero 0
	.end_amdhsa_kernel
	.section	.text._ZN12_GLOBAL__N_120softmax_warp_forwardIN3c104HalfES2_fLi11ELb0ELb1ELi32EEEvPT0_PKT_iiiPKbib,"axG",@progbits,_ZN12_GLOBAL__N_120softmax_warp_forwardIN3c104HalfES2_fLi11ELb0ELb1ELi32EEEvPT0_PKT_iiiPKbib,comdat
.Lfunc_end743:
	.size	_ZN12_GLOBAL__N_120softmax_warp_forwardIN3c104HalfES2_fLi11ELb0ELb1ELi32EEEvPT0_PKT_iiiPKbib, .Lfunc_end743-_ZN12_GLOBAL__N_120softmax_warp_forwardIN3c104HalfES2_fLi11ELb0ELb1ELi32EEEvPT0_PKT_iiiPKbib
                                        ; -- End function
	.section	.AMDGPU.csdata,"",@progbits
; Kernel info:
; codeLenInByte = 32976
; NumSgprs: 100
; NumVgprs: 83
; NumAgprs: 0
; TotalNumVgprs: 83
; ScratchSize: 0
; MemoryBound: 0
; FloatMode: 240
; IeeeMode: 1
; LDSByteSize: 0 bytes/workgroup (compile time only)
; SGPRBlocks: 12
; VGPRBlocks: 10
; NumSGPRsForWavesPerEU: 100
; NumVGPRsForWavesPerEU: 83
; AccumOffset: 84
; Occupancy: 5
; WaveLimiterHint : 0
; COMPUTE_PGM_RSRC2:SCRATCH_EN: 0
; COMPUTE_PGM_RSRC2:USER_SGPR: 6
; COMPUTE_PGM_RSRC2:TRAP_HANDLER: 0
; COMPUTE_PGM_RSRC2:TGID_X_EN: 1
; COMPUTE_PGM_RSRC2:TGID_Y_EN: 0
; COMPUTE_PGM_RSRC2:TGID_Z_EN: 0
; COMPUTE_PGM_RSRC2:TIDIG_COMP_CNT: 1
; COMPUTE_PGM_RSRC3_GFX90A:ACCUM_OFFSET: 20
; COMPUTE_PGM_RSRC3_GFX90A:TG_SPLIT: 0
	.section	.text._ZN12_GLOBAL__N_120softmax_warp_forwardIN3c108BFloat16ES2_fLi0ELb0ELb1ELi64EEEvPT0_PKT_iiiPKbib,"axG",@progbits,_ZN12_GLOBAL__N_120softmax_warp_forwardIN3c108BFloat16ES2_fLi0ELb0ELb1ELi64EEEvPT0_PKT_iiiPKbib,comdat
	.globl	_ZN12_GLOBAL__N_120softmax_warp_forwardIN3c108BFloat16ES2_fLi0ELb0ELb1ELi64EEEvPT0_PKT_iiiPKbib ; -- Begin function _ZN12_GLOBAL__N_120softmax_warp_forwardIN3c108BFloat16ES2_fLi0ELb0ELb1ELi64EEEvPT0_PKT_iiiPKbib
	.p2align	8
	.type	_ZN12_GLOBAL__N_120softmax_warp_forwardIN3c108BFloat16ES2_fLi0ELb0ELb1ELi64EEEvPT0_PKT_iiiPKbib,@function
_ZN12_GLOBAL__N_120softmax_warp_forwardIN3c108BFloat16ES2_fLi0ELb0ELb1ELi64EEEvPT0_PKT_iiiPKbib: ; @_ZN12_GLOBAL__N_120softmax_warp_forwardIN3c108BFloat16ES2_fLi0ELb0ELb1ELi64EEEvPT0_PKT_iiiPKbib
; %bb.0:
	s_load_dwordx2 s[0:1], s[4:5], 0x28
	s_load_dword s2, s[4:5], 0x3c
	s_load_dwordx4 s[8:11], s[4:5], 0x10
	v_bfe_u32 v1, v0, 10, 10
	v_and_b32_e32 v4, 0x3ff, v0
	s_waitcnt lgkmcnt(0)
	s_bitcmp1_b32 s1, 0
	s_cselect_b64 s[16:17], -1, 0
	s_lshr_b32 s2, s2, 16
	s_mul_i32 s6, s6, s2
	v_add_lshl_u32 v5, s6, v1, 1
	v_mul_lo_u32 v6, v5, s9
	v_add_u32_e32 v0, v6, v4
	v_ashrrev_i32_e32 v1, 31, v0
	s_bitcmp0_b32 s1, 0
	v_pk_mov_b32 v[2:3], v[0:1], v[0:1] op_sel:[0,1]
	s_cbranch_scc1 .LBB744_2
; %bb.1:
	s_abs_i32 s1, s0
	v_cvt_f32_u32_e32 v2, s1
	v_xor_b32_e32 v3, s0, v6
	v_sub_u32_e32 v7, 0, v6
	s_sub_i32 s0, 0, s1
	v_rcp_iflag_f32_e32 v2, v2
	v_max_i32_e32 v6, v6, v7
	v_ashrrev_i32_e32 v3, 31, v3
	v_mul_f32_e32 v2, 0x4f7ffffe, v2
	v_cvt_u32_f32_e32 v2, v2
	v_mul_lo_u32 v7, s0, v2
	v_mul_hi_u32 v7, v2, v7
	v_add_u32_e32 v2, v2, v7
	v_mul_hi_u32 v2, v6, v2
	v_mul_lo_u32 v7, v2, s1
	v_sub_u32_e32 v6, v6, v7
	v_add_u32_e32 v8, 1, v2
	v_cmp_le_u32_e32 vcc, s1, v6
	v_subrev_u32_e32 v7, s1, v6
	v_cndmask_b32_e32 v2, v2, v8, vcc
	v_cndmask_b32_e32 v6, v6, v7, vcc
	v_add_u32_e32 v7, 1, v2
	v_cmp_le_u32_e32 vcc, s1, v6
	v_cndmask_b32_e32 v2, v2, v7, vcc
	v_xor_b32_e32 v2, v2, v3
	v_sub_u32_e32 v2, v2, v3
	v_mad_u64_u32 v[2:3], s[0:1], v2, s9, v[4:5]
	v_ashrrev_i32_e32 v3, 31, v2
.LBB744_2:
	s_load_dwordx4 s[12:15], s[4:5], 0x0
	v_lshlrev_b64 v[0:1], 1, v[0:1]
	v_sub_u32_e32 v8, s8, v5
	v_cmp_gt_i32_e64 s[0:1], s10, v4
	v_mov_b32_e32 v9, 0xff800000
	s_waitcnt lgkmcnt(0)
	v_mov_b32_e32 v5, s15
	v_add_co_u32_e32 v6, vcc, s14, v0
	v_addc_co_u32_e32 v7, vcc, v5, v1, vcc
	v_cmp_lt_i32_e32 vcc, 0, v8
	s_and_b64 s[8:9], s[0:1], vcc
	v_mov_b32_e32 v10, 0xff800000
	s_and_saveexec_b64 s[2:3], s[8:9]
	s_cbranch_execz .LBB744_4
; %bb.3:
	global_load_ushort v4, v[6:7], off
	s_waitcnt vmcnt(0)
	v_lshlrev_b32_e32 v10, 16, v4
.LBB744_4:
	s_or_b64 exec, exec, s[2:3]
	v_cmp_lt_i32_e64 s[2:3], 1, v8
	s_and_b64 s[6:7], s[0:1], s[2:3]
	s_and_saveexec_b64 s[14:15], s[6:7]
	s_cbranch_execz .LBB744_6
; %bb.5:
	s_mov_b32 s11, 0
	s_lshl_b64 s[2:3], s[10:11], 1
	v_mov_b32_e32 v5, s3
	v_add_co_u32_e64 v4, s[2:3], s2, v6
	v_addc_co_u32_e64 v5, s[2:3], v7, v5, s[2:3]
	global_load_ushort v4, v[4:5], off
	s_waitcnt vmcnt(0)
	v_lshlrev_b32_e32 v9, 16, v4
.LBB744_6:
	s_or_b64 exec, exec, s[14:15]
	s_load_dwordx2 s[2:3], s[4:5], 0x20
	s_waitcnt lgkmcnt(0)
	v_mov_b32_e32 v5, s3
	v_add_co_u32_e64 v4, s[2:3], s2, v2
	v_addc_co_u32_e64 v5, s[2:3], v5, v3, s[2:3]
	v_mov_b32_e32 v2, 0xff800000
	s_and_saveexec_b64 s[4:5], s[8:9]
	s_cbranch_execz .LBB744_8
; %bb.7:
	global_load_ubyte v2, v[4:5], off
	v_mov_b32_e32 v3, 0xff800000
	s_waitcnt vmcnt(0)
	v_and_b32_e32 v2, 1, v2
	v_cmp_eq_u32_e64 s[2:3], 1, v2
	v_cndmask_b32_e64 v2, v10, v3, s[2:3]
.LBB744_8:
	s_or_b64 exec, exec, s[4:5]
	s_mov_b64 s[2:3], 0
	s_and_saveexec_b64 s[4:5], s[6:7]
	s_cbranch_execz .LBB744_10
; %bb.9:
	s_and_b64 s[2:3], s[16:17], exec
	s_cselect_b32 s2, 0, 0
	s_cselect_b32 s3, 0, s10
	v_mov_b32_e32 v3, s2
	v_add_co_u32_e64 v6, s[2:3], s3, v4
	v_addc_co_u32_e64 v7, s[2:3], v5, v3, s[2:3]
	global_load_ubyte v3, v[6:7], off
	s_waitcnt vmcnt(0)
	v_and_b32_e32 v3, 1, v3
	v_cmp_eq_u32_e64 s[2:3], 1, v3
	s_xor_b64 s[2:3], s[2:3], -1
	s_and_b64 s[2:3], s[2:3], exec
.LBB744_10:
	s_or_b64 exec, exec, s[4:5]
	v_mov_b32_e32 v3, 0xff800000
	v_cndmask_b32_e64 v11, v3, v9, s[2:3]
	v_cndmask_b32_e64 v12, v2, v2, s[2:3]
	s_mov_b32 s2, 0
	s_mov_b32 s3, s2
	v_mov_b32_e32 v6, 0
	v_pk_mov_b32 v[2:3], s[2:3], s[2:3] op_sel:[0,1]
	v_mov_b32_e32 v7, 0
	s_and_saveexec_b64 s[4:5], s[8:9]
	s_cbranch_execnz .LBB744_14
; %bb.11:
	s_or_b64 exec, exec, s[4:5]
	s_and_saveexec_b64 s[4:5], s[6:7]
	s_cbranch_execnz .LBB744_17
.LBB744_12:
	s_or_b64 exec, exec, s[4:5]
	s_and_saveexec_b64 s[2:3], vcc
	s_cbranch_execnz .LBB744_20
.LBB744_13:
	s_endpgm
.LBB744_14:
	global_load_ubyte v7, v[4:5], off
	v_pk_mov_b32 v[2:3], s[2:3], s[2:3] op_sel:[0,1]
	s_waitcnt vmcnt(0)
	v_and_b32_e32 v7, 1, v7
	v_cmp_eq_u32_e64 s[2:3], 1, v7
	s_xor_b64 s[2:3], s[2:3], -1
	v_mov_b32_e32 v7, 0
	s_and_saveexec_b64 s[8:9], s[2:3]
	s_cbranch_execz .LBB744_16
; %bb.15:
	v_sub_f32_e32 v2, v10, v12
	s_mov_b32 s2, 0x3fb8aa3b
	v_mul_f32_e32 v3, 0x3fb8aa3b, v2
	v_fma_f32 v7, v2, s2, -v3
	v_rndne_f32_e32 v10, v3
	v_fmac_f32_e32 v7, 0x32a5705f, v2
	v_sub_f32_e32 v3, v3, v10
	v_add_f32_e32 v3, v3, v7
	v_exp_f32_e32 v3, v3
	v_cvt_i32_f32_e32 v7, v10
	s_mov_b32 s2, 0xc2ce8ed0
	v_cmp_ngt_f32_e64 s[2:3], s2, v2
	v_mov_b32_e32 v10, 0x7f800000
	v_ldexp_f32 v7, v3, v7
	v_cndmask_b32_e64 v7, 0, v7, s[2:3]
	s_mov_b32 s2, 0x42b17218
	v_cmp_nlt_f32_e64 s[2:3], s2, v2
	v_cndmask_b32_e64 v2, v10, v7, s[2:3]
	v_mov_b32_e32 v3, 0
	v_mov_b32_e32 v7, v2
.LBB744_16:
	s_or_b64 exec, exec, s[8:9]
	s_or_b64 exec, exec, s[4:5]
	s_and_saveexec_b64 s[4:5], s[6:7]
	s_cbranch_execz .LBB744_12
.LBB744_17:
	s_and_b64 s[2:3], s[16:17], exec
	s_cselect_b32 s2, 0, 0
	s_cselect_b32 s3, 0, s10
	v_mov_b32_e32 v6, s2
	v_add_co_u32_e64 v4, s[2:3], s3, v4
	v_addc_co_u32_e64 v5, s[2:3], v5, v6, s[2:3]
	global_load_ubyte v4, v[4:5], off
	v_mov_b32_e32 v6, 0
	s_waitcnt vmcnt(0)
	v_and_b32_e32 v4, 1, v4
	v_cmp_eq_u32_e64 s[2:3], 1, v4
	s_xor_b64 s[2:3], s[2:3], -1
	s_and_saveexec_b64 s[6:7], s[2:3]
	s_cbranch_execz .LBB744_19
; %bb.18:
	v_sub_f32_e32 v4, v9, v11
	s_mov_b32 s2, 0x3fb8aa3b
	v_mul_f32_e32 v5, 0x3fb8aa3b, v4
	v_fma_f32 v6, v4, s2, -v5
	v_rndne_f32_e32 v9, v5
	v_fmac_f32_e32 v6, 0x32a5705f, v4
	v_sub_f32_e32 v5, v5, v9
	v_add_f32_e32 v5, v5, v6
	v_exp_f32_e32 v5, v5
	v_cvt_i32_f32_e32 v6, v9
	s_mov_b32 s2, 0xc2ce8ed0
	v_cmp_ngt_f32_e64 s[2:3], s2, v4
	v_ldexp_f32 v5, v5, v6
	v_cndmask_b32_e64 v5, 0, v5, s[2:3]
	s_mov_b32 s2, 0x42b17218
	v_mov_b32_e32 v6, 0x7f800000
	v_cmp_nlt_f32_e64 s[2:3], s2, v4
	v_cndmask_b32_e64 v6, v6, v5, s[2:3]
	v_add_f32_e32 v3, v3, v6
.LBB744_19:
	s_or_b64 exec, exec, s[6:7]
	s_or_b64 exec, exec, s[4:5]
	s_and_saveexec_b64 s[2:3], vcc
	s_cbranch_execz .LBB744_13
.LBB744_20:
	v_mov_b32_e32 v4, s13
	v_add_co_u32_e32 v0, vcc, s12, v0
	v_addc_co_u32_e32 v1, vcc, v4, v1, vcc
	s_and_saveexec_b64 s[2:3], s[0:1]
	s_cbranch_execz .LBB744_24
; %bb.21:
	v_cmp_neq_f32_e32 vcc, 0, v2
	v_mov_b32_e32 v4, 0x7fc0
	s_and_saveexec_b64 s[4:5], vcc
	s_cbranch_execz .LBB744_23
; %bb.22:
	v_div_scale_f32 v4, s[6:7], v2, v2, v7
	v_rcp_f32_e32 v5, v4
	v_div_scale_f32 v9, vcc, v7, v2, v7
	s_movk_i32 s6, 0x7fff
	v_fma_f32 v10, -v4, v5, 1.0
	v_fmac_f32_e32 v5, v10, v5
	v_mul_f32_e32 v10, v9, v5
	v_fma_f32 v11, -v4, v10, v9
	v_fmac_f32_e32 v10, v11, v5
	v_fma_f32 v4, -v4, v10, v9
	v_div_fmas_f32 v4, v4, v5, v10
	v_div_fixup_f32 v2, v4, v2, v7
	v_bfe_u32 v4, v2, 16, 1
	v_add3_u32 v4, v2, v4, s6
	v_lshrrev_b32_e32 v4, 16, v4
	v_mov_b32_e32 v5, 0x7fc0
	v_cmp_o_f32_e32 vcc, v2, v2
	v_cndmask_b32_e32 v4, v5, v4, vcc
.LBB744_23:
	s_or_b64 exec, exec, s[4:5]
	global_store_short v[0:1], v4, off
.LBB744_24:
	s_or_b64 exec, exec, s[2:3]
	v_cmp_ne_u32_e32 vcc, 1, v8
	s_and_b64 exec, exec, vcc
	s_cbranch_execz .LBB744_13
; %bb.25:
	s_and_b64 exec, exec, s[0:1]
	s_cbranch_execz .LBB744_13
; %bb.26:
	v_div_scale_f32 v2, s[0:1], v3, v3, v6
	v_rcp_f32_e32 v4, v2
	s_mov_b32 s11, 0
	v_cmp_eq_f32_e64 s[0:1], 0, v3
	s_movk_i32 s2, 0x7fff
	v_fma_f32 v5, -v2, v4, 1.0
	v_fmac_f32_e32 v4, v5, v4
	v_div_scale_f32 v5, vcc, v6, v3, v6
	v_mul_f32_e32 v7, v5, v4
	v_fma_f32 v8, -v2, v7, v5
	v_fmac_f32_e32 v7, v8, v4
	v_fma_f32 v2, -v2, v7, v5
	v_div_fmas_f32 v2, v2, v4, v7
	v_div_fixup_f32 v2, v2, v3, v6
	v_bfe_u32 v3, v2, 16, 1
	v_cmp_u_f32_e32 vcc, v2, v2
	v_add3_u32 v2, v2, v3, s2
	s_lshl_b64 s[2:3], s[10:11], 1
	v_mov_b32_e32 v3, s3
	v_add_co_u32_e64 v0, s[2:3], s2, v0
	v_lshrrev_b32_e32 v2, 16, v2
	v_addc_co_u32_e64 v1, s[2:3], v1, v3, s[2:3]
	v_mov_b32_e32 v3, 0x7fc0
	s_or_b64 vcc, s[0:1], vcc
	v_cndmask_b32_e32 v2, v2, v3, vcc
	global_store_short v[0:1], v2, off
	s_endpgm
	.section	.rodata,"a",@progbits
	.p2align	6, 0x0
	.amdhsa_kernel _ZN12_GLOBAL__N_120softmax_warp_forwardIN3c108BFloat16ES2_fLi0ELb0ELb1ELi64EEEvPT0_PKT_iiiPKbib
		.amdhsa_group_segment_fixed_size 0
		.amdhsa_private_segment_fixed_size 0
		.amdhsa_kernarg_size 304
		.amdhsa_user_sgpr_count 6
		.amdhsa_user_sgpr_private_segment_buffer 1
		.amdhsa_user_sgpr_dispatch_ptr 0
		.amdhsa_user_sgpr_queue_ptr 0
		.amdhsa_user_sgpr_kernarg_segment_ptr 1
		.amdhsa_user_sgpr_dispatch_id 0
		.amdhsa_user_sgpr_flat_scratch_init 0
		.amdhsa_user_sgpr_kernarg_preload_length 0
		.amdhsa_user_sgpr_kernarg_preload_offset 0
		.amdhsa_user_sgpr_private_segment_size 0
		.amdhsa_uses_dynamic_stack 0
		.amdhsa_system_sgpr_private_segment_wavefront_offset 0
		.amdhsa_system_sgpr_workgroup_id_x 1
		.amdhsa_system_sgpr_workgroup_id_y 0
		.amdhsa_system_sgpr_workgroup_id_z 0
		.amdhsa_system_sgpr_workgroup_info 0
		.amdhsa_system_vgpr_workitem_id 1
		.amdhsa_next_free_vgpr 13
		.amdhsa_next_free_sgpr 18
		.amdhsa_accum_offset 16
		.amdhsa_reserve_vcc 1
		.amdhsa_reserve_flat_scratch 0
		.amdhsa_float_round_mode_32 0
		.amdhsa_float_round_mode_16_64 0
		.amdhsa_float_denorm_mode_32 3
		.amdhsa_float_denorm_mode_16_64 3
		.amdhsa_dx10_clamp 1
		.amdhsa_ieee_mode 1
		.amdhsa_fp16_overflow 0
		.amdhsa_tg_split 0
		.amdhsa_exception_fp_ieee_invalid_op 0
		.amdhsa_exception_fp_denorm_src 0
		.amdhsa_exception_fp_ieee_div_zero 0
		.amdhsa_exception_fp_ieee_overflow 0
		.amdhsa_exception_fp_ieee_underflow 0
		.amdhsa_exception_fp_ieee_inexact 0
		.amdhsa_exception_int_div_zero 0
	.end_amdhsa_kernel
	.section	.text._ZN12_GLOBAL__N_120softmax_warp_forwardIN3c108BFloat16ES2_fLi0ELb0ELb1ELi64EEEvPT0_PKT_iiiPKbib,"axG",@progbits,_ZN12_GLOBAL__N_120softmax_warp_forwardIN3c108BFloat16ES2_fLi0ELb0ELb1ELi64EEEvPT0_PKT_iiiPKbib,comdat
.Lfunc_end744:
	.size	_ZN12_GLOBAL__N_120softmax_warp_forwardIN3c108BFloat16ES2_fLi0ELb0ELb1ELi64EEEvPT0_PKT_iiiPKbib, .Lfunc_end744-_ZN12_GLOBAL__N_120softmax_warp_forwardIN3c108BFloat16ES2_fLi0ELb0ELb1ELi64EEEvPT0_PKT_iiiPKbib
                                        ; -- End function
	.section	.AMDGPU.csdata,"",@progbits
; Kernel info:
; codeLenInByte = 1412
; NumSgprs: 22
; NumVgprs: 13
; NumAgprs: 0
; TotalNumVgprs: 13
; ScratchSize: 0
; MemoryBound: 0
; FloatMode: 240
; IeeeMode: 1
; LDSByteSize: 0 bytes/workgroup (compile time only)
; SGPRBlocks: 2
; VGPRBlocks: 1
; NumSGPRsForWavesPerEU: 22
; NumVGPRsForWavesPerEU: 13
; AccumOffset: 16
; Occupancy: 8
; WaveLimiterHint : 0
; COMPUTE_PGM_RSRC2:SCRATCH_EN: 0
; COMPUTE_PGM_RSRC2:USER_SGPR: 6
; COMPUTE_PGM_RSRC2:TRAP_HANDLER: 0
; COMPUTE_PGM_RSRC2:TGID_X_EN: 1
; COMPUTE_PGM_RSRC2:TGID_Y_EN: 0
; COMPUTE_PGM_RSRC2:TGID_Z_EN: 0
; COMPUTE_PGM_RSRC2:TIDIG_COMP_CNT: 1
; COMPUTE_PGM_RSRC3_GFX90A:ACCUM_OFFSET: 3
; COMPUTE_PGM_RSRC3_GFX90A:TG_SPLIT: 0
	.section	.text._ZN12_GLOBAL__N_120softmax_warp_forwardIN3c108BFloat16ES2_fLi0ELb0ELb1ELi32EEEvPT0_PKT_iiiPKbib,"axG",@progbits,_ZN12_GLOBAL__N_120softmax_warp_forwardIN3c108BFloat16ES2_fLi0ELb0ELb1ELi32EEEvPT0_PKT_iiiPKbib,comdat
	.globl	_ZN12_GLOBAL__N_120softmax_warp_forwardIN3c108BFloat16ES2_fLi0ELb0ELb1ELi32EEEvPT0_PKT_iiiPKbib ; -- Begin function _ZN12_GLOBAL__N_120softmax_warp_forwardIN3c108BFloat16ES2_fLi0ELb0ELb1ELi32EEEvPT0_PKT_iiiPKbib
	.p2align	8
	.type	_ZN12_GLOBAL__N_120softmax_warp_forwardIN3c108BFloat16ES2_fLi0ELb0ELb1ELi32EEEvPT0_PKT_iiiPKbib,@function
_ZN12_GLOBAL__N_120softmax_warp_forwardIN3c108BFloat16ES2_fLi0ELb0ELb1ELi32EEEvPT0_PKT_iiiPKbib: ; @_ZN12_GLOBAL__N_120softmax_warp_forwardIN3c108BFloat16ES2_fLi0ELb0ELb1ELi32EEEvPT0_PKT_iiiPKbib
; %bb.0:
	s_load_dwordx2 s[0:1], s[4:5], 0x28
	s_load_dword s2, s[4:5], 0x3c
	s_load_dwordx4 s[8:11], s[4:5], 0x10
	v_bfe_u32 v1, v0, 10, 10
	v_and_b32_e32 v4, 0x3ff, v0
	s_waitcnt lgkmcnt(0)
	s_bitcmp1_b32 s1, 0
	s_cselect_b64 s[16:17], -1, 0
	s_lshr_b32 s2, s2, 16
	s_mul_i32 s6, s6, s2
	v_add_lshl_u32 v5, s6, v1, 1
	v_mul_lo_u32 v6, v5, s9
	v_add_u32_e32 v0, v6, v4
	v_ashrrev_i32_e32 v1, 31, v0
	s_bitcmp0_b32 s1, 0
	v_pk_mov_b32 v[2:3], v[0:1], v[0:1] op_sel:[0,1]
	s_cbranch_scc1 .LBB745_2
; %bb.1:
	s_abs_i32 s1, s0
	v_cvt_f32_u32_e32 v2, s1
	v_xor_b32_e32 v3, s0, v6
	v_sub_u32_e32 v7, 0, v6
	s_sub_i32 s0, 0, s1
	v_rcp_iflag_f32_e32 v2, v2
	v_max_i32_e32 v6, v6, v7
	v_ashrrev_i32_e32 v3, 31, v3
	v_mul_f32_e32 v2, 0x4f7ffffe, v2
	v_cvt_u32_f32_e32 v2, v2
	v_mul_lo_u32 v7, s0, v2
	v_mul_hi_u32 v7, v2, v7
	v_add_u32_e32 v2, v2, v7
	v_mul_hi_u32 v2, v6, v2
	v_mul_lo_u32 v7, v2, s1
	v_sub_u32_e32 v6, v6, v7
	v_add_u32_e32 v8, 1, v2
	v_cmp_le_u32_e32 vcc, s1, v6
	v_subrev_u32_e32 v7, s1, v6
	v_cndmask_b32_e32 v2, v2, v8, vcc
	v_cndmask_b32_e32 v6, v6, v7, vcc
	v_add_u32_e32 v7, 1, v2
	v_cmp_le_u32_e32 vcc, s1, v6
	v_cndmask_b32_e32 v2, v2, v7, vcc
	v_xor_b32_e32 v2, v2, v3
	v_sub_u32_e32 v2, v2, v3
	v_mad_u64_u32 v[2:3], s[0:1], v2, s9, v[4:5]
	v_ashrrev_i32_e32 v3, 31, v2
.LBB745_2:
	s_load_dwordx4 s[12:15], s[4:5], 0x0
	v_lshlrev_b64 v[0:1], 1, v[0:1]
	v_sub_u32_e32 v8, s8, v5
	v_cmp_gt_i32_e64 s[0:1], s10, v4
	v_mov_b32_e32 v9, 0xff800000
	s_waitcnt lgkmcnt(0)
	v_mov_b32_e32 v5, s15
	v_add_co_u32_e32 v6, vcc, s14, v0
	v_addc_co_u32_e32 v7, vcc, v5, v1, vcc
	v_cmp_lt_i32_e32 vcc, 0, v8
	s_and_b64 s[8:9], s[0:1], vcc
	v_mov_b32_e32 v10, 0xff800000
	s_and_saveexec_b64 s[2:3], s[8:9]
	s_cbranch_execz .LBB745_4
; %bb.3:
	global_load_ushort v4, v[6:7], off
	s_waitcnt vmcnt(0)
	v_lshlrev_b32_e32 v10, 16, v4
.LBB745_4:
	s_or_b64 exec, exec, s[2:3]
	v_cmp_lt_i32_e64 s[2:3], 1, v8
	s_and_b64 s[6:7], s[0:1], s[2:3]
	s_and_saveexec_b64 s[14:15], s[6:7]
	s_cbranch_execz .LBB745_6
; %bb.5:
	s_mov_b32 s11, 0
	s_lshl_b64 s[2:3], s[10:11], 1
	v_mov_b32_e32 v5, s3
	v_add_co_u32_e64 v4, s[2:3], s2, v6
	v_addc_co_u32_e64 v5, s[2:3], v7, v5, s[2:3]
	global_load_ushort v4, v[4:5], off
	s_waitcnt vmcnt(0)
	v_lshlrev_b32_e32 v9, 16, v4
.LBB745_6:
	s_or_b64 exec, exec, s[14:15]
	s_load_dwordx2 s[2:3], s[4:5], 0x20
	s_waitcnt lgkmcnt(0)
	v_mov_b32_e32 v5, s3
	v_add_co_u32_e64 v4, s[2:3], s2, v2
	v_addc_co_u32_e64 v5, s[2:3], v5, v3, s[2:3]
	v_mov_b32_e32 v2, 0xff800000
	s_and_saveexec_b64 s[4:5], s[8:9]
	s_cbranch_execz .LBB745_8
; %bb.7:
	global_load_ubyte v2, v[4:5], off
	v_mov_b32_e32 v3, 0xff800000
	s_waitcnt vmcnt(0)
	v_and_b32_e32 v2, 1, v2
	v_cmp_eq_u32_e64 s[2:3], 1, v2
	v_cndmask_b32_e64 v2, v10, v3, s[2:3]
.LBB745_8:
	s_or_b64 exec, exec, s[4:5]
	s_mov_b64 s[2:3], 0
	s_and_saveexec_b64 s[4:5], s[6:7]
	s_cbranch_execz .LBB745_10
; %bb.9:
	s_and_b64 s[2:3], s[16:17], exec
	s_cselect_b32 s2, 0, 0
	s_cselect_b32 s3, 0, s10
	v_mov_b32_e32 v3, s2
	v_add_co_u32_e64 v6, s[2:3], s3, v4
	v_addc_co_u32_e64 v7, s[2:3], v5, v3, s[2:3]
	global_load_ubyte v3, v[6:7], off
	s_waitcnt vmcnt(0)
	v_and_b32_e32 v3, 1, v3
	v_cmp_eq_u32_e64 s[2:3], 1, v3
	s_xor_b64 s[2:3], s[2:3], -1
	s_and_b64 s[2:3], s[2:3], exec
.LBB745_10:
	s_or_b64 exec, exec, s[4:5]
	v_mov_b32_e32 v3, 0xff800000
	v_cndmask_b32_e64 v11, v3, v9, s[2:3]
	v_cndmask_b32_e64 v12, v2, v2, s[2:3]
	s_mov_b32 s2, 0
	s_mov_b32 s3, s2
	v_mov_b32_e32 v6, 0
	v_pk_mov_b32 v[2:3], s[2:3], s[2:3] op_sel:[0,1]
	v_mov_b32_e32 v7, 0
	s_and_saveexec_b64 s[4:5], s[8:9]
	s_cbranch_execnz .LBB745_14
; %bb.11:
	s_or_b64 exec, exec, s[4:5]
	s_and_saveexec_b64 s[4:5], s[6:7]
	s_cbranch_execnz .LBB745_17
.LBB745_12:
	s_or_b64 exec, exec, s[4:5]
	s_and_saveexec_b64 s[2:3], vcc
	s_cbranch_execnz .LBB745_20
.LBB745_13:
	s_endpgm
.LBB745_14:
	global_load_ubyte v7, v[4:5], off
	v_pk_mov_b32 v[2:3], s[2:3], s[2:3] op_sel:[0,1]
	s_waitcnt vmcnt(0)
	v_and_b32_e32 v7, 1, v7
	v_cmp_eq_u32_e64 s[2:3], 1, v7
	s_xor_b64 s[2:3], s[2:3], -1
	v_mov_b32_e32 v7, 0
	s_and_saveexec_b64 s[8:9], s[2:3]
	s_cbranch_execz .LBB745_16
; %bb.15:
	v_sub_f32_e32 v2, v10, v12
	s_mov_b32 s2, 0x3fb8aa3b
	v_mul_f32_e32 v3, 0x3fb8aa3b, v2
	v_fma_f32 v7, v2, s2, -v3
	v_rndne_f32_e32 v10, v3
	v_fmac_f32_e32 v7, 0x32a5705f, v2
	v_sub_f32_e32 v3, v3, v10
	v_add_f32_e32 v3, v3, v7
	v_exp_f32_e32 v3, v3
	v_cvt_i32_f32_e32 v7, v10
	s_mov_b32 s2, 0xc2ce8ed0
	v_cmp_ngt_f32_e64 s[2:3], s2, v2
	v_mov_b32_e32 v10, 0x7f800000
	v_ldexp_f32 v7, v3, v7
	v_cndmask_b32_e64 v7, 0, v7, s[2:3]
	s_mov_b32 s2, 0x42b17218
	v_cmp_nlt_f32_e64 s[2:3], s2, v2
	v_cndmask_b32_e64 v2, v10, v7, s[2:3]
	v_mov_b32_e32 v3, 0
	v_mov_b32_e32 v7, v2
.LBB745_16:
	s_or_b64 exec, exec, s[8:9]
	s_or_b64 exec, exec, s[4:5]
	s_and_saveexec_b64 s[4:5], s[6:7]
	s_cbranch_execz .LBB745_12
.LBB745_17:
	s_and_b64 s[2:3], s[16:17], exec
	s_cselect_b32 s2, 0, 0
	s_cselect_b32 s3, 0, s10
	v_mov_b32_e32 v6, s2
	v_add_co_u32_e64 v4, s[2:3], s3, v4
	v_addc_co_u32_e64 v5, s[2:3], v5, v6, s[2:3]
	global_load_ubyte v4, v[4:5], off
	v_mov_b32_e32 v6, 0
	s_waitcnt vmcnt(0)
	v_and_b32_e32 v4, 1, v4
	v_cmp_eq_u32_e64 s[2:3], 1, v4
	s_xor_b64 s[2:3], s[2:3], -1
	s_and_saveexec_b64 s[6:7], s[2:3]
	s_cbranch_execz .LBB745_19
; %bb.18:
	v_sub_f32_e32 v4, v9, v11
	s_mov_b32 s2, 0x3fb8aa3b
	v_mul_f32_e32 v5, 0x3fb8aa3b, v4
	v_fma_f32 v6, v4, s2, -v5
	v_rndne_f32_e32 v9, v5
	v_fmac_f32_e32 v6, 0x32a5705f, v4
	v_sub_f32_e32 v5, v5, v9
	v_add_f32_e32 v5, v5, v6
	v_exp_f32_e32 v5, v5
	v_cvt_i32_f32_e32 v6, v9
	s_mov_b32 s2, 0xc2ce8ed0
	v_cmp_ngt_f32_e64 s[2:3], s2, v4
	v_ldexp_f32 v5, v5, v6
	v_cndmask_b32_e64 v5, 0, v5, s[2:3]
	s_mov_b32 s2, 0x42b17218
	v_mov_b32_e32 v6, 0x7f800000
	v_cmp_nlt_f32_e64 s[2:3], s2, v4
	v_cndmask_b32_e64 v6, v6, v5, s[2:3]
	v_add_f32_e32 v3, v3, v6
.LBB745_19:
	s_or_b64 exec, exec, s[6:7]
	s_or_b64 exec, exec, s[4:5]
	s_and_saveexec_b64 s[2:3], vcc
	s_cbranch_execz .LBB745_13
.LBB745_20:
	v_mov_b32_e32 v4, s13
	v_add_co_u32_e32 v0, vcc, s12, v0
	v_addc_co_u32_e32 v1, vcc, v4, v1, vcc
	s_and_saveexec_b64 s[2:3], s[0:1]
	s_cbranch_execz .LBB745_24
; %bb.21:
	v_cmp_neq_f32_e32 vcc, 0, v2
	v_mov_b32_e32 v4, 0x7fc0
	s_and_saveexec_b64 s[4:5], vcc
	s_cbranch_execz .LBB745_23
; %bb.22:
	v_div_scale_f32 v4, s[6:7], v2, v2, v7
	v_rcp_f32_e32 v5, v4
	v_div_scale_f32 v9, vcc, v7, v2, v7
	s_movk_i32 s6, 0x7fff
	v_fma_f32 v10, -v4, v5, 1.0
	v_fmac_f32_e32 v5, v10, v5
	v_mul_f32_e32 v10, v9, v5
	v_fma_f32 v11, -v4, v10, v9
	v_fmac_f32_e32 v10, v11, v5
	v_fma_f32 v4, -v4, v10, v9
	v_div_fmas_f32 v4, v4, v5, v10
	v_div_fixup_f32 v2, v4, v2, v7
	v_bfe_u32 v4, v2, 16, 1
	v_add3_u32 v4, v2, v4, s6
	v_lshrrev_b32_e32 v4, 16, v4
	v_mov_b32_e32 v5, 0x7fc0
	v_cmp_o_f32_e32 vcc, v2, v2
	v_cndmask_b32_e32 v4, v5, v4, vcc
.LBB745_23:
	s_or_b64 exec, exec, s[4:5]
	global_store_short v[0:1], v4, off
.LBB745_24:
	s_or_b64 exec, exec, s[2:3]
	v_cmp_ne_u32_e32 vcc, 1, v8
	s_and_b64 exec, exec, vcc
	s_cbranch_execz .LBB745_13
; %bb.25:
	s_and_b64 exec, exec, s[0:1]
	s_cbranch_execz .LBB745_13
; %bb.26:
	v_div_scale_f32 v2, s[0:1], v3, v3, v6
	v_rcp_f32_e32 v4, v2
	s_mov_b32 s11, 0
	v_cmp_eq_f32_e64 s[0:1], 0, v3
	s_movk_i32 s2, 0x7fff
	v_fma_f32 v5, -v2, v4, 1.0
	v_fmac_f32_e32 v4, v5, v4
	v_div_scale_f32 v5, vcc, v6, v3, v6
	v_mul_f32_e32 v7, v5, v4
	v_fma_f32 v8, -v2, v7, v5
	v_fmac_f32_e32 v7, v8, v4
	v_fma_f32 v2, -v2, v7, v5
	v_div_fmas_f32 v2, v2, v4, v7
	v_div_fixup_f32 v2, v2, v3, v6
	v_bfe_u32 v3, v2, 16, 1
	v_cmp_u_f32_e32 vcc, v2, v2
	v_add3_u32 v2, v2, v3, s2
	s_lshl_b64 s[2:3], s[10:11], 1
	v_mov_b32_e32 v3, s3
	v_add_co_u32_e64 v0, s[2:3], s2, v0
	v_lshrrev_b32_e32 v2, 16, v2
	v_addc_co_u32_e64 v1, s[2:3], v1, v3, s[2:3]
	v_mov_b32_e32 v3, 0x7fc0
	s_or_b64 vcc, s[0:1], vcc
	v_cndmask_b32_e32 v2, v2, v3, vcc
	global_store_short v[0:1], v2, off
	s_endpgm
	.section	.rodata,"a",@progbits
	.p2align	6, 0x0
	.amdhsa_kernel _ZN12_GLOBAL__N_120softmax_warp_forwardIN3c108BFloat16ES2_fLi0ELb0ELb1ELi32EEEvPT0_PKT_iiiPKbib
		.amdhsa_group_segment_fixed_size 0
		.amdhsa_private_segment_fixed_size 0
		.amdhsa_kernarg_size 304
		.amdhsa_user_sgpr_count 6
		.amdhsa_user_sgpr_private_segment_buffer 1
		.amdhsa_user_sgpr_dispatch_ptr 0
		.amdhsa_user_sgpr_queue_ptr 0
		.amdhsa_user_sgpr_kernarg_segment_ptr 1
		.amdhsa_user_sgpr_dispatch_id 0
		.amdhsa_user_sgpr_flat_scratch_init 0
		.amdhsa_user_sgpr_kernarg_preload_length 0
		.amdhsa_user_sgpr_kernarg_preload_offset 0
		.amdhsa_user_sgpr_private_segment_size 0
		.amdhsa_uses_dynamic_stack 0
		.amdhsa_system_sgpr_private_segment_wavefront_offset 0
		.amdhsa_system_sgpr_workgroup_id_x 1
		.amdhsa_system_sgpr_workgroup_id_y 0
		.amdhsa_system_sgpr_workgroup_id_z 0
		.amdhsa_system_sgpr_workgroup_info 0
		.amdhsa_system_vgpr_workitem_id 1
		.amdhsa_next_free_vgpr 13
		.amdhsa_next_free_sgpr 18
		.amdhsa_accum_offset 16
		.amdhsa_reserve_vcc 1
		.amdhsa_reserve_flat_scratch 0
		.amdhsa_float_round_mode_32 0
		.amdhsa_float_round_mode_16_64 0
		.amdhsa_float_denorm_mode_32 3
		.amdhsa_float_denorm_mode_16_64 3
		.amdhsa_dx10_clamp 1
		.amdhsa_ieee_mode 1
		.amdhsa_fp16_overflow 0
		.amdhsa_tg_split 0
		.amdhsa_exception_fp_ieee_invalid_op 0
		.amdhsa_exception_fp_denorm_src 0
		.amdhsa_exception_fp_ieee_div_zero 0
		.amdhsa_exception_fp_ieee_overflow 0
		.amdhsa_exception_fp_ieee_underflow 0
		.amdhsa_exception_fp_ieee_inexact 0
		.amdhsa_exception_int_div_zero 0
	.end_amdhsa_kernel
	.section	.text._ZN12_GLOBAL__N_120softmax_warp_forwardIN3c108BFloat16ES2_fLi0ELb0ELb1ELi32EEEvPT0_PKT_iiiPKbib,"axG",@progbits,_ZN12_GLOBAL__N_120softmax_warp_forwardIN3c108BFloat16ES2_fLi0ELb0ELb1ELi32EEEvPT0_PKT_iiiPKbib,comdat
.Lfunc_end745:
	.size	_ZN12_GLOBAL__N_120softmax_warp_forwardIN3c108BFloat16ES2_fLi0ELb0ELb1ELi32EEEvPT0_PKT_iiiPKbib, .Lfunc_end745-_ZN12_GLOBAL__N_120softmax_warp_forwardIN3c108BFloat16ES2_fLi0ELb0ELb1ELi32EEEvPT0_PKT_iiiPKbib
                                        ; -- End function
	.section	.AMDGPU.csdata,"",@progbits
; Kernel info:
; codeLenInByte = 1412
; NumSgprs: 22
; NumVgprs: 13
; NumAgprs: 0
; TotalNumVgprs: 13
; ScratchSize: 0
; MemoryBound: 0
; FloatMode: 240
; IeeeMode: 1
; LDSByteSize: 0 bytes/workgroup (compile time only)
; SGPRBlocks: 2
; VGPRBlocks: 1
; NumSGPRsForWavesPerEU: 22
; NumVGPRsForWavesPerEU: 13
; AccumOffset: 16
; Occupancy: 8
; WaveLimiterHint : 0
; COMPUTE_PGM_RSRC2:SCRATCH_EN: 0
; COMPUTE_PGM_RSRC2:USER_SGPR: 6
; COMPUTE_PGM_RSRC2:TRAP_HANDLER: 0
; COMPUTE_PGM_RSRC2:TGID_X_EN: 1
; COMPUTE_PGM_RSRC2:TGID_Y_EN: 0
; COMPUTE_PGM_RSRC2:TGID_Z_EN: 0
; COMPUTE_PGM_RSRC2:TIDIG_COMP_CNT: 1
; COMPUTE_PGM_RSRC3_GFX90A:ACCUM_OFFSET: 3
; COMPUTE_PGM_RSRC3_GFX90A:TG_SPLIT: 0
	.section	.text._ZN12_GLOBAL__N_120softmax_warp_forwardIN3c108BFloat16ES2_fLi1ELb0ELb1ELi64EEEvPT0_PKT_iiiPKbib,"axG",@progbits,_ZN12_GLOBAL__N_120softmax_warp_forwardIN3c108BFloat16ES2_fLi1ELb0ELb1ELi64EEEvPT0_PKT_iiiPKbib,comdat
	.globl	_ZN12_GLOBAL__N_120softmax_warp_forwardIN3c108BFloat16ES2_fLi1ELb0ELb1ELi64EEEvPT0_PKT_iiiPKbib ; -- Begin function _ZN12_GLOBAL__N_120softmax_warp_forwardIN3c108BFloat16ES2_fLi1ELb0ELb1ELi64EEEvPT0_PKT_iiiPKbib
	.p2align	8
	.type	_ZN12_GLOBAL__N_120softmax_warp_forwardIN3c108BFloat16ES2_fLi1ELb0ELb1ELi64EEEvPT0_PKT_iiiPKbib,@function
_ZN12_GLOBAL__N_120softmax_warp_forwardIN3c108BFloat16ES2_fLi1ELb0ELb1ELi64EEEvPT0_PKT_iiiPKbib: ; @_ZN12_GLOBAL__N_120softmax_warp_forwardIN3c108BFloat16ES2_fLi1ELb0ELb1ELi64EEEvPT0_PKT_iiiPKbib
; %bb.0:
	s_load_dwordx2 s[0:1], s[4:5], 0x28
	s_load_dword s2, s[4:5], 0x3c
	s_load_dwordx4 s[8:11], s[4:5], 0x10
	v_bfe_u32 v1, v0, 10, 10
	v_and_b32_e32 v4, 0x3ff, v0
	s_waitcnt lgkmcnt(0)
	s_bitcmp1_b32 s1, 0
	s_cselect_b64 s[16:17], -1, 0
	s_lshr_b32 s2, s2, 16
	s_mul_i32 s6, s6, s2
	v_add_lshl_u32 v5, s6, v1, 1
	v_mul_lo_u32 v6, v5, s9
	v_add_u32_e32 v0, v6, v4
	v_ashrrev_i32_e32 v1, 31, v0
	s_bitcmp0_b32 s1, 0
	v_pk_mov_b32 v[2:3], v[0:1], v[0:1] op_sel:[0,1]
	s_cbranch_scc1 .LBB746_2
; %bb.1:
	s_abs_i32 s1, s0
	v_cvt_f32_u32_e32 v2, s1
	v_xor_b32_e32 v3, s0, v6
	v_sub_u32_e32 v7, 0, v6
	s_sub_i32 s0, 0, s1
	v_rcp_iflag_f32_e32 v2, v2
	v_max_i32_e32 v6, v6, v7
	v_ashrrev_i32_e32 v3, 31, v3
	v_mul_f32_e32 v2, 0x4f7ffffe, v2
	v_cvt_u32_f32_e32 v2, v2
	v_mul_lo_u32 v7, s0, v2
	v_mul_hi_u32 v7, v2, v7
	v_add_u32_e32 v2, v2, v7
	v_mul_hi_u32 v2, v6, v2
	v_mul_lo_u32 v7, v2, s1
	v_sub_u32_e32 v6, v6, v7
	v_add_u32_e32 v8, 1, v2
	v_cmp_le_u32_e32 vcc, s1, v6
	v_subrev_u32_e32 v7, s1, v6
	v_cndmask_b32_e32 v2, v2, v8, vcc
	v_cndmask_b32_e32 v6, v6, v7, vcc
	v_add_u32_e32 v7, 1, v2
	v_cmp_le_u32_e32 vcc, s1, v6
	v_cndmask_b32_e32 v2, v2, v7, vcc
	v_xor_b32_e32 v2, v2, v3
	v_sub_u32_e32 v2, v2, v3
	v_mad_u64_u32 v[2:3], s[0:1], v2, s9, v[4:5]
	v_ashrrev_i32_e32 v3, 31, v2
.LBB746_2:
	s_load_dwordx4 s[12:15], s[4:5], 0x0
	v_lshlrev_b64 v[0:1], 1, v[0:1]
	v_sub_u32_e32 v8, s8, v5
	v_cmp_gt_i32_e64 s[0:1], s10, v4
	v_mov_b32_e32 v9, 0xff800000
	s_waitcnt lgkmcnt(0)
	v_mov_b32_e32 v5, s15
	v_add_co_u32_e32 v6, vcc, s14, v0
	v_addc_co_u32_e32 v7, vcc, v5, v1, vcc
	v_cmp_lt_i32_e32 vcc, 0, v8
	s_and_b64 s[8:9], s[0:1], vcc
	v_mov_b32_e32 v10, 0xff800000
	s_and_saveexec_b64 s[2:3], s[8:9]
	s_cbranch_execz .LBB746_4
; %bb.3:
	global_load_ushort v4, v[6:7], off
	s_waitcnt vmcnt(0)
	v_lshlrev_b32_e32 v10, 16, v4
.LBB746_4:
	s_or_b64 exec, exec, s[2:3]
	v_cmp_lt_i32_e64 s[2:3], 1, v8
	s_and_b64 s[6:7], s[0:1], s[2:3]
	s_and_saveexec_b64 s[14:15], s[6:7]
	s_cbranch_execz .LBB746_6
; %bb.5:
	s_mov_b32 s11, 0
	s_lshl_b64 s[2:3], s[10:11], 1
	v_mov_b32_e32 v5, s3
	v_add_co_u32_e64 v4, s[2:3], s2, v6
	v_addc_co_u32_e64 v5, s[2:3], v7, v5, s[2:3]
	global_load_ushort v4, v[4:5], off
	s_waitcnt vmcnt(0)
	v_lshlrev_b32_e32 v9, 16, v4
.LBB746_6:
	s_or_b64 exec, exec, s[14:15]
	s_load_dwordx2 s[2:3], s[4:5], 0x20
	s_waitcnt lgkmcnt(0)
	v_mov_b32_e32 v4, s3
	v_add_co_u32_e64 v2, s[2:3], s2, v2
	v_addc_co_u32_e64 v3, s[2:3], v4, v3, s[2:3]
	v_mov_b32_e32 v4, 0xff800000
	s_and_saveexec_b64 s[4:5], s[8:9]
	s_cbranch_execz .LBB746_8
; %bb.7:
	global_load_ubyte v4, v[2:3], off
	v_mov_b32_e32 v5, 0xff800000
	s_waitcnt vmcnt(0)
	v_and_b32_e32 v4, 1, v4
	v_cmp_eq_u32_e64 s[2:3], 1, v4
	v_cndmask_b32_e64 v4, v10, v5, s[2:3]
.LBB746_8:
	s_or_b64 exec, exec, s[4:5]
	s_mov_b64 s[2:3], 0
	s_and_saveexec_b64 s[4:5], s[6:7]
	s_cbranch_execz .LBB746_10
; %bb.9:
	s_and_b64 s[2:3], s[16:17], exec
	s_cselect_b32 s2, 0, 0
	s_cselect_b32 s3, 0, s10
	v_mov_b32_e32 v5, s2
	v_add_co_u32_e64 v6, s[2:3], s3, v2
	v_addc_co_u32_e64 v7, s[2:3], v3, v5, s[2:3]
	global_load_ubyte v5, v[6:7], off
	s_waitcnt vmcnt(0)
	v_and_b32_e32 v5, 1, v5
	v_cmp_eq_u32_e64 s[2:3], 1, v5
	s_xor_b64 s[2:3], s[2:3], -1
	s_and_b64 s[2:3], s[2:3], exec
.LBB746_10:
	s_or_b64 exec, exec, s[4:5]
	v_cndmask_b32_e64 v14, v4, v4, s[2:3]
	v_mbcnt_lo_u32_b32 v4, -1, 0
	v_mbcnt_hi_u32_b32 v4, -1, v4
	v_mov_b32_e32 v5, 0xff800000
	v_and_b32_e32 v6, 0x7e, v4
	v_cndmask_b32_e64 v12, v5, v9, s[2:3]
	v_xor_b32_e32 v5, 1, v4
	v_add_u32_e32 v6, 2, v6
	v_cmp_lt_i32_e64 s[2:3], v5, v6
	v_cndmask_b32_e64 v4, v4, v5, s[2:3]
	v_lshlrev_b32_e32 v11, 2, v4
	ds_bpermute_b32 v15, v11, v14
	ds_bpermute_b32 v13, v11, v12
	s_mov_b32 s14, 0
	s_mov_b32 s15, s14
	v_mov_b32_e32 v6, 0
	v_pk_mov_b32 v[4:5], s[14:15], s[14:15] op_sel:[0,1]
	v_mov_b32_e32 v7, 0
	s_and_saveexec_b64 s[4:5], s[8:9]
	s_cbranch_execz .LBB746_14
; %bb.11:
	global_load_ubyte v7, v[2:3], off
	v_pk_mov_b32 v[4:5], s[14:15], s[14:15] op_sel:[0,1]
	s_waitcnt vmcnt(0)
	v_and_b32_e32 v7, 1, v7
	v_cmp_eq_u32_e64 s[2:3], 1, v7
	s_xor_b64 s[2:3], s[2:3], -1
	v_mov_b32_e32 v7, 0
	s_and_saveexec_b64 s[8:9], s[2:3]
	s_cbranch_execz .LBB746_13
; %bb.12:
	s_waitcnt lgkmcnt(1)
	v_cmp_lt_f32_e64 s[2:3], v14, v15
	v_cndmask_b32_e64 v4, v14, v15, s[2:3]
	v_sub_f32_e32 v4, v10, v4
	s_mov_b32 s2, 0x3fb8aa3b
	v_mul_f32_e32 v5, 0x3fb8aa3b, v4
	v_fma_f32 v7, v4, s2, -v5
	v_rndne_f32_e32 v10, v5
	v_fmac_f32_e32 v7, 0x32a5705f, v4
	v_sub_f32_e32 v5, v5, v10
	v_add_f32_e32 v5, v5, v7
	v_exp_f32_e32 v5, v5
	v_cvt_i32_f32_e32 v7, v10
	s_mov_b32 s2, 0xc2ce8ed0
	v_cmp_ngt_f32_e64 s[2:3], s2, v4
	v_mov_b32_e32 v10, 0x7f800000
	v_ldexp_f32 v7, v5, v7
	v_cndmask_b32_e64 v7, 0, v7, s[2:3]
	s_mov_b32 s2, 0x42b17218
	v_cmp_nlt_f32_e64 s[2:3], s2, v4
	v_cndmask_b32_e64 v4, v10, v7, s[2:3]
	v_mov_b32_e32 v5, 0
	v_mov_b32_e32 v7, v4
.LBB746_13:
	s_or_b64 exec, exec, s[8:9]
.LBB746_14:
	s_or_b64 exec, exec, s[4:5]
	s_and_saveexec_b64 s[4:5], s[6:7]
	s_cbranch_execz .LBB746_18
; %bb.15:
	s_and_b64 s[2:3], s[16:17], exec
	s_cselect_b32 s2, 0, 0
	s_cselect_b32 s3, 0, s10
	v_mov_b32_e32 v6, s2
	v_add_co_u32_e64 v2, s[2:3], s3, v2
	v_addc_co_u32_e64 v3, s[2:3], v3, v6, s[2:3]
	global_load_ubyte v2, v[2:3], off
	v_mov_b32_e32 v6, 0
	s_waitcnt vmcnt(0)
	v_and_b32_e32 v2, 1, v2
	v_cmp_eq_u32_e64 s[2:3], 1, v2
	s_xor_b64 s[2:3], s[2:3], -1
	s_and_saveexec_b64 s[6:7], s[2:3]
	s_cbranch_execz .LBB746_17
; %bb.16:
	s_waitcnt lgkmcnt(0)
	v_cmp_lt_f32_e64 s[2:3], v12, v13
	v_cndmask_b32_e64 v2, v12, v13, s[2:3]
	v_sub_f32_e32 v2, v9, v2
	s_mov_b32 s2, 0x3fb8aa3b
	v_mul_f32_e32 v3, 0x3fb8aa3b, v2
	v_fma_f32 v6, v2, s2, -v3
	v_rndne_f32_e32 v9, v3
	v_fmac_f32_e32 v6, 0x32a5705f, v2
	v_sub_f32_e32 v3, v3, v9
	v_add_f32_e32 v3, v3, v6
	v_exp_f32_e32 v3, v3
	v_cvt_i32_f32_e32 v6, v9
	s_mov_b32 s2, 0xc2ce8ed0
	v_cmp_ngt_f32_e64 s[2:3], s2, v2
	v_ldexp_f32 v3, v3, v6
	v_cndmask_b32_e64 v3, 0, v3, s[2:3]
	s_mov_b32 s2, 0x42b17218
	v_mov_b32_e32 v6, 0x7f800000
	v_cmp_nlt_f32_e64 s[2:3], s2, v2
	v_cndmask_b32_e64 v6, v6, v3, s[2:3]
	v_add_f32_e32 v5, v5, v6
.LBB746_17:
	s_or_b64 exec, exec, s[6:7]
.LBB746_18:
	s_or_b64 exec, exec, s[4:5]
	ds_bpermute_b32 v2, v11, v4
	ds_bpermute_b32 v3, v11, v5
	s_and_saveexec_b64 s[2:3], vcc
	s_cbranch_execz .LBB746_26
; %bb.19:
	s_waitcnt lgkmcnt(0)
	v_pk_add_f32 v[2:3], v[4:5], v[2:3]
	v_mov_b32_e32 v4, s13
	v_add_co_u32_e32 v0, vcc, s12, v0
	v_addc_co_u32_e32 v1, vcc, v4, v1, vcc
	s_and_saveexec_b64 s[2:3], s[0:1]
	s_cbranch_execz .LBB746_23
; %bb.20:
	v_cmp_neq_f32_e32 vcc, 0, v2
	v_mov_b32_e32 v4, 0x7fc0
	s_and_saveexec_b64 s[4:5], vcc
	s_cbranch_execz .LBB746_22
; %bb.21:
	v_div_scale_f32 v4, s[6:7], v2, v2, v7
	v_rcp_f32_e32 v5, v4
	v_div_scale_f32 v9, vcc, v7, v2, v7
	s_movk_i32 s6, 0x7fff
	v_fma_f32 v10, -v4, v5, 1.0
	v_fmac_f32_e32 v5, v10, v5
	v_mul_f32_e32 v10, v9, v5
	v_fma_f32 v11, -v4, v10, v9
	v_fmac_f32_e32 v10, v11, v5
	v_fma_f32 v4, -v4, v10, v9
	v_div_fmas_f32 v4, v4, v5, v10
	v_div_fixup_f32 v2, v4, v2, v7
	v_bfe_u32 v4, v2, 16, 1
	v_add3_u32 v4, v2, v4, s6
	v_lshrrev_b32_e32 v4, 16, v4
	v_mov_b32_e32 v5, 0x7fc0
	v_cmp_o_f32_e32 vcc, v2, v2
	v_cndmask_b32_e32 v4, v5, v4, vcc
.LBB746_22:
	s_or_b64 exec, exec, s[4:5]
	global_store_short v[0:1], v4, off
.LBB746_23:
	s_or_b64 exec, exec, s[2:3]
	v_cmp_ne_u32_e32 vcc, 1, v8
	s_and_b64 exec, exec, vcc
	s_cbranch_execz .LBB746_26
; %bb.24:
	s_and_b64 exec, exec, s[0:1]
	s_cbranch_execz .LBB746_26
; %bb.25:
	v_div_scale_f32 v2, s[0:1], v3, v3, v6
	v_rcp_f32_e32 v4, v2
	s_mov_b32 s11, 0
	v_cmp_eq_f32_e64 s[0:1], 0, v3
	s_movk_i32 s2, 0x7fff
	v_fma_f32 v5, -v2, v4, 1.0
	v_fmac_f32_e32 v4, v5, v4
	v_div_scale_f32 v5, vcc, v6, v3, v6
	v_mul_f32_e32 v7, v5, v4
	v_fma_f32 v8, -v2, v7, v5
	v_fmac_f32_e32 v7, v8, v4
	v_fma_f32 v2, -v2, v7, v5
	v_div_fmas_f32 v2, v2, v4, v7
	v_div_fixup_f32 v2, v2, v3, v6
	v_bfe_u32 v3, v2, 16, 1
	v_cmp_u_f32_e32 vcc, v2, v2
	v_add3_u32 v2, v2, v3, s2
	s_lshl_b64 s[2:3], s[10:11], 1
	v_mov_b32_e32 v3, s3
	v_add_co_u32_e64 v0, s[2:3], s2, v0
	v_lshrrev_b32_e32 v2, 16, v2
	v_addc_co_u32_e64 v1, s[2:3], v1, v3, s[2:3]
	v_mov_b32_e32 v3, 0x7fc0
	s_or_b64 vcc, s[0:1], vcc
	v_cndmask_b32_e32 v2, v2, v3, vcc
	global_store_short v[0:1], v2, off
.LBB746_26:
	s_endpgm
	.section	.rodata,"a",@progbits
	.p2align	6, 0x0
	.amdhsa_kernel _ZN12_GLOBAL__N_120softmax_warp_forwardIN3c108BFloat16ES2_fLi1ELb0ELb1ELi64EEEvPT0_PKT_iiiPKbib
		.amdhsa_group_segment_fixed_size 0
		.amdhsa_private_segment_fixed_size 0
		.amdhsa_kernarg_size 304
		.amdhsa_user_sgpr_count 6
		.amdhsa_user_sgpr_private_segment_buffer 1
		.amdhsa_user_sgpr_dispatch_ptr 0
		.amdhsa_user_sgpr_queue_ptr 0
		.amdhsa_user_sgpr_kernarg_segment_ptr 1
		.amdhsa_user_sgpr_dispatch_id 0
		.amdhsa_user_sgpr_flat_scratch_init 0
		.amdhsa_user_sgpr_kernarg_preload_length 0
		.amdhsa_user_sgpr_kernarg_preload_offset 0
		.amdhsa_user_sgpr_private_segment_size 0
		.amdhsa_uses_dynamic_stack 0
		.amdhsa_system_sgpr_private_segment_wavefront_offset 0
		.amdhsa_system_sgpr_workgroup_id_x 1
		.amdhsa_system_sgpr_workgroup_id_y 0
		.amdhsa_system_sgpr_workgroup_id_z 0
		.amdhsa_system_sgpr_workgroup_info 0
		.amdhsa_system_vgpr_workitem_id 1
		.amdhsa_next_free_vgpr 16
		.amdhsa_next_free_sgpr 18
		.amdhsa_accum_offset 16
		.amdhsa_reserve_vcc 1
		.amdhsa_reserve_flat_scratch 0
		.amdhsa_float_round_mode_32 0
		.amdhsa_float_round_mode_16_64 0
		.amdhsa_float_denorm_mode_32 3
		.amdhsa_float_denorm_mode_16_64 3
		.amdhsa_dx10_clamp 1
		.amdhsa_ieee_mode 1
		.amdhsa_fp16_overflow 0
		.amdhsa_tg_split 0
		.amdhsa_exception_fp_ieee_invalid_op 0
		.amdhsa_exception_fp_denorm_src 0
		.amdhsa_exception_fp_ieee_div_zero 0
		.amdhsa_exception_fp_ieee_overflow 0
		.amdhsa_exception_fp_ieee_underflow 0
		.amdhsa_exception_fp_ieee_inexact 0
		.amdhsa_exception_int_div_zero 0
	.end_amdhsa_kernel
	.section	.text._ZN12_GLOBAL__N_120softmax_warp_forwardIN3c108BFloat16ES2_fLi1ELb0ELb1ELi64EEEvPT0_PKT_iiiPKbib,"axG",@progbits,_ZN12_GLOBAL__N_120softmax_warp_forwardIN3c108BFloat16ES2_fLi1ELb0ELb1ELi64EEEvPT0_PKT_iiiPKbib,comdat
.Lfunc_end746:
	.size	_ZN12_GLOBAL__N_120softmax_warp_forwardIN3c108BFloat16ES2_fLi1ELb0ELb1ELi64EEEvPT0_PKT_iiiPKbib, .Lfunc_end746-_ZN12_GLOBAL__N_120softmax_warp_forwardIN3c108BFloat16ES2_fLi1ELb0ELb1ELi64EEEvPT0_PKT_iiiPKbib
                                        ; -- End function
	.section	.AMDGPU.csdata,"",@progbits
; Kernel info:
; codeLenInByte = 1520
; NumSgprs: 22
; NumVgprs: 16
; NumAgprs: 0
; TotalNumVgprs: 16
; ScratchSize: 0
; MemoryBound: 0
; FloatMode: 240
; IeeeMode: 1
; LDSByteSize: 0 bytes/workgroup (compile time only)
; SGPRBlocks: 2
; VGPRBlocks: 1
; NumSGPRsForWavesPerEU: 22
; NumVGPRsForWavesPerEU: 16
; AccumOffset: 16
; Occupancy: 8
; WaveLimiterHint : 0
; COMPUTE_PGM_RSRC2:SCRATCH_EN: 0
; COMPUTE_PGM_RSRC2:USER_SGPR: 6
; COMPUTE_PGM_RSRC2:TRAP_HANDLER: 0
; COMPUTE_PGM_RSRC2:TGID_X_EN: 1
; COMPUTE_PGM_RSRC2:TGID_Y_EN: 0
; COMPUTE_PGM_RSRC2:TGID_Z_EN: 0
; COMPUTE_PGM_RSRC2:TIDIG_COMP_CNT: 1
; COMPUTE_PGM_RSRC3_GFX90A:ACCUM_OFFSET: 3
; COMPUTE_PGM_RSRC3_GFX90A:TG_SPLIT: 0
	.section	.text._ZN12_GLOBAL__N_120softmax_warp_forwardIN3c108BFloat16ES2_fLi1ELb0ELb1ELi32EEEvPT0_PKT_iiiPKbib,"axG",@progbits,_ZN12_GLOBAL__N_120softmax_warp_forwardIN3c108BFloat16ES2_fLi1ELb0ELb1ELi32EEEvPT0_PKT_iiiPKbib,comdat
	.globl	_ZN12_GLOBAL__N_120softmax_warp_forwardIN3c108BFloat16ES2_fLi1ELb0ELb1ELi32EEEvPT0_PKT_iiiPKbib ; -- Begin function _ZN12_GLOBAL__N_120softmax_warp_forwardIN3c108BFloat16ES2_fLi1ELb0ELb1ELi32EEEvPT0_PKT_iiiPKbib
	.p2align	8
	.type	_ZN12_GLOBAL__N_120softmax_warp_forwardIN3c108BFloat16ES2_fLi1ELb0ELb1ELi32EEEvPT0_PKT_iiiPKbib,@function
_ZN12_GLOBAL__N_120softmax_warp_forwardIN3c108BFloat16ES2_fLi1ELb0ELb1ELi32EEEvPT0_PKT_iiiPKbib: ; @_ZN12_GLOBAL__N_120softmax_warp_forwardIN3c108BFloat16ES2_fLi1ELb0ELb1ELi32EEEvPT0_PKT_iiiPKbib
; %bb.0:
	s_load_dwordx2 s[0:1], s[4:5], 0x28
	s_load_dword s2, s[4:5], 0x3c
	s_load_dwordx4 s[8:11], s[4:5], 0x10
	v_bfe_u32 v1, v0, 10, 10
	v_and_b32_e32 v4, 0x3ff, v0
	s_waitcnt lgkmcnt(0)
	s_bitcmp1_b32 s1, 0
	s_cselect_b64 s[16:17], -1, 0
	s_lshr_b32 s2, s2, 16
	s_mul_i32 s6, s6, s2
	v_add_lshl_u32 v5, s6, v1, 1
	v_mul_lo_u32 v6, v5, s9
	v_add_u32_e32 v0, v6, v4
	v_ashrrev_i32_e32 v1, 31, v0
	s_bitcmp0_b32 s1, 0
	v_pk_mov_b32 v[2:3], v[0:1], v[0:1] op_sel:[0,1]
	s_cbranch_scc1 .LBB747_2
; %bb.1:
	s_abs_i32 s1, s0
	v_cvt_f32_u32_e32 v2, s1
	v_xor_b32_e32 v3, s0, v6
	v_sub_u32_e32 v7, 0, v6
	s_sub_i32 s0, 0, s1
	v_rcp_iflag_f32_e32 v2, v2
	v_max_i32_e32 v6, v6, v7
	v_ashrrev_i32_e32 v3, 31, v3
	v_mul_f32_e32 v2, 0x4f7ffffe, v2
	v_cvt_u32_f32_e32 v2, v2
	v_mul_lo_u32 v7, s0, v2
	v_mul_hi_u32 v7, v2, v7
	v_add_u32_e32 v2, v2, v7
	v_mul_hi_u32 v2, v6, v2
	v_mul_lo_u32 v7, v2, s1
	v_sub_u32_e32 v6, v6, v7
	v_add_u32_e32 v8, 1, v2
	v_cmp_le_u32_e32 vcc, s1, v6
	v_subrev_u32_e32 v7, s1, v6
	v_cndmask_b32_e32 v2, v2, v8, vcc
	v_cndmask_b32_e32 v6, v6, v7, vcc
	v_add_u32_e32 v7, 1, v2
	v_cmp_le_u32_e32 vcc, s1, v6
	v_cndmask_b32_e32 v2, v2, v7, vcc
	v_xor_b32_e32 v2, v2, v3
	v_sub_u32_e32 v2, v2, v3
	v_mad_u64_u32 v[2:3], s[0:1], v2, s9, v[4:5]
	v_ashrrev_i32_e32 v3, 31, v2
.LBB747_2:
	s_load_dwordx4 s[12:15], s[4:5], 0x0
	v_lshlrev_b64 v[0:1], 1, v[0:1]
	v_sub_u32_e32 v8, s8, v5
	v_cmp_gt_i32_e64 s[0:1], s10, v4
	v_mov_b32_e32 v9, 0xff800000
	s_waitcnt lgkmcnt(0)
	v_mov_b32_e32 v5, s15
	v_add_co_u32_e32 v6, vcc, s14, v0
	v_addc_co_u32_e32 v7, vcc, v5, v1, vcc
	v_cmp_lt_i32_e32 vcc, 0, v8
	s_and_b64 s[8:9], s[0:1], vcc
	v_mov_b32_e32 v10, 0xff800000
	s_and_saveexec_b64 s[2:3], s[8:9]
	s_cbranch_execz .LBB747_4
; %bb.3:
	global_load_ushort v4, v[6:7], off
	s_waitcnt vmcnt(0)
	v_lshlrev_b32_e32 v10, 16, v4
.LBB747_4:
	s_or_b64 exec, exec, s[2:3]
	v_cmp_lt_i32_e64 s[2:3], 1, v8
	s_and_b64 s[6:7], s[0:1], s[2:3]
	s_and_saveexec_b64 s[14:15], s[6:7]
	s_cbranch_execz .LBB747_6
; %bb.5:
	s_mov_b32 s11, 0
	s_lshl_b64 s[2:3], s[10:11], 1
	v_mov_b32_e32 v5, s3
	v_add_co_u32_e64 v4, s[2:3], s2, v6
	v_addc_co_u32_e64 v5, s[2:3], v7, v5, s[2:3]
	global_load_ushort v4, v[4:5], off
	s_waitcnt vmcnt(0)
	v_lshlrev_b32_e32 v9, 16, v4
.LBB747_6:
	s_or_b64 exec, exec, s[14:15]
	s_load_dwordx2 s[2:3], s[4:5], 0x20
	s_waitcnt lgkmcnt(0)
	v_mov_b32_e32 v4, s3
	v_add_co_u32_e64 v2, s[2:3], s2, v2
	v_addc_co_u32_e64 v3, s[2:3], v4, v3, s[2:3]
	v_mov_b32_e32 v4, 0xff800000
	s_and_saveexec_b64 s[4:5], s[8:9]
	s_cbranch_execz .LBB747_8
; %bb.7:
	global_load_ubyte v4, v[2:3], off
	v_mov_b32_e32 v5, 0xff800000
	s_waitcnt vmcnt(0)
	v_and_b32_e32 v4, 1, v4
	v_cmp_eq_u32_e64 s[2:3], 1, v4
	v_cndmask_b32_e64 v4, v10, v5, s[2:3]
.LBB747_8:
	s_or_b64 exec, exec, s[4:5]
	s_mov_b64 s[2:3], 0
	s_and_saveexec_b64 s[4:5], s[6:7]
	s_cbranch_execz .LBB747_10
; %bb.9:
	s_and_b64 s[2:3], s[16:17], exec
	s_cselect_b32 s2, 0, 0
	s_cselect_b32 s3, 0, s10
	v_mov_b32_e32 v5, s2
	v_add_co_u32_e64 v6, s[2:3], s3, v2
	v_addc_co_u32_e64 v7, s[2:3], v3, v5, s[2:3]
	global_load_ubyte v5, v[6:7], off
	s_waitcnt vmcnt(0)
	v_and_b32_e32 v5, 1, v5
	v_cmp_eq_u32_e64 s[2:3], 1, v5
	s_xor_b64 s[2:3], s[2:3], -1
	s_and_b64 s[2:3], s[2:3], exec
.LBB747_10:
	s_or_b64 exec, exec, s[4:5]
	v_cndmask_b32_e64 v14, v4, v4, s[2:3]
	v_mbcnt_lo_u32_b32 v4, -1, 0
	v_mbcnt_hi_u32_b32 v4, -1, v4
	v_mov_b32_e32 v5, 0xff800000
	v_and_b32_e32 v6, 0x7e, v4
	v_cndmask_b32_e64 v12, v5, v9, s[2:3]
	v_xor_b32_e32 v5, 1, v4
	v_add_u32_e32 v6, 2, v6
	v_cmp_lt_i32_e64 s[2:3], v5, v6
	v_cndmask_b32_e64 v4, v4, v5, s[2:3]
	v_lshlrev_b32_e32 v11, 2, v4
	ds_bpermute_b32 v15, v11, v14
	ds_bpermute_b32 v13, v11, v12
	s_mov_b32 s14, 0
	s_mov_b32 s15, s14
	v_mov_b32_e32 v6, 0
	v_pk_mov_b32 v[4:5], s[14:15], s[14:15] op_sel:[0,1]
	v_mov_b32_e32 v7, 0
	s_and_saveexec_b64 s[4:5], s[8:9]
	s_cbranch_execz .LBB747_14
; %bb.11:
	global_load_ubyte v7, v[2:3], off
	v_pk_mov_b32 v[4:5], s[14:15], s[14:15] op_sel:[0,1]
	s_waitcnt vmcnt(0)
	v_and_b32_e32 v7, 1, v7
	v_cmp_eq_u32_e64 s[2:3], 1, v7
	s_xor_b64 s[2:3], s[2:3], -1
	v_mov_b32_e32 v7, 0
	s_and_saveexec_b64 s[8:9], s[2:3]
	s_cbranch_execz .LBB747_13
; %bb.12:
	s_waitcnt lgkmcnt(1)
	v_cmp_lt_f32_e64 s[2:3], v14, v15
	v_cndmask_b32_e64 v4, v14, v15, s[2:3]
	v_sub_f32_e32 v4, v10, v4
	s_mov_b32 s2, 0x3fb8aa3b
	v_mul_f32_e32 v5, 0x3fb8aa3b, v4
	v_fma_f32 v7, v4, s2, -v5
	v_rndne_f32_e32 v10, v5
	v_fmac_f32_e32 v7, 0x32a5705f, v4
	v_sub_f32_e32 v5, v5, v10
	v_add_f32_e32 v5, v5, v7
	v_exp_f32_e32 v5, v5
	v_cvt_i32_f32_e32 v7, v10
	s_mov_b32 s2, 0xc2ce8ed0
	v_cmp_ngt_f32_e64 s[2:3], s2, v4
	v_mov_b32_e32 v10, 0x7f800000
	v_ldexp_f32 v7, v5, v7
	v_cndmask_b32_e64 v7, 0, v7, s[2:3]
	s_mov_b32 s2, 0x42b17218
	v_cmp_nlt_f32_e64 s[2:3], s2, v4
	v_cndmask_b32_e64 v4, v10, v7, s[2:3]
	v_mov_b32_e32 v5, 0
	v_mov_b32_e32 v7, v4
.LBB747_13:
	s_or_b64 exec, exec, s[8:9]
.LBB747_14:
	s_or_b64 exec, exec, s[4:5]
	s_and_saveexec_b64 s[4:5], s[6:7]
	s_cbranch_execz .LBB747_18
; %bb.15:
	s_and_b64 s[2:3], s[16:17], exec
	s_cselect_b32 s2, 0, 0
	s_cselect_b32 s3, 0, s10
	v_mov_b32_e32 v6, s2
	v_add_co_u32_e64 v2, s[2:3], s3, v2
	v_addc_co_u32_e64 v3, s[2:3], v3, v6, s[2:3]
	global_load_ubyte v2, v[2:3], off
	v_mov_b32_e32 v6, 0
	s_waitcnt vmcnt(0)
	v_and_b32_e32 v2, 1, v2
	v_cmp_eq_u32_e64 s[2:3], 1, v2
	s_xor_b64 s[2:3], s[2:3], -1
	s_and_saveexec_b64 s[6:7], s[2:3]
	s_cbranch_execz .LBB747_17
; %bb.16:
	s_waitcnt lgkmcnt(0)
	v_cmp_lt_f32_e64 s[2:3], v12, v13
	v_cndmask_b32_e64 v2, v12, v13, s[2:3]
	v_sub_f32_e32 v2, v9, v2
	s_mov_b32 s2, 0x3fb8aa3b
	v_mul_f32_e32 v3, 0x3fb8aa3b, v2
	v_fma_f32 v6, v2, s2, -v3
	v_rndne_f32_e32 v9, v3
	v_fmac_f32_e32 v6, 0x32a5705f, v2
	v_sub_f32_e32 v3, v3, v9
	v_add_f32_e32 v3, v3, v6
	v_exp_f32_e32 v3, v3
	v_cvt_i32_f32_e32 v6, v9
	s_mov_b32 s2, 0xc2ce8ed0
	v_cmp_ngt_f32_e64 s[2:3], s2, v2
	v_ldexp_f32 v3, v3, v6
	v_cndmask_b32_e64 v3, 0, v3, s[2:3]
	s_mov_b32 s2, 0x42b17218
	v_mov_b32_e32 v6, 0x7f800000
	v_cmp_nlt_f32_e64 s[2:3], s2, v2
	v_cndmask_b32_e64 v6, v6, v3, s[2:3]
	v_add_f32_e32 v5, v5, v6
.LBB747_17:
	s_or_b64 exec, exec, s[6:7]
.LBB747_18:
	s_or_b64 exec, exec, s[4:5]
	ds_bpermute_b32 v2, v11, v4
	ds_bpermute_b32 v3, v11, v5
	s_and_saveexec_b64 s[2:3], vcc
	s_cbranch_execz .LBB747_26
; %bb.19:
	s_waitcnt lgkmcnt(0)
	v_pk_add_f32 v[2:3], v[4:5], v[2:3]
	v_mov_b32_e32 v4, s13
	v_add_co_u32_e32 v0, vcc, s12, v0
	v_addc_co_u32_e32 v1, vcc, v4, v1, vcc
	s_and_saveexec_b64 s[2:3], s[0:1]
	s_cbranch_execz .LBB747_23
; %bb.20:
	v_cmp_neq_f32_e32 vcc, 0, v2
	v_mov_b32_e32 v4, 0x7fc0
	s_and_saveexec_b64 s[4:5], vcc
	s_cbranch_execz .LBB747_22
; %bb.21:
	v_div_scale_f32 v4, s[6:7], v2, v2, v7
	v_rcp_f32_e32 v5, v4
	v_div_scale_f32 v9, vcc, v7, v2, v7
	s_movk_i32 s6, 0x7fff
	v_fma_f32 v10, -v4, v5, 1.0
	v_fmac_f32_e32 v5, v10, v5
	v_mul_f32_e32 v10, v9, v5
	v_fma_f32 v11, -v4, v10, v9
	v_fmac_f32_e32 v10, v11, v5
	v_fma_f32 v4, -v4, v10, v9
	v_div_fmas_f32 v4, v4, v5, v10
	v_div_fixup_f32 v2, v4, v2, v7
	v_bfe_u32 v4, v2, 16, 1
	v_add3_u32 v4, v2, v4, s6
	v_lshrrev_b32_e32 v4, 16, v4
	v_mov_b32_e32 v5, 0x7fc0
	v_cmp_o_f32_e32 vcc, v2, v2
	v_cndmask_b32_e32 v4, v5, v4, vcc
.LBB747_22:
	s_or_b64 exec, exec, s[4:5]
	global_store_short v[0:1], v4, off
.LBB747_23:
	s_or_b64 exec, exec, s[2:3]
	v_cmp_ne_u32_e32 vcc, 1, v8
	s_and_b64 exec, exec, vcc
	s_cbranch_execz .LBB747_26
; %bb.24:
	s_and_b64 exec, exec, s[0:1]
	s_cbranch_execz .LBB747_26
; %bb.25:
	v_div_scale_f32 v2, s[0:1], v3, v3, v6
	v_rcp_f32_e32 v4, v2
	s_mov_b32 s11, 0
	v_cmp_eq_f32_e64 s[0:1], 0, v3
	s_movk_i32 s2, 0x7fff
	v_fma_f32 v5, -v2, v4, 1.0
	v_fmac_f32_e32 v4, v5, v4
	v_div_scale_f32 v5, vcc, v6, v3, v6
	v_mul_f32_e32 v7, v5, v4
	v_fma_f32 v8, -v2, v7, v5
	v_fmac_f32_e32 v7, v8, v4
	v_fma_f32 v2, -v2, v7, v5
	v_div_fmas_f32 v2, v2, v4, v7
	v_div_fixup_f32 v2, v2, v3, v6
	v_bfe_u32 v3, v2, 16, 1
	v_cmp_u_f32_e32 vcc, v2, v2
	v_add3_u32 v2, v2, v3, s2
	s_lshl_b64 s[2:3], s[10:11], 1
	v_mov_b32_e32 v3, s3
	v_add_co_u32_e64 v0, s[2:3], s2, v0
	v_lshrrev_b32_e32 v2, 16, v2
	v_addc_co_u32_e64 v1, s[2:3], v1, v3, s[2:3]
	v_mov_b32_e32 v3, 0x7fc0
	s_or_b64 vcc, s[0:1], vcc
	v_cndmask_b32_e32 v2, v2, v3, vcc
	global_store_short v[0:1], v2, off
.LBB747_26:
	s_endpgm
	.section	.rodata,"a",@progbits
	.p2align	6, 0x0
	.amdhsa_kernel _ZN12_GLOBAL__N_120softmax_warp_forwardIN3c108BFloat16ES2_fLi1ELb0ELb1ELi32EEEvPT0_PKT_iiiPKbib
		.amdhsa_group_segment_fixed_size 0
		.amdhsa_private_segment_fixed_size 0
		.amdhsa_kernarg_size 304
		.amdhsa_user_sgpr_count 6
		.amdhsa_user_sgpr_private_segment_buffer 1
		.amdhsa_user_sgpr_dispatch_ptr 0
		.amdhsa_user_sgpr_queue_ptr 0
		.amdhsa_user_sgpr_kernarg_segment_ptr 1
		.amdhsa_user_sgpr_dispatch_id 0
		.amdhsa_user_sgpr_flat_scratch_init 0
		.amdhsa_user_sgpr_kernarg_preload_length 0
		.amdhsa_user_sgpr_kernarg_preload_offset 0
		.amdhsa_user_sgpr_private_segment_size 0
		.amdhsa_uses_dynamic_stack 0
		.amdhsa_system_sgpr_private_segment_wavefront_offset 0
		.amdhsa_system_sgpr_workgroup_id_x 1
		.amdhsa_system_sgpr_workgroup_id_y 0
		.amdhsa_system_sgpr_workgroup_id_z 0
		.amdhsa_system_sgpr_workgroup_info 0
		.amdhsa_system_vgpr_workitem_id 1
		.amdhsa_next_free_vgpr 16
		.amdhsa_next_free_sgpr 18
		.amdhsa_accum_offset 16
		.amdhsa_reserve_vcc 1
		.amdhsa_reserve_flat_scratch 0
		.amdhsa_float_round_mode_32 0
		.amdhsa_float_round_mode_16_64 0
		.amdhsa_float_denorm_mode_32 3
		.amdhsa_float_denorm_mode_16_64 3
		.amdhsa_dx10_clamp 1
		.amdhsa_ieee_mode 1
		.amdhsa_fp16_overflow 0
		.amdhsa_tg_split 0
		.amdhsa_exception_fp_ieee_invalid_op 0
		.amdhsa_exception_fp_denorm_src 0
		.amdhsa_exception_fp_ieee_div_zero 0
		.amdhsa_exception_fp_ieee_overflow 0
		.amdhsa_exception_fp_ieee_underflow 0
		.amdhsa_exception_fp_ieee_inexact 0
		.amdhsa_exception_int_div_zero 0
	.end_amdhsa_kernel
	.section	.text._ZN12_GLOBAL__N_120softmax_warp_forwardIN3c108BFloat16ES2_fLi1ELb0ELb1ELi32EEEvPT0_PKT_iiiPKbib,"axG",@progbits,_ZN12_GLOBAL__N_120softmax_warp_forwardIN3c108BFloat16ES2_fLi1ELb0ELb1ELi32EEEvPT0_PKT_iiiPKbib,comdat
.Lfunc_end747:
	.size	_ZN12_GLOBAL__N_120softmax_warp_forwardIN3c108BFloat16ES2_fLi1ELb0ELb1ELi32EEEvPT0_PKT_iiiPKbib, .Lfunc_end747-_ZN12_GLOBAL__N_120softmax_warp_forwardIN3c108BFloat16ES2_fLi1ELb0ELb1ELi32EEEvPT0_PKT_iiiPKbib
                                        ; -- End function
	.section	.AMDGPU.csdata,"",@progbits
; Kernel info:
; codeLenInByte = 1520
; NumSgprs: 22
; NumVgprs: 16
; NumAgprs: 0
; TotalNumVgprs: 16
; ScratchSize: 0
; MemoryBound: 0
; FloatMode: 240
; IeeeMode: 1
; LDSByteSize: 0 bytes/workgroup (compile time only)
; SGPRBlocks: 2
; VGPRBlocks: 1
; NumSGPRsForWavesPerEU: 22
; NumVGPRsForWavesPerEU: 16
; AccumOffset: 16
; Occupancy: 8
; WaveLimiterHint : 0
; COMPUTE_PGM_RSRC2:SCRATCH_EN: 0
; COMPUTE_PGM_RSRC2:USER_SGPR: 6
; COMPUTE_PGM_RSRC2:TRAP_HANDLER: 0
; COMPUTE_PGM_RSRC2:TGID_X_EN: 1
; COMPUTE_PGM_RSRC2:TGID_Y_EN: 0
; COMPUTE_PGM_RSRC2:TGID_Z_EN: 0
; COMPUTE_PGM_RSRC2:TIDIG_COMP_CNT: 1
; COMPUTE_PGM_RSRC3_GFX90A:ACCUM_OFFSET: 3
; COMPUTE_PGM_RSRC3_GFX90A:TG_SPLIT: 0
	.section	.text._ZN12_GLOBAL__N_120softmax_warp_forwardIN3c108BFloat16ES2_fLi2ELb0ELb1ELi64EEEvPT0_PKT_iiiPKbib,"axG",@progbits,_ZN12_GLOBAL__N_120softmax_warp_forwardIN3c108BFloat16ES2_fLi2ELb0ELb1ELi64EEEvPT0_PKT_iiiPKbib,comdat
	.globl	_ZN12_GLOBAL__N_120softmax_warp_forwardIN3c108BFloat16ES2_fLi2ELb0ELb1ELi64EEEvPT0_PKT_iiiPKbib ; -- Begin function _ZN12_GLOBAL__N_120softmax_warp_forwardIN3c108BFloat16ES2_fLi2ELb0ELb1ELi64EEEvPT0_PKT_iiiPKbib
	.p2align	8
	.type	_ZN12_GLOBAL__N_120softmax_warp_forwardIN3c108BFloat16ES2_fLi2ELb0ELb1ELi64EEEvPT0_PKT_iiiPKbib,@function
_ZN12_GLOBAL__N_120softmax_warp_forwardIN3c108BFloat16ES2_fLi2ELb0ELb1ELi64EEEvPT0_PKT_iiiPKbib: ; @_ZN12_GLOBAL__N_120softmax_warp_forwardIN3c108BFloat16ES2_fLi2ELb0ELb1ELi64EEEvPT0_PKT_iiiPKbib
; %bb.0:
	s_load_dwordx2 s[0:1], s[4:5], 0x28
	s_load_dword s2, s[4:5], 0x3c
	s_load_dwordx4 s[8:11], s[4:5], 0x10
	v_bfe_u32 v1, v0, 10, 10
	v_and_b32_e32 v4, 0x3ff, v0
	s_waitcnt lgkmcnt(0)
	s_bitcmp1_b32 s1, 0
	s_cselect_b64 s[16:17], -1, 0
	s_lshr_b32 s2, s2, 16
	s_mul_i32 s6, s6, s2
	v_add_lshl_u32 v5, s6, v1, 1
	v_mul_lo_u32 v6, v5, s9
	v_add_u32_e32 v0, v6, v4
	v_ashrrev_i32_e32 v1, 31, v0
	s_bitcmp0_b32 s1, 0
	v_pk_mov_b32 v[2:3], v[0:1], v[0:1] op_sel:[0,1]
	s_cbranch_scc1 .LBB748_2
; %bb.1:
	s_abs_i32 s1, s0
	v_cvt_f32_u32_e32 v2, s1
	v_xor_b32_e32 v3, s0, v6
	v_sub_u32_e32 v7, 0, v6
	s_sub_i32 s0, 0, s1
	v_rcp_iflag_f32_e32 v2, v2
	v_max_i32_e32 v6, v6, v7
	v_ashrrev_i32_e32 v3, 31, v3
	v_mul_f32_e32 v2, 0x4f7ffffe, v2
	v_cvt_u32_f32_e32 v2, v2
	v_mul_lo_u32 v7, s0, v2
	v_mul_hi_u32 v7, v2, v7
	v_add_u32_e32 v2, v2, v7
	v_mul_hi_u32 v2, v6, v2
	v_mul_lo_u32 v7, v2, s1
	v_sub_u32_e32 v6, v6, v7
	v_add_u32_e32 v8, 1, v2
	v_cmp_le_u32_e32 vcc, s1, v6
	v_subrev_u32_e32 v7, s1, v6
	v_cndmask_b32_e32 v2, v2, v8, vcc
	v_cndmask_b32_e32 v6, v6, v7, vcc
	v_add_u32_e32 v7, 1, v2
	v_cmp_le_u32_e32 vcc, s1, v6
	v_cndmask_b32_e32 v2, v2, v7, vcc
	v_xor_b32_e32 v2, v2, v3
	v_sub_u32_e32 v2, v2, v3
	v_mad_u64_u32 v[2:3], s[0:1], v2, s9, v[4:5]
	v_ashrrev_i32_e32 v3, 31, v2
.LBB748_2:
	s_load_dwordx4 s[12:15], s[4:5], 0x0
	v_lshlrev_b64 v[0:1], 1, v[0:1]
	v_sub_u32_e32 v8, s8, v5
	v_cmp_gt_i32_e64 s[0:1], s10, v4
	v_mov_b32_e32 v9, 0xff800000
	s_waitcnt lgkmcnt(0)
	v_mov_b32_e32 v5, s15
	v_add_co_u32_e32 v6, vcc, s14, v0
	v_addc_co_u32_e32 v7, vcc, v5, v1, vcc
	v_cmp_lt_i32_e32 vcc, 0, v8
	s_and_b64 s[8:9], s[0:1], vcc
	v_mov_b32_e32 v10, 0xff800000
	s_and_saveexec_b64 s[2:3], s[8:9]
	s_cbranch_execz .LBB748_4
; %bb.3:
	global_load_ushort v4, v[6:7], off
	s_waitcnt vmcnt(0)
	v_lshlrev_b32_e32 v10, 16, v4
.LBB748_4:
	s_or_b64 exec, exec, s[2:3]
	v_cmp_lt_i32_e64 s[2:3], 1, v8
	s_and_b64 s[6:7], s[0:1], s[2:3]
	s_and_saveexec_b64 s[14:15], s[6:7]
	s_cbranch_execz .LBB748_6
; %bb.5:
	s_mov_b32 s11, 0
	s_lshl_b64 s[2:3], s[10:11], 1
	v_mov_b32_e32 v5, s3
	v_add_co_u32_e64 v4, s[2:3], s2, v6
	v_addc_co_u32_e64 v5, s[2:3], v7, v5, s[2:3]
	global_load_ushort v4, v[4:5], off
	s_waitcnt vmcnt(0)
	v_lshlrev_b32_e32 v9, 16, v4
.LBB748_6:
	s_or_b64 exec, exec, s[14:15]
	s_load_dwordx2 s[2:3], s[4:5], 0x20
	s_waitcnt lgkmcnt(0)
	v_mov_b32_e32 v4, s3
	v_add_co_u32_e64 v2, s[2:3], s2, v2
	v_addc_co_u32_e64 v3, s[2:3], v4, v3, s[2:3]
	v_mov_b32_e32 v4, 0xff800000
	s_and_saveexec_b64 s[4:5], s[8:9]
	s_cbranch_execz .LBB748_8
; %bb.7:
	global_load_ubyte v4, v[2:3], off
	v_mov_b32_e32 v5, 0xff800000
	s_waitcnt vmcnt(0)
	v_and_b32_e32 v4, 1, v4
	v_cmp_eq_u32_e64 s[2:3], 1, v4
	v_cndmask_b32_e64 v4, v10, v5, s[2:3]
.LBB748_8:
	s_or_b64 exec, exec, s[4:5]
	s_mov_b64 s[4:5], 0
	s_and_saveexec_b64 s[14:15], s[6:7]
	s_cbranch_execz .LBB748_10
; %bb.9:
	s_and_b64 s[2:3], s[16:17], exec
	s_cselect_b32 s2, 0, 0
	s_cselect_b32 s3, 0, s10
	v_mov_b32_e32 v5, s2
	v_add_co_u32_e64 v6, s[2:3], s3, v2
	v_addc_co_u32_e64 v7, s[2:3], v3, v5, s[2:3]
	global_load_ubyte v5, v[6:7], off
	s_waitcnt vmcnt(0)
	v_and_b32_e32 v5, 1, v5
	v_cmp_eq_u32_e64 s[2:3], 1, v5
	s_xor_b64 s[2:3], s[2:3], -1
	s_and_b64 s[4:5], s[2:3], exec
.LBB748_10:
	s_or_b64 exec, exec, s[14:15]
	v_mbcnt_lo_u32_b32 v6, -1, 0
	v_mbcnt_hi_u32_b32 v6, -1, v6
	v_and_b32_e32 v7, 0x7c, v6
	v_add_u32_e32 v11, 4, v7
	v_xor_b32_e32 v7, 2, v6
	v_cmp_lt_i32_e64 s[2:3], v7, v11
	v_cndmask_b32_e64 v7, v6, v7, s[2:3]
	v_mov_b32_e32 v5, 0xff800000
	v_cndmask_b32_e64 v4, v4, v4, s[4:5]
	v_lshlrev_b32_e32 v7, 2, v7
	ds_bpermute_b32 v12, v7, v4
	v_cndmask_b32_e64 v5, v5, v9, s[4:5]
	ds_bpermute_b32 v13, v7, v5
	s_mov_b32 s14, 0
	s_mov_b32 s15, s14
	s_waitcnt lgkmcnt(1)
	v_cmp_lt_f32_e64 s[2:3], v4, v12
	v_cndmask_b32_e64 v15, v4, v12, s[2:3]
	s_waitcnt lgkmcnt(0)
	v_cmp_lt_f32_e64 s[2:3], v5, v13
	v_xor_b32_e32 v4, 1, v6
	v_cndmask_b32_e64 v13, v5, v13, s[2:3]
	v_cmp_lt_i32_e64 s[2:3], v4, v11
	v_cndmask_b32_e64 v4, v6, v4, s[2:3]
	v_lshlrev_b32_e32 v12, 2, v4
	ds_bpermute_b32 v16, v12, v15
	ds_bpermute_b32 v14, v12, v13
	v_mov_b32_e32 v6, 0
	v_pk_mov_b32 v[4:5], s[14:15], s[14:15] op_sel:[0,1]
	v_mov_b32_e32 v11, 0
	s_and_saveexec_b64 s[4:5], s[8:9]
	s_cbranch_execz .LBB748_14
; %bb.11:
	global_load_ubyte v11, v[2:3], off
	v_pk_mov_b32 v[4:5], s[14:15], s[14:15] op_sel:[0,1]
	s_waitcnt vmcnt(0)
	v_and_b32_e32 v11, 1, v11
	v_cmp_eq_u32_e64 s[2:3], 1, v11
	s_xor_b64 s[2:3], s[2:3], -1
	v_mov_b32_e32 v11, 0
	s_and_saveexec_b64 s[8:9], s[2:3]
	s_cbranch_execz .LBB748_13
; %bb.12:
	s_waitcnt lgkmcnt(1)
	v_cmp_lt_f32_e64 s[2:3], v15, v16
	v_cndmask_b32_e64 v4, v15, v16, s[2:3]
	v_sub_f32_e32 v4, v10, v4
	s_mov_b32 s2, 0x3fb8aa3b
	v_mul_f32_e32 v5, 0x3fb8aa3b, v4
	v_fma_f32 v10, v4, s2, -v5
	v_rndne_f32_e32 v11, v5
	v_fmac_f32_e32 v10, 0x32a5705f, v4
	v_sub_f32_e32 v5, v5, v11
	v_add_f32_e32 v5, v5, v10
	v_exp_f32_e32 v5, v5
	v_cvt_i32_f32_e32 v10, v11
	s_mov_b32 s2, 0xc2ce8ed0
	v_cmp_ngt_f32_e64 s[2:3], s2, v4
	v_mov_b32_e32 v11, 0x7f800000
	v_ldexp_f32 v10, v5, v10
	v_cndmask_b32_e64 v10, 0, v10, s[2:3]
	s_mov_b32 s2, 0x42b17218
	v_cmp_nlt_f32_e64 s[2:3], s2, v4
	v_cndmask_b32_e64 v4, v11, v10, s[2:3]
	v_mov_b32_e32 v5, 0
	v_mov_b32_e32 v11, v4
.LBB748_13:
	s_or_b64 exec, exec, s[8:9]
.LBB748_14:
	s_or_b64 exec, exec, s[4:5]
	s_and_saveexec_b64 s[4:5], s[6:7]
	s_cbranch_execz .LBB748_18
; %bb.15:
	s_and_b64 s[2:3], s[16:17], exec
	s_cselect_b32 s2, 0, 0
	s_cselect_b32 s3, 0, s10
	v_mov_b32_e32 v6, s2
	v_add_co_u32_e64 v2, s[2:3], s3, v2
	v_addc_co_u32_e64 v3, s[2:3], v3, v6, s[2:3]
	global_load_ubyte v2, v[2:3], off
	v_mov_b32_e32 v6, 0
	s_waitcnt vmcnt(0)
	v_and_b32_e32 v2, 1, v2
	v_cmp_eq_u32_e64 s[2:3], 1, v2
	s_xor_b64 s[2:3], s[2:3], -1
	s_and_saveexec_b64 s[6:7], s[2:3]
	s_cbranch_execz .LBB748_17
; %bb.16:
	s_waitcnt lgkmcnt(0)
	v_cmp_lt_f32_e64 s[2:3], v13, v14
	v_cndmask_b32_e64 v2, v13, v14, s[2:3]
	v_sub_f32_e32 v2, v9, v2
	s_mov_b32 s2, 0x3fb8aa3b
	v_mul_f32_e32 v3, 0x3fb8aa3b, v2
	v_fma_f32 v6, v2, s2, -v3
	v_rndne_f32_e32 v9, v3
	v_fmac_f32_e32 v6, 0x32a5705f, v2
	v_sub_f32_e32 v3, v3, v9
	v_add_f32_e32 v3, v3, v6
	v_exp_f32_e32 v3, v3
	v_cvt_i32_f32_e32 v6, v9
	s_mov_b32 s2, 0xc2ce8ed0
	v_cmp_ngt_f32_e64 s[2:3], s2, v2
	v_ldexp_f32 v3, v3, v6
	v_cndmask_b32_e64 v3, 0, v3, s[2:3]
	s_mov_b32 s2, 0x42b17218
	v_mov_b32_e32 v6, 0x7f800000
	v_cmp_nlt_f32_e64 s[2:3], s2, v2
	v_cndmask_b32_e64 v6, v6, v3, s[2:3]
	v_add_f32_e32 v5, v5, v6
.LBB748_17:
	s_or_b64 exec, exec, s[6:7]
.LBB748_18:
	s_or_b64 exec, exec, s[4:5]
	ds_bpermute_b32 v2, v7, v4
	ds_bpermute_b32 v3, v7, v5
	s_waitcnt lgkmcnt(0)
	v_pk_add_f32 v[2:3], v[4:5], v[2:3]
	ds_bpermute_b32 v4, v12, v2
	ds_bpermute_b32 v5, v12, v3
	s_and_saveexec_b64 s[2:3], vcc
	s_cbranch_execz .LBB748_26
; %bb.19:
	s_waitcnt lgkmcnt(0)
	v_pk_add_f32 v[2:3], v[2:3], v[4:5]
	v_mov_b32_e32 v4, s13
	v_add_co_u32_e32 v0, vcc, s12, v0
	v_addc_co_u32_e32 v1, vcc, v4, v1, vcc
	s_and_saveexec_b64 s[2:3], s[0:1]
	s_cbranch_execz .LBB748_23
; %bb.20:
	v_cmp_neq_f32_e32 vcc, 0, v2
	v_mov_b32_e32 v4, 0x7fc0
	s_and_saveexec_b64 s[4:5], vcc
	s_cbranch_execz .LBB748_22
; %bb.21:
	v_div_scale_f32 v4, s[6:7], v2, v2, v11
	v_rcp_f32_e32 v5, v4
	v_div_scale_f32 v7, vcc, v11, v2, v11
	s_movk_i32 s6, 0x7fff
	v_fma_f32 v9, -v4, v5, 1.0
	v_fmac_f32_e32 v5, v9, v5
	v_mul_f32_e32 v9, v7, v5
	v_fma_f32 v10, -v4, v9, v7
	v_fmac_f32_e32 v9, v10, v5
	v_fma_f32 v4, -v4, v9, v7
	v_div_fmas_f32 v4, v4, v5, v9
	v_div_fixup_f32 v2, v4, v2, v11
	v_bfe_u32 v4, v2, 16, 1
	v_add3_u32 v4, v2, v4, s6
	v_lshrrev_b32_e32 v4, 16, v4
	v_mov_b32_e32 v5, 0x7fc0
	v_cmp_o_f32_e32 vcc, v2, v2
	v_cndmask_b32_e32 v4, v5, v4, vcc
.LBB748_22:
	s_or_b64 exec, exec, s[4:5]
	global_store_short v[0:1], v4, off
.LBB748_23:
	s_or_b64 exec, exec, s[2:3]
	v_cmp_ne_u32_e32 vcc, 1, v8
	s_and_b64 exec, exec, vcc
	s_cbranch_execz .LBB748_26
; %bb.24:
	s_and_b64 exec, exec, s[0:1]
	s_cbranch_execz .LBB748_26
; %bb.25:
	v_div_scale_f32 v2, s[0:1], v3, v3, v6
	v_rcp_f32_e32 v4, v2
	s_mov_b32 s11, 0
	v_cmp_eq_f32_e64 s[0:1], 0, v3
	s_movk_i32 s2, 0x7fff
	v_fma_f32 v5, -v2, v4, 1.0
	v_fmac_f32_e32 v4, v5, v4
	v_div_scale_f32 v5, vcc, v6, v3, v6
	v_mul_f32_e32 v7, v5, v4
	v_fma_f32 v8, -v2, v7, v5
	v_fmac_f32_e32 v7, v8, v4
	v_fma_f32 v2, -v2, v7, v5
	v_div_fmas_f32 v2, v2, v4, v7
	v_div_fixup_f32 v2, v2, v3, v6
	v_bfe_u32 v3, v2, 16, 1
	v_cmp_u_f32_e32 vcc, v2, v2
	v_add3_u32 v2, v2, v3, s2
	s_lshl_b64 s[2:3], s[10:11], 1
	v_mov_b32_e32 v3, s3
	v_add_co_u32_e64 v0, s[2:3], s2, v0
	v_lshrrev_b32_e32 v2, 16, v2
	v_addc_co_u32_e64 v1, s[2:3], v1, v3, s[2:3]
	v_mov_b32_e32 v3, 0x7fc0
	s_or_b64 vcc, s[0:1], vcc
	v_cndmask_b32_e32 v2, v2, v3, vcc
	global_store_short v[0:1], v2, off
.LBB748_26:
	s_endpgm
	.section	.rodata,"a",@progbits
	.p2align	6, 0x0
	.amdhsa_kernel _ZN12_GLOBAL__N_120softmax_warp_forwardIN3c108BFloat16ES2_fLi2ELb0ELb1ELi64EEEvPT0_PKT_iiiPKbib
		.amdhsa_group_segment_fixed_size 0
		.amdhsa_private_segment_fixed_size 0
		.amdhsa_kernarg_size 304
		.amdhsa_user_sgpr_count 6
		.amdhsa_user_sgpr_private_segment_buffer 1
		.amdhsa_user_sgpr_dispatch_ptr 0
		.amdhsa_user_sgpr_queue_ptr 0
		.amdhsa_user_sgpr_kernarg_segment_ptr 1
		.amdhsa_user_sgpr_dispatch_id 0
		.amdhsa_user_sgpr_flat_scratch_init 0
		.amdhsa_user_sgpr_kernarg_preload_length 0
		.amdhsa_user_sgpr_kernarg_preload_offset 0
		.amdhsa_user_sgpr_private_segment_size 0
		.amdhsa_uses_dynamic_stack 0
		.amdhsa_system_sgpr_private_segment_wavefront_offset 0
		.amdhsa_system_sgpr_workgroup_id_x 1
		.amdhsa_system_sgpr_workgroup_id_y 0
		.amdhsa_system_sgpr_workgroup_id_z 0
		.amdhsa_system_sgpr_workgroup_info 0
		.amdhsa_system_vgpr_workitem_id 1
		.amdhsa_next_free_vgpr 17
		.amdhsa_next_free_sgpr 18
		.amdhsa_accum_offset 20
		.amdhsa_reserve_vcc 1
		.amdhsa_reserve_flat_scratch 0
		.amdhsa_float_round_mode_32 0
		.amdhsa_float_round_mode_16_64 0
		.amdhsa_float_denorm_mode_32 3
		.amdhsa_float_denorm_mode_16_64 3
		.amdhsa_dx10_clamp 1
		.amdhsa_ieee_mode 1
		.amdhsa_fp16_overflow 0
		.amdhsa_tg_split 0
		.amdhsa_exception_fp_ieee_invalid_op 0
		.amdhsa_exception_fp_denorm_src 0
		.amdhsa_exception_fp_ieee_div_zero 0
		.amdhsa_exception_fp_ieee_overflow 0
		.amdhsa_exception_fp_ieee_underflow 0
		.amdhsa_exception_fp_ieee_inexact 0
		.amdhsa_exception_int_div_zero 0
	.end_amdhsa_kernel
	.section	.text._ZN12_GLOBAL__N_120softmax_warp_forwardIN3c108BFloat16ES2_fLi2ELb0ELb1ELi64EEEvPT0_PKT_iiiPKbib,"axG",@progbits,_ZN12_GLOBAL__N_120softmax_warp_forwardIN3c108BFloat16ES2_fLi2ELb0ELb1ELi64EEEvPT0_PKT_iiiPKbib,comdat
.Lfunc_end748:
	.size	_ZN12_GLOBAL__N_120softmax_warp_forwardIN3c108BFloat16ES2_fLi2ELb0ELb1ELi64EEEvPT0_PKT_iiiPKbib, .Lfunc_end748-_ZN12_GLOBAL__N_120softmax_warp_forwardIN3c108BFloat16ES2_fLi2ELb0ELb1ELi64EEEvPT0_PKT_iiiPKbib
                                        ; -- End function
	.section	.AMDGPU.csdata,"",@progbits
; Kernel info:
; codeLenInByte = 1628
; NumSgprs: 22
; NumVgprs: 17
; NumAgprs: 0
; TotalNumVgprs: 17
; ScratchSize: 0
; MemoryBound: 0
; FloatMode: 240
; IeeeMode: 1
; LDSByteSize: 0 bytes/workgroup (compile time only)
; SGPRBlocks: 2
; VGPRBlocks: 2
; NumSGPRsForWavesPerEU: 22
; NumVGPRsForWavesPerEU: 17
; AccumOffset: 20
; Occupancy: 8
; WaveLimiterHint : 0
; COMPUTE_PGM_RSRC2:SCRATCH_EN: 0
; COMPUTE_PGM_RSRC2:USER_SGPR: 6
; COMPUTE_PGM_RSRC2:TRAP_HANDLER: 0
; COMPUTE_PGM_RSRC2:TGID_X_EN: 1
; COMPUTE_PGM_RSRC2:TGID_Y_EN: 0
; COMPUTE_PGM_RSRC2:TGID_Z_EN: 0
; COMPUTE_PGM_RSRC2:TIDIG_COMP_CNT: 1
; COMPUTE_PGM_RSRC3_GFX90A:ACCUM_OFFSET: 4
; COMPUTE_PGM_RSRC3_GFX90A:TG_SPLIT: 0
	.section	.text._ZN12_GLOBAL__N_120softmax_warp_forwardIN3c108BFloat16ES2_fLi2ELb0ELb1ELi32EEEvPT0_PKT_iiiPKbib,"axG",@progbits,_ZN12_GLOBAL__N_120softmax_warp_forwardIN3c108BFloat16ES2_fLi2ELb0ELb1ELi32EEEvPT0_PKT_iiiPKbib,comdat
	.globl	_ZN12_GLOBAL__N_120softmax_warp_forwardIN3c108BFloat16ES2_fLi2ELb0ELb1ELi32EEEvPT0_PKT_iiiPKbib ; -- Begin function _ZN12_GLOBAL__N_120softmax_warp_forwardIN3c108BFloat16ES2_fLi2ELb0ELb1ELi32EEEvPT0_PKT_iiiPKbib
	.p2align	8
	.type	_ZN12_GLOBAL__N_120softmax_warp_forwardIN3c108BFloat16ES2_fLi2ELb0ELb1ELi32EEEvPT0_PKT_iiiPKbib,@function
_ZN12_GLOBAL__N_120softmax_warp_forwardIN3c108BFloat16ES2_fLi2ELb0ELb1ELi32EEEvPT0_PKT_iiiPKbib: ; @_ZN12_GLOBAL__N_120softmax_warp_forwardIN3c108BFloat16ES2_fLi2ELb0ELb1ELi32EEEvPT0_PKT_iiiPKbib
; %bb.0:
	s_load_dwordx2 s[0:1], s[4:5], 0x28
	s_load_dword s2, s[4:5], 0x3c
	s_load_dwordx4 s[8:11], s[4:5], 0x10
	v_bfe_u32 v1, v0, 10, 10
	v_and_b32_e32 v4, 0x3ff, v0
	s_waitcnt lgkmcnt(0)
	s_bitcmp1_b32 s1, 0
	s_cselect_b64 s[16:17], -1, 0
	s_lshr_b32 s2, s2, 16
	s_mul_i32 s6, s6, s2
	v_add_lshl_u32 v5, s6, v1, 1
	v_mul_lo_u32 v6, v5, s9
	v_add_u32_e32 v0, v6, v4
	v_ashrrev_i32_e32 v1, 31, v0
	s_bitcmp0_b32 s1, 0
	v_pk_mov_b32 v[2:3], v[0:1], v[0:1] op_sel:[0,1]
	s_cbranch_scc1 .LBB749_2
; %bb.1:
	s_abs_i32 s1, s0
	v_cvt_f32_u32_e32 v2, s1
	v_xor_b32_e32 v3, s0, v6
	v_sub_u32_e32 v7, 0, v6
	s_sub_i32 s0, 0, s1
	v_rcp_iflag_f32_e32 v2, v2
	v_max_i32_e32 v6, v6, v7
	v_ashrrev_i32_e32 v3, 31, v3
	v_mul_f32_e32 v2, 0x4f7ffffe, v2
	v_cvt_u32_f32_e32 v2, v2
	v_mul_lo_u32 v7, s0, v2
	v_mul_hi_u32 v7, v2, v7
	v_add_u32_e32 v2, v2, v7
	v_mul_hi_u32 v2, v6, v2
	v_mul_lo_u32 v7, v2, s1
	v_sub_u32_e32 v6, v6, v7
	v_add_u32_e32 v8, 1, v2
	v_cmp_le_u32_e32 vcc, s1, v6
	v_subrev_u32_e32 v7, s1, v6
	v_cndmask_b32_e32 v2, v2, v8, vcc
	v_cndmask_b32_e32 v6, v6, v7, vcc
	v_add_u32_e32 v7, 1, v2
	v_cmp_le_u32_e32 vcc, s1, v6
	v_cndmask_b32_e32 v2, v2, v7, vcc
	v_xor_b32_e32 v2, v2, v3
	v_sub_u32_e32 v2, v2, v3
	v_mad_u64_u32 v[2:3], s[0:1], v2, s9, v[4:5]
	v_ashrrev_i32_e32 v3, 31, v2
.LBB749_2:
	s_load_dwordx4 s[12:15], s[4:5], 0x0
	v_lshlrev_b64 v[0:1], 1, v[0:1]
	v_sub_u32_e32 v8, s8, v5
	v_cmp_gt_i32_e64 s[0:1], s10, v4
	v_mov_b32_e32 v9, 0xff800000
	s_waitcnt lgkmcnt(0)
	v_mov_b32_e32 v5, s15
	v_add_co_u32_e32 v6, vcc, s14, v0
	v_addc_co_u32_e32 v7, vcc, v5, v1, vcc
	v_cmp_lt_i32_e32 vcc, 0, v8
	s_and_b64 s[8:9], s[0:1], vcc
	v_mov_b32_e32 v10, 0xff800000
	s_and_saveexec_b64 s[2:3], s[8:9]
	s_cbranch_execz .LBB749_4
; %bb.3:
	global_load_ushort v4, v[6:7], off
	s_waitcnt vmcnt(0)
	v_lshlrev_b32_e32 v10, 16, v4
.LBB749_4:
	s_or_b64 exec, exec, s[2:3]
	v_cmp_lt_i32_e64 s[2:3], 1, v8
	s_and_b64 s[6:7], s[0:1], s[2:3]
	s_and_saveexec_b64 s[14:15], s[6:7]
	s_cbranch_execz .LBB749_6
; %bb.5:
	s_mov_b32 s11, 0
	s_lshl_b64 s[2:3], s[10:11], 1
	v_mov_b32_e32 v5, s3
	v_add_co_u32_e64 v4, s[2:3], s2, v6
	v_addc_co_u32_e64 v5, s[2:3], v7, v5, s[2:3]
	global_load_ushort v4, v[4:5], off
	s_waitcnt vmcnt(0)
	v_lshlrev_b32_e32 v9, 16, v4
.LBB749_6:
	s_or_b64 exec, exec, s[14:15]
	s_load_dwordx2 s[2:3], s[4:5], 0x20
	s_waitcnt lgkmcnt(0)
	v_mov_b32_e32 v4, s3
	v_add_co_u32_e64 v2, s[2:3], s2, v2
	v_addc_co_u32_e64 v3, s[2:3], v4, v3, s[2:3]
	v_mov_b32_e32 v4, 0xff800000
	s_and_saveexec_b64 s[4:5], s[8:9]
	s_cbranch_execz .LBB749_8
; %bb.7:
	global_load_ubyte v4, v[2:3], off
	v_mov_b32_e32 v5, 0xff800000
	s_waitcnt vmcnt(0)
	v_and_b32_e32 v4, 1, v4
	v_cmp_eq_u32_e64 s[2:3], 1, v4
	v_cndmask_b32_e64 v4, v10, v5, s[2:3]
.LBB749_8:
	s_or_b64 exec, exec, s[4:5]
	s_mov_b64 s[4:5], 0
	s_and_saveexec_b64 s[14:15], s[6:7]
	s_cbranch_execz .LBB749_10
; %bb.9:
	s_and_b64 s[2:3], s[16:17], exec
	s_cselect_b32 s2, 0, 0
	s_cselect_b32 s3, 0, s10
	v_mov_b32_e32 v5, s2
	v_add_co_u32_e64 v6, s[2:3], s3, v2
	v_addc_co_u32_e64 v7, s[2:3], v3, v5, s[2:3]
	global_load_ubyte v5, v[6:7], off
	s_waitcnt vmcnt(0)
	v_and_b32_e32 v5, 1, v5
	v_cmp_eq_u32_e64 s[2:3], 1, v5
	s_xor_b64 s[2:3], s[2:3], -1
	s_and_b64 s[4:5], s[2:3], exec
.LBB749_10:
	s_or_b64 exec, exec, s[14:15]
	v_mbcnt_lo_u32_b32 v6, -1, 0
	v_mbcnt_hi_u32_b32 v6, -1, v6
	v_and_b32_e32 v7, 0x7c, v6
	v_add_u32_e32 v11, 4, v7
	v_xor_b32_e32 v7, 2, v6
	v_cmp_lt_i32_e64 s[2:3], v7, v11
	v_cndmask_b32_e64 v7, v6, v7, s[2:3]
	v_mov_b32_e32 v5, 0xff800000
	v_cndmask_b32_e64 v4, v4, v4, s[4:5]
	v_lshlrev_b32_e32 v7, 2, v7
	ds_bpermute_b32 v12, v7, v4
	v_cndmask_b32_e64 v5, v5, v9, s[4:5]
	ds_bpermute_b32 v13, v7, v5
	s_mov_b32 s14, 0
	s_mov_b32 s15, s14
	s_waitcnt lgkmcnt(1)
	v_cmp_lt_f32_e64 s[2:3], v4, v12
	v_cndmask_b32_e64 v15, v4, v12, s[2:3]
	s_waitcnt lgkmcnt(0)
	v_cmp_lt_f32_e64 s[2:3], v5, v13
	v_xor_b32_e32 v4, 1, v6
	v_cndmask_b32_e64 v13, v5, v13, s[2:3]
	v_cmp_lt_i32_e64 s[2:3], v4, v11
	v_cndmask_b32_e64 v4, v6, v4, s[2:3]
	v_lshlrev_b32_e32 v12, 2, v4
	ds_bpermute_b32 v16, v12, v15
	ds_bpermute_b32 v14, v12, v13
	v_mov_b32_e32 v6, 0
	v_pk_mov_b32 v[4:5], s[14:15], s[14:15] op_sel:[0,1]
	v_mov_b32_e32 v11, 0
	s_and_saveexec_b64 s[4:5], s[8:9]
	s_cbranch_execz .LBB749_14
; %bb.11:
	global_load_ubyte v11, v[2:3], off
	v_pk_mov_b32 v[4:5], s[14:15], s[14:15] op_sel:[0,1]
	s_waitcnt vmcnt(0)
	v_and_b32_e32 v11, 1, v11
	v_cmp_eq_u32_e64 s[2:3], 1, v11
	s_xor_b64 s[2:3], s[2:3], -1
	v_mov_b32_e32 v11, 0
	s_and_saveexec_b64 s[8:9], s[2:3]
	s_cbranch_execz .LBB749_13
; %bb.12:
	s_waitcnt lgkmcnt(1)
	v_cmp_lt_f32_e64 s[2:3], v15, v16
	v_cndmask_b32_e64 v4, v15, v16, s[2:3]
	v_sub_f32_e32 v4, v10, v4
	s_mov_b32 s2, 0x3fb8aa3b
	v_mul_f32_e32 v5, 0x3fb8aa3b, v4
	v_fma_f32 v10, v4, s2, -v5
	v_rndne_f32_e32 v11, v5
	v_fmac_f32_e32 v10, 0x32a5705f, v4
	v_sub_f32_e32 v5, v5, v11
	v_add_f32_e32 v5, v5, v10
	v_exp_f32_e32 v5, v5
	v_cvt_i32_f32_e32 v10, v11
	s_mov_b32 s2, 0xc2ce8ed0
	v_cmp_ngt_f32_e64 s[2:3], s2, v4
	v_mov_b32_e32 v11, 0x7f800000
	v_ldexp_f32 v10, v5, v10
	v_cndmask_b32_e64 v10, 0, v10, s[2:3]
	s_mov_b32 s2, 0x42b17218
	v_cmp_nlt_f32_e64 s[2:3], s2, v4
	v_cndmask_b32_e64 v4, v11, v10, s[2:3]
	v_mov_b32_e32 v5, 0
	v_mov_b32_e32 v11, v4
.LBB749_13:
	s_or_b64 exec, exec, s[8:9]
.LBB749_14:
	s_or_b64 exec, exec, s[4:5]
	s_and_saveexec_b64 s[4:5], s[6:7]
	s_cbranch_execz .LBB749_18
; %bb.15:
	s_and_b64 s[2:3], s[16:17], exec
	s_cselect_b32 s2, 0, 0
	s_cselect_b32 s3, 0, s10
	v_mov_b32_e32 v6, s2
	v_add_co_u32_e64 v2, s[2:3], s3, v2
	v_addc_co_u32_e64 v3, s[2:3], v3, v6, s[2:3]
	global_load_ubyte v2, v[2:3], off
	v_mov_b32_e32 v6, 0
	s_waitcnt vmcnt(0)
	v_and_b32_e32 v2, 1, v2
	v_cmp_eq_u32_e64 s[2:3], 1, v2
	s_xor_b64 s[2:3], s[2:3], -1
	s_and_saveexec_b64 s[6:7], s[2:3]
	s_cbranch_execz .LBB749_17
; %bb.16:
	s_waitcnt lgkmcnt(0)
	v_cmp_lt_f32_e64 s[2:3], v13, v14
	v_cndmask_b32_e64 v2, v13, v14, s[2:3]
	v_sub_f32_e32 v2, v9, v2
	s_mov_b32 s2, 0x3fb8aa3b
	v_mul_f32_e32 v3, 0x3fb8aa3b, v2
	v_fma_f32 v6, v2, s2, -v3
	v_rndne_f32_e32 v9, v3
	v_fmac_f32_e32 v6, 0x32a5705f, v2
	v_sub_f32_e32 v3, v3, v9
	v_add_f32_e32 v3, v3, v6
	v_exp_f32_e32 v3, v3
	v_cvt_i32_f32_e32 v6, v9
	s_mov_b32 s2, 0xc2ce8ed0
	v_cmp_ngt_f32_e64 s[2:3], s2, v2
	v_ldexp_f32 v3, v3, v6
	v_cndmask_b32_e64 v3, 0, v3, s[2:3]
	s_mov_b32 s2, 0x42b17218
	v_mov_b32_e32 v6, 0x7f800000
	v_cmp_nlt_f32_e64 s[2:3], s2, v2
	v_cndmask_b32_e64 v6, v6, v3, s[2:3]
	v_add_f32_e32 v5, v5, v6
.LBB749_17:
	s_or_b64 exec, exec, s[6:7]
.LBB749_18:
	s_or_b64 exec, exec, s[4:5]
	ds_bpermute_b32 v2, v7, v4
	ds_bpermute_b32 v3, v7, v5
	s_waitcnt lgkmcnt(0)
	v_pk_add_f32 v[2:3], v[4:5], v[2:3]
	ds_bpermute_b32 v4, v12, v2
	ds_bpermute_b32 v5, v12, v3
	s_and_saveexec_b64 s[2:3], vcc
	s_cbranch_execz .LBB749_26
; %bb.19:
	s_waitcnt lgkmcnt(0)
	v_pk_add_f32 v[2:3], v[2:3], v[4:5]
	v_mov_b32_e32 v4, s13
	v_add_co_u32_e32 v0, vcc, s12, v0
	v_addc_co_u32_e32 v1, vcc, v4, v1, vcc
	s_and_saveexec_b64 s[2:3], s[0:1]
	s_cbranch_execz .LBB749_23
; %bb.20:
	v_cmp_neq_f32_e32 vcc, 0, v2
	v_mov_b32_e32 v4, 0x7fc0
	s_and_saveexec_b64 s[4:5], vcc
	s_cbranch_execz .LBB749_22
; %bb.21:
	v_div_scale_f32 v4, s[6:7], v2, v2, v11
	v_rcp_f32_e32 v5, v4
	v_div_scale_f32 v7, vcc, v11, v2, v11
	s_movk_i32 s6, 0x7fff
	v_fma_f32 v9, -v4, v5, 1.0
	v_fmac_f32_e32 v5, v9, v5
	v_mul_f32_e32 v9, v7, v5
	v_fma_f32 v10, -v4, v9, v7
	v_fmac_f32_e32 v9, v10, v5
	v_fma_f32 v4, -v4, v9, v7
	v_div_fmas_f32 v4, v4, v5, v9
	v_div_fixup_f32 v2, v4, v2, v11
	v_bfe_u32 v4, v2, 16, 1
	v_add3_u32 v4, v2, v4, s6
	v_lshrrev_b32_e32 v4, 16, v4
	v_mov_b32_e32 v5, 0x7fc0
	v_cmp_o_f32_e32 vcc, v2, v2
	v_cndmask_b32_e32 v4, v5, v4, vcc
.LBB749_22:
	s_or_b64 exec, exec, s[4:5]
	global_store_short v[0:1], v4, off
.LBB749_23:
	s_or_b64 exec, exec, s[2:3]
	v_cmp_ne_u32_e32 vcc, 1, v8
	s_and_b64 exec, exec, vcc
	s_cbranch_execz .LBB749_26
; %bb.24:
	s_and_b64 exec, exec, s[0:1]
	s_cbranch_execz .LBB749_26
; %bb.25:
	v_div_scale_f32 v2, s[0:1], v3, v3, v6
	v_rcp_f32_e32 v4, v2
	s_mov_b32 s11, 0
	v_cmp_eq_f32_e64 s[0:1], 0, v3
	s_movk_i32 s2, 0x7fff
	v_fma_f32 v5, -v2, v4, 1.0
	v_fmac_f32_e32 v4, v5, v4
	v_div_scale_f32 v5, vcc, v6, v3, v6
	v_mul_f32_e32 v7, v5, v4
	v_fma_f32 v8, -v2, v7, v5
	v_fmac_f32_e32 v7, v8, v4
	v_fma_f32 v2, -v2, v7, v5
	v_div_fmas_f32 v2, v2, v4, v7
	v_div_fixup_f32 v2, v2, v3, v6
	v_bfe_u32 v3, v2, 16, 1
	v_cmp_u_f32_e32 vcc, v2, v2
	v_add3_u32 v2, v2, v3, s2
	s_lshl_b64 s[2:3], s[10:11], 1
	v_mov_b32_e32 v3, s3
	v_add_co_u32_e64 v0, s[2:3], s2, v0
	v_lshrrev_b32_e32 v2, 16, v2
	v_addc_co_u32_e64 v1, s[2:3], v1, v3, s[2:3]
	v_mov_b32_e32 v3, 0x7fc0
	s_or_b64 vcc, s[0:1], vcc
	v_cndmask_b32_e32 v2, v2, v3, vcc
	global_store_short v[0:1], v2, off
.LBB749_26:
	s_endpgm
	.section	.rodata,"a",@progbits
	.p2align	6, 0x0
	.amdhsa_kernel _ZN12_GLOBAL__N_120softmax_warp_forwardIN3c108BFloat16ES2_fLi2ELb0ELb1ELi32EEEvPT0_PKT_iiiPKbib
		.amdhsa_group_segment_fixed_size 0
		.amdhsa_private_segment_fixed_size 0
		.amdhsa_kernarg_size 304
		.amdhsa_user_sgpr_count 6
		.amdhsa_user_sgpr_private_segment_buffer 1
		.amdhsa_user_sgpr_dispatch_ptr 0
		.amdhsa_user_sgpr_queue_ptr 0
		.amdhsa_user_sgpr_kernarg_segment_ptr 1
		.amdhsa_user_sgpr_dispatch_id 0
		.amdhsa_user_sgpr_flat_scratch_init 0
		.amdhsa_user_sgpr_kernarg_preload_length 0
		.amdhsa_user_sgpr_kernarg_preload_offset 0
		.amdhsa_user_sgpr_private_segment_size 0
		.amdhsa_uses_dynamic_stack 0
		.amdhsa_system_sgpr_private_segment_wavefront_offset 0
		.amdhsa_system_sgpr_workgroup_id_x 1
		.amdhsa_system_sgpr_workgroup_id_y 0
		.amdhsa_system_sgpr_workgroup_id_z 0
		.amdhsa_system_sgpr_workgroup_info 0
		.amdhsa_system_vgpr_workitem_id 1
		.amdhsa_next_free_vgpr 17
		.amdhsa_next_free_sgpr 18
		.amdhsa_accum_offset 20
		.amdhsa_reserve_vcc 1
		.amdhsa_reserve_flat_scratch 0
		.amdhsa_float_round_mode_32 0
		.amdhsa_float_round_mode_16_64 0
		.amdhsa_float_denorm_mode_32 3
		.amdhsa_float_denorm_mode_16_64 3
		.amdhsa_dx10_clamp 1
		.amdhsa_ieee_mode 1
		.amdhsa_fp16_overflow 0
		.amdhsa_tg_split 0
		.amdhsa_exception_fp_ieee_invalid_op 0
		.amdhsa_exception_fp_denorm_src 0
		.amdhsa_exception_fp_ieee_div_zero 0
		.amdhsa_exception_fp_ieee_overflow 0
		.amdhsa_exception_fp_ieee_underflow 0
		.amdhsa_exception_fp_ieee_inexact 0
		.amdhsa_exception_int_div_zero 0
	.end_amdhsa_kernel
	.section	.text._ZN12_GLOBAL__N_120softmax_warp_forwardIN3c108BFloat16ES2_fLi2ELb0ELb1ELi32EEEvPT0_PKT_iiiPKbib,"axG",@progbits,_ZN12_GLOBAL__N_120softmax_warp_forwardIN3c108BFloat16ES2_fLi2ELb0ELb1ELi32EEEvPT0_PKT_iiiPKbib,comdat
.Lfunc_end749:
	.size	_ZN12_GLOBAL__N_120softmax_warp_forwardIN3c108BFloat16ES2_fLi2ELb0ELb1ELi32EEEvPT0_PKT_iiiPKbib, .Lfunc_end749-_ZN12_GLOBAL__N_120softmax_warp_forwardIN3c108BFloat16ES2_fLi2ELb0ELb1ELi32EEEvPT0_PKT_iiiPKbib
                                        ; -- End function
	.section	.AMDGPU.csdata,"",@progbits
; Kernel info:
; codeLenInByte = 1628
; NumSgprs: 22
; NumVgprs: 17
; NumAgprs: 0
; TotalNumVgprs: 17
; ScratchSize: 0
; MemoryBound: 0
; FloatMode: 240
; IeeeMode: 1
; LDSByteSize: 0 bytes/workgroup (compile time only)
; SGPRBlocks: 2
; VGPRBlocks: 2
; NumSGPRsForWavesPerEU: 22
; NumVGPRsForWavesPerEU: 17
; AccumOffset: 20
; Occupancy: 8
; WaveLimiterHint : 0
; COMPUTE_PGM_RSRC2:SCRATCH_EN: 0
; COMPUTE_PGM_RSRC2:USER_SGPR: 6
; COMPUTE_PGM_RSRC2:TRAP_HANDLER: 0
; COMPUTE_PGM_RSRC2:TGID_X_EN: 1
; COMPUTE_PGM_RSRC2:TGID_Y_EN: 0
; COMPUTE_PGM_RSRC2:TGID_Z_EN: 0
; COMPUTE_PGM_RSRC2:TIDIG_COMP_CNT: 1
; COMPUTE_PGM_RSRC3_GFX90A:ACCUM_OFFSET: 4
; COMPUTE_PGM_RSRC3_GFX90A:TG_SPLIT: 0
	.section	.text._ZN12_GLOBAL__N_120softmax_warp_forwardIN3c108BFloat16ES2_fLi3ELb0ELb1ELi64EEEvPT0_PKT_iiiPKbib,"axG",@progbits,_ZN12_GLOBAL__N_120softmax_warp_forwardIN3c108BFloat16ES2_fLi3ELb0ELb1ELi64EEEvPT0_PKT_iiiPKbib,comdat
	.globl	_ZN12_GLOBAL__N_120softmax_warp_forwardIN3c108BFloat16ES2_fLi3ELb0ELb1ELi64EEEvPT0_PKT_iiiPKbib ; -- Begin function _ZN12_GLOBAL__N_120softmax_warp_forwardIN3c108BFloat16ES2_fLi3ELb0ELb1ELi64EEEvPT0_PKT_iiiPKbib
	.p2align	8
	.type	_ZN12_GLOBAL__N_120softmax_warp_forwardIN3c108BFloat16ES2_fLi3ELb0ELb1ELi64EEEvPT0_PKT_iiiPKbib,@function
_ZN12_GLOBAL__N_120softmax_warp_forwardIN3c108BFloat16ES2_fLi3ELb0ELb1ELi64EEEvPT0_PKT_iiiPKbib: ; @_ZN12_GLOBAL__N_120softmax_warp_forwardIN3c108BFloat16ES2_fLi3ELb0ELb1ELi64EEEvPT0_PKT_iiiPKbib
; %bb.0:
	s_load_dwordx2 s[0:1], s[4:5], 0x28
	s_load_dword s2, s[4:5], 0x3c
	s_load_dwordx4 s[8:11], s[4:5], 0x10
	v_bfe_u32 v1, v0, 10, 10
	v_and_b32_e32 v4, 0x3ff, v0
	s_waitcnt lgkmcnt(0)
	s_bitcmp1_b32 s1, 0
	s_cselect_b64 s[16:17], -1, 0
	s_lshr_b32 s2, s2, 16
	s_mul_i32 s6, s6, s2
	v_add_lshl_u32 v5, s6, v1, 1
	v_mul_lo_u32 v6, v5, s9
	v_add_u32_e32 v0, v6, v4
	v_ashrrev_i32_e32 v1, 31, v0
	s_bitcmp0_b32 s1, 0
	v_pk_mov_b32 v[2:3], v[0:1], v[0:1] op_sel:[0,1]
	s_cbranch_scc1 .LBB750_2
; %bb.1:
	s_abs_i32 s1, s0
	v_cvt_f32_u32_e32 v2, s1
	v_xor_b32_e32 v3, s0, v6
	v_sub_u32_e32 v7, 0, v6
	s_sub_i32 s0, 0, s1
	v_rcp_iflag_f32_e32 v2, v2
	v_max_i32_e32 v6, v6, v7
	v_ashrrev_i32_e32 v3, 31, v3
	v_mul_f32_e32 v2, 0x4f7ffffe, v2
	v_cvt_u32_f32_e32 v2, v2
	v_mul_lo_u32 v7, s0, v2
	v_mul_hi_u32 v7, v2, v7
	v_add_u32_e32 v2, v2, v7
	v_mul_hi_u32 v2, v6, v2
	v_mul_lo_u32 v7, v2, s1
	v_sub_u32_e32 v6, v6, v7
	v_add_u32_e32 v8, 1, v2
	v_cmp_le_u32_e32 vcc, s1, v6
	v_subrev_u32_e32 v7, s1, v6
	v_cndmask_b32_e32 v2, v2, v8, vcc
	v_cndmask_b32_e32 v6, v6, v7, vcc
	v_add_u32_e32 v7, 1, v2
	v_cmp_le_u32_e32 vcc, s1, v6
	v_cndmask_b32_e32 v2, v2, v7, vcc
	v_xor_b32_e32 v2, v2, v3
	v_sub_u32_e32 v2, v2, v3
	v_mad_u64_u32 v[2:3], s[0:1], v2, s9, v[4:5]
	v_ashrrev_i32_e32 v3, 31, v2
.LBB750_2:
	s_load_dwordx4 s[12:15], s[4:5], 0x0
	v_lshlrev_b64 v[0:1], 1, v[0:1]
	v_sub_u32_e32 v8, s8, v5
	v_cmp_gt_i32_e64 s[0:1], s10, v4
	v_mov_b32_e32 v9, 0xff800000
	s_waitcnt lgkmcnt(0)
	v_mov_b32_e32 v5, s15
	v_add_co_u32_e32 v6, vcc, s14, v0
	v_addc_co_u32_e32 v7, vcc, v5, v1, vcc
	v_cmp_lt_i32_e32 vcc, 0, v8
	s_and_b64 s[8:9], s[0:1], vcc
	v_mov_b32_e32 v10, 0xff800000
	s_and_saveexec_b64 s[2:3], s[8:9]
	s_cbranch_execz .LBB750_4
; %bb.3:
	global_load_ushort v4, v[6:7], off
	s_waitcnt vmcnt(0)
	v_lshlrev_b32_e32 v10, 16, v4
.LBB750_4:
	s_or_b64 exec, exec, s[2:3]
	v_cmp_lt_i32_e64 s[2:3], 1, v8
	s_and_b64 s[6:7], s[0:1], s[2:3]
	s_and_saveexec_b64 s[14:15], s[6:7]
	s_cbranch_execz .LBB750_6
; %bb.5:
	s_mov_b32 s11, 0
	s_lshl_b64 s[2:3], s[10:11], 1
	v_mov_b32_e32 v5, s3
	v_add_co_u32_e64 v4, s[2:3], s2, v6
	v_addc_co_u32_e64 v5, s[2:3], v7, v5, s[2:3]
	global_load_ushort v4, v[4:5], off
	s_waitcnt vmcnt(0)
	v_lshlrev_b32_e32 v9, 16, v4
.LBB750_6:
	s_or_b64 exec, exec, s[14:15]
	s_load_dwordx2 s[2:3], s[4:5], 0x20
	s_waitcnt lgkmcnt(0)
	v_mov_b32_e32 v4, s3
	v_add_co_u32_e64 v2, s[2:3], s2, v2
	v_addc_co_u32_e64 v3, s[2:3], v4, v3, s[2:3]
	v_mov_b32_e32 v4, 0xff800000
	s_and_saveexec_b64 s[4:5], s[8:9]
	s_cbranch_execz .LBB750_8
; %bb.7:
	global_load_ubyte v4, v[2:3], off
	v_mov_b32_e32 v5, 0xff800000
	s_waitcnt vmcnt(0)
	v_and_b32_e32 v4, 1, v4
	v_cmp_eq_u32_e64 s[2:3], 1, v4
	v_cndmask_b32_e64 v4, v10, v5, s[2:3]
.LBB750_8:
	s_or_b64 exec, exec, s[4:5]
	s_mov_b64 s[4:5], 0
	s_and_saveexec_b64 s[14:15], s[6:7]
	s_cbranch_execz .LBB750_10
; %bb.9:
	s_and_b64 s[2:3], s[16:17], exec
	s_cselect_b32 s2, 0, 0
	s_cselect_b32 s3, 0, s10
	v_mov_b32_e32 v5, s2
	v_add_co_u32_e64 v6, s[2:3], s3, v2
	v_addc_co_u32_e64 v7, s[2:3], v3, v5, s[2:3]
	global_load_ubyte v5, v[6:7], off
	s_waitcnt vmcnt(0)
	v_and_b32_e32 v5, 1, v5
	v_cmp_eq_u32_e64 s[2:3], 1, v5
	s_xor_b64 s[2:3], s[2:3], -1
	s_and_b64 s[4:5], s[2:3], exec
.LBB750_10:
	s_or_b64 exec, exec, s[14:15]
	v_mbcnt_lo_u32_b32 v5, -1, 0
	v_mbcnt_hi_u32_b32 v5, -1, v5
	v_and_b32_e32 v6, 0x78, v5
	v_add_u32_e32 v6, 8, v6
	v_xor_b32_e32 v7, 4, v5
	v_cmp_lt_i32_e64 s[2:3], v7, v6
	v_cndmask_b32_e64 v7, v5, v7, s[2:3]
	v_cndmask_b32_e64 v4, v4, v4, s[4:5]
	v_lshlrev_b32_e32 v7, 2, v7
	ds_bpermute_b32 v11, v7, v4
	v_mov_b32_e32 v12, 0xff800000
	v_cndmask_b32_e64 v12, v12, v9, s[4:5]
	ds_bpermute_b32 v13, v7, v12
	s_mov_b32 s14, 0
	s_waitcnt lgkmcnt(1)
	v_cmp_lt_f32_e64 s[2:3], v4, v11
	v_cndmask_b32_e64 v4, v4, v11, s[2:3]
	v_xor_b32_e32 v11, 2, v5
	v_cmp_lt_i32_e64 s[2:3], v11, v6
	v_cndmask_b32_e64 v11, v5, v11, s[2:3]
	v_lshlrev_b32_e32 v11, 2, v11
	s_waitcnt lgkmcnt(0)
	v_cmp_lt_f32_e64 s[2:3], v12, v13
	ds_bpermute_b32 v14, v11, v4
	v_cndmask_b32_e64 v12, v12, v13, s[2:3]
	ds_bpermute_b32 v13, v11, v12
	s_mov_b32 s15, s14
	s_waitcnt lgkmcnt(1)
	v_cmp_lt_f32_e64 s[2:3], v4, v14
	v_cndmask_b32_e64 v16, v4, v14, s[2:3]
	s_waitcnt lgkmcnt(0)
	v_cmp_lt_f32_e64 s[2:3], v12, v13
	v_xor_b32_e32 v4, 1, v5
	v_cndmask_b32_e64 v14, v12, v13, s[2:3]
	v_cmp_lt_i32_e64 s[2:3], v4, v6
	v_cndmask_b32_e64 v4, v5, v4, s[2:3]
	v_lshlrev_b32_e32 v13, 2, v4
	ds_bpermute_b32 v17, v13, v16
	ds_bpermute_b32 v15, v13, v14
	v_mov_b32_e32 v6, 0
	v_pk_mov_b32 v[4:5], s[14:15], s[14:15] op_sel:[0,1]
	v_mov_b32_e32 v12, 0
	s_and_saveexec_b64 s[4:5], s[8:9]
	s_cbranch_execz .LBB750_14
; %bb.11:
	global_load_ubyte v12, v[2:3], off
	v_pk_mov_b32 v[4:5], s[14:15], s[14:15] op_sel:[0,1]
	s_waitcnt vmcnt(0)
	v_and_b32_e32 v12, 1, v12
	v_cmp_eq_u32_e64 s[2:3], 1, v12
	s_xor_b64 s[2:3], s[2:3], -1
	v_mov_b32_e32 v12, 0
	s_and_saveexec_b64 s[8:9], s[2:3]
	s_cbranch_execz .LBB750_13
; %bb.12:
	s_waitcnt lgkmcnt(1)
	v_cmp_lt_f32_e64 s[2:3], v16, v17
	v_cndmask_b32_e64 v4, v16, v17, s[2:3]
	v_sub_f32_e32 v4, v10, v4
	s_mov_b32 s2, 0x3fb8aa3b
	v_mul_f32_e32 v5, 0x3fb8aa3b, v4
	v_fma_f32 v10, v4, s2, -v5
	v_rndne_f32_e32 v12, v5
	v_fmac_f32_e32 v10, 0x32a5705f, v4
	v_sub_f32_e32 v5, v5, v12
	v_add_f32_e32 v5, v5, v10
	v_exp_f32_e32 v5, v5
	v_cvt_i32_f32_e32 v10, v12
	s_mov_b32 s2, 0xc2ce8ed0
	v_cmp_ngt_f32_e64 s[2:3], s2, v4
	v_mov_b32_e32 v12, 0x7f800000
	v_ldexp_f32 v10, v5, v10
	v_cndmask_b32_e64 v10, 0, v10, s[2:3]
	s_mov_b32 s2, 0x42b17218
	v_cmp_nlt_f32_e64 s[2:3], s2, v4
	v_cndmask_b32_e64 v4, v12, v10, s[2:3]
	v_mov_b32_e32 v5, 0
	v_mov_b32_e32 v12, v4
.LBB750_13:
	s_or_b64 exec, exec, s[8:9]
.LBB750_14:
	s_or_b64 exec, exec, s[4:5]
	s_and_saveexec_b64 s[4:5], s[6:7]
	s_cbranch_execz .LBB750_18
; %bb.15:
	s_and_b64 s[2:3], s[16:17], exec
	s_cselect_b32 s2, 0, 0
	s_cselect_b32 s3, 0, s10
	v_mov_b32_e32 v6, s2
	v_add_co_u32_e64 v2, s[2:3], s3, v2
	v_addc_co_u32_e64 v3, s[2:3], v3, v6, s[2:3]
	global_load_ubyte v2, v[2:3], off
	v_mov_b32_e32 v6, 0
	s_waitcnt vmcnt(0)
	v_and_b32_e32 v2, 1, v2
	v_cmp_eq_u32_e64 s[2:3], 1, v2
	s_xor_b64 s[2:3], s[2:3], -1
	s_and_saveexec_b64 s[6:7], s[2:3]
	s_cbranch_execz .LBB750_17
; %bb.16:
	s_waitcnt lgkmcnt(0)
	v_cmp_lt_f32_e64 s[2:3], v14, v15
	v_cndmask_b32_e64 v2, v14, v15, s[2:3]
	v_sub_f32_e32 v2, v9, v2
	s_mov_b32 s2, 0x3fb8aa3b
	v_mul_f32_e32 v3, 0x3fb8aa3b, v2
	v_fma_f32 v6, v2, s2, -v3
	v_rndne_f32_e32 v9, v3
	v_fmac_f32_e32 v6, 0x32a5705f, v2
	v_sub_f32_e32 v3, v3, v9
	v_add_f32_e32 v3, v3, v6
	v_exp_f32_e32 v3, v3
	v_cvt_i32_f32_e32 v6, v9
	s_mov_b32 s2, 0xc2ce8ed0
	v_cmp_ngt_f32_e64 s[2:3], s2, v2
	v_ldexp_f32 v3, v3, v6
	v_cndmask_b32_e64 v3, 0, v3, s[2:3]
	s_mov_b32 s2, 0x42b17218
	v_mov_b32_e32 v6, 0x7f800000
	v_cmp_nlt_f32_e64 s[2:3], s2, v2
	v_cndmask_b32_e64 v6, v6, v3, s[2:3]
	v_add_f32_e32 v5, v5, v6
.LBB750_17:
	s_or_b64 exec, exec, s[6:7]
.LBB750_18:
	s_or_b64 exec, exec, s[4:5]
	ds_bpermute_b32 v2, v7, v4
	ds_bpermute_b32 v3, v7, v5
	s_waitcnt lgkmcnt(0)
	v_pk_add_f32 v[2:3], v[4:5], v[2:3]
	ds_bpermute_b32 v4, v11, v2
	ds_bpermute_b32 v5, v11, v3
	s_waitcnt lgkmcnt(0)
	v_pk_add_f32 v[2:3], v[2:3], v[4:5]
	ds_bpermute_b32 v4, v13, v2
	ds_bpermute_b32 v5, v13, v3
	s_and_saveexec_b64 s[2:3], vcc
	s_cbranch_execz .LBB750_26
; %bb.19:
	s_waitcnt lgkmcnt(0)
	v_pk_add_f32 v[2:3], v[2:3], v[4:5]
	v_mov_b32_e32 v4, s13
	v_add_co_u32_e32 v0, vcc, s12, v0
	v_addc_co_u32_e32 v1, vcc, v4, v1, vcc
	s_and_saveexec_b64 s[2:3], s[0:1]
	s_cbranch_execz .LBB750_23
; %bb.20:
	v_cmp_neq_f32_e32 vcc, 0, v2
	v_mov_b32_e32 v4, 0x7fc0
	s_and_saveexec_b64 s[4:5], vcc
	s_cbranch_execz .LBB750_22
; %bb.21:
	v_div_scale_f32 v4, s[6:7], v2, v2, v12
	v_rcp_f32_e32 v5, v4
	v_div_scale_f32 v7, vcc, v12, v2, v12
	s_movk_i32 s6, 0x7fff
	v_fma_f32 v9, -v4, v5, 1.0
	v_fmac_f32_e32 v5, v9, v5
	v_mul_f32_e32 v9, v7, v5
	v_fma_f32 v10, -v4, v9, v7
	v_fmac_f32_e32 v9, v10, v5
	v_fma_f32 v4, -v4, v9, v7
	v_div_fmas_f32 v4, v4, v5, v9
	v_div_fixup_f32 v2, v4, v2, v12
	v_bfe_u32 v4, v2, 16, 1
	v_add3_u32 v4, v2, v4, s6
	v_lshrrev_b32_e32 v4, 16, v4
	v_mov_b32_e32 v5, 0x7fc0
	v_cmp_o_f32_e32 vcc, v2, v2
	v_cndmask_b32_e32 v4, v5, v4, vcc
.LBB750_22:
	s_or_b64 exec, exec, s[4:5]
	global_store_short v[0:1], v4, off
.LBB750_23:
	s_or_b64 exec, exec, s[2:3]
	v_cmp_ne_u32_e32 vcc, 1, v8
	s_and_b64 exec, exec, vcc
	s_cbranch_execz .LBB750_26
; %bb.24:
	s_and_b64 exec, exec, s[0:1]
	s_cbranch_execz .LBB750_26
; %bb.25:
	v_div_scale_f32 v2, s[0:1], v3, v3, v6
	v_rcp_f32_e32 v4, v2
	s_mov_b32 s11, 0
	v_cmp_eq_f32_e64 s[0:1], 0, v3
	s_movk_i32 s2, 0x7fff
	v_fma_f32 v5, -v2, v4, 1.0
	v_fmac_f32_e32 v4, v5, v4
	v_div_scale_f32 v5, vcc, v6, v3, v6
	v_mul_f32_e32 v7, v5, v4
	v_fma_f32 v8, -v2, v7, v5
	v_fmac_f32_e32 v7, v8, v4
	v_fma_f32 v2, -v2, v7, v5
	v_div_fmas_f32 v2, v2, v4, v7
	v_div_fixup_f32 v2, v2, v3, v6
	v_bfe_u32 v3, v2, 16, 1
	v_cmp_u_f32_e32 vcc, v2, v2
	v_add3_u32 v2, v2, v3, s2
	s_lshl_b64 s[2:3], s[10:11], 1
	v_mov_b32_e32 v3, s3
	v_add_co_u32_e64 v0, s[2:3], s2, v0
	v_lshrrev_b32_e32 v2, 16, v2
	v_addc_co_u32_e64 v1, s[2:3], v1, v3, s[2:3]
	v_mov_b32_e32 v3, 0x7fc0
	s_or_b64 vcc, s[0:1], vcc
	v_cndmask_b32_e32 v2, v2, v3, vcc
	global_store_short v[0:1], v2, off
.LBB750_26:
	s_endpgm
	.section	.rodata,"a",@progbits
	.p2align	6, 0x0
	.amdhsa_kernel _ZN12_GLOBAL__N_120softmax_warp_forwardIN3c108BFloat16ES2_fLi3ELb0ELb1ELi64EEEvPT0_PKT_iiiPKbib
		.amdhsa_group_segment_fixed_size 0
		.amdhsa_private_segment_fixed_size 0
		.amdhsa_kernarg_size 304
		.amdhsa_user_sgpr_count 6
		.amdhsa_user_sgpr_private_segment_buffer 1
		.amdhsa_user_sgpr_dispatch_ptr 0
		.amdhsa_user_sgpr_queue_ptr 0
		.amdhsa_user_sgpr_kernarg_segment_ptr 1
		.amdhsa_user_sgpr_dispatch_id 0
		.amdhsa_user_sgpr_flat_scratch_init 0
		.amdhsa_user_sgpr_kernarg_preload_length 0
		.amdhsa_user_sgpr_kernarg_preload_offset 0
		.amdhsa_user_sgpr_private_segment_size 0
		.amdhsa_uses_dynamic_stack 0
		.amdhsa_system_sgpr_private_segment_wavefront_offset 0
		.amdhsa_system_sgpr_workgroup_id_x 1
		.amdhsa_system_sgpr_workgroup_id_y 0
		.amdhsa_system_sgpr_workgroup_id_z 0
		.amdhsa_system_sgpr_workgroup_info 0
		.amdhsa_system_vgpr_workitem_id 1
		.amdhsa_next_free_vgpr 18
		.amdhsa_next_free_sgpr 18
		.amdhsa_accum_offset 20
		.amdhsa_reserve_vcc 1
		.amdhsa_reserve_flat_scratch 0
		.amdhsa_float_round_mode_32 0
		.amdhsa_float_round_mode_16_64 0
		.amdhsa_float_denorm_mode_32 3
		.amdhsa_float_denorm_mode_16_64 3
		.amdhsa_dx10_clamp 1
		.amdhsa_ieee_mode 1
		.amdhsa_fp16_overflow 0
		.amdhsa_tg_split 0
		.amdhsa_exception_fp_ieee_invalid_op 0
		.amdhsa_exception_fp_denorm_src 0
		.amdhsa_exception_fp_ieee_div_zero 0
		.amdhsa_exception_fp_ieee_overflow 0
		.amdhsa_exception_fp_ieee_underflow 0
		.amdhsa_exception_fp_ieee_inexact 0
		.amdhsa_exception_int_div_zero 0
	.end_amdhsa_kernel
	.section	.text._ZN12_GLOBAL__N_120softmax_warp_forwardIN3c108BFloat16ES2_fLi3ELb0ELb1ELi64EEEvPT0_PKT_iiiPKbib,"axG",@progbits,_ZN12_GLOBAL__N_120softmax_warp_forwardIN3c108BFloat16ES2_fLi3ELb0ELb1ELi64EEEvPT0_PKT_iiiPKbib,comdat
.Lfunc_end750:
	.size	_ZN12_GLOBAL__N_120softmax_warp_forwardIN3c108BFloat16ES2_fLi3ELb0ELb1ELi64EEEvPT0_PKT_iiiPKbib, .Lfunc_end750-_ZN12_GLOBAL__N_120softmax_warp_forwardIN3c108BFloat16ES2_fLi3ELb0ELb1ELi64EEEvPT0_PKT_iiiPKbib
                                        ; -- End function
	.section	.AMDGPU.csdata,"",@progbits
; Kernel info:
; codeLenInByte = 1736
; NumSgprs: 22
; NumVgprs: 18
; NumAgprs: 0
; TotalNumVgprs: 18
; ScratchSize: 0
; MemoryBound: 0
; FloatMode: 240
; IeeeMode: 1
; LDSByteSize: 0 bytes/workgroup (compile time only)
; SGPRBlocks: 2
; VGPRBlocks: 2
; NumSGPRsForWavesPerEU: 22
; NumVGPRsForWavesPerEU: 18
; AccumOffset: 20
; Occupancy: 8
; WaveLimiterHint : 0
; COMPUTE_PGM_RSRC2:SCRATCH_EN: 0
; COMPUTE_PGM_RSRC2:USER_SGPR: 6
; COMPUTE_PGM_RSRC2:TRAP_HANDLER: 0
; COMPUTE_PGM_RSRC2:TGID_X_EN: 1
; COMPUTE_PGM_RSRC2:TGID_Y_EN: 0
; COMPUTE_PGM_RSRC2:TGID_Z_EN: 0
; COMPUTE_PGM_RSRC2:TIDIG_COMP_CNT: 1
; COMPUTE_PGM_RSRC3_GFX90A:ACCUM_OFFSET: 4
; COMPUTE_PGM_RSRC3_GFX90A:TG_SPLIT: 0
	.section	.text._ZN12_GLOBAL__N_120softmax_warp_forwardIN3c108BFloat16ES2_fLi3ELb0ELb1ELi32EEEvPT0_PKT_iiiPKbib,"axG",@progbits,_ZN12_GLOBAL__N_120softmax_warp_forwardIN3c108BFloat16ES2_fLi3ELb0ELb1ELi32EEEvPT0_PKT_iiiPKbib,comdat
	.globl	_ZN12_GLOBAL__N_120softmax_warp_forwardIN3c108BFloat16ES2_fLi3ELb0ELb1ELi32EEEvPT0_PKT_iiiPKbib ; -- Begin function _ZN12_GLOBAL__N_120softmax_warp_forwardIN3c108BFloat16ES2_fLi3ELb0ELb1ELi32EEEvPT0_PKT_iiiPKbib
	.p2align	8
	.type	_ZN12_GLOBAL__N_120softmax_warp_forwardIN3c108BFloat16ES2_fLi3ELb0ELb1ELi32EEEvPT0_PKT_iiiPKbib,@function
_ZN12_GLOBAL__N_120softmax_warp_forwardIN3c108BFloat16ES2_fLi3ELb0ELb1ELi32EEEvPT0_PKT_iiiPKbib: ; @_ZN12_GLOBAL__N_120softmax_warp_forwardIN3c108BFloat16ES2_fLi3ELb0ELb1ELi32EEEvPT0_PKT_iiiPKbib
; %bb.0:
	s_load_dwordx2 s[0:1], s[4:5], 0x28
	s_load_dword s2, s[4:5], 0x3c
	s_load_dwordx4 s[8:11], s[4:5], 0x10
	v_bfe_u32 v1, v0, 10, 10
	v_and_b32_e32 v4, 0x3ff, v0
	s_waitcnt lgkmcnt(0)
	s_bitcmp1_b32 s1, 0
	s_cselect_b64 s[16:17], -1, 0
	s_lshr_b32 s2, s2, 16
	s_mul_i32 s6, s6, s2
	v_add_lshl_u32 v5, s6, v1, 1
	v_mul_lo_u32 v6, v5, s9
	v_add_u32_e32 v0, v6, v4
	v_ashrrev_i32_e32 v1, 31, v0
	s_bitcmp0_b32 s1, 0
	v_pk_mov_b32 v[2:3], v[0:1], v[0:1] op_sel:[0,1]
	s_cbranch_scc1 .LBB751_2
; %bb.1:
	s_abs_i32 s1, s0
	v_cvt_f32_u32_e32 v2, s1
	v_xor_b32_e32 v3, s0, v6
	v_sub_u32_e32 v7, 0, v6
	s_sub_i32 s0, 0, s1
	v_rcp_iflag_f32_e32 v2, v2
	v_max_i32_e32 v6, v6, v7
	v_ashrrev_i32_e32 v3, 31, v3
	v_mul_f32_e32 v2, 0x4f7ffffe, v2
	v_cvt_u32_f32_e32 v2, v2
	v_mul_lo_u32 v7, s0, v2
	v_mul_hi_u32 v7, v2, v7
	v_add_u32_e32 v2, v2, v7
	v_mul_hi_u32 v2, v6, v2
	v_mul_lo_u32 v7, v2, s1
	v_sub_u32_e32 v6, v6, v7
	v_add_u32_e32 v8, 1, v2
	v_cmp_le_u32_e32 vcc, s1, v6
	v_subrev_u32_e32 v7, s1, v6
	v_cndmask_b32_e32 v2, v2, v8, vcc
	v_cndmask_b32_e32 v6, v6, v7, vcc
	v_add_u32_e32 v7, 1, v2
	v_cmp_le_u32_e32 vcc, s1, v6
	v_cndmask_b32_e32 v2, v2, v7, vcc
	v_xor_b32_e32 v2, v2, v3
	v_sub_u32_e32 v2, v2, v3
	v_mad_u64_u32 v[2:3], s[0:1], v2, s9, v[4:5]
	v_ashrrev_i32_e32 v3, 31, v2
.LBB751_2:
	s_load_dwordx4 s[12:15], s[4:5], 0x0
	v_lshlrev_b64 v[0:1], 1, v[0:1]
	v_sub_u32_e32 v8, s8, v5
	v_cmp_gt_i32_e64 s[0:1], s10, v4
	v_mov_b32_e32 v9, 0xff800000
	s_waitcnt lgkmcnt(0)
	v_mov_b32_e32 v5, s15
	v_add_co_u32_e32 v6, vcc, s14, v0
	v_addc_co_u32_e32 v7, vcc, v5, v1, vcc
	v_cmp_lt_i32_e32 vcc, 0, v8
	s_and_b64 s[8:9], s[0:1], vcc
	v_mov_b32_e32 v10, 0xff800000
	s_and_saveexec_b64 s[2:3], s[8:9]
	s_cbranch_execz .LBB751_4
; %bb.3:
	global_load_ushort v4, v[6:7], off
	s_waitcnt vmcnt(0)
	v_lshlrev_b32_e32 v10, 16, v4
.LBB751_4:
	s_or_b64 exec, exec, s[2:3]
	v_cmp_lt_i32_e64 s[2:3], 1, v8
	s_and_b64 s[6:7], s[0:1], s[2:3]
	s_and_saveexec_b64 s[14:15], s[6:7]
	s_cbranch_execz .LBB751_6
; %bb.5:
	s_mov_b32 s11, 0
	s_lshl_b64 s[2:3], s[10:11], 1
	v_mov_b32_e32 v5, s3
	v_add_co_u32_e64 v4, s[2:3], s2, v6
	v_addc_co_u32_e64 v5, s[2:3], v7, v5, s[2:3]
	global_load_ushort v4, v[4:5], off
	s_waitcnt vmcnt(0)
	v_lshlrev_b32_e32 v9, 16, v4
.LBB751_6:
	s_or_b64 exec, exec, s[14:15]
	s_load_dwordx2 s[2:3], s[4:5], 0x20
	s_waitcnt lgkmcnt(0)
	v_mov_b32_e32 v4, s3
	v_add_co_u32_e64 v2, s[2:3], s2, v2
	v_addc_co_u32_e64 v3, s[2:3], v4, v3, s[2:3]
	v_mov_b32_e32 v4, 0xff800000
	s_and_saveexec_b64 s[4:5], s[8:9]
	s_cbranch_execz .LBB751_8
; %bb.7:
	global_load_ubyte v4, v[2:3], off
	v_mov_b32_e32 v5, 0xff800000
	s_waitcnt vmcnt(0)
	v_and_b32_e32 v4, 1, v4
	v_cmp_eq_u32_e64 s[2:3], 1, v4
	v_cndmask_b32_e64 v4, v10, v5, s[2:3]
.LBB751_8:
	s_or_b64 exec, exec, s[4:5]
	s_mov_b64 s[4:5], 0
	s_and_saveexec_b64 s[14:15], s[6:7]
	s_cbranch_execz .LBB751_10
; %bb.9:
	s_and_b64 s[2:3], s[16:17], exec
	s_cselect_b32 s2, 0, 0
	s_cselect_b32 s3, 0, s10
	v_mov_b32_e32 v5, s2
	v_add_co_u32_e64 v6, s[2:3], s3, v2
	v_addc_co_u32_e64 v7, s[2:3], v3, v5, s[2:3]
	global_load_ubyte v5, v[6:7], off
	s_waitcnt vmcnt(0)
	v_and_b32_e32 v5, 1, v5
	v_cmp_eq_u32_e64 s[2:3], 1, v5
	s_xor_b64 s[2:3], s[2:3], -1
	s_and_b64 s[4:5], s[2:3], exec
.LBB751_10:
	s_or_b64 exec, exec, s[14:15]
	v_mbcnt_lo_u32_b32 v5, -1, 0
	v_mbcnt_hi_u32_b32 v5, -1, v5
	v_and_b32_e32 v6, 0x78, v5
	v_add_u32_e32 v6, 8, v6
	v_xor_b32_e32 v7, 4, v5
	v_cmp_lt_i32_e64 s[2:3], v7, v6
	v_cndmask_b32_e64 v7, v5, v7, s[2:3]
	v_cndmask_b32_e64 v4, v4, v4, s[4:5]
	v_lshlrev_b32_e32 v7, 2, v7
	ds_bpermute_b32 v11, v7, v4
	v_mov_b32_e32 v12, 0xff800000
	v_cndmask_b32_e64 v12, v12, v9, s[4:5]
	ds_bpermute_b32 v13, v7, v12
	s_mov_b32 s14, 0
	s_waitcnt lgkmcnt(1)
	v_cmp_lt_f32_e64 s[2:3], v4, v11
	v_cndmask_b32_e64 v4, v4, v11, s[2:3]
	v_xor_b32_e32 v11, 2, v5
	v_cmp_lt_i32_e64 s[2:3], v11, v6
	v_cndmask_b32_e64 v11, v5, v11, s[2:3]
	v_lshlrev_b32_e32 v11, 2, v11
	s_waitcnt lgkmcnt(0)
	v_cmp_lt_f32_e64 s[2:3], v12, v13
	ds_bpermute_b32 v14, v11, v4
	v_cndmask_b32_e64 v12, v12, v13, s[2:3]
	ds_bpermute_b32 v13, v11, v12
	s_mov_b32 s15, s14
	s_waitcnt lgkmcnt(1)
	v_cmp_lt_f32_e64 s[2:3], v4, v14
	v_cndmask_b32_e64 v16, v4, v14, s[2:3]
	s_waitcnt lgkmcnt(0)
	v_cmp_lt_f32_e64 s[2:3], v12, v13
	v_xor_b32_e32 v4, 1, v5
	v_cndmask_b32_e64 v14, v12, v13, s[2:3]
	v_cmp_lt_i32_e64 s[2:3], v4, v6
	v_cndmask_b32_e64 v4, v5, v4, s[2:3]
	v_lshlrev_b32_e32 v13, 2, v4
	ds_bpermute_b32 v17, v13, v16
	ds_bpermute_b32 v15, v13, v14
	v_mov_b32_e32 v6, 0
	v_pk_mov_b32 v[4:5], s[14:15], s[14:15] op_sel:[0,1]
	v_mov_b32_e32 v12, 0
	s_and_saveexec_b64 s[4:5], s[8:9]
	s_cbranch_execz .LBB751_14
; %bb.11:
	global_load_ubyte v12, v[2:3], off
	v_pk_mov_b32 v[4:5], s[14:15], s[14:15] op_sel:[0,1]
	s_waitcnt vmcnt(0)
	v_and_b32_e32 v12, 1, v12
	v_cmp_eq_u32_e64 s[2:3], 1, v12
	s_xor_b64 s[2:3], s[2:3], -1
	v_mov_b32_e32 v12, 0
	s_and_saveexec_b64 s[8:9], s[2:3]
	s_cbranch_execz .LBB751_13
; %bb.12:
	s_waitcnt lgkmcnt(1)
	v_cmp_lt_f32_e64 s[2:3], v16, v17
	v_cndmask_b32_e64 v4, v16, v17, s[2:3]
	v_sub_f32_e32 v4, v10, v4
	s_mov_b32 s2, 0x3fb8aa3b
	v_mul_f32_e32 v5, 0x3fb8aa3b, v4
	v_fma_f32 v10, v4, s2, -v5
	v_rndne_f32_e32 v12, v5
	v_fmac_f32_e32 v10, 0x32a5705f, v4
	v_sub_f32_e32 v5, v5, v12
	v_add_f32_e32 v5, v5, v10
	v_exp_f32_e32 v5, v5
	v_cvt_i32_f32_e32 v10, v12
	s_mov_b32 s2, 0xc2ce8ed0
	v_cmp_ngt_f32_e64 s[2:3], s2, v4
	v_mov_b32_e32 v12, 0x7f800000
	v_ldexp_f32 v10, v5, v10
	v_cndmask_b32_e64 v10, 0, v10, s[2:3]
	s_mov_b32 s2, 0x42b17218
	v_cmp_nlt_f32_e64 s[2:3], s2, v4
	v_cndmask_b32_e64 v4, v12, v10, s[2:3]
	v_mov_b32_e32 v5, 0
	v_mov_b32_e32 v12, v4
.LBB751_13:
	s_or_b64 exec, exec, s[8:9]
.LBB751_14:
	s_or_b64 exec, exec, s[4:5]
	s_and_saveexec_b64 s[4:5], s[6:7]
	s_cbranch_execz .LBB751_18
; %bb.15:
	s_and_b64 s[2:3], s[16:17], exec
	s_cselect_b32 s2, 0, 0
	s_cselect_b32 s3, 0, s10
	v_mov_b32_e32 v6, s2
	v_add_co_u32_e64 v2, s[2:3], s3, v2
	v_addc_co_u32_e64 v3, s[2:3], v3, v6, s[2:3]
	global_load_ubyte v2, v[2:3], off
	v_mov_b32_e32 v6, 0
	s_waitcnt vmcnt(0)
	v_and_b32_e32 v2, 1, v2
	v_cmp_eq_u32_e64 s[2:3], 1, v2
	s_xor_b64 s[2:3], s[2:3], -1
	s_and_saveexec_b64 s[6:7], s[2:3]
	s_cbranch_execz .LBB751_17
; %bb.16:
	s_waitcnt lgkmcnt(0)
	v_cmp_lt_f32_e64 s[2:3], v14, v15
	v_cndmask_b32_e64 v2, v14, v15, s[2:3]
	v_sub_f32_e32 v2, v9, v2
	s_mov_b32 s2, 0x3fb8aa3b
	v_mul_f32_e32 v3, 0x3fb8aa3b, v2
	v_fma_f32 v6, v2, s2, -v3
	v_rndne_f32_e32 v9, v3
	v_fmac_f32_e32 v6, 0x32a5705f, v2
	v_sub_f32_e32 v3, v3, v9
	v_add_f32_e32 v3, v3, v6
	v_exp_f32_e32 v3, v3
	v_cvt_i32_f32_e32 v6, v9
	s_mov_b32 s2, 0xc2ce8ed0
	v_cmp_ngt_f32_e64 s[2:3], s2, v2
	v_ldexp_f32 v3, v3, v6
	v_cndmask_b32_e64 v3, 0, v3, s[2:3]
	s_mov_b32 s2, 0x42b17218
	v_mov_b32_e32 v6, 0x7f800000
	v_cmp_nlt_f32_e64 s[2:3], s2, v2
	v_cndmask_b32_e64 v6, v6, v3, s[2:3]
	v_add_f32_e32 v5, v5, v6
.LBB751_17:
	s_or_b64 exec, exec, s[6:7]
.LBB751_18:
	s_or_b64 exec, exec, s[4:5]
	ds_bpermute_b32 v2, v7, v4
	ds_bpermute_b32 v3, v7, v5
	s_waitcnt lgkmcnt(0)
	v_pk_add_f32 v[2:3], v[4:5], v[2:3]
	ds_bpermute_b32 v4, v11, v2
	ds_bpermute_b32 v5, v11, v3
	s_waitcnt lgkmcnt(0)
	v_pk_add_f32 v[2:3], v[2:3], v[4:5]
	ds_bpermute_b32 v4, v13, v2
	ds_bpermute_b32 v5, v13, v3
	s_and_saveexec_b64 s[2:3], vcc
	s_cbranch_execz .LBB751_26
; %bb.19:
	s_waitcnt lgkmcnt(0)
	v_pk_add_f32 v[2:3], v[2:3], v[4:5]
	v_mov_b32_e32 v4, s13
	v_add_co_u32_e32 v0, vcc, s12, v0
	v_addc_co_u32_e32 v1, vcc, v4, v1, vcc
	s_and_saveexec_b64 s[2:3], s[0:1]
	s_cbranch_execz .LBB751_23
; %bb.20:
	v_cmp_neq_f32_e32 vcc, 0, v2
	v_mov_b32_e32 v4, 0x7fc0
	s_and_saveexec_b64 s[4:5], vcc
	s_cbranch_execz .LBB751_22
; %bb.21:
	v_div_scale_f32 v4, s[6:7], v2, v2, v12
	v_rcp_f32_e32 v5, v4
	v_div_scale_f32 v7, vcc, v12, v2, v12
	s_movk_i32 s6, 0x7fff
	v_fma_f32 v9, -v4, v5, 1.0
	v_fmac_f32_e32 v5, v9, v5
	v_mul_f32_e32 v9, v7, v5
	v_fma_f32 v10, -v4, v9, v7
	v_fmac_f32_e32 v9, v10, v5
	v_fma_f32 v4, -v4, v9, v7
	v_div_fmas_f32 v4, v4, v5, v9
	v_div_fixup_f32 v2, v4, v2, v12
	v_bfe_u32 v4, v2, 16, 1
	v_add3_u32 v4, v2, v4, s6
	v_lshrrev_b32_e32 v4, 16, v4
	v_mov_b32_e32 v5, 0x7fc0
	v_cmp_o_f32_e32 vcc, v2, v2
	v_cndmask_b32_e32 v4, v5, v4, vcc
.LBB751_22:
	s_or_b64 exec, exec, s[4:5]
	global_store_short v[0:1], v4, off
.LBB751_23:
	s_or_b64 exec, exec, s[2:3]
	v_cmp_ne_u32_e32 vcc, 1, v8
	s_and_b64 exec, exec, vcc
	s_cbranch_execz .LBB751_26
; %bb.24:
	s_and_b64 exec, exec, s[0:1]
	s_cbranch_execz .LBB751_26
; %bb.25:
	v_div_scale_f32 v2, s[0:1], v3, v3, v6
	v_rcp_f32_e32 v4, v2
	s_mov_b32 s11, 0
	v_cmp_eq_f32_e64 s[0:1], 0, v3
	s_movk_i32 s2, 0x7fff
	v_fma_f32 v5, -v2, v4, 1.0
	v_fmac_f32_e32 v4, v5, v4
	v_div_scale_f32 v5, vcc, v6, v3, v6
	v_mul_f32_e32 v7, v5, v4
	v_fma_f32 v8, -v2, v7, v5
	v_fmac_f32_e32 v7, v8, v4
	v_fma_f32 v2, -v2, v7, v5
	v_div_fmas_f32 v2, v2, v4, v7
	v_div_fixup_f32 v2, v2, v3, v6
	v_bfe_u32 v3, v2, 16, 1
	v_cmp_u_f32_e32 vcc, v2, v2
	v_add3_u32 v2, v2, v3, s2
	s_lshl_b64 s[2:3], s[10:11], 1
	v_mov_b32_e32 v3, s3
	v_add_co_u32_e64 v0, s[2:3], s2, v0
	v_lshrrev_b32_e32 v2, 16, v2
	v_addc_co_u32_e64 v1, s[2:3], v1, v3, s[2:3]
	v_mov_b32_e32 v3, 0x7fc0
	s_or_b64 vcc, s[0:1], vcc
	v_cndmask_b32_e32 v2, v2, v3, vcc
	global_store_short v[0:1], v2, off
.LBB751_26:
	s_endpgm
	.section	.rodata,"a",@progbits
	.p2align	6, 0x0
	.amdhsa_kernel _ZN12_GLOBAL__N_120softmax_warp_forwardIN3c108BFloat16ES2_fLi3ELb0ELb1ELi32EEEvPT0_PKT_iiiPKbib
		.amdhsa_group_segment_fixed_size 0
		.amdhsa_private_segment_fixed_size 0
		.amdhsa_kernarg_size 304
		.amdhsa_user_sgpr_count 6
		.amdhsa_user_sgpr_private_segment_buffer 1
		.amdhsa_user_sgpr_dispatch_ptr 0
		.amdhsa_user_sgpr_queue_ptr 0
		.amdhsa_user_sgpr_kernarg_segment_ptr 1
		.amdhsa_user_sgpr_dispatch_id 0
		.amdhsa_user_sgpr_flat_scratch_init 0
		.amdhsa_user_sgpr_kernarg_preload_length 0
		.amdhsa_user_sgpr_kernarg_preload_offset 0
		.amdhsa_user_sgpr_private_segment_size 0
		.amdhsa_uses_dynamic_stack 0
		.amdhsa_system_sgpr_private_segment_wavefront_offset 0
		.amdhsa_system_sgpr_workgroup_id_x 1
		.amdhsa_system_sgpr_workgroup_id_y 0
		.amdhsa_system_sgpr_workgroup_id_z 0
		.amdhsa_system_sgpr_workgroup_info 0
		.amdhsa_system_vgpr_workitem_id 1
		.amdhsa_next_free_vgpr 18
		.amdhsa_next_free_sgpr 18
		.amdhsa_accum_offset 20
		.amdhsa_reserve_vcc 1
		.amdhsa_reserve_flat_scratch 0
		.amdhsa_float_round_mode_32 0
		.amdhsa_float_round_mode_16_64 0
		.amdhsa_float_denorm_mode_32 3
		.amdhsa_float_denorm_mode_16_64 3
		.amdhsa_dx10_clamp 1
		.amdhsa_ieee_mode 1
		.amdhsa_fp16_overflow 0
		.amdhsa_tg_split 0
		.amdhsa_exception_fp_ieee_invalid_op 0
		.amdhsa_exception_fp_denorm_src 0
		.amdhsa_exception_fp_ieee_div_zero 0
		.amdhsa_exception_fp_ieee_overflow 0
		.amdhsa_exception_fp_ieee_underflow 0
		.amdhsa_exception_fp_ieee_inexact 0
		.amdhsa_exception_int_div_zero 0
	.end_amdhsa_kernel
	.section	.text._ZN12_GLOBAL__N_120softmax_warp_forwardIN3c108BFloat16ES2_fLi3ELb0ELb1ELi32EEEvPT0_PKT_iiiPKbib,"axG",@progbits,_ZN12_GLOBAL__N_120softmax_warp_forwardIN3c108BFloat16ES2_fLi3ELb0ELb1ELi32EEEvPT0_PKT_iiiPKbib,comdat
.Lfunc_end751:
	.size	_ZN12_GLOBAL__N_120softmax_warp_forwardIN3c108BFloat16ES2_fLi3ELb0ELb1ELi32EEEvPT0_PKT_iiiPKbib, .Lfunc_end751-_ZN12_GLOBAL__N_120softmax_warp_forwardIN3c108BFloat16ES2_fLi3ELb0ELb1ELi32EEEvPT0_PKT_iiiPKbib
                                        ; -- End function
	.section	.AMDGPU.csdata,"",@progbits
; Kernel info:
; codeLenInByte = 1736
; NumSgprs: 22
; NumVgprs: 18
; NumAgprs: 0
; TotalNumVgprs: 18
; ScratchSize: 0
; MemoryBound: 0
; FloatMode: 240
; IeeeMode: 1
; LDSByteSize: 0 bytes/workgroup (compile time only)
; SGPRBlocks: 2
; VGPRBlocks: 2
; NumSGPRsForWavesPerEU: 22
; NumVGPRsForWavesPerEU: 18
; AccumOffset: 20
; Occupancy: 8
; WaveLimiterHint : 0
; COMPUTE_PGM_RSRC2:SCRATCH_EN: 0
; COMPUTE_PGM_RSRC2:USER_SGPR: 6
; COMPUTE_PGM_RSRC2:TRAP_HANDLER: 0
; COMPUTE_PGM_RSRC2:TGID_X_EN: 1
; COMPUTE_PGM_RSRC2:TGID_Y_EN: 0
; COMPUTE_PGM_RSRC2:TGID_Z_EN: 0
; COMPUTE_PGM_RSRC2:TIDIG_COMP_CNT: 1
; COMPUTE_PGM_RSRC3_GFX90A:ACCUM_OFFSET: 4
; COMPUTE_PGM_RSRC3_GFX90A:TG_SPLIT: 0
	.section	.text._ZN12_GLOBAL__N_120softmax_warp_forwardIN3c108BFloat16ES2_fLi4ELb0ELb1ELi64EEEvPT0_PKT_iiiPKbib,"axG",@progbits,_ZN12_GLOBAL__N_120softmax_warp_forwardIN3c108BFloat16ES2_fLi4ELb0ELb1ELi64EEEvPT0_PKT_iiiPKbib,comdat
	.globl	_ZN12_GLOBAL__N_120softmax_warp_forwardIN3c108BFloat16ES2_fLi4ELb0ELb1ELi64EEEvPT0_PKT_iiiPKbib ; -- Begin function _ZN12_GLOBAL__N_120softmax_warp_forwardIN3c108BFloat16ES2_fLi4ELb0ELb1ELi64EEEvPT0_PKT_iiiPKbib
	.p2align	8
	.type	_ZN12_GLOBAL__N_120softmax_warp_forwardIN3c108BFloat16ES2_fLi4ELb0ELb1ELi64EEEvPT0_PKT_iiiPKbib,@function
_ZN12_GLOBAL__N_120softmax_warp_forwardIN3c108BFloat16ES2_fLi4ELb0ELb1ELi64EEEvPT0_PKT_iiiPKbib: ; @_ZN12_GLOBAL__N_120softmax_warp_forwardIN3c108BFloat16ES2_fLi4ELb0ELb1ELi64EEEvPT0_PKT_iiiPKbib
; %bb.0:
	s_load_dwordx2 s[0:1], s[4:5], 0x28
	s_load_dword s2, s[4:5], 0x3c
	s_load_dwordx4 s[8:11], s[4:5], 0x10
	v_bfe_u32 v1, v0, 10, 10
	v_and_b32_e32 v4, 0x3ff, v0
	s_waitcnt lgkmcnt(0)
	s_bitcmp1_b32 s1, 0
	s_cselect_b64 s[16:17], -1, 0
	s_lshr_b32 s2, s2, 16
	s_mul_i32 s6, s6, s2
	v_add_lshl_u32 v5, s6, v1, 1
	v_mul_lo_u32 v6, v5, s9
	v_add_u32_e32 v0, v6, v4
	v_ashrrev_i32_e32 v1, 31, v0
	s_bitcmp0_b32 s1, 0
	v_pk_mov_b32 v[2:3], v[0:1], v[0:1] op_sel:[0,1]
	s_cbranch_scc1 .LBB752_2
; %bb.1:
	s_abs_i32 s1, s0
	v_cvt_f32_u32_e32 v2, s1
	v_xor_b32_e32 v3, s0, v6
	v_sub_u32_e32 v7, 0, v6
	s_sub_i32 s0, 0, s1
	v_rcp_iflag_f32_e32 v2, v2
	v_max_i32_e32 v6, v6, v7
	v_ashrrev_i32_e32 v3, 31, v3
	v_mul_f32_e32 v2, 0x4f7ffffe, v2
	v_cvt_u32_f32_e32 v2, v2
	v_mul_lo_u32 v7, s0, v2
	v_mul_hi_u32 v7, v2, v7
	v_add_u32_e32 v2, v2, v7
	v_mul_hi_u32 v2, v6, v2
	v_mul_lo_u32 v7, v2, s1
	v_sub_u32_e32 v6, v6, v7
	v_add_u32_e32 v8, 1, v2
	v_cmp_le_u32_e32 vcc, s1, v6
	v_subrev_u32_e32 v7, s1, v6
	v_cndmask_b32_e32 v2, v2, v8, vcc
	v_cndmask_b32_e32 v6, v6, v7, vcc
	v_add_u32_e32 v7, 1, v2
	v_cmp_le_u32_e32 vcc, s1, v6
	v_cndmask_b32_e32 v2, v2, v7, vcc
	v_xor_b32_e32 v2, v2, v3
	v_sub_u32_e32 v2, v2, v3
	v_mad_u64_u32 v[2:3], s[0:1], v2, s9, v[4:5]
	v_ashrrev_i32_e32 v3, 31, v2
.LBB752_2:
	s_load_dwordx4 s[12:15], s[4:5], 0x0
	v_lshlrev_b64 v[0:1], 1, v[0:1]
	v_sub_u32_e32 v8, s8, v5
	v_cmp_gt_i32_e64 s[0:1], s10, v4
	v_mov_b32_e32 v9, 0xff800000
	s_waitcnt lgkmcnt(0)
	v_mov_b32_e32 v5, s15
	v_add_co_u32_e32 v6, vcc, s14, v0
	v_addc_co_u32_e32 v7, vcc, v5, v1, vcc
	v_cmp_lt_i32_e32 vcc, 0, v8
	s_and_b64 s[8:9], s[0:1], vcc
	v_mov_b32_e32 v10, 0xff800000
	s_and_saveexec_b64 s[2:3], s[8:9]
	s_cbranch_execz .LBB752_4
; %bb.3:
	global_load_ushort v4, v[6:7], off
	s_waitcnt vmcnt(0)
	v_lshlrev_b32_e32 v10, 16, v4
.LBB752_4:
	s_or_b64 exec, exec, s[2:3]
	v_cmp_lt_i32_e64 s[2:3], 1, v8
	s_and_b64 s[6:7], s[0:1], s[2:3]
	s_and_saveexec_b64 s[14:15], s[6:7]
	s_cbranch_execz .LBB752_6
; %bb.5:
	s_mov_b32 s11, 0
	s_lshl_b64 s[2:3], s[10:11], 1
	v_mov_b32_e32 v5, s3
	v_add_co_u32_e64 v4, s[2:3], s2, v6
	v_addc_co_u32_e64 v5, s[2:3], v7, v5, s[2:3]
	global_load_ushort v4, v[4:5], off
	s_waitcnt vmcnt(0)
	v_lshlrev_b32_e32 v9, 16, v4
.LBB752_6:
	s_or_b64 exec, exec, s[14:15]
	s_load_dwordx2 s[2:3], s[4:5], 0x20
	s_waitcnt lgkmcnt(0)
	v_mov_b32_e32 v4, s3
	v_add_co_u32_e64 v2, s[2:3], s2, v2
	v_addc_co_u32_e64 v3, s[2:3], v4, v3, s[2:3]
	v_mov_b32_e32 v4, 0xff800000
	s_and_saveexec_b64 s[4:5], s[8:9]
	s_cbranch_execz .LBB752_8
; %bb.7:
	global_load_ubyte v4, v[2:3], off
	v_mov_b32_e32 v5, 0xff800000
	s_waitcnt vmcnt(0)
	v_and_b32_e32 v4, 1, v4
	v_cmp_eq_u32_e64 s[2:3], 1, v4
	v_cndmask_b32_e64 v4, v10, v5, s[2:3]
.LBB752_8:
	s_or_b64 exec, exec, s[4:5]
	s_mov_b64 s[4:5], 0
	s_and_saveexec_b64 s[14:15], s[6:7]
	s_cbranch_execz .LBB752_10
; %bb.9:
	s_and_b64 s[2:3], s[16:17], exec
	s_cselect_b32 s2, 0, 0
	s_cselect_b32 s3, 0, s10
	v_mov_b32_e32 v5, s2
	v_add_co_u32_e64 v6, s[2:3], s3, v2
	v_addc_co_u32_e64 v7, s[2:3], v3, v5, s[2:3]
	global_load_ubyte v5, v[6:7], off
	s_waitcnt vmcnt(0)
	v_and_b32_e32 v5, 1, v5
	v_cmp_eq_u32_e64 s[2:3], 1, v5
	s_xor_b64 s[2:3], s[2:3], -1
	s_and_b64 s[4:5], s[2:3], exec
.LBB752_10:
	s_or_b64 exec, exec, s[14:15]
	v_mbcnt_lo_u32_b32 v5, -1, 0
	v_mbcnt_hi_u32_b32 v5, -1, v5
	v_and_b32_e32 v6, 0x70, v5
	v_add_u32_e32 v6, 16, v6
	v_xor_b32_e32 v7, 8, v5
	v_cmp_lt_i32_e64 s[2:3], v7, v6
	v_cndmask_b32_e64 v7, v5, v7, s[2:3]
	v_cndmask_b32_e64 v4, v4, v4, s[4:5]
	v_lshlrev_b32_e32 v7, 2, v7
	ds_bpermute_b32 v11, v7, v4
	v_mov_b32_e32 v12, 0xff800000
	v_cndmask_b32_e64 v12, v12, v9, s[4:5]
	ds_bpermute_b32 v13, v7, v12
	s_mov_b32 s14, 0
	s_waitcnt lgkmcnt(1)
	v_cmp_lt_f32_e64 s[2:3], v4, v11
	v_cndmask_b32_e64 v4, v4, v11, s[2:3]
	v_xor_b32_e32 v11, 4, v5
	v_cmp_lt_i32_e64 s[2:3], v11, v6
	v_cndmask_b32_e64 v11, v5, v11, s[2:3]
	v_lshlrev_b32_e32 v11, 2, v11
	ds_bpermute_b32 v14, v11, v4
	s_waitcnt lgkmcnt(1)
	v_cmp_lt_f32_e64 s[2:3], v12, v13
	v_cndmask_b32_e64 v13, v12, v13, s[2:3]
	v_xor_b32_e32 v12, 2, v5
	s_mov_b32 s15, s14
	s_waitcnt lgkmcnt(0)
	v_cmp_lt_f32_e64 s[2:3], v4, v14
	v_cndmask_b32_e64 v4, v4, v14, s[2:3]
	ds_bpermute_b32 v14, v11, v13
	v_cmp_lt_i32_e64 s[2:3], v12, v6
	v_cndmask_b32_e64 v12, v5, v12, s[2:3]
	v_lshlrev_b32_e32 v12, 2, v12
	ds_bpermute_b32 v15, v12, v4
	s_waitcnt lgkmcnt(1)
	v_cmp_lt_f32_e64 s[2:3], v13, v14
	v_cndmask_b32_e64 v13, v13, v14, s[2:3]
	ds_bpermute_b32 v14, v12, v13
	s_waitcnt lgkmcnt(1)
	v_cmp_lt_f32_e64 s[2:3], v4, v15
	v_cndmask_b32_e64 v17, v4, v15, s[2:3]
	v_xor_b32_e32 v4, 1, v5
	s_waitcnt lgkmcnt(0)
	v_cmp_lt_f32_e64 s[2:3], v13, v14
	v_cndmask_b32_e64 v15, v13, v14, s[2:3]
	v_cmp_lt_i32_e64 s[2:3], v4, v6
	v_cndmask_b32_e64 v4, v5, v4, s[2:3]
	v_lshlrev_b32_e32 v14, 2, v4
	ds_bpermute_b32 v18, v14, v17
	ds_bpermute_b32 v16, v14, v15
	v_mov_b32_e32 v6, 0
	v_pk_mov_b32 v[4:5], s[14:15], s[14:15] op_sel:[0,1]
	v_mov_b32_e32 v13, 0
	s_and_saveexec_b64 s[4:5], s[8:9]
	s_cbranch_execz .LBB752_14
; %bb.11:
	global_load_ubyte v13, v[2:3], off
	v_pk_mov_b32 v[4:5], s[14:15], s[14:15] op_sel:[0,1]
	s_waitcnt vmcnt(0)
	v_and_b32_e32 v13, 1, v13
	v_cmp_eq_u32_e64 s[2:3], 1, v13
	s_xor_b64 s[2:3], s[2:3], -1
	v_mov_b32_e32 v13, 0
	s_and_saveexec_b64 s[8:9], s[2:3]
	s_cbranch_execz .LBB752_13
; %bb.12:
	s_waitcnt lgkmcnt(1)
	v_cmp_lt_f32_e64 s[2:3], v17, v18
	v_cndmask_b32_e64 v4, v17, v18, s[2:3]
	v_sub_f32_e32 v4, v10, v4
	s_mov_b32 s2, 0x3fb8aa3b
	v_mul_f32_e32 v5, 0x3fb8aa3b, v4
	v_fma_f32 v10, v4, s2, -v5
	v_rndne_f32_e32 v13, v5
	v_fmac_f32_e32 v10, 0x32a5705f, v4
	v_sub_f32_e32 v5, v5, v13
	v_add_f32_e32 v5, v5, v10
	v_exp_f32_e32 v5, v5
	v_cvt_i32_f32_e32 v10, v13
	s_mov_b32 s2, 0xc2ce8ed0
	v_cmp_ngt_f32_e64 s[2:3], s2, v4
	v_mov_b32_e32 v13, 0x7f800000
	v_ldexp_f32 v10, v5, v10
	v_cndmask_b32_e64 v10, 0, v10, s[2:3]
	s_mov_b32 s2, 0x42b17218
	v_cmp_nlt_f32_e64 s[2:3], s2, v4
	v_cndmask_b32_e64 v4, v13, v10, s[2:3]
	v_mov_b32_e32 v5, 0
	v_mov_b32_e32 v13, v4
.LBB752_13:
	s_or_b64 exec, exec, s[8:9]
.LBB752_14:
	s_or_b64 exec, exec, s[4:5]
	s_and_saveexec_b64 s[4:5], s[6:7]
	s_cbranch_execz .LBB752_18
; %bb.15:
	s_and_b64 s[2:3], s[16:17], exec
	s_cselect_b32 s2, 0, 0
	s_cselect_b32 s3, 0, s10
	v_mov_b32_e32 v6, s2
	v_add_co_u32_e64 v2, s[2:3], s3, v2
	v_addc_co_u32_e64 v3, s[2:3], v3, v6, s[2:3]
	global_load_ubyte v2, v[2:3], off
	v_mov_b32_e32 v6, 0
	s_waitcnt vmcnt(0)
	v_and_b32_e32 v2, 1, v2
	v_cmp_eq_u32_e64 s[2:3], 1, v2
	s_xor_b64 s[2:3], s[2:3], -1
	s_and_saveexec_b64 s[6:7], s[2:3]
	s_cbranch_execz .LBB752_17
; %bb.16:
	s_waitcnt lgkmcnt(0)
	v_cmp_lt_f32_e64 s[2:3], v15, v16
	v_cndmask_b32_e64 v2, v15, v16, s[2:3]
	v_sub_f32_e32 v2, v9, v2
	s_mov_b32 s2, 0x3fb8aa3b
	v_mul_f32_e32 v3, 0x3fb8aa3b, v2
	v_fma_f32 v6, v2, s2, -v3
	v_rndne_f32_e32 v9, v3
	v_fmac_f32_e32 v6, 0x32a5705f, v2
	v_sub_f32_e32 v3, v3, v9
	v_add_f32_e32 v3, v3, v6
	v_exp_f32_e32 v3, v3
	v_cvt_i32_f32_e32 v6, v9
	s_mov_b32 s2, 0xc2ce8ed0
	v_cmp_ngt_f32_e64 s[2:3], s2, v2
	v_ldexp_f32 v3, v3, v6
	v_cndmask_b32_e64 v3, 0, v3, s[2:3]
	s_mov_b32 s2, 0x42b17218
	v_mov_b32_e32 v6, 0x7f800000
	v_cmp_nlt_f32_e64 s[2:3], s2, v2
	v_cndmask_b32_e64 v6, v6, v3, s[2:3]
	v_add_f32_e32 v5, v5, v6
.LBB752_17:
	s_or_b64 exec, exec, s[6:7]
.LBB752_18:
	s_or_b64 exec, exec, s[4:5]
	ds_bpermute_b32 v2, v7, v4
	ds_bpermute_b32 v3, v7, v5
	s_waitcnt lgkmcnt(0)
	v_pk_add_f32 v[2:3], v[4:5], v[2:3]
	ds_bpermute_b32 v4, v11, v2
	ds_bpermute_b32 v5, v11, v3
	s_waitcnt lgkmcnt(0)
	v_pk_add_f32 v[2:3], v[2:3], v[4:5]
	;; [unrolled: 4-line block ×3, first 2 shown]
	ds_bpermute_b32 v4, v14, v2
	ds_bpermute_b32 v5, v14, v3
	s_and_saveexec_b64 s[2:3], vcc
	s_cbranch_execz .LBB752_26
; %bb.19:
	s_waitcnt lgkmcnt(0)
	v_pk_add_f32 v[2:3], v[2:3], v[4:5]
	v_mov_b32_e32 v4, s13
	v_add_co_u32_e32 v0, vcc, s12, v0
	v_addc_co_u32_e32 v1, vcc, v4, v1, vcc
	s_and_saveexec_b64 s[2:3], s[0:1]
	s_cbranch_execz .LBB752_23
; %bb.20:
	v_cmp_neq_f32_e32 vcc, 0, v2
	v_mov_b32_e32 v4, 0x7fc0
	s_and_saveexec_b64 s[4:5], vcc
	s_cbranch_execz .LBB752_22
; %bb.21:
	v_div_scale_f32 v4, s[6:7], v2, v2, v13
	v_rcp_f32_e32 v5, v4
	v_div_scale_f32 v7, vcc, v13, v2, v13
	s_movk_i32 s6, 0x7fff
	v_fma_f32 v9, -v4, v5, 1.0
	v_fmac_f32_e32 v5, v9, v5
	v_mul_f32_e32 v9, v7, v5
	v_fma_f32 v10, -v4, v9, v7
	v_fmac_f32_e32 v9, v10, v5
	v_fma_f32 v4, -v4, v9, v7
	v_div_fmas_f32 v4, v4, v5, v9
	v_div_fixup_f32 v2, v4, v2, v13
	v_bfe_u32 v4, v2, 16, 1
	v_add3_u32 v4, v2, v4, s6
	v_lshrrev_b32_e32 v4, 16, v4
	v_mov_b32_e32 v5, 0x7fc0
	v_cmp_o_f32_e32 vcc, v2, v2
	v_cndmask_b32_e32 v4, v5, v4, vcc
.LBB752_22:
	s_or_b64 exec, exec, s[4:5]
	global_store_short v[0:1], v4, off
.LBB752_23:
	s_or_b64 exec, exec, s[2:3]
	v_cmp_ne_u32_e32 vcc, 1, v8
	s_and_b64 exec, exec, vcc
	s_cbranch_execz .LBB752_26
; %bb.24:
	s_and_b64 exec, exec, s[0:1]
	s_cbranch_execz .LBB752_26
; %bb.25:
	v_div_scale_f32 v2, s[0:1], v3, v3, v6
	v_rcp_f32_e32 v4, v2
	s_mov_b32 s11, 0
	v_cmp_eq_f32_e64 s[0:1], 0, v3
	s_movk_i32 s2, 0x7fff
	v_fma_f32 v5, -v2, v4, 1.0
	v_fmac_f32_e32 v4, v5, v4
	v_div_scale_f32 v5, vcc, v6, v3, v6
	v_mul_f32_e32 v7, v5, v4
	v_fma_f32 v8, -v2, v7, v5
	v_fmac_f32_e32 v7, v8, v4
	v_fma_f32 v2, -v2, v7, v5
	v_div_fmas_f32 v2, v2, v4, v7
	v_div_fixup_f32 v2, v2, v3, v6
	v_bfe_u32 v3, v2, 16, 1
	v_cmp_u_f32_e32 vcc, v2, v2
	v_add3_u32 v2, v2, v3, s2
	s_lshl_b64 s[2:3], s[10:11], 1
	v_mov_b32_e32 v3, s3
	v_add_co_u32_e64 v0, s[2:3], s2, v0
	v_lshrrev_b32_e32 v2, 16, v2
	v_addc_co_u32_e64 v1, s[2:3], v1, v3, s[2:3]
	v_mov_b32_e32 v3, 0x7fc0
	s_or_b64 vcc, s[0:1], vcc
	v_cndmask_b32_e32 v2, v2, v3, vcc
	global_store_short v[0:1], v2, off
.LBB752_26:
	s_endpgm
	.section	.rodata,"a",@progbits
	.p2align	6, 0x0
	.amdhsa_kernel _ZN12_GLOBAL__N_120softmax_warp_forwardIN3c108BFloat16ES2_fLi4ELb0ELb1ELi64EEEvPT0_PKT_iiiPKbib
		.amdhsa_group_segment_fixed_size 0
		.amdhsa_private_segment_fixed_size 0
		.amdhsa_kernarg_size 304
		.amdhsa_user_sgpr_count 6
		.amdhsa_user_sgpr_private_segment_buffer 1
		.amdhsa_user_sgpr_dispatch_ptr 0
		.amdhsa_user_sgpr_queue_ptr 0
		.amdhsa_user_sgpr_kernarg_segment_ptr 1
		.amdhsa_user_sgpr_dispatch_id 0
		.amdhsa_user_sgpr_flat_scratch_init 0
		.amdhsa_user_sgpr_kernarg_preload_length 0
		.amdhsa_user_sgpr_kernarg_preload_offset 0
		.amdhsa_user_sgpr_private_segment_size 0
		.amdhsa_uses_dynamic_stack 0
		.amdhsa_system_sgpr_private_segment_wavefront_offset 0
		.amdhsa_system_sgpr_workgroup_id_x 1
		.amdhsa_system_sgpr_workgroup_id_y 0
		.amdhsa_system_sgpr_workgroup_id_z 0
		.amdhsa_system_sgpr_workgroup_info 0
		.amdhsa_system_vgpr_workitem_id 1
		.amdhsa_next_free_vgpr 19
		.amdhsa_next_free_sgpr 18
		.amdhsa_accum_offset 20
		.amdhsa_reserve_vcc 1
		.amdhsa_reserve_flat_scratch 0
		.amdhsa_float_round_mode_32 0
		.amdhsa_float_round_mode_16_64 0
		.amdhsa_float_denorm_mode_32 3
		.amdhsa_float_denorm_mode_16_64 3
		.amdhsa_dx10_clamp 1
		.amdhsa_ieee_mode 1
		.amdhsa_fp16_overflow 0
		.amdhsa_tg_split 0
		.amdhsa_exception_fp_ieee_invalid_op 0
		.amdhsa_exception_fp_denorm_src 0
		.amdhsa_exception_fp_ieee_div_zero 0
		.amdhsa_exception_fp_ieee_overflow 0
		.amdhsa_exception_fp_ieee_underflow 0
		.amdhsa_exception_fp_ieee_inexact 0
		.amdhsa_exception_int_div_zero 0
	.end_amdhsa_kernel
	.section	.text._ZN12_GLOBAL__N_120softmax_warp_forwardIN3c108BFloat16ES2_fLi4ELb0ELb1ELi64EEEvPT0_PKT_iiiPKbib,"axG",@progbits,_ZN12_GLOBAL__N_120softmax_warp_forwardIN3c108BFloat16ES2_fLi4ELb0ELb1ELi64EEEvPT0_PKT_iiiPKbib,comdat
.Lfunc_end752:
	.size	_ZN12_GLOBAL__N_120softmax_warp_forwardIN3c108BFloat16ES2_fLi4ELb0ELb1ELi64EEEvPT0_PKT_iiiPKbib, .Lfunc_end752-_ZN12_GLOBAL__N_120softmax_warp_forwardIN3c108BFloat16ES2_fLi4ELb0ELb1ELi64EEEvPT0_PKT_iiiPKbib
                                        ; -- End function
	.section	.AMDGPU.csdata,"",@progbits
; Kernel info:
; codeLenInByte = 1844
; NumSgprs: 22
; NumVgprs: 19
; NumAgprs: 0
; TotalNumVgprs: 19
; ScratchSize: 0
; MemoryBound: 0
; FloatMode: 240
; IeeeMode: 1
; LDSByteSize: 0 bytes/workgroup (compile time only)
; SGPRBlocks: 2
; VGPRBlocks: 2
; NumSGPRsForWavesPerEU: 22
; NumVGPRsForWavesPerEU: 19
; AccumOffset: 20
; Occupancy: 8
; WaveLimiterHint : 0
; COMPUTE_PGM_RSRC2:SCRATCH_EN: 0
; COMPUTE_PGM_RSRC2:USER_SGPR: 6
; COMPUTE_PGM_RSRC2:TRAP_HANDLER: 0
; COMPUTE_PGM_RSRC2:TGID_X_EN: 1
; COMPUTE_PGM_RSRC2:TGID_Y_EN: 0
; COMPUTE_PGM_RSRC2:TGID_Z_EN: 0
; COMPUTE_PGM_RSRC2:TIDIG_COMP_CNT: 1
; COMPUTE_PGM_RSRC3_GFX90A:ACCUM_OFFSET: 4
; COMPUTE_PGM_RSRC3_GFX90A:TG_SPLIT: 0
	.section	.text._ZN12_GLOBAL__N_120softmax_warp_forwardIN3c108BFloat16ES2_fLi4ELb0ELb1ELi32EEEvPT0_PKT_iiiPKbib,"axG",@progbits,_ZN12_GLOBAL__N_120softmax_warp_forwardIN3c108BFloat16ES2_fLi4ELb0ELb1ELi32EEEvPT0_PKT_iiiPKbib,comdat
	.globl	_ZN12_GLOBAL__N_120softmax_warp_forwardIN3c108BFloat16ES2_fLi4ELb0ELb1ELi32EEEvPT0_PKT_iiiPKbib ; -- Begin function _ZN12_GLOBAL__N_120softmax_warp_forwardIN3c108BFloat16ES2_fLi4ELb0ELb1ELi32EEEvPT0_PKT_iiiPKbib
	.p2align	8
	.type	_ZN12_GLOBAL__N_120softmax_warp_forwardIN3c108BFloat16ES2_fLi4ELb0ELb1ELi32EEEvPT0_PKT_iiiPKbib,@function
_ZN12_GLOBAL__N_120softmax_warp_forwardIN3c108BFloat16ES2_fLi4ELb0ELb1ELi32EEEvPT0_PKT_iiiPKbib: ; @_ZN12_GLOBAL__N_120softmax_warp_forwardIN3c108BFloat16ES2_fLi4ELb0ELb1ELi32EEEvPT0_PKT_iiiPKbib
; %bb.0:
	s_load_dwordx2 s[0:1], s[4:5], 0x28
	s_load_dword s2, s[4:5], 0x3c
	s_load_dwordx4 s[8:11], s[4:5], 0x10
	v_bfe_u32 v1, v0, 10, 10
	v_and_b32_e32 v4, 0x3ff, v0
	s_waitcnt lgkmcnt(0)
	s_bitcmp1_b32 s1, 0
	s_cselect_b64 s[16:17], -1, 0
	s_lshr_b32 s2, s2, 16
	s_mul_i32 s6, s6, s2
	v_add_lshl_u32 v5, s6, v1, 1
	v_mul_lo_u32 v6, v5, s9
	v_add_u32_e32 v0, v6, v4
	v_ashrrev_i32_e32 v1, 31, v0
	s_bitcmp0_b32 s1, 0
	v_pk_mov_b32 v[2:3], v[0:1], v[0:1] op_sel:[0,1]
	s_cbranch_scc1 .LBB753_2
; %bb.1:
	s_abs_i32 s1, s0
	v_cvt_f32_u32_e32 v2, s1
	v_xor_b32_e32 v3, s0, v6
	v_sub_u32_e32 v7, 0, v6
	s_sub_i32 s0, 0, s1
	v_rcp_iflag_f32_e32 v2, v2
	v_max_i32_e32 v6, v6, v7
	v_ashrrev_i32_e32 v3, 31, v3
	v_mul_f32_e32 v2, 0x4f7ffffe, v2
	v_cvt_u32_f32_e32 v2, v2
	v_mul_lo_u32 v7, s0, v2
	v_mul_hi_u32 v7, v2, v7
	v_add_u32_e32 v2, v2, v7
	v_mul_hi_u32 v2, v6, v2
	v_mul_lo_u32 v7, v2, s1
	v_sub_u32_e32 v6, v6, v7
	v_add_u32_e32 v8, 1, v2
	v_cmp_le_u32_e32 vcc, s1, v6
	v_subrev_u32_e32 v7, s1, v6
	v_cndmask_b32_e32 v2, v2, v8, vcc
	v_cndmask_b32_e32 v6, v6, v7, vcc
	v_add_u32_e32 v7, 1, v2
	v_cmp_le_u32_e32 vcc, s1, v6
	v_cndmask_b32_e32 v2, v2, v7, vcc
	v_xor_b32_e32 v2, v2, v3
	v_sub_u32_e32 v2, v2, v3
	v_mad_u64_u32 v[2:3], s[0:1], v2, s9, v[4:5]
	v_ashrrev_i32_e32 v3, 31, v2
.LBB753_2:
	s_load_dwordx4 s[12:15], s[4:5], 0x0
	v_lshlrev_b64 v[0:1], 1, v[0:1]
	v_sub_u32_e32 v8, s8, v5
	v_cmp_gt_i32_e64 s[0:1], s10, v4
	v_mov_b32_e32 v9, 0xff800000
	s_waitcnt lgkmcnt(0)
	v_mov_b32_e32 v5, s15
	v_add_co_u32_e32 v6, vcc, s14, v0
	v_addc_co_u32_e32 v7, vcc, v5, v1, vcc
	v_cmp_lt_i32_e32 vcc, 0, v8
	s_and_b64 s[8:9], s[0:1], vcc
	v_mov_b32_e32 v10, 0xff800000
	s_and_saveexec_b64 s[2:3], s[8:9]
	s_cbranch_execz .LBB753_4
; %bb.3:
	global_load_ushort v4, v[6:7], off
	s_waitcnt vmcnt(0)
	v_lshlrev_b32_e32 v10, 16, v4
.LBB753_4:
	s_or_b64 exec, exec, s[2:3]
	v_cmp_lt_i32_e64 s[2:3], 1, v8
	s_and_b64 s[6:7], s[0:1], s[2:3]
	s_and_saveexec_b64 s[14:15], s[6:7]
	s_cbranch_execz .LBB753_6
; %bb.5:
	s_mov_b32 s11, 0
	s_lshl_b64 s[2:3], s[10:11], 1
	v_mov_b32_e32 v5, s3
	v_add_co_u32_e64 v4, s[2:3], s2, v6
	v_addc_co_u32_e64 v5, s[2:3], v7, v5, s[2:3]
	global_load_ushort v4, v[4:5], off
	s_waitcnt vmcnt(0)
	v_lshlrev_b32_e32 v9, 16, v4
.LBB753_6:
	s_or_b64 exec, exec, s[14:15]
	s_load_dwordx2 s[2:3], s[4:5], 0x20
	s_waitcnt lgkmcnt(0)
	v_mov_b32_e32 v4, s3
	v_add_co_u32_e64 v2, s[2:3], s2, v2
	v_addc_co_u32_e64 v3, s[2:3], v4, v3, s[2:3]
	v_mov_b32_e32 v4, 0xff800000
	s_and_saveexec_b64 s[4:5], s[8:9]
	s_cbranch_execz .LBB753_8
; %bb.7:
	global_load_ubyte v4, v[2:3], off
	v_mov_b32_e32 v5, 0xff800000
	s_waitcnt vmcnt(0)
	v_and_b32_e32 v4, 1, v4
	v_cmp_eq_u32_e64 s[2:3], 1, v4
	v_cndmask_b32_e64 v4, v10, v5, s[2:3]
.LBB753_8:
	s_or_b64 exec, exec, s[4:5]
	s_mov_b64 s[4:5], 0
	s_and_saveexec_b64 s[14:15], s[6:7]
	s_cbranch_execz .LBB753_10
; %bb.9:
	s_and_b64 s[2:3], s[16:17], exec
	s_cselect_b32 s2, 0, 0
	s_cselect_b32 s3, 0, s10
	v_mov_b32_e32 v5, s2
	v_add_co_u32_e64 v6, s[2:3], s3, v2
	v_addc_co_u32_e64 v7, s[2:3], v3, v5, s[2:3]
	global_load_ubyte v5, v[6:7], off
	s_waitcnt vmcnt(0)
	v_and_b32_e32 v5, 1, v5
	v_cmp_eq_u32_e64 s[2:3], 1, v5
	s_xor_b64 s[2:3], s[2:3], -1
	s_and_b64 s[4:5], s[2:3], exec
.LBB753_10:
	s_or_b64 exec, exec, s[14:15]
	v_mbcnt_lo_u32_b32 v5, -1, 0
	v_mbcnt_hi_u32_b32 v5, -1, v5
	v_and_b32_e32 v6, 0x70, v5
	v_add_u32_e32 v6, 16, v6
	v_xor_b32_e32 v7, 8, v5
	v_cmp_lt_i32_e64 s[2:3], v7, v6
	v_cndmask_b32_e64 v7, v5, v7, s[2:3]
	v_cndmask_b32_e64 v4, v4, v4, s[4:5]
	v_lshlrev_b32_e32 v7, 2, v7
	ds_bpermute_b32 v11, v7, v4
	v_mov_b32_e32 v12, 0xff800000
	v_cndmask_b32_e64 v12, v12, v9, s[4:5]
	ds_bpermute_b32 v13, v7, v12
	s_mov_b32 s14, 0
	s_waitcnt lgkmcnt(1)
	v_cmp_lt_f32_e64 s[2:3], v4, v11
	v_cndmask_b32_e64 v4, v4, v11, s[2:3]
	v_xor_b32_e32 v11, 4, v5
	v_cmp_lt_i32_e64 s[2:3], v11, v6
	v_cndmask_b32_e64 v11, v5, v11, s[2:3]
	v_lshlrev_b32_e32 v11, 2, v11
	ds_bpermute_b32 v14, v11, v4
	s_waitcnt lgkmcnt(1)
	v_cmp_lt_f32_e64 s[2:3], v12, v13
	v_cndmask_b32_e64 v13, v12, v13, s[2:3]
	v_xor_b32_e32 v12, 2, v5
	s_mov_b32 s15, s14
	s_waitcnt lgkmcnt(0)
	v_cmp_lt_f32_e64 s[2:3], v4, v14
	v_cndmask_b32_e64 v4, v4, v14, s[2:3]
	ds_bpermute_b32 v14, v11, v13
	v_cmp_lt_i32_e64 s[2:3], v12, v6
	v_cndmask_b32_e64 v12, v5, v12, s[2:3]
	v_lshlrev_b32_e32 v12, 2, v12
	ds_bpermute_b32 v15, v12, v4
	s_waitcnt lgkmcnt(1)
	v_cmp_lt_f32_e64 s[2:3], v13, v14
	v_cndmask_b32_e64 v13, v13, v14, s[2:3]
	ds_bpermute_b32 v14, v12, v13
	s_waitcnt lgkmcnt(1)
	v_cmp_lt_f32_e64 s[2:3], v4, v15
	v_cndmask_b32_e64 v17, v4, v15, s[2:3]
	v_xor_b32_e32 v4, 1, v5
	s_waitcnt lgkmcnt(0)
	v_cmp_lt_f32_e64 s[2:3], v13, v14
	v_cndmask_b32_e64 v15, v13, v14, s[2:3]
	v_cmp_lt_i32_e64 s[2:3], v4, v6
	v_cndmask_b32_e64 v4, v5, v4, s[2:3]
	v_lshlrev_b32_e32 v14, 2, v4
	ds_bpermute_b32 v18, v14, v17
	ds_bpermute_b32 v16, v14, v15
	v_mov_b32_e32 v6, 0
	v_pk_mov_b32 v[4:5], s[14:15], s[14:15] op_sel:[0,1]
	v_mov_b32_e32 v13, 0
	s_and_saveexec_b64 s[4:5], s[8:9]
	s_cbranch_execz .LBB753_14
; %bb.11:
	global_load_ubyte v13, v[2:3], off
	v_pk_mov_b32 v[4:5], s[14:15], s[14:15] op_sel:[0,1]
	s_waitcnt vmcnt(0)
	v_and_b32_e32 v13, 1, v13
	v_cmp_eq_u32_e64 s[2:3], 1, v13
	s_xor_b64 s[2:3], s[2:3], -1
	v_mov_b32_e32 v13, 0
	s_and_saveexec_b64 s[8:9], s[2:3]
	s_cbranch_execz .LBB753_13
; %bb.12:
	s_waitcnt lgkmcnt(1)
	v_cmp_lt_f32_e64 s[2:3], v17, v18
	v_cndmask_b32_e64 v4, v17, v18, s[2:3]
	v_sub_f32_e32 v4, v10, v4
	s_mov_b32 s2, 0x3fb8aa3b
	v_mul_f32_e32 v5, 0x3fb8aa3b, v4
	v_fma_f32 v10, v4, s2, -v5
	v_rndne_f32_e32 v13, v5
	v_fmac_f32_e32 v10, 0x32a5705f, v4
	v_sub_f32_e32 v5, v5, v13
	v_add_f32_e32 v5, v5, v10
	v_exp_f32_e32 v5, v5
	v_cvt_i32_f32_e32 v10, v13
	s_mov_b32 s2, 0xc2ce8ed0
	v_cmp_ngt_f32_e64 s[2:3], s2, v4
	v_mov_b32_e32 v13, 0x7f800000
	v_ldexp_f32 v10, v5, v10
	v_cndmask_b32_e64 v10, 0, v10, s[2:3]
	s_mov_b32 s2, 0x42b17218
	v_cmp_nlt_f32_e64 s[2:3], s2, v4
	v_cndmask_b32_e64 v4, v13, v10, s[2:3]
	v_mov_b32_e32 v5, 0
	v_mov_b32_e32 v13, v4
.LBB753_13:
	s_or_b64 exec, exec, s[8:9]
.LBB753_14:
	s_or_b64 exec, exec, s[4:5]
	s_and_saveexec_b64 s[4:5], s[6:7]
	s_cbranch_execz .LBB753_18
; %bb.15:
	s_and_b64 s[2:3], s[16:17], exec
	s_cselect_b32 s2, 0, 0
	s_cselect_b32 s3, 0, s10
	v_mov_b32_e32 v6, s2
	v_add_co_u32_e64 v2, s[2:3], s3, v2
	v_addc_co_u32_e64 v3, s[2:3], v3, v6, s[2:3]
	global_load_ubyte v2, v[2:3], off
	v_mov_b32_e32 v6, 0
	s_waitcnt vmcnt(0)
	v_and_b32_e32 v2, 1, v2
	v_cmp_eq_u32_e64 s[2:3], 1, v2
	s_xor_b64 s[2:3], s[2:3], -1
	s_and_saveexec_b64 s[6:7], s[2:3]
	s_cbranch_execz .LBB753_17
; %bb.16:
	s_waitcnt lgkmcnt(0)
	v_cmp_lt_f32_e64 s[2:3], v15, v16
	v_cndmask_b32_e64 v2, v15, v16, s[2:3]
	v_sub_f32_e32 v2, v9, v2
	s_mov_b32 s2, 0x3fb8aa3b
	v_mul_f32_e32 v3, 0x3fb8aa3b, v2
	v_fma_f32 v6, v2, s2, -v3
	v_rndne_f32_e32 v9, v3
	v_fmac_f32_e32 v6, 0x32a5705f, v2
	v_sub_f32_e32 v3, v3, v9
	v_add_f32_e32 v3, v3, v6
	v_exp_f32_e32 v3, v3
	v_cvt_i32_f32_e32 v6, v9
	s_mov_b32 s2, 0xc2ce8ed0
	v_cmp_ngt_f32_e64 s[2:3], s2, v2
	v_ldexp_f32 v3, v3, v6
	v_cndmask_b32_e64 v3, 0, v3, s[2:3]
	s_mov_b32 s2, 0x42b17218
	v_mov_b32_e32 v6, 0x7f800000
	v_cmp_nlt_f32_e64 s[2:3], s2, v2
	v_cndmask_b32_e64 v6, v6, v3, s[2:3]
	v_add_f32_e32 v5, v5, v6
.LBB753_17:
	s_or_b64 exec, exec, s[6:7]
.LBB753_18:
	s_or_b64 exec, exec, s[4:5]
	ds_bpermute_b32 v2, v7, v4
	ds_bpermute_b32 v3, v7, v5
	s_waitcnt lgkmcnt(0)
	v_pk_add_f32 v[2:3], v[4:5], v[2:3]
	ds_bpermute_b32 v4, v11, v2
	ds_bpermute_b32 v5, v11, v3
	s_waitcnt lgkmcnt(0)
	v_pk_add_f32 v[2:3], v[2:3], v[4:5]
	;; [unrolled: 4-line block ×3, first 2 shown]
	ds_bpermute_b32 v4, v14, v2
	ds_bpermute_b32 v5, v14, v3
	s_and_saveexec_b64 s[2:3], vcc
	s_cbranch_execz .LBB753_26
; %bb.19:
	s_waitcnt lgkmcnt(0)
	v_pk_add_f32 v[2:3], v[2:3], v[4:5]
	v_mov_b32_e32 v4, s13
	v_add_co_u32_e32 v0, vcc, s12, v0
	v_addc_co_u32_e32 v1, vcc, v4, v1, vcc
	s_and_saveexec_b64 s[2:3], s[0:1]
	s_cbranch_execz .LBB753_23
; %bb.20:
	v_cmp_neq_f32_e32 vcc, 0, v2
	v_mov_b32_e32 v4, 0x7fc0
	s_and_saveexec_b64 s[4:5], vcc
	s_cbranch_execz .LBB753_22
; %bb.21:
	v_div_scale_f32 v4, s[6:7], v2, v2, v13
	v_rcp_f32_e32 v5, v4
	v_div_scale_f32 v7, vcc, v13, v2, v13
	s_movk_i32 s6, 0x7fff
	v_fma_f32 v9, -v4, v5, 1.0
	v_fmac_f32_e32 v5, v9, v5
	v_mul_f32_e32 v9, v7, v5
	v_fma_f32 v10, -v4, v9, v7
	v_fmac_f32_e32 v9, v10, v5
	v_fma_f32 v4, -v4, v9, v7
	v_div_fmas_f32 v4, v4, v5, v9
	v_div_fixup_f32 v2, v4, v2, v13
	v_bfe_u32 v4, v2, 16, 1
	v_add3_u32 v4, v2, v4, s6
	v_lshrrev_b32_e32 v4, 16, v4
	v_mov_b32_e32 v5, 0x7fc0
	v_cmp_o_f32_e32 vcc, v2, v2
	v_cndmask_b32_e32 v4, v5, v4, vcc
.LBB753_22:
	s_or_b64 exec, exec, s[4:5]
	global_store_short v[0:1], v4, off
.LBB753_23:
	s_or_b64 exec, exec, s[2:3]
	v_cmp_ne_u32_e32 vcc, 1, v8
	s_and_b64 exec, exec, vcc
	s_cbranch_execz .LBB753_26
; %bb.24:
	s_and_b64 exec, exec, s[0:1]
	s_cbranch_execz .LBB753_26
; %bb.25:
	v_div_scale_f32 v2, s[0:1], v3, v3, v6
	v_rcp_f32_e32 v4, v2
	s_mov_b32 s11, 0
	v_cmp_eq_f32_e64 s[0:1], 0, v3
	s_movk_i32 s2, 0x7fff
	v_fma_f32 v5, -v2, v4, 1.0
	v_fmac_f32_e32 v4, v5, v4
	v_div_scale_f32 v5, vcc, v6, v3, v6
	v_mul_f32_e32 v7, v5, v4
	v_fma_f32 v8, -v2, v7, v5
	v_fmac_f32_e32 v7, v8, v4
	v_fma_f32 v2, -v2, v7, v5
	v_div_fmas_f32 v2, v2, v4, v7
	v_div_fixup_f32 v2, v2, v3, v6
	v_bfe_u32 v3, v2, 16, 1
	v_cmp_u_f32_e32 vcc, v2, v2
	v_add3_u32 v2, v2, v3, s2
	s_lshl_b64 s[2:3], s[10:11], 1
	v_mov_b32_e32 v3, s3
	v_add_co_u32_e64 v0, s[2:3], s2, v0
	v_lshrrev_b32_e32 v2, 16, v2
	v_addc_co_u32_e64 v1, s[2:3], v1, v3, s[2:3]
	v_mov_b32_e32 v3, 0x7fc0
	s_or_b64 vcc, s[0:1], vcc
	v_cndmask_b32_e32 v2, v2, v3, vcc
	global_store_short v[0:1], v2, off
.LBB753_26:
	s_endpgm
	.section	.rodata,"a",@progbits
	.p2align	6, 0x0
	.amdhsa_kernel _ZN12_GLOBAL__N_120softmax_warp_forwardIN3c108BFloat16ES2_fLi4ELb0ELb1ELi32EEEvPT0_PKT_iiiPKbib
		.amdhsa_group_segment_fixed_size 0
		.amdhsa_private_segment_fixed_size 0
		.amdhsa_kernarg_size 304
		.amdhsa_user_sgpr_count 6
		.amdhsa_user_sgpr_private_segment_buffer 1
		.amdhsa_user_sgpr_dispatch_ptr 0
		.amdhsa_user_sgpr_queue_ptr 0
		.amdhsa_user_sgpr_kernarg_segment_ptr 1
		.amdhsa_user_sgpr_dispatch_id 0
		.amdhsa_user_sgpr_flat_scratch_init 0
		.amdhsa_user_sgpr_kernarg_preload_length 0
		.amdhsa_user_sgpr_kernarg_preload_offset 0
		.amdhsa_user_sgpr_private_segment_size 0
		.amdhsa_uses_dynamic_stack 0
		.amdhsa_system_sgpr_private_segment_wavefront_offset 0
		.amdhsa_system_sgpr_workgroup_id_x 1
		.amdhsa_system_sgpr_workgroup_id_y 0
		.amdhsa_system_sgpr_workgroup_id_z 0
		.amdhsa_system_sgpr_workgroup_info 0
		.amdhsa_system_vgpr_workitem_id 1
		.amdhsa_next_free_vgpr 19
		.amdhsa_next_free_sgpr 18
		.amdhsa_accum_offset 20
		.amdhsa_reserve_vcc 1
		.amdhsa_reserve_flat_scratch 0
		.amdhsa_float_round_mode_32 0
		.amdhsa_float_round_mode_16_64 0
		.amdhsa_float_denorm_mode_32 3
		.amdhsa_float_denorm_mode_16_64 3
		.amdhsa_dx10_clamp 1
		.amdhsa_ieee_mode 1
		.amdhsa_fp16_overflow 0
		.amdhsa_tg_split 0
		.amdhsa_exception_fp_ieee_invalid_op 0
		.amdhsa_exception_fp_denorm_src 0
		.amdhsa_exception_fp_ieee_div_zero 0
		.amdhsa_exception_fp_ieee_overflow 0
		.amdhsa_exception_fp_ieee_underflow 0
		.amdhsa_exception_fp_ieee_inexact 0
		.amdhsa_exception_int_div_zero 0
	.end_amdhsa_kernel
	.section	.text._ZN12_GLOBAL__N_120softmax_warp_forwardIN3c108BFloat16ES2_fLi4ELb0ELb1ELi32EEEvPT0_PKT_iiiPKbib,"axG",@progbits,_ZN12_GLOBAL__N_120softmax_warp_forwardIN3c108BFloat16ES2_fLi4ELb0ELb1ELi32EEEvPT0_PKT_iiiPKbib,comdat
.Lfunc_end753:
	.size	_ZN12_GLOBAL__N_120softmax_warp_forwardIN3c108BFloat16ES2_fLi4ELb0ELb1ELi32EEEvPT0_PKT_iiiPKbib, .Lfunc_end753-_ZN12_GLOBAL__N_120softmax_warp_forwardIN3c108BFloat16ES2_fLi4ELb0ELb1ELi32EEEvPT0_PKT_iiiPKbib
                                        ; -- End function
	.section	.AMDGPU.csdata,"",@progbits
; Kernel info:
; codeLenInByte = 1844
; NumSgprs: 22
; NumVgprs: 19
; NumAgprs: 0
; TotalNumVgprs: 19
; ScratchSize: 0
; MemoryBound: 0
; FloatMode: 240
; IeeeMode: 1
; LDSByteSize: 0 bytes/workgroup (compile time only)
; SGPRBlocks: 2
; VGPRBlocks: 2
; NumSGPRsForWavesPerEU: 22
; NumVGPRsForWavesPerEU: 19
; AccumOffset: 20
; Occupancy: 8
; WaveLimiterHint : 0
; COMPUTE_PGM_RSRC2:SCRATCH_EN: 0
; COMPUTE_PGM_RSRC2:USER_SGPR: 6
; COMPUTE_PGM_RSRC2:TRAP_HANDLER: 0
; COMPUTE_PGM_RSRC2:TGID_X_EN: 1
; COMPUTE_PGM_RSRC2:TGID_Y_EN: 0
; COMPUTE_PGM_RSRC2:TGID_Z_EN: 0
; COMPUTE_PGM_RSRC2:TIDIG_COMP_CNT: 1
; COMPUTE_PGM_RSRC3_GFX90A:ACCUM_OFFSET: 4
; COMPUTE_PGM_RSRC3_GFX90A:TG_SPLIT: 0
	.section	.text._ZN12_GLOBAL__N_120softmax_warp_forwardIN3c108BFloat16ES2_fLi5ELb0ELb1ELi64EEEvPT0_PKT_iiiPKbib,"axG",@progbits,_ZN12_GLOBAL__N_120softmax_warp_forwardIN3c108BFloat16ES2_fLi5ELb0ELb1ELi64EEEvPT0_PKT_iiiPKbib,comdat
	.globl	_ZN12_GLOBAL__N_120softmax_warp_forwardIN3c108BFloat16ES2_fLi5ELb0ELb1ELi64EEEvPT0_PKT_iiiPKbib ; -- Begin function _ZN12_GLOBAL__N_120softmax_warp_forwardIN3c108BFloat16ES2_fLi5ELb0ELb1ELi64EEEvPT0_PKT_iiiPKbib
	.p2align	8
	.type	_ZN12_GLOBAL__N_120softmax_warp_forwardIN3c108BFloat16ES2_fLi5ELb0ELb1ELi64EEEvPT0_PKT_iiiPKbib,@function
_ZN12_GLOBAL__N_120softmax_warp_forwardIN3c108BFloat16ES2_fLi5ELb0ELb1ELi64EEEvPT0_PKT_iiiPKbib: ; @_ZN12_GLOBAL__N_120softmax_warp_forwardIN3c108BFloat16ES2_fLi5ELb0ELb1ELi64EEEvPT0_PKT_iiiPKbib
; %bb.0:
	s_load_dwordx2 s[0:1], s[4:5], 0x28
	s_load_dword s2, s[4:5], 0x3c
	s_load_dwordx4 s[8:11], s[4:5], 0x10
	v_bfe_u32 v1, v0, 10, 10
	v_and_b32_e32 v4, 0x3ff, v0
	s_waitcnt lgkmcnt(0)
	s_bitcmp1_b32 s1, 0
	s_cselect_b64 s[16:17], -1, 0
	s_lshr_b32 s2, s2, 16
	s_mul_i32 s6, s6, s2
	v_add_lshl_u32 v5, s6, v1, 1
	v_mul_lo_u32 v6, v5, s9
	v_add_u32_e32 v0, v6, v4
	v_ashrrev_i32_e32 v1, 31, v0
	s_bitcmp0_b32 s1, 0
	v_pk_mov_b32 v[2:3], v[0:1], v[0:1] op_sel:[0,1]
	s_cbranch_scc1 .LBB754_2
; %bb.1:
	s_abs_i32 s1, s0
	v_cvt_f32_u32_e32 v2, s1
	v_xor_b32_e32 v3, s0, v6
	v_sub_u32_e32 v7, 0, v6
	s_sub_i32 s0, 0, s1
	v_rcp_iflag_f32_e32 v2, v2
	v_max_i32_e32 v6, v6, v7
	v_ashrrev_i32_e32 v3, 31, v3
	v_mul_f32_e32 v2, 0x4f7ffffe, v2
	v_cvt_u32_f32_e32 v2, v2
	v_mul_lo_u32 v7, s0, v2
	v_mul_hi_u32 v7, v2, v7
	v_add_u32_e32 v2, v2, v7
	v_mul_hi_u32 v2, v6, v2
	v_mul_lo_u32 v7, v2, s1
	v_sub_u32_e32 v6, v6, v7
	v_add_u32_e32 v8, 1, v2
	v_cmp_le_u32_e32 vcc, s1, v6
	v_subrev_u32_e32 v7, s1, v6
	v_cndmask_b32_e32 v2, v2, v8, vcc
	v_cndmask_b32_e32 v6, v6, v7, vcc
	v_add_u32_e32 v7, 1, v2
	v_cmp_le_u32_e32 vcc, s1, v6
	v_cndmask_b32_e32 v2, v2, v7, vcc
	v_xor_b32_e32 v2, v2, v3
	v_sub_u32_e32 v2, v2, v3
	v_mad_u64_u32 v[2:3], s[0:1], v2, s9, v[4:5]
	v_ashrrev_i32_e32 v3, 31, v2
.LBB754_2:
	s_load_dwordx4 s[12:15], s[4:5], 0x0
	v_lshlrev_b64 v[0:1], 1, v[0:1]
	v_sub_u32_e32 v8, s8, v5
	v_cmp_gt_i32_e64 s[0:1], s10, v4
	v_mov_b32_e32 v9, 0xff800000
	s_waitcnt lgkmcnt(0)
	v_mov_b32_e32 v5, s15
	v_add_co_u32_e32 v6, vcc, s14, v0
	v_addc_co_u32_e32 v7, vcc, v5, v1, vcc
	v_cmp_lt_i32_e32 vcc, 0, v8
	s_and_b64 s[8:9], s[0:1], vcc
	v_mov_b32_e32 v10, 0xff800000
	s_and_saveexec_b64 s[2:3], s[8:9]
	s_cbranch_execz .LBB754_4
; %bb.3:
	global_load_ushort v4, v[6:7], off
	s_waitcnt vmcnt(0)
	v_lshlrev_b32_e32 v10, 16, v4
.LBB754_4:
	s_or_b64 exec, exec, s[2:3]
	v_cmp_lt_i32_e64 s[2:3], 1, v8
	s_and_b64 s[6:7], s[0:1], s[2:3]
	s_and_saveexec_b64 s[14:15], s[6:7]
	s_cbranch_execz .LBB754_6
; %bb.5:
	s_mov_b32 s11, 0
	s_lshl_b64 s[2:3], s[10:11], 1
	v_mov_b32_e32 v5, s3
	v_add_co_u32_e64 v4, s[2:3], s2, v6
	v_addc_co_u32_e64 v5, s[2:3], v7, v5, s[2:3]
	global_load_ushort v4, v[4:5], off
	s_waitcnt vmcnt(0)
	v_lshlrev_b32_e32 v9, 16, v4
.LBB754_6:
	s_or_b64 exec, exec, s[14:15]
	s_load_dwordx2 s[2:3], s[4:5], 0x20
	s_waitcnt lgkmcnt(0)
	v_mov_b32_e32 v4, s3
	v_add_co_u32_e64 v2, s[2:3], s2, v2
	v_addc_co_u32_e64 v3, s[2:3], v4, v3, s[2:3]
	v_mov_b32_e32 v4, 0xff800000
	s_and_saveexec_b64 s[4:5], s[8:9]
	s_cbranch_execz .LBB754_8
; %bb.7:
	global_load_ubyte v4, v[2:3], off
	v_mov_b32_e32 v5, 0xff800000
	s_waitcnt vmcnt(0)
	v_and_b32_e32 v4, 1, v4
	v_cmp_eq_u32_e64 s[2:3], 1, v4
	v_cndmask_b32_e64 v4, v10, v5, s[2:3]
.LBB754_8:
	s_or_b64 exec, exec, s[4:5]
	s_mov_b64 s[4:5], 0
	s_and_saveexec_b64 s[14:15], s[6:7]
	s_cbranch_execz .LBB754_10
; %bb.9:
	s_and_b64 s[2:3], s[16:17], exec
	s_cselect_b32 s2, 0, 0
	s_cselect_b32 s3, 0, s10
	v_mov_b32_e32 v5, s2
	v_add_co_u32_e64 v6, s[2:3], s3, v2
	v_addc_co_u32_e64 v7, s[2:3], v3, v5, s[2:3]
	global_load_ubyte v5, v[6:7], off
	s_waitcnt vmcnt(0)
	v_and_b32_e32 v5, 1, v5
	v_cmp_eq_u32_e64 s[2:3], 1, v5
	s_xor_b64 s[2:3], s[2:3], -1
	s_and_b64 s[4:5], s[2:3], exec
.LBB754_10:
	s_or_b64 exec, exec, s[14:15]
	v_mbcnt_lo_u32_b32 v5, -1, 0
	v_mbcnt_hi_u32_b32 v5, -1, v5
	v_and_b32_e32 v6, 0x60, v5
	v_add_u32_e32 v6, 32, v6
	v_xor_b32_e32 v7, 16, v5
	v_cmp_lt_i32_e64 s[2:3], v7, v6
	v_cndmask_b32_e64 v7, v5, v7, s[2:3]
	v_cndmask_b32_e64 v4, v4, v4, s[4:5]
	v_lshlrev_b32_e32 v7, 2, v7
	ds_bpermute_b32 v11, v7, v4
	v_mov_b32_e32 v12, 0xff800000
	v_cndmask_b32_e64 v12, v12, v9, s[4:5]
	ds_bpermute_b32 v13, v7, v12
	s_mov_b32 s14, 0
	s_waitcnt lgkmcnt(1)
	v_cmp_lt_f32_e64 s[2:3], v4, v11
	v_cndmask_b32_e64 v4, v4, v11, s[2:3]
	v_xor_b32_e32 v11, 8, v5
	v_cmp_lt_i32_e64 s[2:3], v11, v6
	v_cndmask_b32_e64 v11, v5, v11, s[2:3]
	v_lshlrev_b32_e32 v11, 2, v11
	ds_bpermute_b32 v14, v11, v4
	s_waitcnt lgkmcnt(1)
	v_cmp_lt_f32_e64 s[2:3], v12, v13
	v_cndmask_b32_e64 v13, v12, v13, s[2:3]
	v_xor_b32_e32 v12, 4, v5
	s_mov_b32 s15, s14
	s_waitcnt lgkmcnt(0)
	v_cmp_lt_f32_e64 s[2:3], v4, v14
	v_cndmask_b32_e64 v4, v4, v14, s[2:3]
	v_cmp_lt_i32_e64 s[2:3], v12, v6
	v_cndmask_b32_e64 v12, v5, v12, s[2:3]
	ds_bpermute_b32 v14, v11, v13
	v_lshlrev_b32_e32 v12, 2, v12
	ds_bpermute_b32 v15, v12, v4
	s_waitcnt lgkmcnt(1)
	v_cmp_lt_f32_e64 s[2:3], v13, v14
	v_cndmask_b32_e64 v14, v13, v14, s[2:3]
	s_waitcnt lgkmcnt(0)
	v_cmp_lt_f32_e64 s[2:3], v4, v15
	v_cndmask_b32_e64 v4, v4, v15, s[2:3]
	ds_bpermute_b32 v15, v12, v14
	v_xor_b32_e32 v13, 2, v5
	v_cmp_lt_i32_e64 s[2:3], v13, v6
	v_cndmask_b32_e64 v13, v5, v13, s[2:3]
	v_lshlrev_b32_e32 v13, 2, v13
	s_waitcnt lgkmcnt(0)
	v_cmp_lt_f32_e64 s[2:3], v14, v15
	ds_bpermute_b32 v16, v13, v4
	v_cndmask_b32_e64 v14, v14, v15, s[2:3]
	ds_bpermute_b32 v15, v13, v14
	s_waitcnt lgkmcnt(1)
	v_cmp_lt_f32_e64 s[2:3], v4, v16
	v_cndmask_b32_e64 v18, v4, v16, s[2:3]
	s_waitcnt lgkmcnt(0)
	v_cmp_lt_f32_e64 s[2:3], v14, v15
	v_xor_b32_e32 v4, 1, v5
	v_cndmask_b32_e64 v16, v14, v15, s[2:3]
	v_cmp_lt_i32_e64 s[2:3], v4, v6
	v_cndmask_b32_e64 v4, v5, v4, s[2:3]
	v_lshlrev_b32_e32 v15, 2, v4
	ds_bpermute_b32 v19, v15, v18
	ds_bpermute_b32 v17, v15, v16
	v_mov_b32_e32 v6, 0
	v_pk_mov_b32 v[4:5], s[14:15], s[14:15] op_sel:[0,1]
	v_mov_b32_e32 v14, 0
	s_and_saveexec_b64 s[4:5], s[8:9]
	s_cbranch_execz .LBB754_14
; %bb.11:
	global_load_ubyte v14, v[2:3], off
	v_pk_mov_b32 v[4:5], s[14:15], s[14:15] op_sel:[0,1]
	s_waitcnt vmcnt(0)
	v_and_b32_e32 v14, 1, v14
	v_cmp_eq_u32_e64 s[2:3], 1, v14
	s_xor_b64 s[2:3], s[2:3], -1
	v_mov_b32_e32 v14, 0
	s_and_saveexec_b64 s[8:9], s[2:3]
	s_cbranch_execz .LBB754_13
; %bb.12:
	s_waitcnt lgkmcnt(1)
	v_cmp_lt_f32_e64 s[2:3], v18, v19
	v_cndmask_b32_e64 v4, v18, v19, s[2:3]
	v_sub_f32_e32 v4, v10, v4
	s_mov_b32 s2, 0x3fb8aa3b
	v_mul_f32_e32 v5, 0x3fb8aa3b, v4
	v_fma_f32 v10, v4, s2, -v5
	v_rndne_f32_e32 v14, v5
	v_fmac_f32_e32 v10, 0x32a5705f, v4
	v_sub_f32_e32 v5, v5, v14
	v_add_f32_e32 v5, v5, v10
	v_exp_f32_e32 v5, v5
	v_cvt_i32_f32_e32 v10, v14
	s_mov_b32 s2, 0xc2ce8ed0
	v_cmp_ngt_f32_e64 s[2:3], s2, v4
	v_mov_b32_e32 v14, 0x7f800000
	v_ldexp_f32 v10, v5, v10
	v_cndmask_b32_e64 v10, 0, v10, s[2:3]
	s_mov_b32 s2, 0x42b17218
	v_cmp_nlt_f32_e64 s[2:3], s2, v4
	v_cndmask_b32_e64 v4, v14, v10, s[2:3]
	v_mov_b32_e32 v5, 0
	v_mov_b32_e32 v14, v4
.LBB754_13:
	s_or_b64 exec, exec, s[8:9]
.LBB754_14:
	s_or_b64 exec, exec, s[4:5]
	s_and_saveexec_b64 s[4:5], s[6:7]
	s_cbranch_execz .LBB754_18
; %bb.15:
	s_and_b64 s[2:3], s[16:17], exec
	s_cselect_b32 s2, 0, 0
	s_cselect_b32 s3, 0, s10
	v_mov_b32_e32 v6, s2
	v_add_co_u32_e64 v2, s[2:3], s3, v2
	v_addc_co_u32_e64 v3, s[2:3], v3, v6, s[2:3]
	global_load_ubyte v2, v[2:3], off
	v_mov_b32_e32 v6, 0
	s_waitcnt vmcnt(0)
	v_and_b32_e32 v2, 1, v2
	v_cmp_eq_u32_e64 s[2:3], 1, v2
	s_xor_b64 s[2:3], s[2:3], -1
	s_and_saveexec_b64 s[6:7], s[2:3]
	s_cbranch_execz .LBB754_17
; %bb.16:
	s_waitcnt lgkmcnt(0)
	v_cmp_lt_f32_e64 s[2:3], v16, v17
	v_cndmask_b32_e64 v2, v16, v17, s[2:3]
	v_sub_f32_e32 v2, v9, v2
	s_mov_b32 s2, 0x3fb8aa3b
	v_mul_f32_e32 v3, 0x3fb8aa3b, v2
	v_fma_f32 v6, v2, s2, -v3
	v_rndne_f32_e32 v9, v3
	v_fmac_f32_e32 v6, 0x32a5705f, v2
	v_sub_f32_e32 v3, v3, v9
	v_add_f32_e32 v3, v3, v6
	v_exp_f32_e32 v3, v3
	v_cvt_i32_f32_e32 v6, v9
	s_mov_b32 s2, 0xc2ce8ed0
	v_cmp_ngt_f32_e64 s[2:3], s2, v2
	v_ldexp_f32 v3, v3, v6
	v_cndmask_b32_e64 v3, 0, v3, s[2:3]
	s_mov_b32 s2, 0x42b17218
	v_mov_b32_e32 v6, 0x7f800000
	v_cmp_nlt_f32_e64 s[2:3], s2, v2
	v_cndmask_b32_e64 v6, v6, v3, s[2:3]
	v_add_f32_e32 v5, v5, v6
.LBB754_17:
	s_or_b64 exec, exec, s[6:7]
.LBB754_18:
	s_or_b64 exec, exec, s[4:5]
	ds_bpermute_b32 v2, v7, v4
	ds_bpermute_b32 v3, v7, v5
	s_waitcnt lgkmcnt(0)
	v_pk_add_f32 v[2:3], v[4:5], v[2:3]
	ds_bpermute_b32 v4, v11, v2
	ds_bpermute_b32 v5, v11, v3
	s_waitcnt lgkmcnt(0)
	v_pk_add_f32 v[2:3], v[2:3], v[4:5]
	;; [unrolled: 4-line block ×4, first 2 shown]
	ds_bpermute_b32 v4, v15, v2
	ds_bpermute_b32 v5, v15, v3
	s_and_saveexec_b64 s[2:3], vcc
	s_cbranch_execz .LBB754_26
; %bb.19:
	s_waitcnt lgkmcnt(0)
	v_pk_add_f32 v[2:3], v[2:3], v[4:5]
	v_mov_b32_e32 v4, s13
	v_add_co_u32_e32 v0, vcc, s12, v0
	v_addc_co_u32_e32 v1, vcc, v4, v1, vcc
	s_and_saveexec_b64 s[2:3], s[0:1]
	s_cbranch_execz .LBB754_23
; %bb.20:
	v_cmp_neq_f32_e32 vcc, 0, v2
	v_mov_b32_e32 v4, 0x7fc0
	s_and_saveexec_b64 s[4:5], vcc
	s_cbranch_execz .LBB754_22
; %bb.21:
	v_div_scale_f32 v4, s[6:7], v2, v2, v14
	v_rcp_f32_e32 v5, v4
	v_div_scale_f32 v7, vcc, v14, v2, v14
	s_movk_i32 s6, 0x7fff
	v_fma_f32 v9, -v4, v5, 1.0
	v_fmac_f32_e32 v5, v9, v5
	v_mul_f32_e32 v9, v7, v5
	v_fma_f32 v10, -v4, v9, v7
	v_fmac_f32_e32 v9, v10, v5
	v_fma_f32 v4, -v4, v9, v7
	v_div_fmas_f32 v4, v4, v5, v9
	v_div_fixup_f32 v2, v4, v2, v14
	v_bfe_u32 v4, v2, 16, 1
	v_add3_u32 v4, v2, v4, s6
	v_lshrrev_b32_e32 v4, 16, v4
	v_mov_b32_e32 v5, 0x7fc0
	v_cmp_o_f32_e32 vcc, v2, v2
	v_cndmask_b32_e32 v4, v5, v4, vcc
.LBB754_22:
	s_or_b64 exec, exec, s[4:5]
	global_store_short v[0:1], v4, off
.LBB754_23:
	s_or_b64 exec, exec, s[2:3]
	v_cmp_ne_u32_e32 vcc, 1, v8
	s_and_b64 exec, exec, vcc
	s_cbranch_execz .LBB754_26
; %bb.24:
	s_and_b64 exec, exec, s[0:1]
	s_cbranch_execz .LBB754_26
; %bb.25:
	v_div_scale_f32 v2, s[0:1], v3, v3, v6
	v_rcp_f32_e32 v4, v2
	s_mov_b32 s11, 0
	v_cmp_eq_f32_e64 s[0:1], 0, v3
	s_movk_i32 s2, 0x7fff
	v_fma_f32 v5, -v2, v4, 1.0
	v_fmac_f32_e32 v4, v5, v4
	v_div_scale_f32 v5, vcc, v6, v3, v6
	v_mul_f32_e32 v7, v5, v4
	v_fma_f32 v8, -v2, v7, v5
	v_fmac_f32_e32 v7, v8, v4
	v_fma_f32 v2, -v2, v7, v5
	v_div_fmas_f32 v2, v2, v4, v7
	v_div_fixup_f32 v2, v2, v3, v6
	v_bfe_u32 v3, v2, 16, 1
	v_cmp_u_f32_e32 vcc, v2, v2
	v_add3_u32 v2, v2, v3, s2
	s_lshl_b64 s[2:3], s[10:11], 1
	v_mov_b32_e32 v3, s3
	v_add_co_u32_e64 v0, s[2:3], s2, v0
	v_lshrrev_b32_e32 v2, 16, v2
	v_addc_co_u32_e64 v1, s[2:3], v1, v3, s[2:3]
	v_mov_b32_e32 v3, 0x7fc0
	s_or_b64 vcc, s[0:1], vcc
	v_cndmask_b32_e32 v2, v2, v3, vcc
	global_store_short v[0:1], v2, off
.LBB754_26:
	s_endpgm
	.section	.rodata,"a",@progbits
	.p2align	6, 0x0
	.amdhsa_kernel _ZN12_GLOBAL__N_120softmax_warp_forwardIN3c108BFloat16ES2_fLi5ELb0ELb1ELi64EEEvPT0_PKT_iiiPKbib
		.amdhsa_group_segment_fixed_size 0
		.amdhsa_private_segment_fixed_size 0
		.amdhsa_kernarg_size 304
		.amdhsa_user_sgpr_count 6
		.amdhsa_user_sgpr_private_segment_buffer 1
		.amdhsa_user_sgpr_dispatch_ptr 0
		.amdhsa_user_sgpr_queue_ptr 0
		.amdhsa_user_sgpr_kernarg_segment_ptr 1
		.amdhsa_user_sgpr_dispatch_id 0
		.amdhsa_user_sgpr_flat_scratch_init 0
		.amdhsa_user_sgpr_kernarg_preload_length 0
		.amdhsa_user_sgpr_kernarg_preload_offset 0
		.amdhsa_user_sgpr_private_segment_size 0
		.amdhsa_uses_dynamic_stack 0
		.amdhsa_system_sgpr_private_segment_wavefront_offset 0
		.amdhsa_system_sgpr_workgroup_id_x 1
		.amdhsa_system_sgpr_workgroup_id_y 0
		.amdhsa_system_sgpr_workgroup_id_z 0
		.amdhsa_system_sgpr_workgroup_info 0
		.amdhsa_system_vgpr_workitem_id 1
		.amdhsa_next_free_vgpr 20
		.amdhsa_next_free_sgpr 18
		.amdhsa_accum_offset 20
		.amdhsa_reserve_vcc 1
		.amdhsa_reserve_flat_scratch 0
		.amdhsa_float_round_mode_32 0
		.amdhsa_float_round_mode_16_64 0
		.amdhsa_float_denorm_mode_32 3
		.amdhsa_float_denorm_mode_16_64 3
		.amdhsa_dx10_clamp 1
		.amdhsa_ieee_mode 1
		.amdhsa_fp16_overflow 0
		.amdhsa_tg_split 0
		.amdhsa_exception_fp_ieee_invalid_op 0
		.amdhsa_exception_fp_denorm_src 0
		.amdhsa_exception_fp_ieee_div_zero 0
		.amdhsa_exception_fp_ieee_overflow 0
		.amdhsa_exception_fp_ieee_underflow 0
		.amdhsa_exception_fp_ieee_inexact 0
		.amdhsa_exception_int_div_zero 0
	.end_amdhsa_kernel
	.section	.text._ZN12_GLOBAL__N_120softmax_warp_forwardIN3c108BFloat16ES2_fLi5ELb0ELb1ELi64EEEvPT0_PKT_iiiPKbib,"axG",@progbits,_ZN12_GLOBAL__N_120softmax_warp_forwardIN3c108BFloat16ES2_fLi5ELb0ELb1ELi64EEEvPT0_PKT_iiiPKbib,comdat
.Lfunc_end754:
	.size	_ZN12_GLOBAL__N_120softmax_warp_forwardIN3c108BFloat16ES2_fLi5ELb0ELb1ELi64EEEvPT0_PKT_iiiPKbib, .Lfunc_end754-_ZN12_GLOBAL__N_120softmax_warp_forwardIN3c108BFloat16ES2_fLi5ELb0ELb1ELi64EEEvPT0_PKT_iiiPKbib
                                        ; -- End function
	.section	.AMDGPU.csdata,"",@progbits
; Kernel info:
; codeLenInByte = 1952
; NumSgprs: 22
; NumVgprs: 20
; NumAgprs: 0
; TotalNumVgprs: 20
; ScratchSize: 0
; MemoryBound: 0
; FloatMode: 240
; IeeeMode: 1
; LDSByteSize: 0 bytes/workgroup (compile time only)
; SGPRBlocks: 2
; VGPRBlocks: 2
; NumSGPRsForWavesPerEU: 22
; NumVGPRsForWavesPerEU: 20
; AccumOffset: 20
; Occupancy: 8
; WaveLimiterHint : 0
; COMPUTE_PGM_RSRC2:SCRATCH_EN: 0
; COMPUTE_PGM_RSRC2:USER_SGPR: 6
; COMPUTE_PGM_RSRC2:TRAP_HANDLER: 0
; COMPUTE_PGM_RSRC2:TGID_X_EN: 1
; COMPUTE_PGM_RSRC2:TGID_Y_EN: 0
; COMPUTE_PGM_RSRC2:TGID_Z_EN: 0
; COMPUTE_PGM_RSRC2:TIDIG_COMP_CNT: 1
; COMPUTE_PGM_RSRC3_GFX90A:ACCUM_OFFSET: 4
; COMPUTE_PGM_RSRC3_GFX90A:TG_SPLIT: 0
	.section	.text._ZN12_GLOBAL__N_120softmax_warp_forwardIN3c108BFloat16ES2_fLi5ELb0ELb1ELi32EEEvPT0_PKT_iiiPKbib,"axG",@progbits,_ZN12_GLOBAL__N_120softmax_warp_forwardIN3c108BFloat16ES2_fLi5ELb0ELb1ELi32EEEvPT0_PKT_iiiPKbib,comdat
	.globl	_ZN12_GLOBAL__N_120softmax_warp_forwardIN3c108BFloat16ES2_fLi5ELb0ELb1ELi32EEEvPT0_PKT_iiiPKbib ; -- Begin function _ZN12_GLOBAL__N_120softmax_warp_forwardIN3c108BFloat16ES2_fLi5ELb0ELb1ELi32EEEvPT0_PKT_iiiPKbib
	.p2align	8
	.type	_ZN12_GLOBAL__N_120softmax_warp_forwardIN3c108BFloat16ES2_fLi5ELb0ELb1ELi32EEEvPT0_PKT_iiiPKbib,@function
_ZN12_GLOBAL__N_120softmax_warp_forwardIN3c108BFloat16ES2_fLi5ELb0ELb1ELi32EEEvPT0_PKT_iiiPKbib: ; @_ZN12_GLOBAL__N_120softmax_warp_forwardIN3c108BFloat16ES2_fLi5ELb0ELb1ELi32EEEvPT0_PKT_iiiPKbib
; %bb.0:
	s_load_dwordx2 s[0:1], s[4:5], 0x28
	s_load_dword s2, s[4:5], 0x3c
	s_load_dwordx4 s[8:11], s[4:5], 0x10
	v_bfe_u32 v1, v0, 10, 10
	v_and_b32_e32 v4, 0x3ff, v0
	s_waitcnt lgkmcnt(0)
	s_bitcmp1_b32 s1, 0
	s_cselect_b64 s[16:17], -1, 0
	s_lshr_b32 s2, s2, 16
	s_mul_i32 s6, s6, s2
	v_add_lshl_u32 v5, s6, v1, 1
	v_mul_lo_u32 v6, v5, s9
	v_add_u32_e32 v0, v6, v4
	v_ashrrev_i32_e32 v1, 31, v0
	s_bitcmp0_b32 s1, 0
	v_pk_mov_b32 v[2:3], v[0:1], v[0:1] op_sel:[0,1]
	s_cbranch_scc1 .LBB755_2
; %bb.1:
	s_abs_i32 s1, s0
	v_cvt_f32_u32_e32 v2, s1
	v_xor_b32_e32 v3, s0, v6
	v_sub_u32_e32 v7, 0, v6
	s_sub_i32 s0, 0, s1
	v_rcp_iflag_f32_e32 v2, v2
	v_max_i32_e32 v6, v6, v7
	v_ashrrev_i32_e32 v3, 31, v3
	v_mul_f32_e32 v2, 0x4f7ffffe, v2
	v_cvt_u32_f32_e32 v2, v2
	v_mul_lo_u32 v7, s0, v2
	v_mul_hi_u32 v7, v2, v7
	v_add_u32_e32 v2, v2, v7
	v_mul_hi_u32 v2, v6, v2
	v_mul_lo_u32 v7, v2, s1
	v_sub_u32_e32 v6, v6, v7
	v_add_u32_e32 v8, 1, v2
	v_cmp_le_u32_e32 vcc, s1, v6
	v_subrev_u32_e32 v7, s1, v6
	v_cndmask_b32_e32 v2, v2, v8, vcc
	v_cndmask_b32_e32 v6, v6, v7, vcc
	v_add_u32_e32 v7, 1, v2
	v_cmp_le_u32_e32 vcc, s1, v6
	v_cndmask_b32_e32 v2, v2, v7, vcc
	v_xor_b32_e32 v2, v2, v3
	v_sub_u32_e32 v2, v2, v3
	v_mad_u64_u32 v[2:3], s[0:1], v2, s9, v[4:5]
	v_ashrrev_i32_e32 v3, 31, v2
.LBB755_2:
	s_load_dwordx4 s[12:15], s[4:5], 0x0
	v_lshlrev_b64 v[0:1], 1, v[0:1]
	v_sub_u32_e32 v8, s8, v5
	v_cmp_gt_i32_e64 s[0:1], s10, v4
	v_mov_b32_e32 v9, 0xff800000
	s_waitcnt lgkmcnt(0)
	v_mov_b32_e32 v5, s15
	v_add_co_u32_e32 v6, vcc, s14, v0
	v_addc_co_u32_e32 v7, vcc, v5, v1, vcc
	v_cmp_lt_i32_e32 vcc, 0, v8
	s_and_b64 s[8:9], s[0:1], vcc
	v_mov_b32_e32 v10, 0xff800000
	s_and_saveexec_b64 s[2:3], s[8:9]
	s_cbranch_execz .LBB755_4
; %bb.3:
	global_load_ushort v4, v[6:7], off
	s_waitcnt vmcnt(0)
	v_lshlrev_b32_e32 v10, 16, v4
.LBB755_4:
	s_or_b64 exec, exec, s[2:3]
	v_cmp_lt_i32_e64 s[2:3], 1, v8
	s_and_b64 s[6:7], s[0:1], s[2:3]
	s_and_saveexec_b64 s[14:15], s[6:7]
	s_cbranch_execz .LBB755_6
; %bb.5:
	s_mov_b32 s11, 0
	s_lshl_b64 s[2:3], s[10:11], 1
	v_mov_b32_e32 v5, s3
	v_add_co_u32_e64 v4, s[2:3], s2, v6
	v_addc_co_u32_e64 v5, s[2:3], v7, v5, s[2:3]
	global_load_ushort v4, v[4:5], off
	s_waitcnt vmcnt(0)
	v_lshlrev_b32_e32 v9, 16, v4
.LBB755_6:
	s_or_b64 exec, exec, s[14:15]
	s_load_dwordx2 s[2:3], s[4:5], 0x20
	s_waitcnt lgkmcnt(0)
	v_mov_b32_e32 v4, s3
	v_add_co_u32_e64 v2, s[2:3], s2, v2
	v_addc_co_u32_e64 v3, s[2:3], v4, v3, s[2:3]
	v_mov_b32_e32 v4, 0xff800000
	s_and_saveexec_b64 s[4:5], s[8:9]
	s_cbranch_execz .LBB755_8
; %bb.7:
	global_load_ubyte v4, v[2:3], off
	v_mov_b32_e32 v5, 0xff800000
	s_waitcnt vmcnt(0)
	v_and_b32_e32 v4, 1, v4
	v_cmp_eq_u32_e64 s[2:3], 1, v4
	v_cndmask_b32_e64 v4, v10, v5, s[2:3]
.LBB755_8:
	s_or_b64 exec, exec, s[4:5]
	s_mov_b64 s[4:5], 0
	s_and_saveexec_b64 s[14:15], s[6:7]
	s_cbranch_execz .LBB755_10
; %bb.9:
	s_and_b64 s[2:3], s[16:17], exec
	s_cselect_b32 s2, 0, 0
	s_cselect_b32 s3, 0, s10
	v_mov_b32_e32 v5, s2
	v_add_co_u32_e64 v6, s[2:3], s3, v2
	v_addc_co_u32_e64 v7, s[2:3], v3, v5, s[2:3]
	global_load_ubyte v5, v[6:7], off
	s_waitcnt vmcnt(0)
	v_and_b32_e32 v5, 1, v5
	v_cmp_eq_u32_e64 s[2:3], 1, v5
	s_xor_b64 s[2:3], s[2:3], -1
	s_and_b64 s[4:5], s[2:3], exec
.LBB755_10:
	s_or_b64 exec, exec, s[14:15]
	v_mbcnt_lo_u32_b32 v5, -1, 0
	v_mbcnt_hi_u32_b32 v5, -1, v5
	v_and_b32_e32 v6, 0x60, v5
	v_add_u32_e32 v6, 32, v6
	v_xor_b32_e32 v7, 16, v5
	v_cmp_lt_i32_e64 s[2:3], v7, v6
	v_cndmask_b32_e64 v7, v5, v7, s[2:3]
	v_cndmask_b32_e64 v4, v4, v4, s[4:5]
	v_lshlrev_b32_e32 v7, 2, v7
	ds_bpermute_b32 v11, v7, v4
	v_mov_b32_e32 v12, 0xff800000
	v_cndmask_b32_e64 v12, v12, v9, s[4:5]
	ds_bpermute_b32 v13, v7, v12
	s_mov_b32 s14, 0
	s_waitcnt lgkmcnt(1)
	v_cmp_lt_f32_e64 s[2:3], v4, v11
	v_cndmask_b32_e64 v4, v4, v11, s[2:3]
	v_xor_b32_e32 v11, 8, v5
	v_cmp_lt_i32_e64 s[2:3], v11, v6
	v_cndmask_b32_e64 v11, v5, v11, s[2:3]
	v_lshlrev_b32_e32 v11, 2, v11
	ds_bpermute_b32 v14, v11, v4
	s_waitcnt lgkmcnt(1)
	v_cmp_lt_f32_e64 s[2:3], v12, v13
	v_cndmask_b32_e64 v13, v12, v13, s[2:3]
	v_xor_b32_e32 v12, 4, v5
	s_mov_b32 s15, s14
	s_waitcnt lgkmcnt(0)
	v_cmp_lt_f32_e64 s[2:3], v4, v14
	v_cndmask_b32_e64 v4, v4, v14, s[2:3]
	v_cmp_lt_i32_e64 s[2:3], v12, v6
	v_cndmask_b32_e64 v12, v5, v12, s[2:3]
	ds_bpermute_b32 v14, v11, v13
	v_lshlrev_b32_e32 v12, 2, v12
	ds_bpermute_b32 v15, v12, v4
	s_waitcnt lgkmcnt(1)
	v_cmp_lt_f32_e64 s[2:3], v13, v14
	v_cndmask_b32_e64 v14, v13, v14, s[2:3]
	s_waitcnt lgkmcnt(0)
	v_cmp_lt_f32_e64 s[2:3], v4, v15
	v_cndmask_b32_e64 v4, v4, v15, s[2:3]
	ds_bpermute_b32 v15, v12, v14
	v_xor_b32_e32 v13, 2, v5
	v_cmp_lt_i32_e64 s[2:3], v13, v6
	v_cndmask_b32_e64 v13, v5, v13, s[2:3]
	v_lshlrev_b32_e32 v13, 2, v13
	s_waitcnt lgkmcnt(0)
	v_cmp_lt_f32_e64 s[2:3], v14, v15
	ds_bpermute_b32 v16, v13, v4
	v_cndmask_b32_e64 v14, v14, v15, s[2:3]
	ds_bpermute_b32 v15, v13, v14
	s_waitcnt lgkmcnt(1)
	v_cmp_lt_f32_e64 s[2:3], v4, v16
	v_cndmask_b32_e64 v18, v4, v16, s[2:3]
	s_waitcnt lgkmcnt(0)
	v_cmp_lt_f32_e64 s[2:3], v14, v15
	v_xor_b32_e32 v4, 1, v5
	v_cndmask_b32_e64 v16, v14, v15, s[2:3]
	v_cmp_lt_i32_e64 s[2:3], v4, v6
	v_cndmask_b32_e64 v4, v5, v4, s[2:3]
	v_lshlrev_b32_e32 v15, 2, v4
	ds_bpermute_b32 v19, v15, v18
	ds_bpermute_b32 v17, v15, v16
	v_mov_b32_e32 v6, 0
	v_pk_mov_b32 v[4:5], s[14:15], s[14:15] op_sel:[0,1]
	v_mov_b32_e32 v14, 0
	s_and_saveexec_b64 s[4:5], s[8:9]
	s_cbranch_execz .LBB755_14
; %bb.11:
	global_load_ubyte v14, v[2:3], off
	v_pk_mov_b32 v[4:5], s[14:15], s[14:15] op_sel:[0,1]
	s_waitcnt vmcnt(0)
	v_and_b32_e32 v14, 1, v14
	v_cmp_eq_u32_e64 s[2:3], 1, v14
	s_xor_b64 s[2:3], s[2:3], -1
	v_mov_b32_e32 v14, 0
	s_and_saveexec_b64 s[8:9], s[2:3]
	s_cbranch_execz .LBB755_13
; %bb.12:
	s_waitcnt lgkmcnt(1)
	v_cmp_lt_f32_e64 s[2:3], v18, v19
	v_cndmask_b32_e64 v4, v18, v19, s[2:3]
	v_sub_f32_e32 v4, v10, v4
	s_mov_b32 s2, 0x3fb8aa3b
	v_mul_f32_e32 v5, 0x3fb8aa3b, v4
	v_fma_f32 v10, v4, s2, -v5
	v_rndne_f32_e32 v14, v5
	v_fmac_f32_e32 v10, 0x32a5705f, v4
	v_sub_f32_e32 v5, v5, v14
	v_add_f32_e32 v5, v5, v10
	v_exp_f32_e32 v5, v5
	v_cvt_i32_f32_e32 v10, v14
	s_mov_b32 s2, 0xc2ce8ed0
	v_cmp_ngt_f32_e64 s[2:3], s2, v4
	v_mov_b32_e32 v14, 0x7f800000
	v_ldexp_f32 v10, v5, v10
	v_cndmask_b32_e64 v10, 0, v10, s[2:3]
	s_mov_b32 s2, 0x42b17218
	v_cmp_nlt_f32_e64 s[2:3], s2, v4
	v_cndmask_b32_e64 v4, v14, v10, s[2:3]
	v_mov_b32_e32 v5, 0
	v_mov_b32_e32 v14, v4
.LBB755_13:
	s_or_b64 exec, exec, s[8:9]
.LBB755_14:
	s_or_b64 exec, exec, s[4:5]
	s_and_saveexec_b64 s[4:5], s[6:7]
	s_cbranch_execz .LBB755_18
; %bb.15:
	s_and_b64 s[2:3], s[16:17], exec
	s_cselect_b32 s2, 0, 0
	s_cselect_b32 s3, 0, s10
	v_mov_b32_e32 v6, s2
	v_add_co_u32_e64 v2, s[2:3], s3, v2
	v_addc_co_u32_e64 v3, s[2:3], v3, v6, s[2:3]
	global_load_ubyte v2, v[2:3], off
	v_mov_b32_e32 v6, 0
	s_waitcnt vmcnt(0)
	v_and_b32_e32 v2, 1, v2
	v_cmp_eq_u32_e64 s[2:3], 1, v2
	s_xor_b64 s[2:3], s[2:3], -1
	s_and_saveexec_b64 s[6:7], s[2:3]
	s_cbranch_execz .LBB755_17
; %bb.16:
	s_waitcnt lgkmcnt(0)
	v_cmp_lt_f32_e64 s[2:3], v16, v17
	v_cndmask_b32_e64 v2, v16, v17, s[2:3]
	v_sub_f32_e32 v2, v9, v2
	s_mov_b32 s2, 0x3fb8aa3b
	v_mul_f32_e32 v3, 0x3fb8aa3b, v2
	v_fma_f32 v6, v2, s2, -v3
	v_rndne_f32_e32 v9, v3
	v_fmac_f32_e32 v6, 0x32a5705f, v2
	v_sub_f32_e32 v3, v3, v9
	v_add_f32_e32 v3, v3, v6
	v_exp_f32_e32 v3, v3
	v_cvt_i32_f32_e32 v6, v9
	s_mov_b32 s2, 0xc2ce8ed0
	v_cmp_ngt_f32_e64 s[2:3], s2, v2
	v_ldexp_f32 v3, v3, v6
	v_cndmask_b32_e64 v3, 0, v3, s[2:3]
	s_mov_b32 s2, 0x42b17218
	v_mov_b32_e32 v6, 0x7f800000
	v_cmp_nlt_f32_e64 s[2:3], s2, v2
	v_cndmask_b32_e64 v6, v6, v3, s[2:3]
	v_add_f32_e32 v5, v5, v6
.LBB755_17:
	s_or_b64 exec, exec, s[6:7]
.LBB755_18:
	s_or_b64 exec, exec, s[4:5]
	ds_bpermute_b32 v2, v7, v4
	ds_bpermute_b32 v3, v7, v5
	s_waitcnt lgkmcnt(0)
	v_pk_add_f32 v[2:3], v[4:5], v[2:3]
	ds_bpermute_b32 v4, v11, v2
	ds_bpermute_b32 v5, v11, v3
	s_waitcnt lgkmcnt(0)
	v_pk_add_f32 v[2:3], v[2:3], v[4:5]
	;; [unrolled: 4-line block ×4, first 2 shown]
	ds_bpermute_b32 v4, v15, v2
	ds_bpermute_b32 v5, v15, v3
	s_and_saveexec_b64 s[2:3], vcc
	s_cbranch_execz .LBB755_26
; %bb.19:
	s_waitcnt lgkmcnt(0)
	v_pk_add_f32 v[2:3], v[2:3], v[4:5]
	v_mov_b32_e32 v4, s13
	v_add_co_u32_e32 v0, vcc, s12, v0
	v_addc_co_u32_e32 v1, vcc, v4, v1, vcc
	s_and_saveexec_b64 s[2:3], s[0:1]
	s_cbranch_execz .LBB755_23
; %bb.20:
	v_cmp_neq_f32_e32 vcc, 0, v2
	v_mov_b32_e32 v4, 0x7fc0
	s_and_saveexec_b64 s[4:5], vcc
	s_cbranch_execz .LBB755_22
; %bb.21:
	v_div_scale_f32 v4, s[6:7], v2, v2, v14
	v_rcp_f32_e32 v5, v4
	v_div_scale_f32 v7, vcc, v14, v2, v14
	s_movk_i32 s6, 0x7fff
	v_fma_f32 v9, -v4, v5, 1.0
	v_fmac_f32_e32 v5, v9, v5
	v_mul_f32_e32 v9, v7, v5
	v_fma_f32 v10, -v4, v9, v7
	v_fmac_f32_e32 v9, v10, v5
	v_fma_f32 v4, -v4, v9, v7
	v_div_fmas_f32 v4, v4, v5, v9
	v_div_fixup_f32 v2, v4, v2, v14
	v_bfe_u32 v4, v2, 16, 1
	v_add3_u32 v4, v2, v4, s6
	v_lshrrev_b32_e32 v4, 16, v4
	v_mov_b32_e32 v5, 0x7fc0
	v_cmp_o_f32_e32 vcc, v2, v2
	v_cndmask_b32_e32 v4, v5, v4, vcc
.LBB755_22:
	s_or_b64 exec, exec, s[4:5]
	global_store_short v[0:1], v4, off
.LBB755_23:
	s_or_b64 exec, exec, s[2:3]
	v_cmp_ne_u32_e32 vcc, 1, v8
	s_and_b64 exec, exec, vcc
	s_cbranch_execz .LBB755_26
; %bb.24:
	s_and_b64 exec, exec, s[0:1]
	s_cbranch_execz .LBB755_26
; %bb.25:
	v_div_scale_f32 v2, s[0:1], v3, v3, v6
	v_rcp_f32_e32 v4, v2
	s_mov_b32 s11, 0
	v_cmp_eq_f32_e64 s[0:1], 0, v3
	s_movk_i32 s2, 0x7fff
	v_fma_f32 v5, -v2, v4, 1.0
	v_fmac_f32_e32 v4, v5, v4
	v_div_scale_f32 v5, vcc, v6, v3, v6
	v_mul_f32_e32 v7, v5, v4
	v_fma_f32 v8, -v2, v7, v5
	v_fmac_f32_e32 v7, v8, v4
	v_fma_f32 v2, -v2, v7, v5
	v_div_fmas_f32 v2, v2, v4, v7
	v_div_fixup_f32 v2, v2, v3, v6
	v_bfe_u32 v3, v2, 16, 1
	v_cmp_u_f32_e32 vcc, v2, v2
	v_add3_u32 v2, v2, v3, s2
	s_lshl_b64 s[2:3], s[10:11], 1
	v_mov_b32_e32 v3, s3
	v_add_co_u32_e64 v0, s[2:3], s2, v0
	v_lshrrev_b32_e32 v2, 16, v2
	v_addc_co_u32_e64 v1, s[2:3], v1, v3, s[2:3]
	v_mov_b32_e32 v3, 0x7fc0
	s_or_b64 vcc, s[0:1], vcc
	v_cndmask_b32_e32 v2, v2, v3, vcc
	global_store_short v[0:1], v2, off
.LBB755_26:
	s_endpgm
	.section	.rodata,"a",@progbits
	.p2align	6, 0x0
	.amdhsa_kernel _ZN12_GLOBAL__N_120softmax_warp_forwardIN3c108BFloat16ES2_fLi5ELb0ELb1ELi32EEEvPT0_PKT_iiiPKbib
		.amdhsa_group_segment_fixed_size 0
		.amdhsa_private_segment_fixed_size 0
		.amdhsa_kernarg_size 304
		.amdhsa_user_sgpr_count 6
		.amdhsa_user_sgpr_private_segment_buffer 1
		.amdhsa_user_sgpr_dispatch_ptr 0
		.amdhsa_user_sgpr_queue_ptr 0
		.amdhsa_user_sgpr_kernarg_segment_ptr 1
		.amdhsa_user_sgpr_dispatch_id 0
		.amdhsa_user_sgpr_flat_scratch_init 0
		.amdhsa_user_sgpr_kernarg_preload_length 0
		.amdhsa_user_sgpr_kernarg_preload_offset 0
		.amdhsa_user_sgpr_private_segment_size 0
		.amdhsa_uses_dynamic_stack 0
		.amdhsa_system_sgpr_private_segment_wavefront_offset 0
		.amdhsa_system_sgpr_workgroup_id_x 1
		.amdhsa_system_sgpr_workgroup_id_y 0
		.amdhsa_system_sgpr_workgroup_id_z 0
		.amdhsa_system_sgpr_workgroup_info 0
		.amdhsa_system_vgpr_workitem_id 1
		.amdhsa_next_free_vgpr 20
		.amdhsa_next_free_sgpr 18
		.amdhsa_accum_offset 20
		.amdhsa_reserve_vcc 1
		.amdhsa_reserve_flat_scratch 0
		.amdhsa_float_round_mode_32 0
		.amdhsa_float_round_mode_16_64 0
		.amdhsa_float_denorm_mode_32 3
		.amdhsa_float_denorm_mode_16_64 3
		.amdhsa_dx10_clamp 1
		.amdhsa_ieee_mode 1
		.amdhsa_fp16_overflow 0
		.amdhsa_tg_split 0
		.amdhsa_exception_fp_ieee_invalid_op 0
		.amdhsa_exception_fp_denorm_src 0
		.amdhsa_exception_fp_ieee_div_zero 0
		.amdhsa_exception_fp_ieee_overflow 0
		.amdhsa_exception_fp_ieee_underflow 0
		.amdhsa_exception_fp_ieee_inexact 0
		.amdhsa_exception_int_div_zero 0
	.end_amdhsa_kernel
	.section	.text._ZN12_GLOBAL__N_120softmax_warp_forwardIN3c108BFloat16ES2_fLi5ELb0ELb1ELi32EEEvPT0_PKT_iiiPKbib,"axG",@progbits,_ZN12_GLOBAL__N_120softmax_warp_forwardIN3c108BFloat16ES2_fLi5ELb0ELb1ELi32EEEvPT0_PKT_iiiPKbib,comdat
.Lfunc_end755:
	.size	_ZN12_GLOBAL__N_120softmax_warp_forwardIN3c108BFloat16ES2_fLi5ELb0ELb1ELi32EEEvPT0_PKT_iiiPKbib, .Lfunc_end755-_ZN12_GLOBAL__N_120softmax_warp_forwardIN3c108BFloat16ES2_fLi5ELb0ELb1ELi32EEEvPT0_PKT_iiiPKbib
                                        ; -- End function
	.section	.AMDGPU.csdata,"",@progbits
; Kernel info:
; codeLenInByte = 1952
; NumSgprs: 22
; NumVgprs: 20
; NumAgprs: 0
; TotalNumVgprs: 20
; ScratchSize: 0
; MemoryBound: 0
; FloatMode: 240
; IeeeMode: 1
; LDSByteSize: 0 bytes/workgroup (compile time only)
; SGPRBlocks: 2
; VGPRBlocks: 2
; NumSGPRsForWavesPerEU: 22
; NumVGPRsForWavesPerEU: 20
; AccumOffset: 20
; Occupancy: 8
; WaveLimiterHint : 0
; COMPUTE_PGM_RSRC2:SCRATCH_EN: 0
; COMPUTE_PGM_RSRC2:USER_SGPR: 6
; COMPUTE_PGM_RSRC2:TRAP_HANDLER: 0
; COMPUTE_PGM_RSRC2:TGID_X_EN: 1
; COMPUTE_PGM_RSRC2:TGID_Y_EN: 0
; COMPUTE_PGM_RSRC2:TGID_Z_EN: 0
; COMPUTE_PGM_RSRC2:TIDIG_COMP_CNT: 1
; COMPUTE_PGM_RSRC3_GFX90A:ACCUM_OFFSET: 4
; COMPUTE_PGM_RSRC3_GFX90A:TG_SPLIT: 0
	.section	.text._ZN12_GLOBAL__N_120softmax_warp_forwardIN3c108BFloat16ES2_fLi6ELb0ELb1ELi64EEEvPT0_PKT_iiiPKbib,"axG",@progbits,_ZN12_GLOBAL__N_120softmax_warp_forwardIN3c108BFloat16ES2_fLi6ELb0ELb1ELi64EEEvPT0_PKT_iiiPKbib,comdat
	.globl	_ZN12_GLOBAL__N_120softmax_warp_forwardIN3c108BFloat16ES2_fLi6ELb0ELb1ELi64EEEvPT0_PKT_iiiPKbib ; -- Begin function _ZN12_GLOBAL__N_120softmax_warp_forwardIN3c108BFloat16ES2_fLi6ELb0ELb1ELi64EEEvPT0_PKT_iiiPKbib
	.p2align	8
	.type	_ZN12_GLOBAL__N_120softmax_warp_forwardIN3c108BFloat16ES2_fLi6ELb0ELb1ELi64EEEvPT0_PKT_iiiPKbib,@function
_ZN12_GLOBAL__N_120softmax_warp_forwardIN3c108BFloat16ES2_fLi6ELb0ELb1ELi64EEEvPT0_PKT_iiiPKbib: ; @_ZN12_GLOBAL__N_120softmax_warp_forwardIN3c108BFloat16ES2_fLi6ELb0ELb1ELi64EEEvPT0_PKT_iiiPKbib
; %bb.0:
	s_load_dwordx2 s[0:1], s[4:5], 0x28
	s_load_dword s2, s[4:5], 0x3c
	s_load_dwordx4 s[8:11], s[4:5], 0x10
	v_bfe_u32 v1, v0, 10, 10
	v_and_b32_e32 v4, 0x3ff, v0
	s_waitcnt lgkmcnt(0)
	s_bitcmp1_b32 s1, 0
	s_cselect_b64 s[16:17], -1, 0
	s_lshr_b32 s2, s2, 16
	s_mul_i32 s6, s6, s2
	v_add_lshl_u32 v5, s6, v1, 1
	v_mul_lo_u32 v6, v5, s9
	v_add_u32_e32 v0, v6, v4
	v_ashrrev_i32_e32 v1, 31, v0
	s_bitcmp0_b32 s1, 0
	v_pk_mov_b32 v[2:3], v[0:1], v[0:1] op_sel:[0,1]
	s_cbranch_scc1 .LBB756_2
; %bb.1:
	s_abs_i32 s1, s0
	v_cvt_f32_u32_e32 v2, s1
	v_xor_b32_e32 v3, s0, v6
	v_sub_u32_e32 v7, 0, v6
	s_sub_i32 s0, 0, s1
	v_rcp_iflag_f32_e32 v2, v2
	v_max_i32_e32 v6, v6, v7
	v_ashrrev_i32_e32 v3, 31, v3
	v_mul_f32_e32 v2, 0x4f7ffffe, v2
	v_cvt_u32_f32_e32 v2, v2
	v_mul_lo_u32 v7, s0, v2
	v_mul_hi_u32 v7, v2, v7
	v_add_u32_e32 v2, v2, v7
	v_mul_hi_u32 v2, v6, v2
	v_mul_lo_u32 v7, v2, s1
	v_sub_u32_e32 v6, v6, v7
	v_add_u32_e32 v8, 1, v2
	v_cmp_le_u32_e32 vcc, s1, v6
	v_subrev_u32_e32 v7, s1, v6
	v_cndmask_b32_e32 v2, v2, v8, vcc
	v_cndmask_b32_e32 v6, v6, v7, vcc
	v_add_u32_e32 v7, 1, v2
	v_cmp_le_u32_e32 vcc, s1, v6
	v_cndmask_b32_e32 v2, v2, v7, vcc
	v_xor_b32_e32 v2, v2, v3
	v_sub_u32_e32 v2, v2, v3
	v_mad_u64_u32 v[2:3], s[0:1], v2, s9, v[4:5]
	v_ashrrev_i32_e32 v3, 31, v2
.LBB756_2:
	s_load_dwordx4 s[12:15], s[4:5], 0x0
	v_lshlrev_b64 v[0:1], 1, v[0:1]
	v_sub_u32_e32 v8, s8, v5
	v_cmp_gt_i32_e64 s[0:1], s10, v4
	v_mov_b32_e32 v9, 0xff800000
	s_waitcnt lgkmcnt(0)
	v_mov_b32_e32 v5, s15
	v_add_co_u32_e32 v6, vcc, s14, v0
	v_addc_co_u32_e32 v7, vcc, v5, v1, vcc
	v_cmp_lt_i32_e32 vcc, 0, v8
	s_and_b64 s[8:9], s[0:1], vcc
	v_mov_b32_e32 v10, 0xff800000
	s_and_saveexec_b64 s[2:3], s[8:9]
	s_cbranch_execz .LBB756_4
; %bb.3:
	global_load_ushort v4, v[6:7], off
	s_waitcnt vmcnt(0)
	v_lshlrev_b32_e32 v10, 16, v4
.LBB756_4:
	s_or_b64 exec, exec, s[2:3]
	v_cmp_lt_i32_e64 s[2:3], 1, v8
	s_and_b64 s[6:7], s[0:1], s[2:3]
	s_and_saveexec_b64 s[14:15], s[6:7]
	s_cbranch_execz .LBB756_6
; %bb.5:
	s_mov_b32 s11, 0
	s_lshl_b64 s[2:3], s[10:11], 1
	v_mov_b32_e32 v5, s3
	v_add_co_u32_e64 v4, s[2:3], s2, v6
	v_addc_co_u32_e64 v5, s[2:3], v7, v5, s[2:3]
	global_load_ushort v4, v[4:5], off
	s_waitcnt vmcnt(0)
	v_lshlrev_b32_e32 v9, 16, v4
.LBB756_6:
	s_or_b64 exec, exec, s[14:15]
	s_load_dwordx2 s[2:3], s[4:5], 0x20
	s_waitcnt lgkmcnt(0)
	v_mov_b32_e32 v4, s3
	v_add_co_u32_e64 v2, s[2:3], s2, v2
	v_addc_co_u32_e64 v3, s[2:3], v4, v3, s[2:3]
	v_mov_b32_e32 v4, 0xff800000
	s_and_saveexec_b64 s[4:5], s[8:9]
	s_cbranch_execz .LBB756_8
; %bb.7:
	global_load_ubyte v4, v[2:3], off
	v_mov_b32_e32 v5, 0xff800000
	s_waitcnt vmcnt(0)
	v_and_b32_e32 v4, 1, v4
	v_cmp_eq_u32_e64 s[2:3], 1, v4
	v_cndmask_b32_e64 v4, v10, v5, s[2:3]
.LBB756_8:
	s_or_b64 exec, exec, s[4:5]
	s_mov_b64 s[4:5], 0
	s_and_saveexec_b64 s[14:15], s[6:7]
	s_cbranch_execz .LBB756_10
; %bb.9:
	s_and_b64 s[2:3], s[16:17], exec
	s_cselect_b32 s2, 0, 0
	s_cselect_b32 s3, 0, s10
	v_mov_b32_e32 v5, s2
	v_add_co_u32_e64 v6, s[2:3], s3, v2
	v_addc_co_u32_e64 v7, s[2:3], v3, v5, s[2:3]
	global_load_ubyte v5, v[6:7], off
	s_waitcnt vmcnt(0)
	v_and_b32_e32 v5, 1, v5
	v_cmp_eq_u32_e64 s[2:3], 1, v5
	s_xor_b64 s[2:3], s[2:3], -1
	s_and_b64 s[4:5], s[2:3], exec
.LBB756_10:
	s_or_b64 exec, exec, s[14:15]
	v_mbcnt_lo_u32_b32 v5, -1, 0
	v_mbcnt_hi_u32_b32 v5, -1, v5
	v_and_b32_e32 v6, 64, v5
	v_add_u32_e32 v6, 64, v6
	v_xor_b32_e32 v7, 32, v5
	v_cmp_lt_i32_e64 s[2:3], v7, v6
	v_cndmask_b32_e64 v7, v5, v7, s[2:3]
	v_cndmask_b32_e64 v4, v4, v4, s[4:5]
	v_lshlrev_b32_e32 v7, 2, v7
	ds_bpermute_b32 v11, v7, v4
	v_mov_b32_e32 v12, 0xff800000
	v_cndmask_b32_e64 v12, v12, v9, s[4:5]
	ds_bpermute_b32 v13, v7, v12
	s_mov_b32 s14, 0
	s_waitcnt lgkmcnt(1)
	v_cmp_lt_f32_e64 s[2:3], v4, v11
	v_cndmask_b32_e64 v4, v4, v11, s[2:3]
	v_xor_b32_e32 v11, 16, v5
	v_cmp_lt_i32_e64 s[2:3], v11, v6
	v_cndmask_b32_e64 v11, v5, v11, s[2:3]
	v_lshlrev_b32_e32 v11, 2, v11
	ds_bpermute_b32 v14, v11, v4
	s_waitcnt lgkmcnt(1)
	v_cmp_lt_f32_e64 s[2:3], v12, v13
	v_cndmask_b32_e64 v13, v12, v13, s[2:3]
	v_xor_b32_e32 v12, 8, v5
	s_mov_b32 s15, s14
	s_waitcnt lgkmcnt(0)
	v_cmp_lt_f32_e64 s[2:3], v4, v14
	v_cndmask_b32_e64 v4, v4, v14, s[2:3]
	v_cmp_lt_i32_e64 s[2:3], v12, v6
	v_cndmask_b32_e64 v12, v5, v12, s[2:3]
	ds_bpermute_b32 v14, v11, v13
	v_lshlrev_b32_e32 v12, 2, v12
	ds_bpermute_b32 v15, v12, v4
	s_waitcnt lgkmcnt(1)
	v_cmp_lt_f32_e64 s[2:3], v13, v14
	v_cndmask_b32_e64 v14, v13, v14, s[2:3]
	s_waitcnt lgkmcnt(0)
	v_cmp_lt_f32_e64 s[2:3], v4, v15
	v_xor_b32_e32 v13, 4, v5
	v_cndmask_b32_e64 v4, v4, v15, s[2:3]
	v_cmp_lt_i32_e64 s[2:3], v13, v6
	v_cndmask_b32_e64 v13, v5, v13, s[2:3]
	ds_bpermute_b32 v15, v12, v14
	v_lshlrev_b32_e32 v13, 2, v13
	ds_bpermute_b32 v16, v13, v4
	s_waitcnt lgkmcnt(1)
	v_cmp_lt_f32_e64 s[2:3], v14, v15
	v_cndmask_b32_e64 v15, v14, v15, s[2:3]
	s_waitcnt lgkmcnt(0)
	v_cmp_lt_f32_e64 s[2:3], v4, v16
	v_cndmask_b32_e64 v4, v4, v16, s[2:3]
	ds_bpermute_b32 v16, v13, v15
	v_xor_b32_e32 v14, 2, v5
	v_cmp_lt_i32_e64 s[2:3], v14, v6
	v_cndmask_b32_e64 v14, v5, v14, s[2:3]
	v_lshlrev_b32_e32 v14, 2, v14
	s_waitcnt lgkmcnt(0)
	v_cmp_lt_f32_e64 s[2:3], v15, v16
	ds_bpermute_b32 v17, v14, v4
	v_cndmask_b32_e64 v15, v15, v16, s[2:3]
	ds_bpermute_b32 v16, v14, v15
	s_waitcnt lgkmcnt(1)
	v_cmp_lt_f32_e64 s[2:3], v4, v17
	v_cndmask_b32_e64 v19, v4, v17, s[2:3]
	s_waitcnt lgkmcnt(0)
	v_cmp_lt_f32_e64 s[2:3], v15, v16
	v_xor_b32_e32 v4, 1, v5
	v_cndmask_b32_e64 v17, v15, v16, s[2:3]
	v_cmp_lt_i32_e64 s[2:3], v4, v6
	v_cndmask_b32_e64 v4, v5, v4, s[2:3]
	v_lshlrev_b32_e32 v16, 2, v4
	ds_bpermute_b32 v20, v16, v19
	ds_bpermute_b32 v18, v16, v17
	v_mov_b32_e32 v6, 0
	v_pk_mov_b32 v[4:5], s[14:15], s[14:15] op_sel:[0,1]
	v_mov_b32_e32 v15, 0
	s_and_saveexec_b64 s[4:5], s[8:9]
	s_cbranch_execz .LBB756_14
; %bb.11:
	global_load_ubyte v15, v[2:3], off
	v_pk_mov_b32 v[4:5], s[14:15], s[14:15] op_sel:[0,1]
	s_waitcnt vmcnt(0)
	v_and_b32_e32 v15, 1, v15
	v_cmp_eq_u32_e64 s[2:3], 1, v15
	s_xor_b64 s[2:3], s[2:3], -1
	v_mov_b32_e32 v15, 0
	s_and_saveexec_b64 s[8:9], s[2:3]
	s_cbranch_execz .LBB756_13
; %bb.12:
	s_waitcnt lgkmcnt(1)
	v_cmp_lt_f32_e64 s[2:3], v19, v20
	v_cndmask_b32_e64 v4, v19, v20, s[2:3]
	v_sub_f32_e32 v4, v10, v4
	s_mov_b32 s2, 0x3fb8aa3b
	v_mul_f32_e32 v5, 0x3fb8aa3b, v4
	v_fma_f32 v10, v4, s2, -v5
	v_rndne_f32_e32 v15, v5
	v_fmac_f32_e32 v10, 0x32a5705f, v4
	v_sub_f32_e32 v5, v5, v15
	v_add_f32_e32 v5, v5, v10
	v_exp_f32_e32 v5, v5
	v_cvt_i32_f32_e32 v10, v15
	s_mov_b32 s2, 0xc2ce8ed0
	v_cmp_ngt_f32_e64 s[2:3], s2, v4
	v_mov_b32_e32 v15, 0x7f800000
	v_ldexp_f32 v10, v5, v10
	v_cndmask_b32_e64 v10, 0, v10, s[2:3]
	s_mov_b32 s2, 0x42b17218
	v_cmp_nlt_f32_e64 s[2:3], s2, v4
	v_cndmask_b32_e64 v4, v15, v10, s[2:3]
	v_mov_b32_e32 v5, 0
	v_mov_b32_e32 v15, v4
.LBB756_13:
	s_or_b64 exec, exec, s[8:9]
.LBB756_14:
	s_or_b64 exec, exec, s[4:5]
	s_and_saveexec_b64 s[4:5], s[6:7]
	s_cbranch_execz .LBB756_18
; %bb.15:
	s_and_b64 s[2:3], s[16:17], exec
	s_cselect_b32 s2, 0, 0
	s_cselect_b32 s3, 0, s10
	v_mov_b32_e32 v6, s2
	v_add_co_u32_e64 v2, s[2:3], s3, v2
	v_addc_co_u32_e64 v3, s[2:3], v3, v6, s[2:3]
	global_load_ubyte v2, v[2:3], off
	v_mov_b32_e32 v6, 0
	s_waitcnt vmcnt(0)
	v_and_b32_e32 v2, 1, v2
	v_cmp_eq_u32_e64 s[2:3], 1, v2
	s_xor_b64 s[2:3], s[2:3], -1
	s_and_saveexec_b64 s[6:7], s[2:3]
	s_cbranch_execz .LBB756_17
; %bb.16:
	s_waitcnt lgkmcnt(0)
	v_cmp_lt_f32_e64 s[2:3], v17, v18
	v_cndmask_b32_e64 v2, v17, v18, s[2:3]
	v_sub_f32_e32 v2, v9, v2
	s_mov_b32 s2, 0x3fb8aa3b
	v_mul_f32_e32 v3, 0x3fb8aa3b, v2
	v_fma_f32 v6, v2, s2, -v3
	v_rndne_f32_e32 v9, v3
	v_fmac_f32_e32 v6, 0x32a5705f, v2
	v_sub_f32_e32 v3, v3, v9
	v_add_f32_e32 v3, v3, v6
	v_exp_f32_e32 v3, v3
	v_cvt_i32_f32_e32 v6, v9
	s_mov_b32 s2, 0xc2ce8ed0
	v_cmp_ngt_f32_e64 s[2:3], s2, v2
	v_ldexp_f32 v3, v3, v6
	v_cndmask_b32_e64 v3, 0, v3, s[2:3]
	s_mov_b32 s2, 0x42b17218
	v_mov_b32_e32 v6, 0x7f800000
	v_cmp_nlt_f32_e64 s[2:3], s2, v2
	v_cndmask_b32_e64 v6, v6, v3, s[2:3]
	v_add_f32_e32 v5, v5, v6
.LBB756_17:
	s_or_b64 exec, exec, s[6:7]
.LBB756_18:
	s_or_b64 exec, exec, s[4:5]
	ds_bpermute_b32 v2, v7, v4
	ds_bpermute_b32 v3, v7, v5
	s_waitcnt lgkmcnt(0)
	v_pk_add_f32 v[2:3], v[4:5], v[2:3]
	ds_bpermute_b32 v4, v11, v2
	ds_bpermute_b32 v5, v11, v3
	s_waitcnt lgkmcnt(0)
	v_pk_add_f32 v[2:3], v[2:3], v[4:5]
	ds_bpermute_b32 v4, v12, v2
	ds_bpermute_b32 v5, v12, v3
	s_waitcnt lgkmcnt(0)
	v_pk_add_f32 v[2:3], v[2:3], v[4:5]
	ds_bpermute_b32 v4, v13, v2
	ds_bpermute_b32 v5, v13, v3
	s_waitcnt lgkmcnt(0)
	v_pk_add_f32 v[2:3], v[2:3], v[4:5]
	ds_bpermute_b32 v4, v14, v2
	ds_bpermute_b32 v5, v14, v3
	s_waitcnt lgkmcnt(0)
	v_pk_add_f32 v[2:3], v[2:3], v[4:5]
	ds_bpermute_b32 v4, v16, v2
	ds_bpermute_b32 v5, v16, v3
	s_and_saveexec_b64 s[2:3], vcc
	s_cbranch_execz .LBB756_26
; %bb.19:
	s_waitcnt lgkmcnt(0)
	v_pk_add_f32 v[2:3], v[2:3], v[4:5]
	v_mov_b32_e32 v4, s13
	v_add_co_u32_e32 v0, vcc, s12, v0
	v_addc_co_u32_e32 v1, vcc, v4, v1, vcc
	s_and_saveexec_b64 s[2:3], s[0:1]
	s_cbranch_execz .LBB756_23
; %bb.20:
	v_cmp_neq_f32_e32 vcc, 0, v2
	v_mov_b32_e32 v4, 0x7fc0
	s_and_saveexec_b64 s[4:5], vcc
	s_cbranch_execz .LBB756_22
; %bb.21:
	v_div_scale_f32 v4, s[6:7], v2, v2, v15
	v_rcp_f32_e32 v5, v4
	v_div_scale_f32 v7, vcc, v15, v2, v15
	s_movk_i32 s6, 0x7fff
	v_fma_f32 v9, -v4, v5, 1.0
	v_fmac_f32_e32 v5, v9, v5
	v_mul_f32_e32 v9, v7, v5
	v_fma_f32 v10, -v4, v9, v7
	v_fmac_f32_e32 v9, v10, v5
	v_fma_f32 v4, -v4, v9, v7
	v_div_fmas_f32 v4, v4, v5, v9
	v_div_fixup_f32 v2, v4, v2, v15
	v_bfe_u32 v4, v2, 16, 1
	v_add3_u32 v4, v2, v4, s6
	v_lshrrev_b32_e32 v4, 16, v4
	v_mov_b32_e32 v5, 0x7fc0
	v_cmp_o_f32_e32 vcc, v2, v2
	v_cndmask_b32_e32 v4, v5, v4, vcc
.LBB756_22:
	s_or_b64 exec, exec, s[4:5]
	global_store_short v[0:1], v4, off
.LBB756_23:
	s_or_b64 exec, exec, s[2:3]
	v_cmp_ne_u32_e32 vcc, 1, v8
	s_and_b64 exec, exec, vcc
	s_cbranch_execz .LBB756_26
; %bb.24:
	s_and_b64 exec, exec, s[0:1]
	s_cbranch_execz .LBB756_26
; %bb.25:
	v_div_scale_f32 v2, s[0:1], v3, v3, v6
	v_rcp_f32_e32 v4, v2
	s_mov_b32 s11, 0
	v_cmp_eq_f32_e64 s[0:1], 0, v3
	s_movk_i32 s2, 0x7fff
	v_fma_f32 v5, -v2, v4, 1.0
	v_fmac_f32_e32 v4, v5, v4
	v_div_scale_f32 v5, vcc, v6, v3, v6
	v_mul_f32_e32 v7, v5, v4
	v_fma_f32 v8, -v2, v7, v5
	v_fmac_f32_e32 v7, v8, v4
	v_fma_f32 v2, -v2, v7, v5
	v_div_fmas_f32 v2, v2, v4, v7
	v_div_fixup_f32 v2, v2, v3, v6
	v_bfe_u32 v3, v2, 16, 1
	v_cmp_u_f32_e32 vcc, v2, v2
	v_add3_u32 v2, v2, v3, s2
	s_lshl_b64 s[2:3], s[10:11], 1
	v_mov_b32_e32 v3, s3
	v_add_co_u32_e64 v0, s[2:3], s2, v0
	v_lshrrev_b32_e32 v2, 16, v2
	v_addc_co_u32_e64 v1, s[2:3], v1, v3, s[2:3]
	v_mov_b32_e32 v3, 0x7fc0
	s_or_b64 vcc, s[0:1], vcc
	v_cndmask_b32_e32 v2, v2, v3, vcc
	global_store_short v[0:1], v2, off
.LBB756_26:
	s_endpgm
	.section	.rodata,"a",@progbits
	.p2align	6, 0x0
	.amdhsa_kernel _ZN12_GLOBAL__N_120softmax_warp_forwardIN3c108BFloat16ES2_fLi6ELb0ELb1ELi64EEEvPT0_PKT_iiiPKbib
		.amdhsa_group_segment_fixed_size 0
		.amdhsa_private_segment_fixed_size 0
		.amdhsa_kernarg_size 304
		.amdhsa_user_sgpr_count 6
		.amdhsa_user_sgpr_private_segment_buffer 1
		.amdhsa_user_sgpr_dispatch_ptr 0
		.amdhsa_user_sgpr_queue_ptr 0
		.amdhsa_user_sgpr_kernarg_segment_ptr 1
		.amdhsa_user_sgpr_dispatch_id 0
		.amdhsa_user_sgpr_flat_scratch_init 0
		.amdhsa_user_sgpr_kernarg_preload_length 0
		.amdhsa_user_sgpr_kernarg_preload_offset 0
		.amdhsa_user_sgpr_private_segment_size 0
		.amdhsa_uses_dynamic_stack 0
		.amdhsa_system_sgpr_private_segment_wavefront_offset 0
		.amdhsa_system_sgpr_workgroup_id_x 1
		.amdhsa_system_sgpr_workgroup_id_y 0
		.amdhsa_system_sgpr_workgroup_id_z 0
		.amdhsa_system_sgpr_workgroup_info 0
		.amdhsa_system_vgpr_workitem_id 1
		.amdhsa_next_free_vgpr 21
		.amdhsa_next_free_sgpr 18
		.amdhsa_accum_offset 24
		.amdhsa_reserve_vcc 1
		.amdhsa_reserve_flat_scratch 0
		.amdhsa_float_round_mode_32 0
		.amdhsa_float_round_mode_16_64 0
		.amdhsa_float_denorm_mode_32 3
		.amdhsa_float_denorm_mode_16_64 3
		.amdhsa_dx10_clamp 1
		.amdhsa_ieee_mode 1
		.amdhsa_fp16_overflow 0
		.amdhsa_tg_split 0
		.amdhsa_exception_fp_ieee_invalid_op 0
		.amdhsa_exception_fp_denorm_src 0
		.amdhsa_exception_fp_ieee_div_zero 0
		.amdhsa_exception_fp_ieee_overflow 0
		.amdhsa_exception_fp_ieee_underflow 0
		.amdhsa_exception_fp_ieee_inexact 0
		.amdhsa_exception_int_div_zero 0
	.end_amdhsa_kernel
	.section	.text._ZN12_GLOBAL__N_120softmax_warp_forwardIN3c108BFloat16ES2_fLi6ELb0ELb1ELi64EEEvPT0_PKT_iiiPKbib,"axG",@progbits,_ZN12_GLOBAL__N_120softmax_warp_forwardIN3c108BFloat16ES2_fLi6ELb0ELb1ELi64EEEvPT0_PKT_iiiPKbib,comdat
.Lfunc_end756:
	.size	_ZN12_GLOBAL__N_120softmax_warp_forwardIN3c108BFloat16ES2_fLi6ELb0ELb1ELi64EEEvPT0_PKT_iiiPKbib, .Lfunc_end756-_ZN12_GLOBAL__N_120softmax_warp_forwardIN3c108BFloat16ES2_fLi6ELb0ELb1ELi64EEEvPT0_PKT_iiiPKbib
                                        ; -- End function
	.section	.AMDGPU.csdata,"",@progbits
; Kernel info:
; codeLenInByte = 2056
; NumSgprs: 22
; NumVgprs: 21
; NumAgprs: 0
; TotalNumVgprs: 21
; ScratchSize: 0
; MemoryBound: 0
; FloatMode: 240
; IeeeMode: 1
; LDSByteSize: 0 bytes/workgroup (compile time only)
; SGPRBlocks: 2
; VGPRBlocks: 2
; NumSGPRsForWavesPerEU: 22
; NumVGPRsForWavesPerEU: 21
; AccumOffset: 24
; Occupancy: 8
; WaveLimiterHint : 0
; COMPUTE_PGM_RSRC2:SCRATCH_EN: 0
; COMPUTE_PGM_RSRC2:USER_SGPR: 6
; COMPUTE_PGM_RSRC2:TRAP_HANDLER: 0
; COMPUTE_PGM_RSRC2:TGID_X_EN: 1
; COMPUTE_PGM_RSRC2:TGID_Y_EN: 0
; COMPUTE_PGM_RSRC2:TGID_Z_EN: 0
; COMPUTE_PGM_RSRC2:TIDIG_COMP_CNT: 1
; COMPUTE_PGM_RSRC3_GFX90A:ACCUM_OFFSET: 5
; COMPUTE_PGM_RSRC3_GFX90A:TG_SPLIT: 0
	.section	.text._ZN12_GLOBAL__N_120softmax_warp_forwardIN3c108BFloat16ES2_fLi6ELb0ELb1ELi32EEEvPT0_PKT_iiiPKbib,"axG",@progbits,_ZN12_GLOBAL__N_120softmax_warp_forwardIN3c108BFloat16ES2_fLi6ELb0ELb1ELi32EEEvPT0_PKT_iiiPKbib,comdat
	.globl	_ZN12_GLOBAL__N_120softmax_warp_forwardIN3c108BFloat16ES2_fLi6ELb0ELb1ELi32EEEvPT0_PKT_iiiPKbib ; -- Begin function _ZN12_GLOBAL__N_120softmax_warp_forwardIN3c108BFloat16ES2_fLi6ELb0ELb1ELi32EEEvPT0_PKT_iiiPKbib
	.p2align	8
	.type	_ZN12_GLOBAL__N_120softmax_warp_forwardIN3c108BFloat16ES2_fLi6ELb0ELb1ELi32EEEvPT0_PKT_iiiPKbib,@function
_ZN12_GLOBAL__N_120softmax_warp_forwardIN3c108BFloat16ES2_fLi6ELb0ELb1ELi32EEEvPT0_PKT_iiiPKbib: ; @_ZN12_GLOBAL__N_120softmax_warp_forwardIN3c108BFloat16ES2_fLi6ELb0ELb1ELi32EEEvPT0_PKT_iiiPKbib
; %bb.0:
	s_load_dwordx2 s[0:1], s[4:5], 0x28
	s_load_dword s2, s[4:5], 0x3c
	s_load_dwordx4 s[8:11], s[4:5], 0x10
	v_bfe_u32 v1, v0, 10, 10
	v_and_b32_e32 v4, 0x3ff, v0
	s_waitcnt lgkmcnt(0)
	s_bitcmp1_b32 s1, 0
	s_cselect_b64 s[20:21], -1, 0
	s_lshr_b32 s2, s2, 16
	s_mul_i32 s6, s6, s2
	v_add_lshl_u32 v5, s6, v1, 1
	v_mul_lo_u32 v6, v5, s9
	v_add_u32_e32 v0, v6, v4
	v_ashrrev_i32_e32 v1, 31, v0
	s_bitcmp0_b32 s1, 0
	v_pk_mov_b32 v[2:3], v[0:1], v[0:1] op_sel:[0,1]
	s_cbranch_scc1 .LBB757_2
; %bb.1:
	s_abs_i32 s1, s0
	v_cvt_f32_u32_e32 v2, s1
	v_xor_b32_e32 v3, s0, v6
	v_sub_u32_e32 v7, 0, v6
	s_sub_i32 s0, 0, s1
	v_rcp_iflag_f32_e32 v2, v2
	v_max_i32_e32 v6, v6, v7
	v_ashrrev_i32_e32 v3, 31, v3
	v_mul_f32_e32 v2, 0x4f7ffffe, v2
	v_cvt_u32_f32_e32 v2, v2
	v_mul_lo_u32 v7, s0, v2
	v_mul_hi_u32 v7, v2, v7
	v_add_u32_e32 v2, v2, v7
	v_mul_hi_u32 v2, v6, v2
	v_mul_lo_u32 v7, v2, s1
	v_sub_u32_e32 v6, v6, v7
	v_add_u32_e32 v8, 1, v2
	v_cmp_le_u32_e32 vcc, s1, v6
	v_subrev_u32_e32 v7, s1, v6
	v_cndmask_b32_e32 v2, v2, v8, vcc
	v_cndmask_b32_e32 v6, v6, v7, vcc
	v_add_u32_e32 v7, 1, v2
	v_cmp_le_u32_e32 vcc, s1, v6
	v_cndmask_b32_e32 v2, v2, v7, vcc
	v_xor_b32_e32 v2, v2, v3
	v_sub_u32_e32 v2, v2, v3
	v_mad_u64_u32 v[2:3], s[0:1], v2, s9, v[4:5]
	v_ashrrev_i32_e32 v3, 31, v2
.LBB757_2:
	s_load_dwordx4 s[12:15], s[4:5], 0x0
	v_lshlrev_b64 v[0:1], 1, v[0:1]
	v_sub_u32_e32 v7, s8, v5
	v_cmp_gt_i32_e64 s[2:3], s10, v4
	v_mov_b32_e32 v11, 0xff800000
	s_waitcnt lgkmcnt(0)
	v_mov_b32_e32 v5, s15
	v_add_co_u32_e32 v8, vcc, s14, v0
	v_addc_co_u32_e32 v9, vcc, v5, v1, vcc
	v_cmp_lt_i32_e32 vcc, 0, v7
	s_and_b64 s[18:19], vcc, s[2:3]
	v_mov_b32_e32 v6, 0xff800000
	s_and_saveexec_b64 s[0:1], s[18:19]
	s_cbranch_execz .LBB757_4
; %bb.3:
	global_load_ushort v5, v[8:9], off
	s_waitcnt vmcnt(0)
	v_lshlrev_b32_e32 v6, 16, v5
.LBB757_4:
	s_or_b64 exec, exec, s[0:1]
	v_add_u32_e32 v4, 32, v4
	v_cmp_gt_i32_e64 s[0:1], s10, v4
	s_and_b64 s[16:17], vcc, s[0:1]
	s_and_saveexec_b64 s[6:7], s[16:17]
	s_cbranch_execz .LBB757_6
; %bb.5:
	global_load_ushort v4, v[8:9], off offset:64
	s_waitcnt vmcnt(0)
	v_lshlrev_b32_e32 v11, 16, v4
.LBB757_6:
	s_or_b64 exec, exec, s[6:7]
	v_cmp_lt_i32_e64 s[6:7], 1, v7
	s_and_b64 s[14:15], s[6:7], s[2:3]
	v_mov_b32_e32 v10, 0xff800000
	v_mov_b32_e32 v5, 0xff800000
	s_and_saveexec_b64 s[22:23], s[14:15]
	s_cbranch_execz .LBB757_8
; %bb.7:
	s_mov_b32 s11, 0
	s_lshl_b64 s[8:9], s[10:11], 1
	v_mov_b32_e32 v5, s9
	v_add_co_u32_e64 v4, s[8:9], s8, v8
	v_addc_co_u32_e64 v5, s[8:9], v9, v5, s[8:9]
	global_load_ushort v4, v[4:5], off
	s_waitcnt vmcnt(0)
	v_lshlrev_b32_e32 v5, 16, v4
.LBB757_8:
	s_or_b64 exec, exec, s[22:23]
	s_and_b64 s[8:9], s[6:7], s[0:1]
	s_and_saveexec_b64 s[22:23], s[8:9]
	s_cbranch_execz .LBB757_10
; %bb.9:
	s_mov_b32 s11, 0
	s_lshl_b64 s[6:7], s[10:11], 1
	v_mov_b32_e32 v4, s7
	v_add_co_u32_e64 v8, s[6:7], s6, v8
	v_addc_co_u32_e64 v9, s[6:7], v9, v4, s[6:7]
	global_load_ushort v4, v[8:9], off offset:64
	s_waitcnt vmcnt(0)
	v_lshlrev_b32_e32 v10, 16, v4
.LBB757_10:
	s_or_b64 exec, exec, s[22:23]
	s_load_dwordx2 s[4:5], s[4:5], 0x20
	s_mov_b64 s[6:7], 0
	v_pk_mov_b32 v[8:9], v[6:7], v[6:7] op_sel:[0,1]
	s_waitcnt lgkmcnt(0)
	v_mov_b32_e32 v4, s5
	v_add_co_u32_e64 v2, s[4:5], s4, v2
	v_addc_co_u32_e64 v3, s[4:5], v4, v3, s[4:5]
	s_and_saveexec_b64 s[22:23], s[18:19]
	s_cbranch_execz .LBB757_12
; %bb.11:
	global_load_ubyte v4, v[2:3], off
	v_pk_mov_b32 v[8:9], v[6:7], v[6:7] op_sel:[0,1]
	s_waitcnt vmcnt(0)
	v_and_b32_e32 v4, 1, v4
	v_cmp_eq_u32_e64 s[4:5], 1, v4
	s_xor_b64 s[4:5], s[4:5], -1
	s_and_b64 s[6:7], s[4:5], exec
.LBB757_12:
	s_or_b64 exec, exec, s[22:23]
	s_and_saveexec_b64 s[22:23], s[16:17]
	s_cbranch_execz .LBB757_16
; %bb.13:
	global_load_ubyte v4, v[2:3], off offset:32
	s_waitcnt vmcnt(0)
	v_and_b32_e32 v4, 1, v4
	v_cmp_eq_u32_e64 s[4:5], 1, v4
	s_xor_b64 s[26:27], s[4:5], -1
	s_mov_b64 s[4:5], s[6:7]
	s_and_saveexec_b64 s[24:25], s[26:27]
; %bb.14:
	v_cmp_gt_f32_e64 s[4:5], v8, v11
	s_and_b64 s[4:5], s[6:7], s[4:5]
	v_cndmask_b32_e64 v8, v11, v8, s[4:5]
	s_or_b64 s[4:5], s[6:7], exec
; %bb.15:
	s_or_b64 exec, exec, s[24:25]
	s_andn2_b64 s[6:7], s[6:7], exec
	s_and_b64 s[4:5], s[4:5], exec
	s_or_b64 s[6:7], s[6:7], s[4:5]
.LBB757_16:
	s_or_b64 exec, exec, s[22:23]
	v_mov_b32_e32 v4, 0xff800000
	v_cndmask_b32_e64 v4, v4, v8, s[6:7]
	s_and_b64 s[4:5], s[20:21], exec
	s_cselect_b32 s11, 0, s10
	s_mov_b64 s[6:7], 0
	v_pk_mov_b32 v[8:9], v[4:5], v[4:5] op_sel:[0,1]
	s_and_saveexec_b64 s[20:21], s[14:15]
	s_cbranch_execz .LBB757_18
; %bb.17:
	s_ashr_i32 s4, s11, 31
	v_mov_b32_e32 v9, s4
	v_add_co_u32_e64 v8, s[4:5], s11, v2
	v_addc_co_u32_e64 v9, s[4:5], v3, v9, s[4:5]
	global_load_ubyte v8, v[8:9], off
	s_waitcnt vmcnt(0)
	v_and_b32_e32 v8, 1, v8
	v_cmp_eq_u32_e64 s[4:5], 1, v8
	s_xor_b64 s[4:5], s[4:5], -1
	s_and_b64 s[6:7], s[4:5], exec
	v_pk_mov_b32 v[8:9], v[4:5], v[4:5] op_sel:[0,1]
.LBB757_18:
	s_or_b64 exec, exec, s[20:21]
	s_and_saveexec_b64 s[20:21], s[8:9]
	s_cbranch_execz .LBB757_22
; %bb.19:
	s_ashr_i32 s4, s11, 31
	v_mov_b32_e32 v4, s4
	v_add_co_u32_e64 v12, s[4:5], s11, v2
	v_addc_co_u32_e64 v13, s[4:5], v3, v4, s[4:5]
	global_load_ubyte v4, v[12:13], off offset:32
	s_waitcnt vmcnt(0)
	v_and_b32_e32 v4, 1, v4
	v_cmp_eq_u32_e64 s[4:5], 1, v4
	s_xor_b64 s[24:25], s[4:5], -1
	s_mov_b64 s[4:5], s[6:7]
	s_and_saveexec_b64 s[22:23], s[24:25]
; %bb.20:
	v_cmp_gt_f32_e64 s[4:5], v9, v10
	s_and_b64 s[4:5], s[6:7], s[4:5]
	v_cndmask_b32_e64 v9, v10, v9, s[4:5]
	s_or_b64 s[4:5], s[6:7], exec
; %bb.21:
	s_or_b64 exec, exec, s[22:23]
	s_andn2_b64 s[6:7], s[6:7], exec
	s_and_b64 s[4:5], s[4:5], exec
	s_or_b64 s[6:7], s[6:7], s[4:5]
.LBB757_22:
	s_or_b64 exec, exec, s[20:21]
	v_mbcnt_lo_u32_b32 v4, -1, 0
	v_mbcnt_hi_u32_b32 v12, -1, v4
	v_and_b32_e32 v4, 0x60, v12
	v_add_u32_e32 v16, 32, v4
	v_xor_b32_e32 v4, 16, v12
	v_cmp_lt_i32_e64 s[4:5], v4, v16
	v_cndmask_b32_e64 v4, v12, v4, s[4:5]
	v_cndmask_b32_e64 v8, v8, v8, s[6:7]
	v_lshlrev_b32_e32 v4, 2, v4
	ds_bpermute_b32 v13, v4, v8
	v_mov_b32_e32 v14, 0xff800000
	v_cndmask_b32_e64 v9, v14, v9, s[6:7]
	ds_bpermute_b32 v14, v4, v9
	s_mov_b32 s20, 0
	s_waitcnt lgkmcnt(1)
	v_cmp_lt_f32_e64 s[4:5], v8, v13
	v_cndmask_b32_e64 v8, v8, v13, s[4:5]
	v_xor_b32_e32 v13, 8, v12
	v_cmp_lt_i32_e64 s[4:5], v13, v16
	v_cndmask_b32_e64 v13, v12, v13, s[4:5]
	v_lshlrev_b32_e32 v13, 2, v13
	ds_bpermute_b32 v15, v13, v8
	s_waitcnt lgkmcnt(1)
	v_cmp_lt_f32_e64 s[4:5], v9, v14
	v_cndmask_b32_e64 v9, v9, v14, s[4:5]
	v_xor_b32_e32 v14, 4, v12
	s_mov_b32 s21, s20
	s_waitcnt lgkmcnt(0)
	v_cmp_lt_f32_e64 s[4:5], v8, v15
	v_cndmask_b32_e64 v8, v8, v15, s[4:5]
	v_cmp_lt_i32_e64 s[4:5], v14, v16
	v_cndmask_b32_e64 v14, v12, v14, s[4:5]
	ds_bpermute_b32 v15, v13, v9
	v_lshlrev_b32_e32 v14, 2, v14
	ds_bpermute_b32 v17, v14, v8
	s_waitcnt lgkmcnt(1)
	v_cmp_lt_f32_e64 s[4:5], v9, v15
	v_cndmask_b32_e64 v9, v9, v15, s[4:5]
	s_waitcnt lgkmcnt(0)
	v_cmp_lt_f32_e64 s[4:5], v8, v17
	v_xor_b32_e32 v15, 2, v12
	v_cndmask_b32_e64 v8, v8, v17, s[4:5]
	v_cmp_lt_i32_e64 s[4:5], v15, v16
	ds_bpermute_b32 v17, v14, v9
	v_cndmask_b32_e64 v15, v12, v15, s[4:5]
	v_lshlrev_b32_e32 v15, 2, v15
	ds_bpermute_b32 v18, v15, v8
	s_waitcnt lgkmcnt(1)
	v_cmp_lt_f32_e64 s[4:5], v9, v17
	v_cndmask_b32_e64 v9, v9, v17, s[4:5]
	ds_bpermute_b32 v17, v15, v9
	s_waitcnt lgkmcnt(1)
	v_cmp_lt_f32_e64 s[4:5], v8, v18
	v_cndmask_b32_e64 v8, v8, v18, s[4:5]
	v_xor_b32_e32 v18, 1, v12
	v_cmp_lt_i32_e64 s[4:5], v18, v16
	v_cndmask_b32_e64 v12, v12, v18, s[4:5]
	v_lshlrev_b32_e32 v16, 2, v12
	ds_bpermute_b32 v20, v16, v8
	s_waitcnt lgkmcnt(1)
	v_cmp_lt_f32_e64 s[4:5], v9, v17
	v_cndmask_b32_e64 v18, v9, v17, s[4:5]
	ds_bpermute_b32 v19, v16, v18
	v_mov_b32_e32 v12, 0
	s_waitcnt lgkmcnt(1)
	v_cmp_lt_f32_e64 s[4:5], v8, v20
	v_cndmask_b32_e64 v20, v8, v20, s[4:5]
	v_pk_mov_b32 v[8:9], s[20:21], s[20:21] op_sel:[0,1]
	v_mov_b32_e32 v17, 0
	s_and_saveexec_b64 s[6:7], s[18:19]
	s_cbranch_execz .LBB757_26
; %bb.23:
	global_load_ubyte v17, v[2:3], off
	v_pk_mov_b32 v[8:9], s[20:21], s[20:21] op_sel:[0,1]
	s_waitcnt vmcnt(0)
	v_and_b32_e32 v17, 1, v17
	v_cmp_eq_u32_e64 s[4:5], 1, v17
	s_xor_b64 s[4:5], s[4:5], -1
	v_mov_b32_e32 v17, 0
	s_and_saveexec_b64 s[18:19], s[4:5]
	s_cbranch_execz .LBB757_25
; %bb.24:
	v_sub_f32_e32 v6, v6, v20
	s_mov_b32 s4, 0x3fb8aa3b
	v_mul_f32_e32 v8, 0x3fb8aa3b, v6
	v_fma_f32 v9, v6, s4, -v8
	v_rndne_f32_e32 v17, v8
	v_fmac_f32_e32 v9, 0x32a5705f, v6
	v_sub_f32_e32 v8, v8, v17
	v_add_f32_e32 v8, v8, v9
	v_exp_f32_e32 v8, v8
	v_cvt_i32_f32_e32 v9, v17
	s_mov_b32 s4, 0xc2ce8ed0
	v_cmp_ngt_f32_e64 s[4:5], s4, v6
	v_mov_b32_e32 v17, 0x7f800000
	v_ldexp_f32 v8, v8, v9
	v_cndmask_b32_e64 v8, 0, v8, s[4:5]
	s_mov_b32 s4, 0x42b17218
	v_cmp_nlt_f32_e64 s[4:5], s4, v6
	v_cndmask_b32_e64 v8, v17, v8, s[4:5]
	v_mov_b32_e32 v9, 0
	v_mov_b32_e32 v17, v8
.LBB757_25:
	s_or_b64 exec, exec, s[18:19]
.LBB757_26:
	s_or_b64 exec, exec, s[6:7]
	v_mov_b32_e32 v6, 0
	s_and_saveexec_b64 s[6:7], s[16:17]
	s_cbranch_execz .LBB757_30
; %bb.27:
	global_load_ubyte v6, v[2:3], off offset:32
	s_waitcnt vmcnt(0)
	v_and_b32_e32 v6, 1, v6
	v_cmp_eq_u32_e64 s[4:5], 1, v6
	s_xor_b64 s[4:5], s[4:5], -1
	v_mov_b32_e32 v6, 0
	s_and_saveexec_b64 s[16:17], s[4:5]
	s_cbranch_execz .LBB757_29
; %bb.28:
	v_sub_f32_e32 v6, v11, v20
	s_mov_b32 s4, 0x3fb8aa3b
	v_mul_f32_e32 v11, 0x3fb8aa3b, v6
	v_fma_f32 v20, v6, s4, -v11
	v_rndne_f32_e32 v21, v11
	v_fmac_f32_e32 v20, 0x32a5705f, v6
	v_sub_f32_e32 v11, v11, v21
	v_add_f32_e32 v11, v11, v20
	v_exp_f32_e32 v11, v11
	v_cvt_i32_f32_e32 v20, v21
	s_mov_b32 s4, 0xc2ce8ed0
	v_cmp_ngt_f32_e64 s[4:5], s4, v6
	v_ldexp_f32 v11, v11, v20
	v_cndmask_b32_e64 v11, 0, v11, s[4:5]
	s_mov_b32 s4, 0x42b17218
	v_mov_b32_e32 v20, 0x7f800000
	v_cmp_nlt_f32_e64 s[4:5], s4, v6
	v_cndmask_b32_e64 v6, v20, v11, s[4:5]
	v_add_f32_e32 v8, v8, v6
.LBB757_29:
	s_or_b64 exec, exec, s[16:17]
.LBB757_30:
	s_or_b64 exec, exec, s[6:7]
	s_waitcnt lgkmcnt(0)
	v_cmp_lt_f32_e64 s[4:5], v18, v19
	v_cndmask_b32_e64 v18, v18, v19, s[4:5]
	s_and_saveexec_b64 s[6:7], s[14:15]
	s_cbranch_execz .LBB757_34
; %bb.31:
	s_ashr_i32 s4, s11, 31
	v_mov_b32_e32 v11, s4
	v_add_co_u32_e64 v20, s[4:5], s11, v2
	v_addc_co_u32_e64 v21, s[4:5], v3, v11, s[4:5]
	global_load_ubyte v11, v[20:21], off
	v_mov_b32_e32 v12, 0
	s_waitcnt vmcnt(0)
	v_and_b32_e32 v11, 1, v11
	v_cmp_eq_u32_e64 s[4:5], 1, v11
	s_xor_b64 s[4:5], s[4:5], -1
	s_and_saveexec_b64 s[14:15], s[4:5]
	s_cbranch_execz .LBB757_33
; %bb.32:
	v_sub_f32_e32 v5, v5, v18
	s_mov_b32 s4, 0x3fb8aa3b
	v_mul_f32_e32 v11, 0x3fb8aa3b, v5
	v_fma_f32 v12, v5, s4, -v11
	v_rndne_f32_e32 v19, v11
	v_fmac_f32_e32 v12, 0x32a5705f, v5
	v_sub_f32_e32 v11, v11, v19
	v_add_f32_e32 v11, v11, v12
	v_exp_f32_e32 v11, v11
	v_cvt_i32_f32_e32 v12, v19
	s_mov_b32 s4, 0xc2ce8ed0
	v_cmp_ngt_f32_e64 s[4:5], s4, v5
	v_ldexp_f32 v11, v11, v12
	v_cndmask_b32_e64 v11, 0, v11, s[4:5]
	s_mov_b32 s4, 0x42b17218
	v_mov_b32_e32 v12, 0x7f800000
	v_cmp_nlt_f32_e64 s[4:5], s4, v5
	v_cndmask_b32_e64 v12, v12, v11, s[4:5]
	v_add_f32_e32 v9, v9, v12
.LBB757_33:
	s_or_b64 exec, exec, s[14:15]
.LBB757_34:
	s_or_b64 exec, exec, s[6:7]
	v_mov_b32_e32 v11, 0
	s_and_saveexec_b64 s[6:7], s[8:9]
	s_cbranch_execz .LBB757_38
; %bb.35:
	s_ashr_i32 s4, s11, 31
	v_mov_b32_e32 v5, s4
	v_add_co_u32_e64 v2, s[4:5], s11, v2
	v_addc_co_u32_e64 v3, s[4:5], v3, v5, s[4:5]
	global_load_ubyte v2, v[2:3], off offset:32
	v_mov_b32_e32 v11, 0
	s_waitcnt vmcnt(0)
	v_and_b32_e32 v2, 1, v2
	v_cmp_eq_u32_e64 s[4:5], 1, v2
	s_xor_b64 s[4:5], s[4:5], -1
	s_and_saveexec_b64 s[8:9], s[4:5]
	s_cbranch_execz .LBB757_37
; %bb.36:
	v_sub_f32_e32 v2, v10, v18
	s_mov_b32 s4, 0x3fb8aa3b
	v_mul_f32_e32 v3, 0x3fb8aa3b, v2
	v_fma_f32 v5, v2, s4, -v3
	v_rndne_f32_e32 v10, v3
	v_fmac_f32_e32 v5, 0x32a5705f, v2
	v_sub_f32_e32 v3, v3, v10
	v_add_f32_e32 v3, v3, v5
	v_exp_f32_e32 v3, v3
	v_cvt_i32_f32_e32 v5, v10
	s_mov_b32 s4, 0xc2ce8ed0
	v_cmp_ngt_f32_e64 s[4:5], s4, v2
	v_ldexp_f32 v3, v3, v5
	v_cndmask_b32_e64 v3, 0, v3, s[4:5]
	s_mov_b32 s4, 0x42b17218
	v_mov_b32_e32 v5, 0x7f800000
	v_cmp_nlt_f32_e64 s[4:5], s4, v2
	v_cndmask_b32_e64 v11, v5, v3, s[4:5]
	v_add_f32_e32 v9, v9, v11
.LBB757_37:
	s_or_b64 exec, exec, s[8:9]
.LBB757_38:
	s_or_b64 exec, exec, s[6:7]
	ds_bpermute_b32 v2, v4, v8
	ds_bpermute_b32 v3, v4, v9
	s_waitcnt lgkmcnt(0)
	v_pk_add_f32 v[2:3], v[8:9], v[2:3]
	ds_bpermute_b32 v4, v13, v2
	ds_bpermute_b32 v5, v13, v3
	s_waitcnt lgkmcnt(0)
	v_pk_add_f32 v[2:3], v[2:3], v[4:5]
	;; [unrolled: 4-line block ×4, first 2 shown]
	ds_bpermute_b32 v4, v16, v2
	ds_bpermute_b32 v5, v16, v3
	s_and_saveexec_b64 s[4:5], vcc
	s_cbranch_execz .LBB757_50
; %bb.39:
	s_waitcnt lgkmcnt(0)
	v_pk_add_f32 v[2:3], v[2:3], v[4:5]
	v_mov_b32_e32 v4, s13
	v_add_co_u32_e32 v0, vcc, s12, v0
	v_addc_co_u32_e32 v1, vcc, v4, v1, vcc
	s_and_saveexec_b64 s[6:7], s[2:3]
	s_cbranch_execz .LBB757_46
; %bb.40:
	v_cmp_neq_f32_e64 s[4:5], 0, v2
	v_mov_b32_e32 v4, 0x7fc0
	s_and_saveexec_b64 s[8:9], s[4:5]
	s_cbranch_execz .LBB757_42
; %bb.41:
	v_div_scale_f32 v4, s[12:13], v2, v2, v17
	v_rcp_f32_e32 v5, v4
	v_div_scale_f32 v8, vcc, v17, v2, v17
	s_movk_i32 s11, 0x7fff
	v_fma_f32 v9, -v4, v5, 1.0
	v_fmac_f32_e32 v5, v9, v5
	v_mul_f32_e32 v9, v8, v5
	v_fma_f32 v10, -v4, v9, v8
	v_fmac_f32_e32 v9, v10, v5
	v_fma_f32 v4, -v4, v9, v8
	v_div_fmas_f32 v4, v4, v5, v9
	v_div_fixup_f32 v4, v4, v2, v17
	v_bfe_u32 v5, v4, 16, 1
	v_add3_u32 v5, v4, v5, s11
	v_lshrrev_b32_e32 v5, 16, v5
	v_mov_b32_e32 v8, 0x7fc0
	v_cmp_o_f32_e32 vcc, v4, v4
	v_cndmask_b32_e32 v4, v8, v5, vcc
.LBB757_42:
	s_or_b64 exec, exec, s[8:9]
	global_store_short v[0:1], v4, off
	s_and_b64 exec, exec, s[0:1]
	s_cbranch_execz .LBB757_46
; %bb.43:
	v_mov_b32_e32 v4, 0x7fc0
	s_and_saveexec_b64 s[8:9], s[4:5]
	s_cbranch_execz .LBB757_45
; %bb.44:
	v_div_scale_f32 v4, s[4:5], v2, v2, v6
	v_rcp_f32_e32 v5, v4
	v_div_scale_f32 v8, vcc, v6, v2, v6
	s_movk_i32 s4, 0x7fff
	v_fma_f32 v9, -v4, v5, 1.0
	v_fmac_f32_e32 v5, v9, v5
	v_mul_f32_e32 v9, v8, v5
	v_fma_f32 v10, -v4, v9, v8
	v_fmac_f32_e32 v9, v10, v5
	v_fma_f32 v4, -v4, v9, v8
	v_div_fmas_f32 v4, v4, v5, v9
	v_div_fixup_f32 v2, v4, v2, v6
	v_bfe_u32 v4, v2, 16, 1
	v_add3_u32 v4, v2, v4, s4
	v_lshrrev_b32_e32 v4, 16, v4
	v_mov_b32_e32 v5, 0x7fc0
	v_cmp_o_f32_e32 vcc, v2, v2
	v_cndmask_b32_e32 v4, v5, v4, vcc
.LBB757_45:
	s_or_b64 exec, exec, s[8:9]
	global_store_short v[0:1], v4, off offset:64
.LBB757_46:
	s_or_b64 exec, exec, s[6:7]
	v_cmp_ne_u32_e32 vcc, 1, v7
	s_and_b64 exec, exec, vcc
	s_cbranch_execz .LBB757_50
; %bb.47:
	s_and_b64 exec, exec, s[2:3]
	s_cbranch_execz .LBB757_50
; %bb.48:
	v_div_scale_f32 v2, s[2:3], v3, v3, v12
	v_rcp_f32_e32 v4, v2
	s_mov_b32 s11, 0
	s_movk_i32 s6, 0x7fff
	s_lshl_b64 s[4:5], s[10:11], 1
	v_fma_f32 v5, -v2, v4, 1.0
	v_fmac_f32_e32 v4, v5, v4
	v_div_scale_f32 v5, vcc, v12, v3, v12
	v_mul_f32_e32 v6, v5, v4
	v_fma_f32 v7, -v2, v6, v5
	v_fmac_f32_e32 v6, v7, v4
	v_fma_f32 v2, -v2, v6, v5
	v_div_fmas_f32 v2, v2, v4, v6
	v_div_fixup_f32 v2, v2, v3, v12
	v_bfe_u32 v4, v2, 16, 1
	v_cmp_u_f32_e32 vcc, v2, v2
	v_add3_u32 v2, v2, v4, s6
	v_cmp_eq_f32_e64 s[2:3], 0, v3
	v_lshrrev_b32_e32 v6, 16, v2
	v_mov_b32_e32 v2, s5
	v_add_co_u32_e64 v4, s[4:5], s4, v0
	v_addc_co_u32_e64 v5, s[4:5], v1, v2, s[4:5]
	v_mov_b32_e32 v2, 0x7fc0
	s_or_b64 vcc, s[2:3], vcc
	v_cndmask_b32_e32 v6, v6, v2, vcc
	global_store_short v[4:5], v6, off
	s_and_b64 exec, exec, s[0:1]
	s_cbranch_execz .LBB757_50
; %bb.49:
	v_div_scale_f32 v4, s[0:1], v3, v3, v11
	v_rcp_f32_e32 v5, v4
	v_div_scale_f32 v6, vcc, v11, v3, v11
	s_ashr_i32 s11, s10, 31
	v_fma_f32 v7, -v4, v5, 1.0
	v_fmac_f32_e32 v5, v7, v5
	v_mul_f32_e32 v7, v6, v5
	v_fma_f32 v8, -v4, v7, v6
	v_fmac_f32_e32 v7, v8, v5
	v_fma_f32 v4, -v4, v7, v6
	v_div_fmas_f32 v4, v4, v5, v7
	v_div_fixup_f32 v3, v4, v3, v11
	v_bfe_u32 v4, v3, 16, 1
	v_cmp_u_f32_e32 vcc, v3, v3
	v_add3_u32 v3, v3, v4, s6
	s_lshl_b64 s[0:1], s[10:11], 1
	v_lshrrev_b32_e32 v3, 16, v3
	v_mov_b32_e32 v4, s1
	v_add_co_u32_e64 v0, s[0:1], s0, v0
	s_or_b64 vcc, s[2:3], vcc
	v_addc_co_u32_e64 v1, s[0:1], v1, v4, s[0:1]
	v_cndmask_b32_e32 v2, v3, v2, vcc
	global_store_short v[0:1], v2, off offset:64
.LBB757_50:
	s_endpgm
	.section	.rodata,"a",@progbits
	.p2align	6, 0x0
	.amdhsa_kernel _ZN12_GLOBAL__N_120softmax_warp_forwardIN3c108BFloat16ES2_fLi6ELb0ELb1ELi32EEEvPT0_PKT_iiiPKbib
		.amdhsa_group_segment_fixed_size 0
		.amdhsa_private_segment_fixed_size 0
		.amdhsa_kernarg_size 304
		.amdhsa_user_sgpr_count 6
		.amdhsa_user_sgpr_private_segment_buffer 1
		.amdhsa_user_sgpr_dispatch_ptr 0
		.amdhsa_user_sgpr_queue_ptr 0
		.amdhsa_user_sgpr_kernarg_segment_ptr 1
		.amdhsa_user_sgpr_dispatch_id 0
		.amdhsa_user_sgpr_flat_scratch_init 0
		.amdhsa_user_sgpr_kernarg_preload_length 0
		.amdhsa_user_sgpr_kernarg_preload_offset 0
		.amdhsa_user_sgpr_private_segment_size 0
		.amdhsa_uses_dynamic_stack 0
		.amdhsa_system_sgpr_private_segment_wavefront_offset 0
		.amdhsa_system_sgpr_workgroup_id_x 1
		.amdhsa_system_sgpr_workgroup_id_y 0
		.amdhsa_system_sgpr_workgroup_id_z 0
		.amdhsa_system_sgpr_workgroup_info 0
		.amdhsa_system_vgpr_workitem_id 1
		.amdhsa_next_free_vgpr 22
		.amdhsa_next_free_sgpr 28
		.amdhsa_accum_offset 24
		.amdhsa_reserve_vcc 1
		.amdhsa_reserve_flat_scratch 0
		.amdhsa_float_round_mode_32 0
		.amdhsa_float_round_mode_16_64 0
		.amdhsa_float_denorm_mode_32 3
		.amdhsa_float_denorm_mode_16_64 3
		.amdhsa_dx10_clamp 1
		.amdhsa_ieee_mode 1
		.amdhsa_fp16_overflow 0
		.amdhsa_tg_split 0
		.amdhsa_exception_fp_ieee_invalid_op 0
		.amdhsa_exception_fp_denorm_src 0
		.amdhsa_exception_fp_ieee_div_zero 0
		.amdhsa_exception_fp_ieee_overflow 0
		.amdhsa_exception_fp_ieee_underflow 0
		.amdhsa_exception_fp_ieee_inexact 0
		.amdhsa_exception_int_div_zero 0
	.end_amdhsa_kernel
	.section	.text._ZN12_GLOBAL__N_120softmax_warp_forwardIN3c108BFloat16ES2_fLi6ELb0ELb1ELi32EEEvPT0_PKT_iiiPKbib,"axG",@progbits,_ZN12_GLOBAL__N_120softmax_warp_forwardIN3c108BFloat16ES2_fLi6ELb0ELb1ELi32EEEvPT0_PKT_iiiPKbib,comdat
.Lfunc_end757:
	.size	_ZN12_GLOBAL__N_120softmax_warp_forwardIN3c108BFloat16ES2_fLi6ELb0ELb1ELi32EEEvPT0_PKT_iiiPKbib, .Lfunc_end757-_ZN12_GLOBAL__N_120softmax_warp_forwardIN3c108BFloat16ES2_fLi6ELb0ELb1ELi32EEEvPT0_PKT_iiiPKbib
                                        ; -- End function
	.section	.AMDGPU.csdata,"",@progbits
; Kernel info:
; codeLenInByte = 2992
; NumSgprs: 32
; NumVgprs: 22
; NumAgprs: 0
; TotalNumVgprs: 22
; ScratchSize: 0
; MemoryBound: 0
; FloatMode: 240
; IeeeMode: 1
; LDSByteSize: 0 bytes/workgroup (compile time only)
; SGPRBlocks: 3
; VGPRBlocks: 2
; NumSGPRsForWavesPerEU: 32
; NumVGPRsForWavesPerEU: 22
; AccumOffset: 24
; Occupancy: 8
; WaveLimiterHint : 0
; COMPUTE_PGM_RSRC2:SCRATCH_EN: 0
; COMPUTE_PGM_RSRC2:USER_SGPR: 6
; COMPUTE_PGM_RSRC2:TRAP_HANDLER: 0
; COMPUTE_PGM_RSRC2:TGID_X_EN: 1
; COMPUTE_PGM_RSRC2:TGID_Y_EN: 0
; COMPUTE_PGM_RSRC2:TGID_Z_EN: 0
; COMPUTE_PGM_RSRC2:TIDIG_COMP_CNT: 1
; COMPUTE_PGM_RSRC3_GFX90A:ACCUM_OFFSET: 5
; COMPUTE_PGM_RSRC3_GFX90A:TG_SPLIT: 0
	.section	.text._ZN12_GLOBAL__N_120softmax_warp_forwardIN3c108BFloat16ES2_fLi7ELb0ELb1ELi64EEEvPT0_PKT_iiiPKbib,"axG",@progbits,_ZN12_GLOBAL__N_120softmax_warp_forwardIN3c108BFloat16ES2_fLi7ELb0ELb1ELi64EEEvPT0_PKT_iiiPKbib,comdat
	.globl	_ZN12_GLOBAL__N_120softmax_warp_forwardIN3c108BFloat16ES2_fLi7ELb0ELb1ELi64EEEvPT0_PKT_iiiPKbib ; -- Begin function _ZN12_GLOBAL__N_120softmax_warp_forwardIN3c108BFloat16ES2_fLi7ELb0ELb1ELi64EEEvPT0_PKT_iiiPKbib
	.p2align	8
	.type	_ZN12_GLOBAL__N_120softmax_warp_forwardIN3c108BFloat16ES2_fLi7ELb0ELb1ELi64EEEvPT0_PKT_iiiPKbib,@function
_ZN12_GLOBAL__N_120softmax_warp_forwardIN3c108BFloat16ES2_fLi7ELb0ELb1ELi64EEEvPT0_PKT_iiiPKbib: ; @_ZN12_GLOBAL__N_120softmax_warp_forwardIN3c108BFloat16ES2_fLi7ELb0ELb1ELi64EEEvPT0_PKT_iiiPKbib
; %bb.0:
	s_load_dwordx2 s[0:1], s[4:5], 0x28
	s_load_dword s2, s[4:5], 0x3c
	s_load_dwordx4 s[8:11], s[4:5], 0x10
	v_bfe_u32 v1, v0, 10, 10
	v_and_b32_e32 v4, 0x3ff, v0
	s_waitcnt lgkmcnt(0)
	s_bitcmp1_b32 s1, 0
	s_cselect_b64 s[20:21], -1, 0
	s_lshr_b32 s2, s2, 16
	s_mul_i32 s6, s6, s2
	v_add_lshl_u32 v5, s6, v1, 1
	v_mul_lo_u32 v6, v5, s9
	v_add_u32_e32 v0, v6, v4
	v_ashrrev_i32_e32 v1, 31, v0
	s_bitcmp0_b32 s1, 0
	v_pk_mov_b32 v[2:3], v[0:1], v[0:1] op_sel:[0,1]
	s_cbranch_scc1 .LBB758_2
; %bb.1:
	s_abs_i32 s1, s0
	v_cvt_f32_u32_e32 v2, s1
	v_xor_b32_e32 v3, s0, v6
	v_sub_u32_e32 v7, 0, v6
	s_sub_i32 s0, 0, s1
	v_rcp_iflag_f32_e32 v2, v2
	v_max_i32_e32 v6, v6, v7
	v_ashrrev_i32_e32 v3, 31, v3
	v_mul_f32_e32 v2, 0x4f7ffffe, v2
	v_cvt_u32_f32_e32 v2, v2
	v_mul_lo_u32 v7, s0, v2
	v_mul_hi_u32 v7, v2, v7
	v_add_u32_e32 v2, v2, v7
	v_mul_hi_u32 v2, v6, v2
	v_mul_lo_u32 v7, v2, s1
	v_sub_u32_e32 v6, v6, v7
	v_add_u32_e32 v8, 1, v2
	v_cmp_le_u32_e32 vcc, s1, v6
	v_subrev_u32_e32 v7, s1, v6
	v_cndmask_b32_e32 v2, v2, v8, vcc
	v_cndmask_b32_e32 v6, v6, v7, vcc
	v_add_u32_e32 v7, 1, v2
	v_cmp_le_u32_e32 vcc, s1, v6
	v_cndmask_b32_e32 v2, v2, v7, vcc
	v_xor_b32_e32 v2, v2, v3
	v_sub_u32_e32 v2, v2, v3
	v_mad_u64_u32 v[2:3], s[0:1], v2, s9, v[4:5]
	v_ashrrev_i32_e32 v3, 31, v2
.LBB758_2:
	s_load_dwordx4 s[12:15], s[4:5], 0x0
	v_lshlrev_b64 v[0:1], 1, v[0:1]
	v_sub_u32_e32 v7, s8, v5
	v_cmp_gt_i32_e64 s[2:3], s10, v4
	v_mov_b32_e32 v11, 0xff800000
	s_waitcnt lgkmcnt(0)
	v_mov_b32_e32 v5, s15
	v_add_co_u32_e32 v8, vcc, s14, v0
	v_addc_co_u32_e32 v9, vcc, v5, v1, vcc
	v_cmp_lt_i32_e32 vcc, 0, v7
	s_and_b64 s[18:19], vcc, s[2:3]
	v_mov_b32_e32 v6, 0xff800000
	s_and_saveexec_b64 s[0:1], s[18:19]
	s_cbranch_execz .LBB758_4
; %bb.3:
	global_load_ushort v5, v[8:9], off
	s_waitcnt vmcnt(0)
	v_lshlrev_b32_e32 v6, 16, v5
.LBB758_4:
	s_or_b64 exec, exec, s[0:1]
	v_add_u32_e32 v4, 64, v4
	v_cmp_gt_i32_e64 s[0:1], s10, v4
	s_and_b64 s[16:17], vcc, s[0:1]
	s_and_saveexec_b64 s[6:7], s[16:17]
	s_cbranch_execz .LBB758_6
; %bb.5:
	global_load_ushort v4, v[8:9], off offset:128
	s_waitcnt vmcnt(0)
	v_lshlrev_b32_e32 v11, 16, v4
.LBB758_6:
	s_or_b64 exec, exec, s[6:7]
	v_cmp_lt_i32_e64 s[6:7], 1, v7
	s_and_b64 s[14:15], s[6:7], s[2:3]
	v_mov_b32_e32 v10, 0xff800000
	v_mov_b32_e32 v5, 0xff800000
	s_and_saveexec_b64 s[22:23], s[14:15]
	s_cbranch_execz .LBB758_8
; %bb.7:
	s_mov_b32 s11, 0
	s_lshl_b64 s[8:9], s[10:11], 1
	v_mov_b32_e32 v5, s9
	v_add_co_u32_e64 v4, s[8:9], s8, v8
	v_addc_co_u32_e64 v5, s[8:9], v9, v5, s[8:9]
	global_load_ushort v4, v[4:5], off
	s_waitcnt vmcnt(0)
	v_lshlrev_b32_e32 v5, 16, v4
.LBB758_8:
	s_or_b64 exec, exec, s[22:23]
	s_and_b64 s[8:9], s[6:7], s[0:1]
	s_and_saveexec_b64 s[22:23], s[8:9]
	s_cbranch_execz .LBB758_10
; %bb.9:
	s_mov_b32 s11, 0
	s_lshl_b64 s[6:7], s[10:11], 1
	v_mov_b32_e32 v4, s7
	v_add_co_u32_e64 v8, s[6:7], s6, v8
	v_addc_co_u32_e64 v9, s[6:7], v9, v4, s[6:7]
	global_load_ushort v4, v[8:9], off offset:128
	s_waitcnt vmcnt(0)
	v_lshlrev_b32_e32 v10, 16, v4
.LBB758_10:
	s_or_b64 exec, exec, s[22:23]
	s_load_dwordx2 s[4:5], s[4:5], 0x20
	s_mov_b64 s[6:7], 0
	v_pk_mov_b32 v[8:9], v[6:7], v[6:7] op_sel:[0,1]
	s_waitcnt lgkmcnt(0)
	v_mov_b32_e32 v4, s5
	v_add_co_u32_e64 v2, s[4:5], s4, v2
	v_addc_co_u32_e64 v3, s[4:5], v4, v3, s[4:5]
	s_and_saveexec_b64 s[22:23], s[18:19]
	s_cbranch_execz .LBB758_12
; %bb.11:
	global_load_ubyte v4, v[2:3], off
	v_pk_mov_b32 v[8:9], v[6:7], v[6:7] op_sel:[0,1]
	s_waitcnt vmcnt(0)
	v_and_b32_e32 v4, 1, v4
	v_cmp_eq_u32_e64 s[4:5], 1, v4
	s_xor_b64 s[4:5], s[4:5], -1
	s_and_b64 s[6:7], s[4:5], exec
.LBB758_12:
	s_or_b64 exec, exec, s[22:23]
	s_and_saveexec_b64 s[22:23], s[16:17]
	s_cbranch_execz .LBB758_16
; %bb.13:
	global_load_ubyte v4, v[2:3], off offset:64
	s_waitcnt vmcnt(0)
	v_and_b32_e32 v4, 1, v4
	v_cmp_eq_u32_e64 s[4:5], 1, v4
	s_xor_b64 s[26:27], s[4:5], -1
	s_mov_b64 s[4:5], s[6:7]
	s_and_saveexec_b64 s[24:25], s[26:27]
; %bb.14:
	v_cmp_gt_f32_e64 s[4:5], v8, v11
	s_and_b64 s[4:5], s[6:7], s[4:5]
	v_cndmask_b32_e64 v8, v11, v8, s[4:5]
	s_or_b64 s[4:5], s[6:7], exec
; %bb.15:
	s_or_b64 exec, exec, s[24:25]
	s_andn2_b64 s[6:7], s[6:7], exec
	s_and_b64 s[4:5], s[4:5], exec
	s_or_b64 s[6:7], s[6:7], s[4:5]
.LBB758_16:
	s_or_b64 exec, exec, s[22:23]
	v_mov_b32_e32 v4, 0xff800000
	v_cndmask_b32_e64 v4, v4, v8, s[6:7]
	s_and_b64 s[4:5], s[20:21], exec
	s_cselect_b32 s11, 0, s10
	s_mov_b64 s[6:7], 0
	v_pk_mov_b32 v[8:9], v[4:5], v[4:5] op_sel:[0,1]
	s_and_saveexec_b64 s[20:21], s[14:15]
	s_cbranch_execz .LBB758_18
; %bb.17:
	s_ashr_i32 s4, s11, 31
	v_mov_b32_e32 v9, s4
	v_add_co_u32_e64 v8, s[4:5], s11, v2
	v_addc_co_u32_e64 v9, s[4:5], v3, v9, s[4:5]
	global_load_ubyte v8, v[8:9], off
	s_waitcnt vmcnt(0)
	v_and_b32_e32 v8, 1, v8
	v_cmp_eq_u32_e64 s[4:5], 1, v8
	s_xor_b64 s[4:5], s[4:5], -1
	s_and_b64 s[6:7], s[4:5], exec
	v_pk_mov_b32 v[8:9], v[4:5], v[4:5] op_sel:[0,1]
.LBB758_18:
	s_or_b64 exec, exec, s[20:21]
	s_and_saveexec_b64 s[20:21], s[8:9]
	s_cbranch_execz .LBB758_22
; %bb.19:
	s_ashr_i32 s4, s11, 31
	v_mov_b32_e32 v4, s4
	v_add_co_u32_e64 v12, s[4:5], s11, v2
	v_addc_co_u32_e64 v13, s[4:5], v3, v4, s[4:5]
	global_load_ubyte v4, v[12:13], off offset:64
	s_waitcnt vmcnt(0)
	v_and_b32_e32 v4, 1, v4
	v_cmp_eq_u32_e64 s[4:5], 1, v4
	s_xor_b64 s[24:25], s[4:5], -1
	s_mov_b64 s[4:5], s[6:7]
	s_and_saveexec_b64 s[22:23], s[24:25]
; %bb.20:
	v_cmp_gt_f32_e64 s[4:5], v9, v10
	s_and_b64 s[4:5], s[6:7], s[4:5]
	v_cndmask_b32_e64 v9, v10, v9, s[4:5]
	s_or_b64 s[4:5], s[6:7], exec
; %bb.21:
	s_or_b64 exec, exec, s[22:23]
	s_andn2_b64 s[6:7], s[6:7], exec
	s_and_b64 s[4:5], s[4:5], exec
	s_or_b64 s[6:7], s[6:7], s[4:5]
.LBB758_22:
	s_or_b64 exec, exec, s[20:21]
	v_mbcnt_lo_u32_b32 v4, -1, 0
	v_mbcnt_hi_u32_b32 v12, -1, v4
	v_and_b32_e32 v4, 64, v12
	v_add_u32_e32 v17, 64, v4
	v_xor_b32_e32 v4, 32, v12
	v_cmp_lt_i32_e64 s[4:5], v4, v17
	v_cndmask_b32_e64 v4, v12, v4, s[4:5]
	v_cndmask_b32_e64 v8, v8, v8, s[6:7]
	v_lshlrev_b32_e32 v4, 2, v4
	ds_bpermute_b32 v13, v4, v8
	v_mov_b32_e32 v14, 0xff800000
	v_cndmask_b32_e64 v9, v14, v9, s[6:7]
	ds_bpermute_b32 v14, v4, v9
	s_mov_b32 s20, 0
	s_waitcnt lgkmcnt(1)
	v_cmp_lt_f32_e64 s[4:5], v8, v13
	v_cndmask_b32_e64 v8, v8, v13, s[4:5]
	v_xor_b32_e32 v13, 16, v12
	v_cmp_lt_i32_e64 s[4:5], v13, v17
	v_cndmask_b32_e64 v13, v12, v13, s[4:5]
	v_lshlrev_b32_e32 v13, 2, v13
	ds_bpermute_b32 v15, v13, v8
	s_waitcnt lgkmcnt(1)
	v_cmp_lt_f32_e64 s[4:5], v9, v14
	v_cndmask_b32_e64 v9, v9, v14, s[4:5]
	v_xor_b32_e32 v14, 8, v12
	s_mov_b32 s21, s20
	s_waitcnt lgkmcnt(0)
	v_cmp_lt_f32_e64 s[4:5], v8, v15
	v_cndmask_b32_e64 v8, v8, v15, s[4:5]
	v_cmp_lt_i32_e64 s[4:5], v14, v17
	v_cndmask_b32_e64 v14, v12, v14, s[4:5]
	ds_bpermute_b32 v15, v13, v9
	v_lshlrev_b32_e32 v14, 2, v14
	ds_bpermute_b32 v16, v14, v8
	s_waitcnt lgkmcnt(1)
	v_cmp_lt_f32_e64 s[4:5], v9, v15
	v_cndmask_b32_e64 v9, v9, v15, s[4:5]
	s_waitcnt lgkmcnt(0)
	v_cmp_lt_f32_e64 s[4:5], v8, v16
	v_xor_b32_e32 v15, 4, v12
	v_cndmask_b32_e64 v8, v8, v16, s[4:5]
	v_cmp_lt_i32_e64 s[4:5], v15, v17
	v_cndmask_b32_e64 v15, v12, v15, s[4:5]
	ds_bpermute_b32 v16, v14, v9
	v_lshlrev_b32_e32 v15, 2, v15
	ds_bpermute_b32 v18, v15, v8
	s_waitcnt lgkmcnt(1)
	v_cmp_lt_f32_e64 s[4:5], v9, v16
	v_cndmask_b32_e64 v9, v9, v16, s[4:5]
	s_waitcnt lgkmcnt(0)
	v_cmp_lt_f32_e64 s[4:5], v8, v18
	v_xor_b32_e32 v16, 2, v12
	v_cndmask_b32_e64 v8, v8, v18, s[4:5]
	v_cmp_lt_i32_e64 s[4:5], v16, v17
	ds_bpermute_b32 v18, v15, v9
	v_cndmask_b32_e64 v16, v12, v16, s[4:5]
	v_lshlrev_b32_e32 v16, 2, v16
	ds_bpermute_b32 v19, v16, v8
	s_waitcnt lgkmcnt(1)
	v_cmp_lt_f32_e64 s[4:5], v9, v18
	v_cndmask_b32_e64 v9, v9, v18, s[4:5]
	ds_bpermute_b32 v18, v16, v9
	s_waitcnt lgkmcnt(1)
	v_cmp_lt_f32_e64 s[4:5], v8, v19
	v_cndmask_b32_e64 v8, v8, v19, s[4:5]
	v_xor_b32_e32 v19, 1, v12
	v_cmp_lt_i32_e64 s[4:5], v19, v17
	v_cndmask_b32_e64 v12, v12, v19, s[4:5]
	v_lshlrev_b32_e32 v17, 2, v12
	ds_bpermute_b32 v21, v17, v8
	s_waitcnt lgkmcnt(1)
	v_cmp_lt_f32_e64 s[4:5], v9, v18
	v_cndmask_b32_e64 v19, v9, v18, s[4:5]
	ds_bpermute_b32 v20, v17, v19
	v_mov_b32_e32 v12, 0
	s_waitcnt lgkmcnt(1)
	v_cmp_lt_f32_e64 s[4:5], v8, v21
	v_cndmask_b32_e64 v21, v8, v21, s[4:5]
	v_pk_mov_b32 v[8:9], s[20:21], s[20:21] op_sel:[0,1]
	v_mov_b32_e32 v18, 0
	s_and_saveexec_b64 s[6:7], s[18:19]
	s_cbranch_execz .LBB758_26
; %bb.23:
	global_load_ubyte v18, v[2:3], off
	v_pk_mov_b32 v[8:9], s[20:21], s[20:21] op_sel:[0,1]
	s_waitcnt vmcnt(0)
	v_and_b32_e32 v18, 1, v18
	v_cmp_eq_u32_e64 s[4:5], 1, v18
	s_xor_b64 s[4:5], s[4:5], -1
	v_mov_b32_e32 v18, 0
	s_and_saveexec_b64 s[18:19], s[4:5]
	s_cbranch_execz .LBB758_25
; %bb.24:
	v_sub_f32_e32 v6, v6, v21
	s_mov_b32 s4, 0x3fb8aa3b
	v_mul_f32_e32 v8, 0x3fb8aa3b, v6
	v_fma_f32 v9, v6, s4, -v8
	v_rndne_f32_e32 v18, v8
	v_fmac_f32_e32 v9, 0x32a5705f, v6
	v_sub_f32_e32 v8, v8, v18
	v_add_f32_e32 v8, v8, v9
	v_exp_f32_e32 v8, v8
	v_cvt_i32_f32_e32 v9, v18
	s_mov_b32 s4, 0xc2ce8ed0
	v_cmp_ngt_f32_e64 s[4:5], s4, v6
	v_mov_b32_e32 v18, 0x7f800000
	v_ldexp_f32 v8, v8, v9
	v_cndmask_b32_e64 v8, 0, v8, s[4:5]
	s_mov_b32 s4, 0x42b17218
	v_cmp_nlt_f32_e64 s[4:5], s4, v6
	v_cndmask_b32_e64 v8, v18, v8, s[4:5]
	v_mov_b32_e32 v9, 0
	v_mov_b32_e32 v18, v8
.LBB758_25:
	s_or_b64 exec, exec, s[18:19]
.LBB758_26:
	s_or_b64 exec, exec, s[6:7]
	v_mov_b32_e32 v6, 0
	s_and_saveexec_b64 s[6:7], s[16:17]
	s_cbranch_execz .LBB758_30
; %bb.27:
	global_load_ubyte v6, v[2:3], off offset:64
	s_waitcnt vmcnt(0)
	v_and_b32_e32 v6, 1, v6
	v_cmp_eq_u32_e64 s[4:5], 1, v6
	s_xor_b64 s[4:5], s[4:5], -1
	v_mov_b32_e32 v6, 0
	s_and_saveexec_b64 s[16:17], s[4:5]
	s_cbranch_execz .LBB758_29
; %bb.28:
	v_sub_f32_e32 v6, v11, v21
	s_mov_b32 s4, 0x3fb8aa3b
	v_mul_f32_e32 v11, 0x3fb8aa3b, v6
	v_fma_f32 v21, v6, s4, -v11
	v_rndne_f32_e32 v22, v11
	v_fmac_f32_e32 v21, 0x32a5705f, v6
	v_sub_f32_e32 v11, v11, v22
	v_add_f32_e32 v11, v11, v21
	v_exp_f32_e32 v11, v11
	v_cvt_i32_f32_e32 v21, v22
	s_mov_b32 s4, 0xc2ce8ed0
	v_cmp_ngt_f32_e64 s[4:5], s4, v6
	v_ldexp_f32 v11, v11, v21
	v_cndmask_b32_e64 v11, 0, v11, s[4:5]
	s_mov_b32 s4, 0x42b17218
	v_mov_b32_e32 v21, 0x7f800000
	v_cmp_nlt_f32_e64 s[4:5], s4, v6
	v_cndmask_b32_e64 v6, v21, v11, s[4:5]
	v_add_f32_e32 v8, v8, v6
.LBB758_29:
	s_or_b64 exec, exec, s[16:17]
.LBB758_30:
	s_or_b64 exec, exec, s[6:7]
	s_waitcnt lgkmcnt(0)
	v_cmp_lt_f32_e64 s[4:5], v19, v20
	v_cndmask_b32_e64 v19, v19, v20, s[4:5]
	s_and_saveexec_b64 s[6:7], s[14:15]
	s_cbranch_execz .LBB758_34
; %bb.31:
	s_ashr_i32 s4, s11, 31
	v_mov_b32_e32 v11, s4
	v_add_co_u32_e64 v20, s[4:5], s11, v2
	v_addc_co_u32_e64 v21, s[4:5], v3, v11, s[4:5]
	global_load_ubyte v11, v[20:21], off
	v_mov_b32_e32 v12, 0
	s_waitcnt vmcnt(0)
	v_and_b32_e32 v11, 1, v11
	v_cmp_eq_u32_e64 s[4:5], 1, v11
	s_xor_b64 s[4:5], s[4:5], -1
	s_and_saveexec_b64 s[14:15], s[4:5]
	s_cbranch_execz .LBB758_33
; %bb.32:
	v_sub_f32_e32 v5, v5, v19
	s_mov_b32 s4, 0x3fb8aa3b
	v_mul_f32_e32 v11, 0x3fb8aa3b, v5
	v_fma_f32 v12, v5, s4, -v11
	v_rndne_f32_e32 v20, v11
	v_fmac_f32_e32 v12, 0x32a5705f, v5
	v_sub_f32_e32 v11, v11, v20
	v_add_f32_e32 v11, v11, v12
	v_exp_f32_e32 v11, v11
	v_cvt_i32_f32_e32 v12, v20
	s_mov_b32 s4, 0xc2ce8ed0
	v_cmp_ngt_f32_e64 s[4:5], s4, v5
	v_ldexp_f32 v11, v11, v12
	v_cndmask_b32_e64 v11, 0, v11, s[4:5]
	s_mov_b32 s4, 0x42b17218
	v_mov_b32_e32 v12, 0x7f800000
	v_cmp_nlt_f32_e64 s[4:5], s4, v5
	v_cndmask_b32_e64 v12, v12, v11, s[4:5]
	v_add_f32_e32 v9, v9, v12
.LBB758_33:
	s_or_b64 exec, exec, s[14:15]
.LBB758_34:
	s_or_b64 exec, exec, s[6:7]
	v_mov_b32_e32 v11, 0
	s_and_saveexec_b64 s[6:7], s[8:9]
	s_cbranch_execz .LBB758_38
; %bb.35:
	s_ashr_i32 s4, s11, 31
	v_mov_b32_e32 v5, s4
	v_add_co_u32_e64 v2, s[4:5], s11, v2
	v_addc_co_u32_e64 v3, s[4:5], v3, v5, s[4:5]
	global_load_ubyte v2, v[2:3], off offset:64
	v_mov_b32_e32 v11, 0
	s_waitcnt vmcnt(0)
	v_and_b32_e32 v2, 1, v2
	v_cmp_eq_u32_e64 s[4:5], 1, v2
	s_xor_b64 s[4:5], s[4:5], -1
	s_and_saveexec_b64 s[8:9], s[4:5]
	s_cbranch_execz .LBB758_37
; %bb.36:
	v_sub_f32_e32 v2, v10, v19
	s_mov_b32 s4, 0x3fb8aa3b
	v_mul_f32_e32 v3, 0x3fb8aa3b, v2
	v_fma_f32 v5, v2, s4, -v3
	v_rndne_f32_e32 v10, v3
	v_fmac_f32_e32 v5, 0x32a5705f, v2
	v_sub_f32_e32 v3, v3, v10
	v_add_f32_e32 v3, v3, v5
	v_exp_f32_e32 v3, v3
	v_cvt_i32_f32_e32 v5, v10
	s_mov_b32 s4, 0xc2ce8ed0
	v_cmp_ngt_f32_e64 s[4:5], s4, v2
	v_ldexp_f32 v3, v3, v5
	v_cndmask_b32_e64 v3, 0, v3, s[4:5]
	s_mov_b32 s4, 0x42b17218
	v_mov_b32_e32 v5, 0x7f800000
	v_cmp_nlt_f32_e64 s[4:5], s4, v2
	v_cndmask_b32_e64 v11, v5, v3, s[4:5]
	v_add_f32_e32 v9, v9, v11
.LBB758_37:
	s_or_b64 exec, exec, s[8:9]
.LBB758_38:
	s_or_b64 exec, exec, s[6:7]
	ds_bpermute_b32 v2, v4, v8
	ds_bpermute_b32 v3, v4, v9
	s_waitcnt lgkmcnt(0)
	v_pk_add_f32 v[2:3], v[8:9], v[2:3]
	ds_bpermute_b32 v4, v13, v2
	ds_bpermute_b32 v5, v13, v3
	s_waitcnt lgkmcnt(0)
	v_pk_add_f32 v[2:3], v[2:3], v[4:5]
	;; [unrolled: 4-line block ×5, first 2 shown]
	ds_bpermute_b32 v4, v17, v2
	ds_bpermute_b32 v5, v17, v3
	s_and_saveexec_b64 s[4:5], vcc
	s_cbranch_execz .LBB758_50
; %bb.39:
	s_waitcnt lgkmcnt(0)
	v_pk_add_f32 v[2:3], v[2:3], v[4:5]
	v_mov_b32_e32 v4, s13
	v_add_co_u32_e32 v0, vcc, s12, v0
	v_addc_co_u32_e32 v1, vcc, v4, v1, vcc
	s_and_saveexec_b64 s[6:7], s[2:3]
	s_cbranch_execz .LBB758_46
; %bb.40:
	v_cmp_neq_f32_e64 s[4:5], 0, v2
	v_mov_b32_e32 v4, 0x7fc0
	s_and_saveexec_b64 s[8:9], s[4:5]
	s_cbranch_execz .LBB758_42
; %bb.41:
	v_div_scale_f32 v4, s[12:13], v2, v2, v18
	v_rcp_f32_e32 v5, v4
	v_div_scale_f32 v8, vcc, v18, v2, v18
	s_movk_i32 s11, 0x7fff
	v_fma_f32 v9, -v4, v5, 1.0
	v_fmac_f32_e32 v5, v9, v5
	v_mul_f32_e32 v9, v8, v5
	v_fma_f32 v10, -v4, v9, v8
	v_fmac_f32_e32 v9, v10, v5
	v_fma_f32 v4, -v4, v9, v8
	v_div_fmas_f32 v4, v4, v5, v9
	v_div_fixup_f32 v4, v4, v2, v18
	v_bfe_u32 v5, v4, 16, 1
	v_add3_u32 v5, v4, v5, s11
	v_lshrrev_b32_e32 v5, 16, v5
	v_mov_b32_e32 v8, 0x7fc0
	v_cmp_o_f32_e32 vcc, v4, v4
	v_cndmask_b32_e32 v4, v8, v5, vcc
.LBB758_42:
	s_or_b64 exec, exec, s[8:9]
	global_store_short v[0:1], v4, off
	s_and_b64 exec, exec, s[0:1]
	s_cbranch_execz .LBB758_46
; %bb.43:
	v_mov_b32_e32 v4, 0x7fc0
	s_and_saveexec_b64 s[8:9], s[4:5]
	s_cbranch_execz .LBB758_45
; %bb.44:
	v_div_scale_f32 v4, s[4:5], v2, v2, v6
	v_rcp_f32_e32 v5, v4
	v_div_scale_f32 v8, vcc, v6, v2, v6
	s_movk_i32 s4, 0x7fff
	v_fma_f32 v9, -v4, v5, 1.0
	v_fmac_f32_e32 v5, v9, v5
	v_mul_f32_e32 v9, v8, v5
	v_fma_f32 v10, -v4, v9, v8
	v_fmac_f32_e32 v9, v10, v5
	v_fma_f32 v4, -v4, v9, v8
	v_div_fmas_f32 v4, v4, v5, v9
	v_div_fixup_f32 v2, v4, v2, v6
	v_bfe_u32 v4, v2, 16, 1
	v_add3_u32 v4, v2, v4, s4
	v_lshrrev_b32_e32 v4, 16, v4
	v_mov_b32_e32 v5, 0x7fc0
	v_cmp_o_f32_e32 vcc, v2, v2
	v_cndmask_b32_e32 v4, v5, v4, vcc
.LBB758_45:
	s_or_b64 exec, exec, s[8:9]
	global_store_short v[0:1], v4, off offset:128
.LBB758_46:
	s_or_b64 exec, exec, s[6:7]
	v_cmp_ne_u32_e32 vcc, 1, v7
	s_and_b64 exec, exec, vcc
	s_cbranch_execz .LBB758_50
; %bb.47:
	s_and_b64 exec, exec, s[2:3]
	s_cbranch_execz .LBB758_50
; %bb.48:
	v_div_scale_f32 v2, s[2:3], v3, v3, v12
	v_rcp_f32_e32 v4, v2
	s_mov_b32 s11, 0
	s_movk_i32 s6, 0x7fff
	s_lshl_b64 s[4:5], s[10:11], 1
	v_fma_f32 v5, -v2, v4, 1.0
	v_fmac_f32_e32 v4, v5, v4
	v_div_scale_f32 v5, vcc, v12, v3, v12
	v_mul_f32_e32 v6, v5, v4
	v_fma_f32 v7, -v2, v6, v5
	v_fmac_f32_e32 v6, v7, v4
	v_fma_f32 v2, -v2, v6, v5
	v_div_fmas_f32 v2, v2, v4, v6
	v_div_fixup_f32 v2, v2, v3, v12
	v_bfe_u32 v4, v2, 16, 1
	v_cmp_u_f32_e32 vcc, v2, v2
	v_add3_u32 v2, v2, v4, s6
	v_cmp_eq_f32_e64 s[2:3], 0, v3
	v_lshrrev_b32_e32 v6, 16, v2
	v_mov_b32_e32 v2, s5
	v_add_co_u32_e64 v4, s[4:5], s4, v0
	v_addc_co_u32_e64 v5, s[4:5], v1, v2, s[4:5]
	v_mov_b32_e32 v2, 0x7fc0
	s_or_b64 vcc, s[2:3], vcc
	v_cndmask_b32_e32 v6, v6, v2, vcc
	global_store_short v[4:5], v6, off
	s_and_b64 exec, exec, s[0:1]
	s_cbranch_execz .LBB758_50
; %bb.49:
	v_div_scale_f32 v4, s[0:1], v3, v3, v11
	v_rcp_f32_e32 v5, v4
	v_div_scale_f32 v6, vcc, v11, v3, v11
	s_ashr_i32 s11, s10, 31
	v_fma_f32 v7, -v4, v5, 1.0
	v_fmac_f32_e32 v5, v7, v5
	v_mul_f32_e32 v7, v6, v5
	v_fma_f32 v8, -v4, v7, v6
	v_fmac_f32_e32 v7, v8, v5
	v_fma_f32 v4, -v4, v7, v6
	v_div_fmas_f32 v4, v4, v5, v7
	v_div_fixup_f32 v3, v4, v3, v11
	v_bfe_u32 v4, v3, 16, 1
	v_cmp_u_f32_e32 vcc, v3, v3
	v_add3_u32 v3, v3, v4, s6
	s_lshl_b64 s[0:1], s[10:11], 1
	v_lshrrev_b32_e32 v3, 16, v3
	v_mov_b32_e32 v4, s1
	v_add_co_u32_e64 v0, s[0:1], s0, v0
	s_or_b64 vcc, s[2:3], vcc
	v_addc_co_u32_e64 v1, s[0:1], v1, v4, s[0:1]
	v_cndmask_b32_e32 v2, v3, v2, vcc
	global_store_short v[0:1], v2, off offset:128
.LBB758_50:
	s_endpgm
	.section	.rodata,"a",@progbits
	.p2align	6, 0x0
	.amdhsa_kernel _ZN12_GLOBAL__N_120softmax_warp_forwardIN3c108BFloat16ES2_fLi7ELb0ELb1ELi64EEEvPT0_PKT_iiiPKbib
		.amdhsa_group_segment_fixed_size 0
		.amdhsa_private_segment_fixed_size 0
		.amdhsa_kernarg_size 304
		.amdhsa_user_sgpr_count 6
		.amdhsa_user_sgpr_private_segment_buffer 1
		.amdhsa_user_sgpr_dispatch_ptr 0
		.amdhsa_user_sgpr_queue_ptr 0
		.amdhsa_user_sgpr_kernarg_segment_ptr 1
		.amdhsa_user_sgpr_dispatch_id 0
		.amdhsa_user_sgpr_flat_scratch_init 0
		.amdhsa_user_sgpr_kernarg_preload_length 0
		.amdhsa_user_sgpr_kernarg_preload_offset 0
		.amdhsa_user_sgpr_private_segment_size 0
		.amdhsa_uses_dynamic_stack 0
		.amdhsa_system_sgpr_private_segment_wavefront_offset 0
		.amdhsa_system_sgpr_workgroup_id_x 1
		.amdhsa_system_sgpr_workgroup_id_y 0
		.amdhsa_system_sgpr_workgroup_id_z 0
		.amdhsa_system_sgpr_workgroup_info 0
		.amdhsa_system_vgpr_workitem_id 1
		.amdhsa_next_free_vgpr 23
		.amdhsa_next_free_sgpr 28
		.amdhsa_accum_offset 24
		.amdhsa_reserve_vcc 1
		.amdhsa_reserve_flat_scratch 0
		.amdhsa_float_round_mode_32 0
		.amdhsa_float_round_mode_16_64 0
		.amdhsa_float_denorm_mode_32 3
		.amdhsa_float_denorm_mode_16_64 3
		.amdhsa_dx10_clamp 1
		.amdhsa_ieee_mode 1
		.amdhsa_fp16_overflow 0
		.amdhsa_tg_split 0
		.amdhsa_exception_fp_ieee_invalid_op 0
		.amdhsa_exception_fp_denorm_src 0
		.amdhsa_exception_fp_ieee_div_zero 0
		.amdhsa_exception_fp_ieee_overflow 0
		.amdhsa_exception_fp_ieee_underflow 0
		.amdhsa_exception_fp_ieee_inexact 0
		.amdhsa_exception_int_div_zero 0
	.end_amdhsa_kernel
	.section	.text._ZN12_GLOBAL__N_120softmax_warp_forwardIN3c108BFloat16ES2_fLi7ELb0ELb1ELi64EEEvPT0_PKT_iiiPKbib,"axG",@progbits,_ZN12_GLOBAL__N_120softmax_warp_forwardIN3c108BFloat16ES2_fLi7ELb0ELb1ELi64EEEvPT0_PKT_iiiPKbib,comdat
.Lfunc_end758:
	.size	_ZN12_GLOBAL__N_120softmax_warp_forwardIN3c108BFloat16ES2_fLi7ELb0ELb1ELi64EEEvPT0_PKT_iiiPKbib, .Lfunc_end758-_ZN12_GLOBAL__N_120softmax_warp_forwardIN3c108BFloat16ES2_fLi7ELb0ELb1ELi64EEEvPT0_PKT_iiiPKbib
                                        ; -- End function
	.section	.AMDGPU.csdata,"",@progbits
; Kernel info:
; codeLenInByte = 3096
; NumSgprs: 32
; NumVgprs: 23
; NumAgprs: 0
; TotalNumVgprs: 23
; ScratchSize: 0
; MemoryBound: 0
; FloatMode: 240
; IeeeMode: 1
; LDSByteSize: 0 bytes/workgroup (compile time only)
; SGPRBlocks: 3
; VGPRBlocks: 2
; NumSGPRsForWavesPerEU: 32
; NumVGPRsForWavesPerEU: 23
; AccumOffset: 24
; Occupancy: 8
; WaveLimiterHint : 0
; COMPUTE_PGM_RSRC2:SCRATCH_EN: 0
; COMPUTE_PGM_RSRC2:USER_SGPR: 6
; COMPUTE_PGM_RSRC2:TRAP_HANDLER: 0
; COMPUTE_PGM_RSRC2:TGID_X_EN: 1
; COMPUTE_PGM_RSRC2:TGID_Y_EN: 0
; COMPUTE_PGM_RSRC2:TGID_Z_EN: 0
; COMPUTE_PGM_RSRC2:TIDIG_COMP_CNT: 1
; COMPUTE_PGM_RSRC3_GFX90A:ACCUM_OFFSET: 5
; COMPUTE_PGM_RSRC3_GFX90A:TG_SPLIT: 0
	.section	.text._ZN12_GLOBAL__N_120softmax_warp_forwardIN3c108BFloat16ES2_fLi7ELb0ELb1ELi32EEEvPT0_PKT_iiiPKbib,"axG",@progbits,_ZN12_GLOBAL__N_120softmax_warp_forwardIN3c108BFloat16ES2_fLi7ELb0ELb1ELi32EEEvPT0_PKT_iiiPKbib,comdat
	.globl	_ZN12_GLOBAL__N_120softmax_warp_forwardIN3c108BFloat16ES2_fLi7ELb0ELb1ELi32EEEvPT0_PKT_iiiPKbib ; -- Begin function _ZN12_GLOBAL__N_120softmax_warp_forwardIN3c108BFloat16ES2_fLi7ELb0ELb1ELi32EEEvPT0_PKT_iiiPKbib
	.p2align	8
	.type	_ZN12_GLOBAL__N_120softmax_warp_forwardIN3c108BFloat16ES2_fLi7ELb0ELb1ELi32EEEvPT0_PKT_iiiPKbib,@function
_ZN12_GLOBAL__N_120softmax_warp_forwardIN3c108BFloat16ES2_fLi7ELb0ELb1ELi32EEEvPT0_PKT_iiiPKbib: ; @_ZN12_GLOBAL__N_120softmax_warp_forwardIN3c108BFloat16ES2_fLi7ELb0ELb1ELi32EEEvPT0_PKT_iiiPKbib
; %bb.0:
	s_load_dwordx2 s[0:1], s[4:5], 0x28
	s_load_dword s2, s[4:5], 0x3c
	s_load_dwordx4 s[12:15], s[4:5], 0x10
	v_bfe_u32 v1, v0, 10, 10
	v_and_b32_e32 v4, 0x3ff, v0
	s_waitcnt lgkmcnt(0)
	s_bitcmp1_b32 s1, 0
	s_cselect_b64 s[34:35], -1, 0
	s_lshr_b32 s2, s2, 16
	s_mul_i32 s6, s6, s2
	v_add_lshl_u32 v5, s6, v1, 1
	v_mul_lo_u32 v6, v5, s13
	v_add_u32_e32 v0, v6, v4
	v_ashrrev_i32_e32 v1, 31, v0
	s_bitcmp0_b32 s1, 0
	v_pk_mov_b32 v[2:3], v[0:1], v[0:1] op_sel:[0,1]
	s_cbranch_scc1 .LBB759_2
; %bb.1:
	s_abs_i32 s1, s0
	v_cvt_f32_u32_e32 v2, s1
	v_xor_b32_e32 v3, s0, v6
	v_sub_u32_e32 v7, 0, v6
	s_sub_i32 s0, 0, s1
	v_rcp_iflag_f32_e32 v2, v2
	v_max_i32_e32 v6, v6, v7
	v_ashrrev_i32_e32 v3, 31, v3
	v_mul_f32_e32 v2, 0x4f7ffffe, v2
	v_cvt_u32_f32_e32 v2, v2
	v_mul_lo_u32 v7, s0, v2
	v_mul_hi_u32 v7, v2, v7
	v_add_u32_e32 v2, v2, v7
	v_mul_hi_u32 v2, v6, v2
	v_mul_lo_u32 v7, v2, s1
	v_sub_u32_e32 v6, v6, v7
	v_add_u32_e32 v8, 1, v2
	v_cmp_le_u32_e32 vcc, s1, v6
	v_subrev_u32_e32 v7, s1, v6
	v_cndmask_b32_e32 v2, v2, v8, vcc
	v_cndmask_b32_e32 v6, v6, v7, vcc
	v_add_u32_e32 v7, 1, v2
	v_cmp_le_u32_e32 vcc, s1, v6
	v_cndmask_b32_e32 v2, v2, v7, vcc
	v_xor_b32_e32 v2, v2, v3
	v_sub_u32_e32 v2, v2, v3
	v_mad_u64_u32 v[2:3], s[0:1], v2, s13, v[4:5]
	v_ashrrev_i32_e32 v3, 31, v2
.LBB759_2:
	s_load_dwordx4 s[16:19], s[4:5], 0x0
	v_lshlrev_b64 v[0:1], 1, v[0:1]
	v_sub_u32_e32 v7, s12, v5
	v_cmp_gt_i32_e64 s[6:7], s14, v4
	v_mov_b32_e32 v15, 0xff800000
	s_waitcnt lgkmcnt(0)
	v_mov_b32_e32 v5, s19
	v_add_co_u32_e32 v8, vcc, s18, v0
	v_addc_co_u32_e32 v9, vcc, v5, v1, vcc
	v_cmp_lt_i32_e32 vcc, 0, v7
	s_and_b64 s[30:31], vcc, s[6:7]
	v_mov_b32_e32 v6, 0xff800000
	s_and_saveexec_b64 s[0:1], s[30:31]
	s_cbranch_execz .LBB759_4
; %bb.3:
	global_load_ushort v5, v[8:9], off
	s_waitcnt vmcnt(0)
	v_lshlrev_b32_e32 v6, 16, v5
.LBB759_4:
	s_or_b64 exec, exec, s[0:1]
	v_add_u32_e32 v5, 32, v4
	v_cmp_gt_i32_e64 s[8:9], s14, v5
	s_and_b64 s[28:29], vcc, s[8:9]
	s_and_saveexec_b64 s[0:1], s[28:29]
	s_cbranch_execz .LBB759_6
; %bb.5:
	global_load_ushort v5, v[8:9], off offset:64
	s_waitcnt vmcnt(0)
	v_lshlrev_b32_e32 v15, 16, v5
.LBB759_6:
	s_or_b64 exec, exec, s[0:1]
	v_add_u32_e32 v5, 64, v4
	v_cmp_gt_i32_e64 s[2:3], s14, v5
	s_and_b64 s[26:27], vcc, s[2:3]
	v_mov_b32_e32 v13, 0xff800000
	v_mov_b32_e32 v14, 0xff800000
	s_and_saveexec_b64 s[0:1], s[26:27]
	s_cbranch_execz .LBB759_8
; %bb.7:
	global_load_ushort v5, v[8:9], off offset:128
	s_waitcnt vmcnt(0)
	v_lshlrev_b32_e32 v14, 16, v5
.LBB759_8:
	s_or_b64 exec, exec, s[0:1]
	v_add_u32_e32 v4, 0x60, v4
	v_cmp_gt_i32_e64 s[0:1], s14, v4
	s_and_b64 s[24:25], vcc, s[0:1]
	s_and_saveexec_b64 s[10:11], s[24:25]
	s_cbranch_execz .LBB759_10
; %bb.9:
	global_load_ushort v4, v[8:9], off offset:192
	s_waitcnt vmcnt(0)
	v_lshlrev_b32_e32 v13, 16, v4
.LBB759_10:
	s_or_b64 exec, exec, s[10:11]
	v_cmp_lt_i32_e64 s[10:11], 1, v7
	s_and_b64 s[22:23], s[10:11], s[6:7]
	v_mov_b32_e32 v12, 0xff800000
	v_mov_b32_e32 v5, 0xff800000
	s_and_saveexec_b64 s[18:19], s[22:23]
	s_cbranch_execz .LBB759_12
; %bb.11:
	s_mov_b32 s15, 0
	s_lshl_b64 s[12:13], s[14:15], 1
	v_mov_b32_e32 v5, s13
	v_add_co_u32_e64 v4, s[12:13], s12, v8
	v_addc_co_u32_e64 v5, s[12:13], v9, v5, s[12:13]
	global_load_ushort v4, v[4:5], off
	s_waitcnt vmcnt(0)
	v_lshlrev_b32_e32 v5, 16, v4
.LBB759_12:
	s_or_b64 exec, exec, s[18:19]
	s_and_b64 s[20:21], s[10:11], s[8:9]
	s_and_saveexec_b64 s[18:19], s[20:21]
	s_cbranch_execz .LBB759_14
; %bb.13:
	s_mov_b32 s15, 0
	s_lshl_b64 s[12:13], s[14:15], 1
	v_mov_b32_e32 v4, s13
	v_add_co_u32_e64 v10, s[12:13], s12, v8
	v_addc_co_u32_e64 v11, s[12:13], v9, v4, s[12:13]
	global_load_ushort v4, v[10:11], off offset:64
	s_waitcnt vmcnt(0)
	v_lshlrev_b32_e32 v12, 16, v4
.LBB759_14:
	s_or_b64 exec, exec, s[18:19]
	s_and_b64 s[18:19], s[10:11], s[2:3]
	v_mov_b32_e32 v10, 0xff800000
	v_mov_b32_e32 v11, 0xff800000
	s_and_saveexec_b64 s[36:37], s[18:19]
	s_cbranch_execz .LBB759_16
; %bb.15:
	s_mov_b32 s15, 0
	s_lshl_b64 s[12:13], s[14:15], 1
	v_mov_b32_e32 v4, s13
	v_add_co_u32_e64 v16, s[12:13], s12, v8
	v_addc_co_u32_e64 v17, s[12:13], v9, v4, s[12:13]
	global_load_ushort v4, v[16:17], off offset:128
	s_waitcnt vmcnt(0)
	v_lshlrev_b32_e32 v11, 16, v4
.LBB759_16:
	s_or_b64 exec, exec, s[36:37]
	s_and_b64 s[12:13], s[10:11], s[0:1]
	s_and_saveexec_b64 s[36:37], s[12:13]
	s_cbranch_execz .LBB759_18
; %bb.17:
	s_mov_b32 s15, 0
	s_lshl_b64 s[10:11], s[14:15], 1
	v_mov_b32_e32 v4, s11
	v_add_co_u32_e64 v8, s[10:11], s10, v8
	v_addc_co_u32_e64 v9, s[10:11], v9, v4, s[10:11]
	global_load_ushort v4, v[8:9], off offset:192
	s_waitcnt vmcnt(0)
	v_lshlrev_b32_e32 v10, 16, v4
.LBB759_18:
	s_or_b64 exec, exec, s[36:37]
	s_load_dwordx2 s[4:5], s[4:5], 0x20
	s_mov_b64 s[10:11], 0
	v_pk_mov_b32 v[8:9], v[6:7], v[6:7] op_sel:[0,1]
	s_waitcnt lgkmcnt(0)
	v_mov_b32_e32 v4, s5
	v_add_co_u32_e64 v2, s[4:5], s4, v2
	v_addc_co_u32_e64 v3, s[4:5], v4, v3, s[4:5]
	s_and_saveexec_b64 s[36:37], s[30:31]
	s_cbranch_execnz .LBB759_22
; %bb.19:
	s_or_b64 exec, exec, s[36:37]
	s_and_saveexec_b64 s[36:37], s[28:29]
	s_cbranch_execnz .LBB759_23
.LBB759_20:
	s_or_b64 exec, exec, s[36:37]
	s_and_saveexec_b64 s[36:37], s[26:27]
	s_cbranch_execnz .LBB759_26
.LBB759_21:
	s_or_b64 exec, exec, s[36:37]
	s_and_saveexec_b64 s[36:37], s[24:25]
	s_cbranch_execnz .LBB759_29
	s_branch .LBB759_32
.LBB759_22:
	global_load_ubyte v4, v[2:3], off
	v_pk_mov_b32 v[8:9], v[6:7], v[6:7] op_sel:[0,1]
	s_waitcnt vmcnt(0)
	v_and_b32_e32 v4, 1, v4
	v_cmp_eq_u32_e64 s[4:5], 1, v4
	s_xor_b64 s[4:5], s[4:5], -1
	s_and_b64 s[10:11], s[4:5], exec
	s_or_b64 exec, exec, s[36:37]
	s_and_saveexec_b64 s[36:37], s[28:29]
	s_cbranch_execz .LBB759_20
.LBB759_23:
	global_load_ubyte v4, v[2:3], off offset:32
	s_waitcnt vmcnt(0)
	v_and_b32_e32 v4, 1, v4
	v_cmp_eq_u32_e64 s[4:5], 1, v4
	s_xor_b64 s[40:41], s[4:5], -1
	s_mov_b64 s[4:5], s[10:11]
	s_and_saveexec_b64 s[38:39], s[40:41]
; %bb.24:
	v_cmp_gt_f32_e64 s[4:5], v8, v15
	s_and_b64 s[4:5], s[10:11], s[4:5]
	v_cndmask_b32_e64 v8, v15, v8, s[4:5]
	s_or_b64 s[4:5], s[10:11], exec
; %bb.25:
	s_or_b64 exec, exec, s[38:39]
	s_andn2_b64 s[10:11], s[10:11], exec
	s_and_b64 s[4:5], s[4:5], exec
	s_or_b64 s[10:11], s[10:11], s[4:5]
	s_or_b64 exec, exec, s[36:37]
	s_and_saveexec_b64 s[36:37], s[26:27]
	s_cbranch_execz .LBB759_21
.LBB759_26:
	global_load_ubyte v4, v[2:3], off offset:64
	s_waitcnt vmcnt(0)
	v_and_b32_e32 v4, 1, v4
	v_cmp_eq_u32_e64 s[4:5], 1, v4
	s_xor_b64 s[40:41], s[4:5], -1
	s_mov_b64 s[4:5], s[10:11]
	s_and_saveexec_b64 s[38:39], s[40:41]
; %bb.27:
	v_cmp_gt_f32_e64 s[4:5], v8, v14
	s_and_b64 s[4:5], s[10:11], s[4:5]
	v_cndmask_b32_e64 v8, v14, v8, s[4:5]
	s_or_b64 s[4:5], s[10:11], exec
; %bb.28:
	s_or_b64 exec, exec, s[38:39]
	s_andn2_b64 s[10:11], s[10:11], exec
	s_and_b64 s[4:5], s[4:5], exec
	s_or_b64 s[10:11], s[10:11], s[4:5]
	s_or_b64 exec, exec, s[36:37]
	s_and_saveexec_b64 s[36:37], s[24:25]
	s_cbranch_execz .LBB759_32
.LBB759_29:
	global_load_ubyte v4, v[2:3], off offset:96
	s_waitcnt vmcnt(0)
	v_and_b32_e32 v4, 1, v4
	v_cmp_eq_u32_e64 s[4:5], 1, v4
	s_xor_b64 s[40:41], s[4:5], -1
	s_mov_b64 s[4:5], s[10:11]
	s_and_saveexec_b64 s[38:39], s[40:41]
; %bb.30:
	v_cmp_gt_f32_e64 s[4:5], v8, v13
	s_and_b64 s[4:5], s[10:11], s[4:5]
	v_cndmask_b32_e64 v8, v13, v8, s[4:5]
	s_or_b64 s[4:5], s[10:11], exec
; %bb.31:
	s_or_b64 exec, exec, s[38:39]
	s_andn2_b64 s[10:11], s[10:11], exec
	s_and_b64 s[4:5], s[4:5], exec
	s_or_b64 s[10:11], s[10:11], s[4:5]
.LBB759_32:
	s_or_b64 exec, exec, s[36:37]
	v_mov_b32_e32 v4, 0xff800000
	v_cndmask_b32_e64 v4, v4, v8, s[10:11]
	s_and_b64 s[4:5], s[34:35], exec
	s_cselect_b32 s15, 0, s14
	s_mov_b64 s[10:11], 0
	v_pk_mov_b32 v[8:9], v[4:5], v[4:5] op_sel:[0,1]
	s_and_saveexec_b64 s[34:35], s[22:23]
	s_cbranch_execnz .LBB759_36
; %bb.33:
	s_or_b64 exec, exec, s[34:35]
	s_and_saveexec_b64 s[34:35], s[20:21]
	s_cbranch_execnz .LBB759_37
.LBB759_34:
	s_or_b64 exec, exec, s[34:35]
	s_and_saveexec_b64 s[34:35], s[18:19]
	s_cbranch_execnz .LBB759_40
.LBB759_35:
	s_or_b64 exec, exec, s[34:35]
	s_and_saveexec_b64 s[34:35], s[12:13]
	s_cbranch_execnz .LBB759_43
	s_branch .LBB759_46
.LBB759_36:
	s_ashr_i32 s4, s15, 31
	v_mov_b32_e32 v9, s4
	v_add_co_u32_e64 v8, s[4:5], s15, v2
	v_addc_co_u32_e64 v9, s[4:5], v3, v9, s[4:5]
	global_load_ubyte v8, v[8:9], off
	s_waitcnt vmcnt(0)
	v_and_b32_e32 v8, 1, v8
	v_cmp_eq_u32_e64 s[4:5], 1, v8
	s_xor_b64 s[4:5], s[4:5], -1
	s_and_b64 s[10:11], s[4:5], exec
	v_pk_mov_b32 v[8:9], v[4:5], v[4:5] op_sel:[0,1]
	s_or_b64 exec, exec, s[34:35]
	s_and_saveexec_b64 s[34:35], s[20:21]
	s_cbranch_execz .LBB759_34
.LBB759_37:
	s_ashr_i32 s4, s15, 31
	v_mov_b32_e32 v4, s4
	v_add_co_u32_e64 v16, s[4:5], s15, v2
	v_addc_co_u32_e64 v17, s[4:5], v3, v4, s[4:5]
	global_load_ubyte v4, v[16:17], off offset:32
	s_waitcnt vmcnt(0)
	v_and_b32_e32 v4, 1, v4
	v_cmp_eq_u32_e64 s[4:5], 1, v4
	s_xor_b64 s[38:39], s[4:5], -1
	s_mov_b64 s[4:5], s[10:11]
	s_and_saveexec_b64 s[36:37], s[38:39]
; %bb.38:
	v_cmp_gt_f32_e64 s[4:5], v9, v12
	s_and_b64 s[4:5], s[10:11], s[4:5]
	v_cndmask_b32_e64 v9, v12, v9, s[4:5]
	s_or_b64 s[4:5], s[10:11], exec
; %bb.39:
	s_or_b64 exec, exec, s[36:37]
	s_andn2_b64 s[10:11], s[10:11], exec
	s_and_b64 s[4:5], s[4:5], exec
	s_or_b64 s[10:11], s[10:11], s[4:5]
	s_or_b64 exec, exec, s[34:35]
	s_and_saveexec_b64 s[34:35], s[18:19]
	s_cbranch_execz .LBB759_35
.LBB759_40:
	s_ashr_i32 s4, s15, 31
	v_mov_b32_e32 v4, s4
	v_add_co_u32_e64 v16, s[4:5], s15, v2
	v_addc_co_u32_e64 v17, s[4:5], v3, v4, s[4:5]
	global_load_ubyte v4, v[16:17], off offset:64
	s_waitcnt vmcnt(0)
	v_and_b32_e32 v4, 1, v4
	v_cmp_eq_u32_e64 s[4:5], 1, v4
	s_xor_b64 s[38:39], s[4:5], -1
	s_mov_b64 s[4:5], s[10:11]
	s_and_saveexec_b64 s[36:37], s[38:39]
; %bb.41:
	v_cmp_gt_f32_e64 s[4:5], v9, v11
	s_and_b64 s[4:5], s[10:11], s[4:5]
	v_cndmask_b32_e64 v9, v11, v9, s[4:5]
	s_or_b64 s[4:5], s[10:11], exec
; %bb.42:
	s_or_b64 exec, exec, s[36:37]
	s_andn2_b64 s[10:11], s[10:11], exec
	s_and_b64 s[4:5], s[4:5], exec
	s_or_b64 s[10:11], s[10:11], s[4:5]
	s_or_b64 exec, exec, s[34:35]
	s_and_saveexec_b64 s[34:35], s[12:13]
	s_cbranch_execz .LBB759_46
.LBB759_43:
	s_ashr_i32 s4, s15, 31
	v_mov_b32_e32 v4, s4
	v_add_co_u32_e64 v16, s[4:5], s15, v2
	v_addc_co_u32_e64 v17, s[4:5], v3, v4, s[4:5]
	global_load_ubyte v4, v[16:17], off offset:96
	s_waitcnt vmcnt(0)
	v_and_b32_e32 v4, 1, v4
	v_cmp_eq_u32_e64 s[4:5], 1, v4
	s_xor_b64 s[38:39], s[4:5], -1
	s_mov_b64 s[4:5], s[10:11]
	s_and_saveexec_b64 s[36:37], s[38:39]
; %bb.44:
	v_cmp_gt_f32_e64 s[4:5], v9, v10
	s_and_b64 s[4:5], s[10:11], s[4:5]
	v_cndmask_b32_e64 v9, v10, v9, s[4:5]
	s_or_b64 s[4:5], s[10:11], exec
; %bb.45:
	s_or_b64 exec, exec, s[36:37]
	s_andn2_b64 s[10:11], s[10:11], exec
	s_and_b64 s[4:5], s[4:5], exec
	s_or_b64 s[10:11], s[10:11], s[4:5]
.LBB759_46:
	s_or_b64 exec, exec, s[34:35]
	v_mbcnt_lo_u32_b32 v4, -1, 0
	v_mbcnt_hi_u32_b32 v16, -1, v4
	v_and_b32_e32 v4, 0x60, v16
	v_add_u32_e32 v20, 32, v4
	v_xor_b32_e32 v4, 16, v16
	v_cmp_lt_i32_e64 s[4:5], v4, v20
	v_cndmask_b32_e64 v4, v16, v4, s[4:5]
	v_cndmask_b32_e64 v8, v8, v8, s[10:11]
	v_lshlrev_b32_e32 v4, 2, v4
	ds_bpermute_b32 v17, v4, v8
	v_mov_b32_e32 v18, 0xff800000
	v_cndmask_b32_e64 v9, v18, v9, s[10:11]
	ds_bpermute_b32 v18, v4, v9
	s_mov_b32 s34, 0
	s_waitcnt lgkmcnt(1)
	v_cmp_lt_f32_e64 s[4:5], v8, v17
	v_cndmask_b32_e64 v8, v8, v17, s[4:5]
	v_xor_b32_e32 v17, 8, v16
	v_cmp_lt_i32_e64 s[4:5], v17, v20
	v_cndmask_b32_e64 v17, v16, v17, s[4:5]
	v_lshlrev_b32_e32 v17, 2, v17
	ds_bpermute_b32 v19, v17, v8
	s_waitcnt lgkmcnt(1)
	v_cmp_lt_f32_e64 s[4:5], v9, v18
	v_cndmask_b32_e64 v9, v9, v18, s[4:5]
	v_xor_b32_e32 v18, 4, v16
	s_mov_b32 s35, s34
	s_waitcnt lgkmcnt(0)
	v_cmp_lt_f32_e64 s[4:5], v8, v19
	v_cndmask_b32_e64 v8, v8, v19, s[4:5]
	v_cmp_lt_i32_e64 s[4:5], v18, v20
	v_cndmask_b32_e64 v18, v16, v18, s[4:5]
	ds_bpermute_b32 v19, v17, v9
	v_lshlrev_b32_e32 v18, 2, v18
	ds_bpermute_b32 v21, v18, v8
	s_waitcnt lgkmcnt(1)
	v_cmp_lt_f32_e64 s[4:5], v9, v19
	v_cndmask_b32_e64 v9, v9, v19, s[4:5]
	s_waitcnt lgkmcnt(0)
	v_cmp_lt_f32_e64 s[4:5], v8, v21
	v_xor_b32_e32 v19, 2, v16
	v_cndmask_b32_e64 v8, v8, v21, s[4:5]
	v_cmp_lt_i32_e64 s[4:5], v19, v20
	ds_bpermute_b32 v21, v18, v9
	v_cndmask_b32_e64 v19, v16, v19, s[4:5]
	v_lshlrev_b32_e32 v19, 2, v19
	ds_bpermute_b32 v22, v19, v8
	s_waitcnt lgkmcnt(1)
	v_cmp_lt_f32_e64 s[4:5], v9, v21
	v_cndmask_b32_e64 v9, v9, v21, s[4:5]
	ds_bpermute_b32 v21, v19, v9
	s_waitcnt lgkmcnt(1)
	v_cmp_lt_f32_e64 s[4:5], v8, v22
	v_cndmask_b32_e64 v8, v8, v22, s[4:5]
	v_xor_b32_e32 v22, 1, v16
	v_cmp_lt_i32_e64 s[4:5], v22, v20
	v_cndmask_b32_e64 v16, v16, v22, s[4:5]
	v_lshlrev_b32_e32 v20, 2, v16
	ds_bpermute_b32 v22, v20, v8
	s_waitcnt lgkmcnt(1)
	v_cmp_lt_f32_e64 s[4:5], v9, v21
	v_cndmask_b32_e64 v23, v9, v21, s[4:5]
	ds_bpermute_b32 v24, v20, v23
	v_mov_b32_e32 v16, 0
	s_waitcnt lgkmcnt(1)
	v_cmp_lt_f32_e64 s[4:5], v8, v22
	v_cndmask_b32_e64 v25, v8, v22, s[4:5]
	v_pk_mov_b32 v[8:9], s[34:35], s[34:35] op_sel:[0,1]
	v_mov_b32_e32 v21, 0
	s_and_saveexec_b64 s[10:11], s[30:31]
	s_cbranch_execnz .LBB759_49
; %bb.47:
	s_or_b64 exec, exec, s[10:11]
	v_mov_b32_e32 v22, 0
	s_and_saveexec_b64 s[10:11], s[28:29]
	s_cbranch_execnz .LBB759_52
.LBB759_48:
	s_or_b64 exec, exec, s[10:11]
	s_and_saveexec_b64 s[10:11], s[26:27]
	s_cbranch_execnz .LBB759_55
	s_branch .LBB759_58
.LBB759_49:
	global_load_ubyte v21, v[2:3], off
	v_pk_mov_b32 v[8:9], s[34:35], s[34:35] op_sel:[0,1]
	s_waitcnt vmcnt(0)
	v_and_b32_e32 v21, 1, v21
	v_cmp_eq_u32_e64 s[4:5], 1, v21
	s_xor_b64 s[4:5], s[4:5], -1
	v_mov_b32_e32 v21, 0
	s_and_saveexec_b64 s[30:31], s[4:5]
	s_cbranch_execz .LBB759_51
; %bb.50:
	v_sub_f32_e32 v6, v6, v25
	s_mov_b32 s4, 0x3fb8aa3b
	v_mul_f32_e32 v8, 0x3fb8aa3b, v6
	v_fma_f32 v9, v6, s4, -v8
	v_rndne_f32_e32 v21, v8
	v_fmac_f32_e32 v9, 0x32a5705f, v6
	v_sub_f32_e32 v8, v8, v21
	v_add_f32_e32 v8, v8, v9
	v_exp_f32_e32 v8, v8
	v_cvt_i32_f32_e32 v9, v21
	s_mov_b32 s4, 0xc2ce8ed0
	v_cmp_ngt_f32_e64 s[4:5], s4, v6
	v_mov_b32_e32 v21, 0x7f800000
	v_ldexp_f32 v8, v8, v9
	v_cndmask_b32_e64 v8, 0, v8, s[4:5]
	s_mov_b32 s4, 0x42b17218
	v_cmp_nlt_f32_e64 s[4:5], s4, v6
	v_cndmask_b32_e64 v8, v21, v8, s[4:5]
	v_mov_b32_e32 v9, 0
	v_mov_b32_e32 v21, v8
.LBB759_51:
	s_or_b64 exec, exec, s[30:31]
	s_or_b64 exec, exec, s[10:11]
	v_mov_b32_e32 v22, 0
	s_and_saveexec_b64 s[10:11], s[28:29]
	s_cbranch_execz .LBB759_48
.LBB759_52:
	global_load_ubyte v6, v[2:3], off offset:32
	v_mov_b32_e32 v22, 0
	s_waitcnt vmcnt(0)
	v_and_b32_e32 v6, 1, v6
	v_cmp_eq_u32_e64 s[4:5], 1, v6
	s_xor_b64 s[4:5], s[4:5], -1
	s_and_saveexec_b64 s[28:29], s[4:5]
	s_cbranch_execz .LBB759_54
; %bb.53:
	v_sub_f32_e32 v6, v15, v25
	s_mov_b32 s4, 0x3fb8aa3b
	v_mul_f32_e32 v15, 0x3fb8aa3b, v6
	v_fma_f32 v22, v6, s4, -v15
	v_rndne_f32_e32 v26, v15
	v_fmac_f32_e32 v22, 0x32a5705f, v6
	v_sub_f32_e32 v15, v15, v26
	v_add_f32_e32 v15, v15, v22
	v_exp_f32_e32 v15, v15
	v_cvt_i32_f32_e32 v22, v26
	s_mov_b32 s4, 0xc2ce8ed0
	v_cmp_ngt_f32_e64 s[4:5], s4, v6
	v_ldexp_f32 v15, v15, v22
	v_cndmask_b32_e64 v15, 0, v15, s[4:5]
	s_mov_b32 s4, 0x42b17218
	v_mov_b32_e32 v22, 0x7f800000
	v_cmp_nlt_f32_e64 s[4:5], s4, v6
	v_cndmask_b32_e64 v22, v22, v15, s[4:5]
	v_add_f32_e32 v8, v8, v22
.LBB759_54:
	s_or_b64 exec, exec, s[28:29]
	s_or_b64 exec, exec, s[10:11]
	s_and_saveexec_b64 s[10:11], s[26:27]
	s_cbranch_execz .LBB759_58
.LBB759_55:
	global_load_ubyte v6, v[2:3], off offset:64
	v_mov_b32_e32 v16, 0
	s_waitcnt vmcnt(0)
	v_and_b32_e32 v6, 1, v6
	v_cmp_eq_u32_e64 s[4:5], 1, v6
	s_xor_b64 s[4:5], s[4:5], -1
	s_and_saveexec_b64 s[26:27], s[4:5]
	s_cbranch_execz .LBB759_57
; %bb.56:
	v_sub_f32_e32 v6, v14, v25
	s_mov_b32 s4, 0x3fb8aa3b
	v_mul_f32_e32 v14, 0x3fb8aa3b, v6
	v_fma_f32 v15, v6, s4, -v14
	v_rndne_f32_e32 v16, v14
	v_fmac_f32_e32 v15, 0x32a5705f, v6
	v_sub_f32_e32 v14, v14, v16
	v_add_f32_e32 v14, v14, v15
	v_exp_f32_e32 v14, v14
	v_cvt_i32_f32_e32 v15, v16
	s_mov_b32 s4, 0xc2ce8ed0
	v_cmp_ngt_f32_e64 s[4:5], s4, v6
	v_ldexp_f32 v14, v14, v15
	v_cndmask_b32_e64 v14, 0, v14, s[4:5]
	s_mov_b32 s4, 0x42b17218
	v_mov_b32_e32 v15, 0x7f800000
	v_cmp_nlt_f32_e64 s[4:5], s4, v6
	v_cndmask_b32_e64 v16, v15, v14, s[4:5]
	v_add_f32_e32 v8, v8, v16
.LBB759_57:
	s_or_b64 exec, exec, s[26:27]
.LBB759_58:
	s_or_b64 exec, exec, s[10:11]
	v_mov_b32_e32 v6, 0
	v_mov_b32_e32 v14, 0
	s_and_saveexec_b64 s[10:11], s[24:25]
	s_cbranch_execz .LBB759_62
; %bb.59:
	global_load_ubyte v14, v[2:3], off offset:96
	s_waitcnt vmcnt(0)
	v_and_b32_e32 v14, 1, v14
	v_cmp_eq_u32_e64 s[4:5], 1, v14
	s_xor_b64 s[4:5], s[4:5], -1
	v_mov_b32_e32 v14, 0
	s_and_saveexec_b64 s[24:25], s[4:5]
	s_cbranch_execz .LBB759_61
; %bb.60:
	v_sub_f32_e32 v13, v13, v25
	s_mov_b32 s4, 0x3fb8aa3b
	v_mul_f32_e32 v14, 0x3fb8aa3b, v13
	v_fma_f32 v15, v13, s4, -v14
	v_rndne_f32_e32 v25, v14
	v_fmac_f32_e32 v15, 0x32a5705f, v13
	v_sub_f32_e32 v14, v14, v25
	v_add_f32_e32 v14, v14, v15
	v_exp_f32_e32 v14, v14
	v_cvt_i32_f32_e32 v15, v25
	s_mov_b32 s4, 0xc2ce8ed0
	v_cmp_ngt_f32_e64 s[4:5], s4, v13
	v_ldexp_f32 v14, v14, v15
	v_cndmask_b32_e64 v14, 0, v14, s[4:5]
	s_mov_b32 s4, 0x42b17218
	v_mov_b32_e32 v15, 0x7f800000
	v_cmp_nlt_f32_e64 s[4:5], s4, v13
	v_cndmask_b32_e64 v14, v15, v14, s[4:5]
	v_add_f32_e32 v8, v8, v14
.LBB759_61:
	s_or_b64 exec, exec, s[24:25]
.LBB759_62:
	s_or_b64 exec, exec, s[10:11]
	s_waitcnt lgkmcnt(0)
	v_cmp_lt_f32_e64 s[4:5], v23, v24
	v_cndmask_b32_e64 v23, v23, v24, s[4:5]
	s_and_saveexec_b64 s[10:11], s[22:23]
	s_cbranch_execz .LBB759_66
; %bb.63:
	s_ashr_i32 s4, s15, 31
	v_mov_b32_e32 v6, s4
	v_add_co_u32_e64 v24, s[4:5], s15, v2
	v_addc_co_u32_e64 v25, s[4:5], v3, v6, s[4:5]
	global_load_ubyte v6, v[24:25], off
	s_waitcnt vmcnt(0)
	v_and_b32_e32 v6, 1, v6
	v_cmp_eq_u32_e64 s[4:5], 1, v6
	s_xor_b64 s[4:5], s[4:5], -1
	v_mov_b32_e32 v6, 0
	s_and_saveexec_b64 s[22:23], s[4:5]
	s_cbranch_execz .LBB759_65
; %bb.64:
	v_sub_f32_e32 v5, v5, v23
	s_mov_b32 s4, 0x3fb8aa3b
	v_mul_f32_e32 v6, 0x3fb8aa3b, v5
	v_fma_f32 v13, v5, s4, -v6
	v_rndne_f32_e32 v15, v6
	v_fmac_f32_e32 v13, 0x32a5705f, v5
	v_sub_f32_e32 v6, v6, v15
	v_add_f32_e32 v6, v6, v13
	v_exp_f32_e32 v6, v6
	v_cvt_i32_f32_e32 v13, v15
	s_mov_b32 s4, 0xc2ce8ed0
	v_cmp_ngt_f32_e64 s[4:5], s4, v5
	v_ldexp_f32 v6, v6, v13
	v_cndmask_b32_e64 v6, 0, v6, s[4:5]
	s_mov_b32 s4, 0x42b17218
	v_mov_b32_e32 v13, 0x7f800000
	v_cmp_nlt_f32_e64 s[4:5], s4, v5
	v_cndmask_b32_e64 v6, v13, v6, s[4:5]
	v_add_f32_e32 v9, v9, v6
.LBB759_65:
	s_or_b64 exec, exec, s[22:23]
.LBB759_66:
	s_or_b64 exec, exec, s[10:11]
	v_mov_b32_e32 v13, 0
	v_mov_b32_e32 v15, 0
	s_and_saveexec_b64 s[10:11], s[20:21]
	s_cbranch_execnz .LBB759_69
; %bb.67:
	s_or_b64 exec, exec, s[10:11]
	s_and_saveexec_b64 s[10:11], s[18:19]
	s_cbranch_execnz .LBB759_72
.LBB759_68:
	s_or_b64 exec, exec, s[10:11]
	v_mov_b32_e32 v11, 0
	s_and_saveexec_b64 s[10:11], s[12:13]
	s_cbranch_execnz .LBB759_75
	s_branch .LBB759_78
.LBB759_69:
	s_ashr_i32 s4, s15, 31
	v_mov_b32_e32 v5, s4
	v_add_co_u32_e64 v24, s[4:5], s15, v2
	v_addc_co_u32_e64 v25, s[4:5], v3, v5, s[4:5]
	global_load_ubyte v5, v[24:25], off offset:32
	v_mov_b32_e32 v15, 0
	s_waitcnt vmcnt(0)
	v_and_b32_e32 v5, 1, v5
	v_cmp_eq_u32_e64 s[4:5], 1, v5
	s_xor_b64 s[4:5], s[4:5], -1
	s_and_saveexec_b64 s[20:21], s[4:5]
	s_cbranch_execz .LBB759_71
; %bb.70:
	v_sub_f32_e32 v5, v12, v23
	s_mov_b32 s4, 0x3fb8aa3b
	v_mul_f32_e32 v12, 0x3fb8aa3b, v5
	v_fma_f32 v15, v5, s4, -v12
	v_rndne_f32_e32 v24, v12
	v_fmac_f32_e32 v15, 0x32a5705f, v5
	v_sub_f32_e32 v12, v12, v24
	v_add_f32_e32 v12, v12, v15
	v_exp_f32_e32 v12, v12
	v_cvt_i32_f32_e32 v15, v24
	s_mov_b32 s4, 0xc2ce8ed0
	v_cmp_ngt_f32_e64 s[4:5], s4, v5
	v_ldexp_f32 v12, v12, v15
	v_cndmask_b32_e64 v12, 0, v12, s[4:5]
	s_mov_b32 s4, 0x42b17218
	v_mov_b32_e32 v15, 0x7f800000
	v_cmp_nlt_f32_e64 s[4:5], s4, v5
	v_cndmask_b32_e64 v15, v15, v12, s[4:5]
	v_add_f32_e32 v9, v9, v15
.LBB759_71:
	s_or_b64 exec, exec, s[20:21]
	s_or_b64 exec, exec, s[10:11]
	s_and_saveexec_b64 s[10:11], s[18:19]
	s_cbranch_execz .LBB759_68
.LBB759_72:
	s_ashr_i32 s4, s15, 31
	v_mov_b32_e32 v5, s4
	v_add_co_u32_e64 v12, s[4:5], s15, v2
	v_addc_co_u32_e64 v13, s[4:5], v3, v5, s[4:5]
	global_load_ubyte v5, v[12:13], off offset:64
	v_mov_b32_e32 v13, 0
	s_waitcnt vmcnt(0)
	v_and_b32_e32 v5, 1, v5
	v_cmp_eq_u32_e64 s[4:5], 1, v5
	s_xor_b64 s[4:5], s[4:5], -1
	s_and_saveexec_b64 s[18:19], s[4:5]
	s_cbranch_execz .LBB759_74
; %bb.73:
	v_sub_f32_e32 v5, v11, v23
	s_mov_b32 s4, 0x3fb8aa3b
	v_mul_f32_e32 v11, 0x3fb8aa3b, v5
	v_fma_f32 v12, v5, s4, -v11
	v_rndne_f32_e32 v13, v11
	v_fmac_f32_e32 v12, 0x32a5705f, v5
	v_sub_f32_e32 v11, v11, v13
	v_add_f32_e32 v11, v11, v12
	v_exp_f32_e32 v11, v11
	v_cvt_i32_f32_e32 v12, v13
	s_mov_b32 s4, 0xc2ce8ed0
	v_cmp_ngt_f32_e64 s[4:5], s4, v5
	v_ldexp_f32 v11, v11, v12
	v_cndmask_b32_e64 v11, 0, v11, s[4:5]
	s_mov_b32 s4, 0x42b17218
	v_mov_b32_e32 v12, 0x7f800000
	v_cmp_nlt_f32_e64 s[4:5], s4, v5
	v_cndmask_b32_e64 v13, v12, v11, s[4:5]
	v_add_f32_e32 v9, v9, v13
.LBB759_74:
	s_or_b64 exec, exec, s[18:19]
	s_or_b64 exec, exec, s[10:11]
	v_mov_b32_e32 v11, 0
	s_and_saveexec_b64 s[10:11], s[12:13]
	s_cbranch_execz .LBB759_78
.LBB759_75:
	s_ashr_i32 s4, s15, 31
	v_mov_b32_e32 v5, s4
	v_add_co_u32_e64 v2, s[4:5], s15, v2
	v_addc_co_u32_e64 v3, s[4:5], v3, v5, s[4:5]
	global_load_ubyte v2, v[2:3], off offset:96
	v_mov_b32_e32 v11, 0
	s_waitcnt vmcnt(0)
	v_and_b32_e32 v2, 1, v2
	v_cmp_eq_u32_e64 s[4:5], 1, v2
	s_xor_b64 s[4:5], s[4:5], -1
	s_and_saveexec_b64 s[12:13], s[4:5]
	s_cbranch_execz .LBB759_77
; %bb.76:
	v_sub_f32_e32 v2, v10, v23
	s_mov_b32 s4, 0x3fb8aa3b
	v_mul_f32_e32 v3, 0x3fb8aa3b, v2
	v_fma_f32 v5, v2, s4, -v3
	v_rndne_f32_e32 v10, v3
	v_fmac_f32_e32 v5, 0x32a5705f, v2
	v_sub_f32_e32 v3, v3, v10
	v_add_f32_e32 v3, v3, v5
	v_exp_f32_e32 v3, v3
	v_cvt_i32_f32_e32 v5, v10
	s_mov_b32 s4, 0xc2ce8ed0
	v_cmp_ngt_f32_e64 s[4:5], s4, v2
	v_ldexp_f32 v3, v3, v5
	v_cndmask_b32_e64 v3, 0, v3, s[4:5]
	s_mov_b32 s4, 0x42b17218
	v_mov_b32_e32 v5, 0x7f800000
	v_cmp_nlt_f32_e64 s[4:5], s4, v2
	v_cndmask_b32_e64 v11, v5, v3, s[4:5]
	v_add_f32_e32 v9, v9, v11
.LBB759_77:
	s_or_b64 exec, exec, s[12:13]
.LBB759_78:
	s_or_b64 exec, exec, s[10:11]
	ds_bpermute_b32 v2, v4, v8
	ds_bpermute_b32 v3, v4, v9
	s_waitcnt lgkmcnt(0)
	v_pk_add_f32 v[2:3], v[8:9], v[2:3]
	ds_bpermute_b32 v4, v17, v2
	ds_bpermute_b32 v5, v17, v3
	s_waitcnt lgkmcnt(0)
	v_pk_add_f32 v[2:3], v[2:3], v[4:5]
	ds_bpermute_b32 v4, v18, v2
	ds_bpermute_b32 v5, v18, v3
	s_waitcnt lgkmcnt(0)
	v_pk_add_f32 v[2:3], v[2:3], v[4:5]
	ds_bpermute_b32 v4, v19, v2
	ds_bpermute_b32 v5, v19, v3
	s_waitcnt lgkmcnt(0)
	v_pk_add_f32 v[2:3], v[2:3], v[4:5]
	ds_bpermute_b32 v4, v20, v2
	ds_bpermute_b32 v5, v20, v3
	s_and_saveexec_b64 s[4:5], vcc
	s_cbranch_execz .LBB759_98
; %bb.79:
	s_waitcnt lgkmcnt(0)
	v_pk_add_f32 v[2:3], v[2:3], v[4:5]
	v_mov_b32_e32 v4, s17
	v_add_co_u32_e32 v0, vcc, s16, v0
	v_addc_co_u32_e32 v1, vcc, v4, v1, vcc
	s_and_saveexec_b64 s[10:11], s[6:7]
	s_cbranch_execz .LBB759_92
; %bb.80:
	v_cmp_neq_f32_e64 s[4:5], 0, v2
	v_mov_b32_e32 v4, 0x7fc0
	s_and_saveexec_b64 s[12:13], s[4:5]
	s_cbranch_execz .LBB759_82
; %bb.81:
	v_div_scale_f32 v4, s[16:17], v2, v2, v21
	v_rcp_f32_e32 v5, v4
	v_div_scale_f32 v8, vcc, v21, v2, v21
	s_movk_i32 s15, 0x7fff
	v_fma_f32 v9, -v4, v5, 1.0
	v_fmac_f32_e32 v5, v9, v5
	v_mul_f32_e32 v9, v8, v5
	v_fma_f32 v10, -v4, v9, v8
	v_fmac_f32_e32 v9, v10, v5
	v_fma_f32 v4, -v4, v9, v8
	v_div_fmas_f32 v4, v4, v5, v9
	v_div_fixup_f32 v4, v4, v2, v21
	v_bfe_u32 v5, v4, 16, 1
	v_add3_u32 v5, v4, v5, s15
	v_lshrrev_b32_e32 v5, 16, v5
	v_mov_b32_e32 v8, 0x7fc0
	v_cmp_o_f32_e32 vcc, v4, v4
	v_cndmask_b32_e32 v4, v8, v5, vcc
.LBB759_82:
	s_or_b64 exec, exec, s[12:13]
	global_store_short v[0:1], v4, off
	s_and_b64 exec, exec, s[8:9]
	s_cbranch_execz .LBB759_92
; %bb.83:
	v_mov_b32_e32 v4, 0x7fc0
	s_and_saveexec_b64 s[12:13], s[4:5]
	s_cbranch_execz .LBB759_85
; %bb.84:
	v_div_scale_f32 v4, s[16:17], v2, v2, v22
	v_rcp_f32_e32 v5, v4
	v_div_scale_f32 v8, vcc, v22, v2, v22
	s_movk_i32 s15, 0x7fff
	v_fma_f32 v9, -v4, v5, 1.0
	v_fmac_f32_e32 v5, v9, v5
	v_mul_f32_e32 v9, v8, v5
	v_fma_f32 v10, -v4, v9, v8
	v_fmac_f32_e32 v9, v10, v5
	v_fma_f32 v4, -v4, v9, v8
	v_div_fmas_f32 v4, v4, v5, v9
	v_div_fixup_f32 v4, v4, v2, v22
	v_bfe_u32 v5, v4, 16, 1
	v_add3_u32 v5, v4, v5, s15
	v_lshrrev_b32_e32 v5, 16, v5
	v_mov_b32_e32 v8, 0x7fc0
	v_cmp_o_f32_e32 vcc, v4, v4
	v_cndmask_b32_e32 v4, v8, v5, vcc
.LBB759_85:
	s_or_b64 exec, exec, s[12:13]
	global_store_short v[0:1], v4, off offset:64
	s_and_b64 exec, exec, s[2:3]
	s_cbranch_execz .LBB759_92
; %bb.86:
	v_mov_b32_e32 v4, 0x7fc0
	s_and_saveexec_b64 s[12:13], s[4:5]
	s_cbranch_execz .LBB759_88
; %bb.87:
	v_div_scale_f32 v4, s[16:17], v2, v2, v16
	v_rcp_f32_e32 v5, v4
	v_div_scale_f32 v8, vcc, v16, v2, v16
	s_movk_i32 s15, 0x7fff
	v_fma_f32 v9, -v4, v5, 1.0
	v_fmac_f32_e32 v5, v9, v5
	v_mul_f32_e32 v9, v8, v5
	v_fma_f32 v10, -v4, v9, v8
	v_fmac_f32_e32 v9, v10, v5
	v_fma_f32 v4, -v4, v9, v8
	v_div_fmas_f32 v4, v4, v5, v9
	v_div_fixup_f32 v4, v4, v2, v16
	v_bfe_u32 v5, v4, 16, 1
	v_add3_u32 v5, v4, v5, s15
	v_lshrrev_b32_e32 v5, 16, v5
	v_mov_b32_e32 v8, 0x7fc0
	v_cmp_o_f32_e32 vcc, v4, v4
	v_cndmask_b32_e32 v4, v8, v5, vcc
.LBB759_88:
	s_or_b64 exec, exec, s[12:13]
	global_store_short v[0:1], v4, off offset:128
	;; [unrolled: 28-line block ×3, first 2 shown]
.LBB759_92:
	s_or_b64 exec, exec, s[10:11]
	v_cmp_ne_u32_e32 vcc, 1, v7
	s_and_b64 exec, exec, vcc
	s_cbranch_execz .LBB759_98
; %bb.93:
	s_and_b64 exec, exec, s[6:7]
	s_cbranch_execz .LBB759_98
; %bb.94:
	v_div_scale_f32 v2, s[4:5], v3, v3, v6
	v_rcp_f32_e32 v4, v2
	s_movk_i32 s10, 0x7fff
	s_ashr_i32 s15, s14, 31
	s_lshl_b64 s[6:7], s[14:15], 1
	v_fma_f32 v5, -v2, v4, 1.0
	v_fmac_f32_e32 v4, v5, v4
	v_div_scale_f32 v5, vcc, v6, v3, v6
	v_mul_f32_e32 v7, v5, v4
	v_fma_f32 v8, -v2, v7, v5
	v_fmac_f32_e32 v7, v8, v4
	v_fma_f32 v2, -v2, v7, v5
	v_div_fmas_f32 v2, v2, v4, v7
	v_div_fixup_f32 v2, v2, v3, v6
	v_bfe_u32 v4, v2, 16, 1
	v_cmp_u_f32_e32 vcc, v2, v2
	v_add3_u32 v2, v2, v4, s10
	v_cmp_eq_f32_e64 s[4:5], 0, v3
	v_lshrrev_b32_e32 v4, 16, v2
	v_mov_b32_e32 v2, s7
	v_add_co_u32_e64 v0, s[6:7], s6, v0
	v_addc_co_u32_e64 v1, s[6:7], v1, v2, s[6:7]
	v_mov_b32_e32 v2, 0x7fc0
	s_or_b64 vcc, s[4:5], vcc
	v_cndmask_b32_e32 v4, v4, v2, vcc
	global_store_short v[0:1], v4, off
	s_and_b64 exec, exec, s[8:9]
	s_cbranch_execz .LBB759_98
; %bb.95:
	v_div_scale_f32 v4, s[6:7], v3, v3, v15
	v_rcp_f32_e32 v5, v4
	v_div_scale_f32 v6, vcc, v15, v3, v15
	v_fma_f32 v7, -v4, v5, 1.0
	v_fmac_f32_e32 v5, v7, v5
	v_mul_f32_e32 v7, v6, v5
	v_fma_f32 v8, -v4, v7, v6
	v_fmac_f32_e32 v7, v8, v5
	v_fma_f32 v4, -v4, v7, v6
	v_div_fmas_f32 v4, v4, v5, v7
	v_div_fixup_f32 v4, v4, v3, v15
	v_bfe_u32 v5, v4, 16, 1
	v_cmp_u_f32_e32 vcc, v4, v4
	v_add3_u32 v4, v4, v5, s10
	v_lshrrev_b32_e32 v4, 16, v4
	s_or_b64 vcc, s[4:5], vcc
	v_cndmask_b32_e32 v2, v4, v2, vcc
	global_store_short v[0:1], v2, off offset:64
	s_and_b64 exec, exec, s[2:3]
	s_cbranch_execz .LBB759_98
; %bb.96:
	v_div_scale_f32 v2, s[2:3], v3, v3, v13
	v_rcp_f32_e32 v4, v2
	v_div_scale_f32 v5, vcc, v13, v3, v13
	s_movk_i32 s2, 0x7fff
	v_fma_f32 v6, -v2, v4, 1.0
	v_fmac_f32_e32 v4, v6, v4
	v_mul_f32_e32 v6, v5, v4
	v_fma_f32 v7, -v2, v6, v5
	v_fmac_f32_e32 v6, v7, v4
	v_fma_f32 v2, -v2, v6, v5
	v_div_fmas_f32 v2, v2, v4, v6
	v_div_fixup_f32 v2, v2, v3, v13
	v_bfe_u32 v4, v2, 16, 1
	v_cmp_u_f32_e32 vcc, v2, v2
	v_add3_u32 v2, v2, v4, s2
	v_lshrrev_b32_e32 v4, 16, v2
	v_mov_b32_e32 v2, 0x7fc0
	s_or_b64 vcc, s[4:5], vcc
	v_cndmask_b32_e32 v4, v4, v2, vcc
	global_store_short v[0:1], v4, off offset:128
	s_and_b64 exec, exec, s[0:1]
	s_cbranch_execz .LBB759_98
; %bb.97:
	v_div_scale_f32 v4, s[0:1], v3, v3, v11
	v_rcp_f32_e32 v5, v4
	v_div_scale_f32 v6, vcc, v11, v3, v11
	v_fma_f32 v7, -v4, v5, 1.0
	v_fmac_f32_e32 v5, v7, v5
	v_mul_f32_e32 v7, v6, v5
	v_fma_f32 v8, -v4, v7, v6
	v_fmac_f32_e32 v7, v8, v5
	v_fma_f32 v4, -v4, v7, v6
	v_div_fmas_f32 v4, v4, v5, v7
	v_div_fixup_f32 v3, v4, v3, v11
	v_bfe_u32 v4, v3, 16, 1
	v_cmp_u_f32_e32 vcc, v3, v3
	v_add3_u32 v3, v3, v4, s2
	v_lshrrev_b32_e32 v3, 16, v3
	s_or_b64 vcc, s[4:5], vcc
	v_cndmask_b32_e32 v2, v3, v2, vcc
	global_store_short v[0:1], v2, off offset:192
.LBB759_98:
	s_endpgm
	.section	.rodata,"a",@progbits
	.p2align	6, 0x0
	.amdhsa_kernel _ZN12_GLOBAL__N_120softmax_warp_forwardIN3c108BFloat16ES2_fLi7ELb0ELb1ELi32EEEvPT0_PKT_iiiPKbib
		.amdhsa_group_segment_fixed_size 0
		.amdhsa_private_segment_fixed_size 0
		.amdhsa_kernarg_size 304
		.amdhsa_user_sgpr_count 6
		.amdhsa_user_sgpr_private_segment_buffer 1
		.amdhsa_user_sgpr_dispatch_ptr 0
		.amdhsa_user_sgpr_queue_ptr 0
		.amdhsa_user_sgpr_kernarg_segment_ptr 1
		.amdhsa_user_sgpr_dispatch_id 0
		.amdhsa_user_sgpr_flat_scratch_init 0
		.amdhsa_user_sgpr_kernarg_preload_length 0
		.amdhsa_user_sgpr_kernarg_preload_offset 0
		.amdhsa_user_sgpr_private_segment_size 0
		.amdhsa_uses_dynamic_stack 0
		.amdhsa_system_sgpr_private_segment_wavefront_offset 0
		.amdhsa_system_sgpr_workgroup_id_x 1
		.amdhsa_system_sgpr_workgroup_id_y 0
		.amdhsa_system_sgpr_workgroup_id_z 0
		.amdhsa_system_sgpr_workgroup_info 0
		.amdhsa_system_vgpr_workitem_id 1
		.amdhsa_next_free_vgpr 27
		.amdhsa_next_free_sgpr 42
		.amdhsa_accum_offset 28
		.amdhsa_reserve_vcc 1
		.amdhsa_reserve_flat_scratch 0
		.amdhsa_float_round_mode_32 0
		.amdhsa_float_round_mode_16_64 0
		.amdhsa_float_denorm_mode_32 3
		.amdhsa_float_denorm_mode_16_64 3
		.amdhsa_dx10_clamp 1
		.amdhsa_ieee_mode 1
		.amdhsa_fp16_overflow 0
		.amdhsa_tg_split 0
		.amdhsa_exception_fp_ieee_invalid_op 0
		.amdhsa_exception_fp_denorm_src 0
		.amdhsa_exception_fp_ieee_div_zero 0
		.amdhsa_exception_fp_ieee_overflow 0
		.amdhsa_exception_fp_ieee_underflow 0
		.amdhsa_exception_fp_ieee_inexact 0
		.amdhsa_exception_int_div_zero 0
	.end_amdhsa_kernel
	.section	.text._ZN12_GLOBAL__N_120softmax_warp_forwardIN3c108BFloat16ES2_fLi7ELb0ELb1ELi32EEEvPT0_PKT_iiiPKbib,"axG",@progbits,_ZN12_GLOBAL__N_120softmax_warp_forwardIN3c108BFloat16ES2_fLi7ELb0ELb1ELi32EEEvPT0_PKT_iiiPKbib,comdat
.Lfunc_end759:
	.size	_ZN12_GLOBAL__N_120softmax_warp_forwardIN3c108BFloat16ES2_fLi7ELb0ELb1ELi32EEEvPT0_PKT_iiiPKbib, .Lfunc_end759-_ZN12_GLOBAL__N_120softmax_warp_forwardIN3c108BFloat16ES2_fLi7ELb0ELb1ELi32EEEvPT0_PKT_iiiPKbib
                                        ; -- End function
	.section	.AMDGPU.csdata,"",@progbits
; Kernel info:
; codeLenInByte = 5084
; NumSgprs: 46
; NumVgprs: 27
; NumAgprs: 0
; TotalNumVgprs: 27
; ScratchSize: 0
; MemoryBound: 0
; FloatMode: 240
; IeeeMode: 1
; LDSByteSize: 0 bytes/workgroup (compile time only)
; SGPRBlocks: 5
; VGPRBlocks: 3
; NumSGPRsForWavesPerEU: 46
; NumVGPRsForWavesPerEU: 27
; AccumOffset: 28
; Occupancy: 8
; WaveLimiterHint : 0
; COMPUTE_PGM_RSRC2:SCRATCH_EN: 0
; COMPUTE_PGM_RSRC2:USER_SGPR: 6
; COMPUTE_PGM_RSRC2:TRAP_HANDLER: 0
; COMPUTE_PGM_RSRC2:TGID_X_EN: 1
; COMPUTE_PGM_RSRC2:TGID_Y_EN: 0
; COMPUTE_PGM_RSRC2:TGID_Z_EN: 0
; COMPUTE_PGM_RSRC2:TIDIG_COMP_CNT: 1
; COMPUTE_PGM_RSRC3_GFX90A:ACCUM_OFFSET: 6
; COMPUTE_PGM_RSRC3_GFX90A:TG_SPLIT: 0
	.section	.text._ZN12_GLOBAL__N_120softmax_warp_forwardIN3c108BFloat16ES2_fLi8ELb0ELb1ELi64EEEvPT0_PKT_iiiPKbib,"axG",@progbits,_ZN12_GLOBAL__N_120softmax_warp_forwardIN3c108BFloat16ES2_fLi8ELb0ELb1ELi64EEEvPT0_PKT_iiiPKbib,comdat
	.globl	_ZN12_GLOBAL__N_120softmax_warp_forwardIN3c108BFloat16ES2_fLi8ELb0ELb1ELi64EEEvPT0_PKT_iiiPKbib ; -- Begin function _ZN12_GLOBAL__N_120softmax_warp_forwardIN3c108BFloat16ES2_fLi8ELb0ELb1ELi64EEEvPT0_PKT_iiiPKbib
	.p2align	8
	.type	_ZN12_GLOBAL__N_120softmax_warp_forwardIN3c108BFloat16ES2_fLi8ELb0ELb1ELi64EEEvPT0_PKT_iiiPKbib,@function
_ZN12_GLOBAL__N_120softmax_warp_forwardIN3c108BFloat16ES2_fLi8ELb0ELb1ELi64EEEvPT0_PKT_iiiPKbib: ; @_ZN12_GLOBAL__N_120softmax_warp_forwardIN3c108BFloat16ES2_fLi8ELb0ELb1ELi64EEEvPT0_PKT_iiiPKbib
; %bb.0:
	s_load_dword s2, s[4:5], 0x3c
	s_load_dwordx4 s[8:11], s[4:5], 0x10
	s_load_dwordx2 s[0:1], s[4:5], 0x28
	v_bfe_u32 v1, v0, 10, 10
	v_and_b32_e32 v2, 0x3ff, v0
	s_waitcnt lgkmcnt(0)
	s_lshr_b32 s2, s2, 16
	s_mul_i32 s6, s6, s2
	v_add_u32_e32 v3, s6, v1
	v_mul_lo_u32 v6, v3, s9
	v_add_u32_e32 v0, v6, v2
	v_ashrrev_i32_e32 v1, 31, v0
	s_bitcmp0_b32 s1, 0
	v_pk_mov_b32 v[4:5], v[0:1], v[0:1] op_sel:[0,1]
	s_cbranch_scc1 .LBB760_2
; %bb.1:
	s_abs_i32 s1, s0
	v_cvt_f32_u32_e32 v4, s1
	v_xor_b32_e32 v5, s0, v6
	v_sub_u32_e32 v7, 0, v6
	s_sub_i32 s0, 0, s1
	v_rcp_iflag_f32_e32 v4, v4
	v_max_i32_e32 v6, v6, v7
	v_ashrrev_i32_e32 v5, 31, v5
	v_mul_f32_e32 v4, 0x4f7ffffe, v4
	v_cvt_u32_f32_e32 v4, v4
	v_mul_lo_u32 v7, s0, v4
	v_mul_hi_u32 v7, v4, v7
	v_add_u32_e32 v4, v4, v7
	v_mul_hi_u32 v4, v6, v4
	v_mul_lo_u32 v7, v4, s1
	v_sub_u32_e32 v6, v6, v7
	v_add_u32_e32 v8, 1, v4
	v_cmp_le_u32_e32 vcc, s1, v6
	v_subrev_u32_e32 v7, s1, v6
	v_cndmask_b32_e32 v4, v4, v8, vcc
	v_cndmask_b32_e32 v6, v6, v7, vcc
	v_add_u32_e32 v7, 1, v4
	v_cmp_le_u32_e32 vcc, s1, v6
	v_cndmask_b32_e32 v4, v4, v7, vcc
	v_xor_b32_e32 v4, v4, v5
	v_sub_u32_e32 v4, v4, v5
	v_mad_u64_u32 v[4:5], s[0:1], v4, s9, v[2:3]
	v_ashrrev_i32_e32 v5, 31, v4
.LBB760_2:
	s_load_dwordx4 s[12:15], s[4:5], 0x0
	v_lshlrev_b64 v[0:1], 1, v[0:1]
	v_sub_u32_e32 v8, s8, v3
	v_cmp_lt_i32_e64 s[6:7], 0, v8
	v_mov_b32_e32 v11, 0xff800000
	s_waitcnt lgkmcnt(0)
	v_mov_b32_e32 v3, s15
	v_add_co_u32_e32 v6, vcc, s14, v0
	v_addc_co_u32_e32 v7, vcc, v3, v1, vcc
	v_cmp_gt_i32_e32 vcc, s10, v2
	s_and_b64 s[18:19], s[6:7], vcc
	v_mov_b32_e32 v12, 0xff800000
	s_and_saveexec_b64 s[0:1], s[18:19]
	s_cbranch_execz .LBB760_4
; %bb.3:
	global_load_ushort v3, v[6:7], off
	s_waitcnt vmcnt(0)
	v_lshlrev_b32_e32 v12, 16, v3
.LBB760_4:
	s_or_b64 exec, exec, s[0:1]
	v_add_u32_e32 v3, 64, v2
	v_cmp_gt_i32_e64 s[8:9], s10, v3
	s_and_b64 s[16:17], s[6:7], s[8:9]
	s_and_saveexec_b64 s[0:1], s[16:17]
	s_cbranch_execz .LBB760_6
; %bb.5:
	global_load_ushort v3, v[6:7], off offset:128
	s_waitcnt vmcnt(0)
	v_lshlrev_b32_e32 v11, 16, v3
.LBB760_6:
	s_or_b64 exec, exec, s[0:1]
	v_add_u32_e32 v3, 0x80, v2
	v_cmp_gt_i32_e64 s[2:3], s10, v3
	s_and_b64 s[14:15], s[6:7], s[2:3]
	v_mov_b32_e32 v9, 0xff800000
	v_mov_b32_e32 v10, 0xff800000
	s_and_saveexec_b64 s[0:1], s[14:15]
	s_cbranch_execz .LBB760_8
; %bb.7:
	global_load_ushort v3, v[6:7], off offset:256
	s_waitcnt vmcnt(0)
	v_lshlrev_b32_e32 v10, 16, v3
.LBB760_8:
	s_or_b64 exec, exec, s[0:1]
	v_add_u32_e32 v2, 0xc0, v2
	v_cmp_gt_i32_e64 s[0:1], s10, v2
	s_and_b64 s[6:7], s[6:7], s[0:1]
	s_and_saveexec_b64 s[10:11], s[6:7]
	s_cbranch_execz .LBB760_10
; %bb.9:
	global_load_ushort v2, v[6:7], off offset:384
	s_waitcnt vmcnt(0)
	v_lshlrev_b32_e32 v9, 16, v2
.LBB760_10:
	s_or_b64 exec, exec, s[10:11]
	s_load_dwordx2 s[4:5], s[4:5], 0x20
	s_mov_b64 s[10:11], 0
	s_waitcnt lgkmcnt(0)
	v_mov_b32_e32 v3, s5
	v_add_co_u32_e64 v2, s[4:5], s4, v4
	v_addc_co_u32_e64 v3, s[4:5], v3, v5, s[4:5]
	s_and_saveexec_b64 s[20:21], s[18:19]
	s_cbranch_execnz .LBB760_14
; %bb.11:
	s_or_b64 exec, exec, s[20:21]
	v_mov_b32_e32 v4, v12
	s_and_saveexec_b64 s[20:21], s[16:17]
	s_cbranch_execnz .LBB760_15
.LBB760_12:
	s_or_b64 exec, exec, s[20:21]
	s_and_saveexec_b64 s[20:21], s[14:15]
	s_cbranch_execnz .LBB760_18
.LBB760_13:
	s_or_b64 exec, exec, s[20:21]
	s_and_saveexec_b64 s[20:21], s[6:7]
	s_cbranch_execnz .LBB760_21
	s_branch .LBB760_24
.LBB760_14:
	global_load_ubyte v4, v[2:3], off
	s_waitcnt vmcnt(0)
	v_and_b32_e32 v4, 1, v4
	v_cmp_eq_u32_e64 s[4:5], 1, v4
	s_xor_b64 s[4:5], s[4:5], -1
	s_and_b64 s[10:11], s[4:5], exec
	s_or_b64 exec, exec, s[20:21]
	v_mov_b32_e32 v4, v12
	s_and_saveexec_b64 s[20:21], s[16:17]
	s_cbranch_execz .LBB760_12
.LBB760_15:
	global_load_ubyte v4, v[2:3], off offset:64
	s_mov_b64 s[22:23], s[10:11]
	s_waitcnt vmcnt(0)
	v_and_b32_e32 v4, 1, v4
	v_cmp_eq_u32_e64 s[4:5], 1, v4
	s_xor_b64 s[4:5], s[4:5], -1
	v_mov_b32_e32 v4, v12
	s_and_saveexec_b64 s[24:25], s[4:5]
; %bb.16:
	v_cmp_gt_f32_e64 s[4:5], v12, v11
	s_and_b64 s[4:5], s[10:11], s[4:5]
	v_cndmask_b32_e64 v4, v11, v12, s[4:5]
	s_or_b64 s[22:23], s[10:11], exec
; %bb.17:
	s_or_b64 exec, exec, s[24:25]
	s_andn2_b64 s[4:5], s[10:11], exec
	s_and_b64 s[10:11], s[22:23], exec
	s_or_b64 s[10:11], s[4:5], s[10:11]
	s_or_b64 exec, exec, s[20:21]
	s_and_saveexec_b64 s[20:21], s[14:15]
	s_cbranch_execz .LBB760_13
.LBB760_18:
	global_load_ubyte v5, v[2:3], off offset:128
	s_waitcnt vmcnt(0)
	v_and_b32_e32 v5, 1, v5
	v_cmp_eq_u32_e64 s[4:5], 1, v5
	s_xor_b64 s[24:25], s[4:5], -1
	s_mov_b64 s[4:5], s[10:11]
	s_and_saveexec_b64 s[22:23], s[24:25]
; %bb.19:
	v_cmp_gt_f32_e64 s[4:5], v4, v10
	s_and_b64 s[4:5], s[10:11], s[4:5]
	v_cndmask_b32_e64 v4, v10, v4, s[4:5]
	s_or_b64 s[4:5], s[10:11], exec
; %bb.20:
	s_or_b64 exec, exec, s[22:23]
	s_andn2_b64 s[10:11], s[10:11], exec
	s_and_b64 s[4:5], s[4:5], exec
	s_or_b64 s[10:11], s[10:11], s[4:5]
	s_or_b64 exec, exec, s[20:21]
	s_and_saveexec_b64 s[20:21], s[6:7]
	s_cbranch_execz .LBB760_24
.LBB760_21:
	global_load_ubyte v5, v[2:3], off offset:192
	s_waitcnt vmcnt(0)
	v_and_b32_e32 v5, 1, v5
	v_cmp_eq_u32_e64 s[4:5], 1, v5
	s_xor_b64 s[24:25], s[4:5], -1
	s_mov_b64 s[4:5], s[10:11]
	s_and_saveexec_b64 s[22:23], s[24:25]
; %bb.22:
	v_cmp_gt_f32_e64 s[4:5], v4, v9
	s_and_b64 s[4:5], s[10:11], s[4:5]
	v_cndmask_b32_e64 v4, v9, v4, s[4:5]
	s_or_b64 s[4:5], s[10:11], exec
; %bb.23:
	s_or_b64 exec, exec, s[22:23]
	s_andn2_b64 s[10:11], s[10:11], exec
	s_and_b64 s[4:5], s[4:5], exec
	s_or_b64 s[10:11], s[10:11], s[4:5]
.LBB760_24:
	s_or_b64 exec, exec, s[20:21]
	v_mov_b32_e32 v5, 0xff800000
	v_cndmask_b32_e64 v4, v5, v4, s[10:11]
	v_mbcnt_lo_u32_b32 v5, -1, 0
	v_mbcnt_hi_u32_b32 v5, -1, v5
	v_and_b32_e32 v6, 64, v5
	v_add_u32_e32 v15, 64, v6
	v_xor_b32_e32 v6, 32, v5
	v_cmp_lt_i32_e64 s[4:5], v6, v15
	v_cndmask_b32_e64 v6, v5, v6, s[4:5]
	v_lshlrev_b32_e32 v6, 2, v6
	ds_bpermute_b32 v7, v6, v4
	s_waitcnt lgkmcnt(0)
	v_cmp_lt_f32_e64 s[4:5], v4, v7
	v_cndmask_b32_e64 v4, v4, v7, s[4:5]
	v_xor_b32_e32 v7, 16, v5
	v_cmp_lt_i32_e64 s[4:5], v7, v15
	v_cndmask_b32_e64 v7, v5, v7, s[4:5]
	v_lshlrev_b32_e32 v7, 2, v7
	ds_bpermute_b32 v13, v7, v4
	s_waitcnt lgkmcnt(0)
	v_cmp_lt_f32_e64 s[4:5], v4, v13
	v_cndmask_b32_e64 v4, v4, v13, s[4:5]
	;; [unrolled: 8-line block ×5, first 2 shown]
	v_xor_b32_e32 v17, 1, v5
	v_cmp_lt_i32_e64 s[4:5], v17, v15
	v_cndmask_b32_e64 v5, v5, v17, s[4:5]
	v_lshlrev_b32_e32 v17, 2, v5
	ds_bpermute_b32 v5, v17, v4
	v_mov_b32_e32 v15, 0
	s_waitcnt lgkmcnt(0)
	v_cmp_lt_f32_e64 s[4:5], v4, v5
	v_cndmask_b32_e64 v18, v4, v5, s[4:5]
	v_mov_b32_e32 v4, 0
	s_and_saveexec_b64 s[10:11], s[18:19]
	s_cbranch_execz .LBB760_28
; %bb.25:
	global_load_ubyte v5, v[2:3], off
	v_mov_b32_e32 v15, 0
	s_waitcnt vmcnt(0)
	v_and_b32_e32 v5, 1, v5
	v_cmp_eq_u32_e64 s[4:5], 1, v5
	s_xor_b64 s[4:5], s[4:5], -1
	s_and_saveexec_b64 s[18:19], s[4:5]
	s_cbranch_execz .LBB760_27
; %bb.26:
	v_sub_f32_e32 v5, v12, v18
	s_mov_b32 s4, 0x3fb8aa3b
	v_mul_f32_e32 v12, 0x3fb8aa3b, v5
	v_fma_f32 v15, v5, s4, -v12
	v_rndne_f32_e32 v19, v12
	v_fmac_f32_e32 v15, 0x32a5705f, v5
	v_sub_f32_e32 v12, v12, v19
	v_add_f32_e32 v12, v12, v15
	v_exp_f32_e32 v12, v12
	v_cvt_i32_f32_e32 v15, v19
	s_mov_b32 s4, 0xc2ce8ed0
	v_cmp_ngt_f32_e64 s[4:5], s4, v5
	v_ldexp_f32 v12, v12, v15
	v_cndmask_b32_e64 v12, 0, v12, s[4:5]
	s_mov_b32 s4, 0x42b17218
	v_mov_b32_e32 v15, 0x7f800000
	v_cmp_nlt_f32_e64 s[4:5], s4, v5
	v_cndmask_b32_e64 v15, v15, v12, s[4:5]
.LBB760_27:
	s_or_b64 exec, exec, s[18:19]
.LBB760_28:
	s_or_b64 exec, exec, s[10:11]
	v_mov_b32_e32 v12, v15
	s_and_saveexec_b64 s[10:11], s[16:17]
	s_cbranch_execz .LBB760_32
; %bb.29:
	global_load_ubyte v5, v[2:3], off offset:64
	v_mov_b32_e32 v4, 0
	v_mov_b32_e32 v12, v15
	s_waitcnt vmcnt(0)
	v_and_b32_e32 v5, 1, v5
	v_cmp_eq_u32_e64 s[4:5], 1, v5
	s_xor_b64 s[4:5], s[4:5], -1
	s_and_saveexec_b64 s[16:17], s[4:5]
	s_cbranch_execz .LBB760_31
; %bb.30:
	v_sub_f32_e32 v4, v11, v18
	s_mov_b32 s4, 0x3fb8aa3b
	v_mul_f32_e32 v5, 0x3fb8aa3b, v4
	v_fma_f32 v11, v4, s4, -v5
	v_rndne_f32_e32 v12, v5
	v_fmac_f32_e32 v11, 0x32a5705f, v4
	v_sub_f32_e32 v5, v5, v12
	v_add_f32_e32 v5, v5, v11
	v_exp_f32_e32 v5, v5
	v_cvt_i32_f32_e32 v11, v12
	s_mov_b32 s4, 0xc2ce8ed0
	v_cmp_ngt_f32_e64 s[4:5], s4, v4
	v_ldexp_f32 v5, v5, v11
	v_cndmask_b32_e64 v5, 0, v5, s[4:5]
	s_mov_b32 s4, 0x42b17218
	v_mov_b32_e32 v11, 0x7f800000
	v_cmp_nlt_f32_e64 s[4:5], s4, v4
	v_cndmask_b32_e64 v4, v11, v5, s[4:5]
	v_add_f32_e32 v12, v15, v4
.LBB760_31:
	s_or_b64 exec, exec, s[16:17]
.LBB760_32:
	s_or_b64 exec, exec, s[10:11]
	v_mov_b32_e32 v5, 0
	v_mov_b32_e32 v11, 0
	s_and_saveexec_b64 s[10:11], s[14:15]
	s_cbranch_execz .LBB760_36
; %bb.33:
	global_load_ubyte v11, v[2:3], off offset:128
	s_waitcnt vmcnt(0)
	v_and_b32_e32 v11, 1, v11
	v_cmp_eq_u32_e64 s[4:5], 1, v11
	s_xor_b64 s[4:5], s[4:5], -1
	v_mov_b32_e32 v11, 0
	s_and_saveexec_b64 s[14:15], s[4:5]
	s_cbranch_execz .LBB760_35
; %bb.34:
	v_sub_f32_e32 v10, v10, v18
	s_mov_b32 s4, 0x3fb8aa3b
	v_mul_f32_e32 v11, 0x3fb8aa3b, v10
	v_fma_f32 v19, v10, s4, -v11
	v_rndne_f32_e32 v20, v11
	v_fmac_f32_e32 v19, 0x32a5705f, v10
	v_sub_f32_e32 v11, v11, v20
	v_add_f32_e32 v11, v11, v19
	v_exp_f32_e32 v11, v11
	v_cvt_i32_f32_e32 v19, v20
	s_mov_b32 s4, 0xc2ce8ed0
	v_cmp_ngt_f32_e64 s[4:5], s4, v10
	v_ldexp_f32 v11, v11, v19
	v_cndmask_b32_e64 v11, 0, v11, s[4:5]
	s_mov_b32 s4, 0x42b17218
	v_mov_b32_e32 v19, 0x7f800000
	v_cmp_nlt_f32_e64 s[4:5], s4, v10
	v_cndmask_b32_e64 v11, v19, v11, s[4:5]
	v_add_f32_e32 v12, v12, v11
.LBB760_35:
	s_or_b64 exec, exec, s[14:15]
.LBB760_36:
	s_or_b64 exec, exec, s[10:11]
	s_and_saveexec_b64 s[10:11], s[6:7]
	s_cbranch_execz .LBB760_40
; %bb.37:
	global_load_ubyte v2, v[2:3], off offset:192
	v_mov_b32_e32 v5, 0
	s_waitcnt vmcnt(0)
	v_and_b32_e32 v2, 1, v2
	v_cmp_eq_u32_e64 s[4:5], 1, v2
	s_xor_b64 s[4:5], s[4:5], -1
	s_and_saveexec_b64 s[6:7], s[4:5]
	s_cbranch_execz .LBB760_39
; %bb.38:
	v_sub_f32_e32 v2, v9, v18
	s_mov_b32 s4, 0x3fb8aa3b
	v_mul_f32_e32 v3, 0x3fb8aa3b, v2
	v_fma_f32 v5, v2, s4, -v3
	v_rndne_f32_e32 v9, v3
	v_fmac_f32_e32 v5, 0x32a5705f, v2
	v_sub_f32_e32 v3, v3, v9
	v_add_f32_e32 v3, v3, v5
	v_exp_f32_e32 v3, v3
	v_cvt_i32_f32_e32 v5, v9
	s_mov_b32 s4, 0xc2ce8ed0
	v_cmp_ngt_f32_e64 s[4:5], s4, v2
	v_ldexp_f32 v3, v3, v5
	v_cndmask_b32_e64 v3, 0, v3, s[4:5]
	s_mov_b32 s4, 0x42b17218
	v_mov_b32_e32 v5, 0x7f800000
	v_cmp_nlt_f32_e64 s[4:5], s4, v2
	v_cndmask_b32_e64 v5, v5, v3, s[4:5]
	v_add_f32_e32 v12, v12, v5
.LBB760_39:
	s_or_b64 exec, exec, s[6:7]
.LBB760_40:
	s_or_b64 exec, exec, s[10:11]
	ds_bpermute_b32 v2, v6, v12
	v_cmp_lt_i32_e64 s[4:5], 0, v8
	s_waitcnt lgkmcnt(0)
	v_add_f32_e32 v2, v12, v2
	ds_bpermute_b32 v3, v7, v2
	s_waitcnt lgkmcnt(0)
	v_add_f32_e32 v2, v2, v3
	ds_bpermute_b32 v3, v13, v2
	;; [unrolled: 3-line block ×5, first 2 shown]
	s_and_saveexec_b64 s[6:7], s[4:5]
	s_cbranch_execz .LBB760_54
; %bb.41:
	s_and_b64 exec, exec, vcc
	s_cbranch_execz .LBB760_54
; %bb.42:
	s_waitcnt lgkmcnt(0)
	v_add_f32_e32 v2, v2, v3
	v_cmp_neq_f32_e64 s[6:7], 0, v2
	v_mov_b32_e32 v3, 0x7fc0
	s_and_saveexec_b64 s[4:5], s[6:7]
	s_cbranch_execz .LBB760_44
; %bb.43:
	v_div_scale_f32 v3, s[10:11], v2, v2, v15
	v_rcp_f32_e32 v6, v3
	v_div_scale_f32 v7, vcc, v15, v2, v15
	s_movk_i32 s10, 0x7fff
	v_fma_f32 v8, -v3, v6, 1.0
	v_fmac_f32_e32 v6, v8, v6
	v_mul_f32_e32 v8, v7, v6
	v_fma_f32 v9, -v3, v8, v7
	v_fmac_f32_e32 v8, v9, v6
	v_fma_f32 v3, -v3, v8, v7
	v_div_fmas_f32 v3, v3, v6, v8
	v_div_fixup_f32 v3, v3, v2, v15
	v_bfe_u32 v6, v3, 16, 1
	v_add3_u32 v6, v3, v6, s10
	v_lshrrev_b32_e32 v6, 16, v6
	v_mov_b32_e32 v7, 0x7fc0
	v_cmp_o_f32_e32 vcc, v3, v3
	v_cndmask_b32_e32 v3, v7, v6, vcc
.LBB760_44:
	s_or_b64 exec, exec, s[4:5]
	v_mov_b32_e32 v6, s13
	v_add_co_u32_e32 v0, vcc, s12, v0
	v_addc_co_u32_e32 v1, vcc, v6, v1, vcc
	global_store_short v[0:1], v3, off
	s_and_b64 exec, exec, s[8:9]
	s_cbranch_execz .LBB760_54
; %bb.45:
	v_mov_b32_e32 v3, 0x7fc0
	s_and_saveexec_b64 s[4:5], s[6:7]
	s_cbranch_execz .LBB760_47
; %bb.46:
	v_div_scale_f32 v3, s[8:9], v2, v2, v4
	v_rcp_f32_e32 v6, v3
	v_div_scale_f32 v7, vcc, v4, v2, v4
	s_movk_i32 s8, 0x7fff
	v_fma_f32 v8, -v3, v6, 1.0
	v_fmac_f32_e32 v6, v8, v6
	v_mul_f32_e32 v8, v7, v6
	v_fma_f32 v9, -v3, v8, v7
	v_fmac_f32_e32 v8, v9, v6
	v_fma_f32 v3, -v3, v8, v7
	v_div_fmas_f32 v3, v3, v6, v8
	v_div_fixup_f32 v3, v3, v2, v4
	v_bfe_u32 v4, v3, 16, 1
	v_add3_u32 v4, v3, v4, s8
	v_lshrrev_b32_e32 v4, 16, v4
	v_mov_b32_e32 v6, 0x7fc0
	v_cmp_o_f32_e32 vcc, v3, v3
	v_cndmask_b32_e32 v3, v6, v4, vcc
.LBB760_47:
	s_or_b64 exec, exec, s[4:5]
	global_store_short v[0:1], v3, off offset:128
	s_and_b64 exec, exec, s[2:3]
	s_cbranch_execz .LBB760_54
; %bb.48:
	v_mov_b32_e32 v3, 0x7fc0
	s_and_saveexec_b64 s[2:3], s[6:7]
	s_cbranch_execz .LBB760_50
; %bb.49:
	v_div_scale_f32 v3, s[4:5], v2, v2, v11
	v_rcp_f32_e32 v4, v3
	v_div_scale_f32 v6, vcc, v11, v2, v11
	s_movk_i32 s4, 0x7fff
	v_fma_f32 v7, -v3, v4, 1.0
	v_fmac_f32_e32 v4, v7, v4
	v_mul_f32_e32 v7, v6, v4
	v_fma_f32 v8, -v3, v7, v6
	v_fmac_f32_e32 v7, v8, v4
	v_fma_f32 v3, -v3, v7, v6
	v_div_fmas_f32 v3, v3, v4, v7
	v_div_fixup_f32 v3, v3, v2, v11
	v_bfe_u32 v4, v3, 16, 1
	v_add3_u32 v4, v3, v4, s4
	v_lshrrev_b32_e32 v4, 16, v4
	v_mov_b32_e32 v6, 0x7fc0
	v_cmp_o_f32_e32 vcc, v3, v3
	v_cndmask_b32_e32 v3, v6, v4, vcc
.LBB760_50:
	s_or_b64 exec, exec, s[2:3]
	global_store_short v[0:1], v3, off offset:256
	;; [unrolled: 28-line block ×3, first 2 shown]
.LBB760_54:
	s_endpgm
	.section	.rodata,"a",@progbits
	.p2align	6, 0x0
	.amdhsa_kernel _ZN12_GLOBAL__N_120softmax_warp_forwardIN3c108BFloat16ES2_fLi8ELb0ELb1ELi64EEEvPT0_PKT_iiiPKbib
		.amdhsa_group_segment_fixed_size 0
		.amdhsa_private_segment_fixed_size 0
		.amdhsa_kernarg_size 304
		.amdhsa_user_sgpr_count 6
		.amdhsa_user_sgpr_private_segment_buffer 1
		.amdhsa_user_sgpr_dispatch_ptr 0
		.amdhsa_user_sgpr_queue_ptr 0
		.amdhsa_user_sgpr_kernarg_segment_ptr 1
		.amdhsa_user_sgpr_dispatch_id 0
		.amdhsa_user_sgpr_flat_scratch_init 0
		.amdhsa_user_sgpr_kernarg_preload_length 0
		.amdhsa_user_sgpr_kernarg_preload_offset 0
		.amdhsa_user_sgpr_private_segment_size 0
		.amdhsa_uses_dynamic_stack 0
		.amdhsa_system_sgpr_private_segment_wavefront_offset 0
		.amdhsa_system_sgpr_workgroup_id_x 1
		.amdhsa_system_sgpr_workgroup_id_y 0
		.amdhsa_system_sgpr_workgroup_id_z 0
		.amdhsa_system_sgpr_workgroup_info 0
		.amdhsa_system_vgpr_workitem_id 1
		.amdhsa_next_free_vgpr 21
		.amdhsa_next_free_sgpr 26
		.amdhsa_accum_offset 24
		.amdhsa_reserve_vcc 1
		.amdhsa_reserve_flat_scratch 0
		.amdhsa_float_round_mode_32 0
		.amdhsa_float_round_mode_16_64 0
		.amdhsa_float_denorm_mode_32 3
		.amdhsa_float_denorm_mode_16_64 3
		.amdhsa_dx10_clamp 1
		.amdhsa_ieee_mode 1
		.amdhsa_fp16_overflow 0
		.amdhsa_tg_split 0
		.amdhsa_exception_fp_ieee_invalid_op 0
		.amdhsa_exception_fp_denorm_src 0
		.amdhsa_exception_fp_ieee_div_zero 0
		.amdhsa_exception_fp_ieee_overflow 0
		.amdhsa_exception_fp_ieee_underflow 0
		.amdhsa_exception_fp_ieee_inexact 0
		.amdhsa_exception_int_div_zero 0
	.end_amdhsa_kernel
	.section	.text._ZN12_GLOBAL__N_120softmax_warp_forwardIN3c108BFloat16ES2_fLi8ELb0ELb1ELi64EEEvPT0_PKT_iiiPKbib,"axG",@progbits,_ZN12_GLOBAL__N_120softmax_warp_forwardIN3c108BFloat16ES2_fLi8ELb0ELb1ELi64EEEvPT0_PKT_iiiPKbib,comdat
.Lfunc_end760:
	.size	_ZN12_GLOBAL__N_120softmax_warp_forwardIN3c108BFloat16ES2_fLi8ELb0ELb1ELi64EEEvPT0_PKT_iiiPKbib, .Lfunc_end760-_ZN12_GLOBAL__N_120softmax_warp_forwardIN3c108BFloat16ES2_fLi8ELb0ELb1ELi64EEEvPT0_PKT_iiiPKbib
                                        ; -- End function
	.section	.AMDGPU.csdata,"",@progbits
; Kernel info:
; codeLenInByte = 2692
; NumSgprs: 30
; NumVgprs: 21
; NumAgprs: 0
; TotalNumVgprs: 21
; ScratchSize: 0
; MemoryBound: 0
; FloatMode: 240
; IeeeMode: 1
; LDSByteSize: 0 bytes/workgroup (compile time only)
; SGPRBlocks: 3
; VGPRBlocks: 2
; NumSGPRsForWavesPerEU: 30
; NumVGPRsForWavesPerEU: 21
; AccumOffset: 24
; Occupancy: 8
; WaveLimiterHint : 0
; COMPUTE_PGM_RSRC2:SCRATCH_EN: 0
; COMPUTE_PGM_RSRC2:USER_SGPR: 6
; COMPUTE_PGM_RSRC2:TRAP_HANDLER: 0
; COMPUTE_PGM_RSRC2:TGID_X_EN: 1
; COMPUTE_PGM_RSRC2:TGID_Y_EN: 0
; COMPUTE_PGM_RSRC2:TGID_Z_EN: 0
; COMPUTE_PGM_RSRC2:TIDIG_COMP_CNT: 1
; COMPUTE_PGM_RSRC3_GFX90A:ACCUM_OFFSET: 5
; COMPUTE_PGM_RSRC3_GFX90A:TG_SPLIT: 0
	.section	.text._ZN12_GLOBAL__N_120softmax_warp_forwardIN3c108BFloat16ES2_fLi8ELb0ELb1ELi32EEEvPT0_PKT_iiiPKbib,"axG",@progbits,_ZN12_GLOBAL__N_120softmax_warp_forwardIN3c108BFloat16ES2_fLi8ELb0ELb1ELi32EEEvPT0_PKT_iiiPKbib,comdat
	.globl	_ZN12_GLOBAL__N_120softmax_warp_forwardIN3c108BFloat16ES2_fLi8ELb0ELb1ELi32EEEvPT0_PKT_iiiPKbib ; -- Begin function _ZN12_GLOBAL__N_120softmax_warp_forwardIN3c108BFloat16ES2_fLi8ELb0ELb1ELi32EEEvPT0_PKT_iiiPKbib
	.p2align	8
	.type	_ZN12_GLOBAL__N_120softmax_warp_forwardIN3c108BFloat16ES2_fLi8ELb0ELb1ELi32EEEvPT0_PKT_iiiPKbib,@function
_ZN12_GLOBAL__N_120softmax_warp_forwardIN3c108BFloat16ES2_fLi8ELb0ELb1ELi32EEEvPT0_PKT_iiiPKbib: ; @_ZN12_GLOBAL__N_120softmax_warp_forwardIN3c108BFloat16ES2_fLi8ELb0ELb1ELi32EEEvPT0_PKT_iiiPKbib
; %bb.0:
	s_load_dword s2, s[4:5], 0x3c
	s_load_dwordx4 s[16:19], s[4:5], 0x10
	s_load_dwordx2 s[0:1], s[4:5], 0x28
	v_bfe_u32 v1, v0, 10, 10
	v_and_b32_e32 v2, 0x3ff, v0
	s_waitcnt lgkmcnt(0)
	s_lshr_b32 s2, s2, 16
	s_mul_i32 s6, s6, s2
	v_add_u32_e32 v3, s6, v1
	v_mul_lo_u32 v6, v3, s17
	v_add_u32_e32 v0, v6, v2
	v_ashrrev_i32_e32 v1, 31, v0
	s_bitcmp0_b32 s1, 0
	v_pk_mov_b32 v[4:5], v[0:1], v[0:1] op_sel:[0,1]
	s_cbranch_scc1 .LBB761_2
; %bb.1:
	s_abs_i32 s1, s0
	v_cvt_f32_u32_e32 v4, s1
	v_xor_b32_e32 v5, s0, v6
	v_sub_u32_e32 v7, 0, v6
	s_sub_i32 s0, 0, s1
	v_rcp_iflag_f32_e32 v4, v4
	v_max_i32_e32 v6, v6, v7
	v_ashrrev_i32_e32 v5, 31, v5
	v_mul_f32_e32 v4, 0x4f7ffffe, v4
	v_cvt_u32_f32_e32 v4, v4
	v_mul_lo_u32 v7, s0, v4
	v_mul_hi_u32 v7, v4, v7
	v_add_u32_e32 v4, v4, v7
	v_mul_hi_u32 v4, v6, v4
	v_mul_lo_u32 v7, v4, s1
	v_sub_u32_e32 v6, v6, v7
	v_add_u32_e32 v8, 1, v4
	v_cmp_le_u32_e32 vcc, s1, v6
	v_subrev_u32_e32 v7, s1, v6
	v_cndmask_b32_e32 v4, v4, v8, vcc
	v_cndmask_b32_e32 v6, v6, v7, vcc
	v_add_u32_e32 v7, 1, v4
	v_cmp_le_u32_e32 vcc, s1, v6
	v_cndmask_b32_e32 v4, v4, v7, vcc
	v_xor_b32_e32 v4, v4, v5
	v_sub_u32_e32 v4, v4, v5
	v_mad_u64_u32 v[4:5], s[0:1], v4, s17, v[2:3]
	v_ashrrev_i32_e32 v5, 31, v4
.LBB761_2:
	s_load_dwordx4 s[20:23], s[4:5], 0x0
	v_lshlrev_b64 v[0:1], 1, v[0:1]
	v_sub_u32_e32 v8, s16, v3
	v_cmp_lt_i32_e64 s[14:15], 0, v8
	v_mov_b32_e32 v15, 0xff800000
	s_waitcnt lgkmcnt(0)
	v_mov_b32_e32 v3, s23
	v_add_co_u32_e32 v6, vcc, s22, v0
	v_addc_co_u32_e32 v7, vcc, v3, v1, vcc
	v_cmp_gt_i32_e32 vcc, s18, v2
	s_and_b64 s[36:37], s[14:15], vcc
	v_mov_b32_e32 v16, 0xff800000
	s_and_saveexec_b64 s[0:1], s[36:37]
	s_cbranch_execz .LBB761_4
; %bb.3:
	global_load_ushort v3, v[6:7], off
	s_waitcnt vmcnt(0)
	v_lshlrev_b32_e32 v16, 16, v3
.LBB761_4:
	s_or_b64 exec, exec, s[0:1]
	v_add_u32_e32 v3, 32, v2
	v_cmp_gt_i32_e64 s[12:13], s18, v3
	s_and_b64 s[34:35], s[14:15], s[12:13]
	s_and_saveexec_b64 s[0:1], s[34:35]
	s_cbranch_execz .LBB761_6
; %bb.5:
	global_load_ushort v3, v[6:7], off offset:64
	s_waitcnt vmcnt(0)
	v_lshlrev_b32_e32 v15, 16, v3
.LBB761_6:
	s_or_b64 exec, exec, s[0:1]
	v_add_u32_e32 v3, 64, v2
	v_cmp_gt_i32_e64 s[10:11], s18, v3
	s_and_b64 s[30:31], s[14:15], s[10:11]
	v_mov_b32_e32 v13, 0xff800000
	v_mov_b32_e32 v14, 0xff800000
	s_and_saveexec_b64 s[0:1], s[30:31]
	s_cbranch_execz .LBB761_8
; %bb.7:
	global_load_ushort v3, v[6:7], off offset:128
	s_waitcnt vmcnt(0)
	v_lshlrev_b32_e32 v14, 16, v3
.LBB761_8:
	s_or_b64 exec, exec, s[0:1]
	v_add_u32_e32 v3, 0x60, v2
	v_cmp_gt_i32_e64 s[8:9], s18, v3
	s_and_b64 s[28:29], s[14:15], s[8:9]
	s_and_saveexec_b64 s[0:1], s[28:29]
	s_cbranch_execz .LBB761_10
; %bb.9:
	global_load_ushort v3, v[6:7], off offset:192
	s_waitcnt vmcnt(0)
	v_lshlrev_b32_e32 v13, 16, v3
.LBB761_10:
	s_or_b64 exec, exec, s[0:1]
	v_add_u32_e32 v3, 0x80, v2
	v_cmp_gt_i32_e64 s[6:7], s18, v3
	s_and_b64 s[26:27], s[14:15], s[6:7]
	v_mov_b32_e32 v11, 0xff800000
	v_mov_b32_e32 v12, 0xff800000
	s_and_saveexec_b64 s[0:1], s[26:27]
	s_cbranch_execz .LBB761_12
; %bb.11:
	global_load_ushort v3, v[6:7], off offset:256
	s_waitcnt vmcnt(0)
	v_lshlrev_b32_e32 v12, 16, v3
.LBB761_12:
	s_or_b64 exec, exec, s[0:1]
	v_add_u32_e32 v3, 0xa0, v2
	v_cmp_gt_i32_e64 s[16:17], s18, v3
	s_and_b64 s[24:25], s[14:15], s[16:17]
	s_and_saveexec_b64 s[0:1], s[24:25]
	s_cbranch_execz .LBB761_14
; %bb.13:
	global_load_ushort v3, v[6:7], off offset:320
	s_waitcnt vmcnt(0)
	v_lshlrev_b32_e32 v11, 16, v3
.LBB761_14:
	s_or_b64 exec, exec, s[0:1]
	v_add_u32_e32 v3, 0xc0, v2
	v_cmp_gt_i32_e64 s[2:3], s18, v3
	s_and_b64 s[22:23], s[14:15], s[2:3]
	v_mov_b32_e32 v9, 0xff800000
	v_mov_b32_e32 v10, 0xff800000
	s_and_saveexec_b64 s[0:1], s[22:23]
	s_cbranch_execz .LBB761_16
; %bb.15:
	global_load_ushort v3, v[6:7], off offset:384
	s_waitcnt vmcnt(0)
	v_lshlrev_b32_e32 v10, 16, v3
.LBB761_16:
	s_or_b64 exec, exec, s[0:1]
	v_add_u32_e32 v2, 0xe0, v2
	v_cmp_gt_i32_e64 s[0:1], s18, v2
	s_and_b64 s[14:15], s[14:15], s[0:1]
	s_and_saveexec_b64 s[18:19], s[14:15]
	s_cbranch_execz .LBB761_18
; %bb.17:
	global_load_ushort v2, v[6:7], off offset:448
	s_waitcnt vmcnt(0)
	v_lshlrev_b32_e32 v9, 16, v2
.LBB761_18:
	s_or_b64 exec, exec, s[18:19]
	s_load_dwordx2 s[4:5], s[4:5], 0x20
	s_mov_b64 s[18:19], 0
	s_waitcnt lgkmcnt(0)
	v_mov_b32_e32 v3, s5
	v_add_co_u32_e64 v2, s[4:5], s4, v4
	v_addc_co_u32_e64 v3, s[4:5], v3, v5, s[4:5]
	s_and_saveexec_b64 s[38:39], s[36:37]
	s_cbranch_execnz .LBB761_26
; %bb.19:
	s_or_b64 exec, exec, s[38:39]
	v_mov_b32_e32 v4, v16
	s_and_saveexec_b64 s[38:39], s[34:35]
	s_cbranch_execnz .LBB761_27
.LBB761_20:
	s_or_b64 exec, exec, s[38:39]
	s_and_saveexec_b64 s[38:39], s[30:31]
	s_cbranch_execnz .LBB761_30
.LBB761_21:
	s_or_b64 exec, exec, s[38:39]
	s_and_saveexec_b64 s[38:39], s[28:29]
	s_cbranch_execnz .LBB761_33
.LBB761_22:
	s_or_b64 exec, exec, s[38:39]
	s_and_saveexec_b64 s[38:39], s[26:27]
	s_cbranch_execnz .LBB761_36
.LBB761_23:
	s_or_b64 exec, exec, s[38:39]
	s_and_saveexec_b64 s[38:39], s[24:25]
	s_cbranch_execnz .LBB761_39
.LBB761_24:
	s_or_b64 exec, exec, s[38:39]
	s_and_saveexec_b64 s[38:39], s[22:23]
	s_cbranch_execnz .LBB761_42
.LBB761_25:
	s_or_b64 exec, exec, s[38:39]
	s_and_saveexec_b64 s[38:39], s[14:15]
	s_cbranch_execnz .LBB761_45
	s_branch .LBB761_48
.LBB761_26:
	global_load_ubyte v4, v[2:3], off
	s_waitcnt vmcnt(0)
	v_and_b32_e32 v4, 1, v4
	v_cmp_eq_u32_e64 s[4:5], 1, v4
	s_xor_b64 s[4:5], s[4:5], -1
	s_and_b64 s[18:19], s[4:5], exec
	s_or_b64 exec, exec, s[38:39]
	v_mov_b32_e32 v4, v16
	s_and_saveexec_b64 s[38:39], s[34:35]
	s_cbranch_execz .LBB761_20
.LBB761_27:
	global_load_ubyte v4, v[2:3], off offset:32
	s_mov_b64 s[40:41], s[18:19]
	s_waitcnt vmcnt(0)
	v_and_b32_e32 v4, 1, v4
	v_cmp_eq_u32_e64 s[4:5], 1, v4
	s_xor_b64 s[4:5], s[4:5], -1
	v_mov_b32_e32 v4, v16
	s_and_saveexec_b64 s[42:43], s[4:5]
; %bb.28:
	v_cmp_gt_f32_e64 s[4:5], v16, v15
	s_and_b64 s[4:5], s[18:19], s[4:5]
	v_cndmask_b32_e64 v4, v15, v16, s[4:5]
	s_or_b64 s[40:41], s[18:19], exec
; %bb.29:
	s_or_b64 exec, exec, s[42:43]
	s_andn2_b64 s[4:5], s[18:19], exec
	s_and_b64 s[18:19], s[40:41], exec
	s_or_b64 s[18:19], s[4:5], s[18:19]
	s_or_b64 exec, exec, s[38:39]
	s_and_saveexec_b64 s[38:39], s[30:31]
	s_cbranch_execz .LBB761_21
.LBB761_30:
	global_load_ubyte v5, v[2:3], off offset:64
	s_waitcnt vmcnt(0)
	v_and_b32_e32 v5, 1, v5
	v_cmp_eq_u32_e64 s[4:5], 1, v5
	s_xor_b64 s[42:43], s[4:5], -1
	s_mov_b64 s[4:5], s[18:19]
	s_and_saveexec_b64 s[40:41], s[42:43]
; %bb.31:
	v_cmp_gt_f32_e64 s[4:5], v4, v14
	s_and_b64 s[4:5], s[18:19], s[4:5]
	v_cndmask_b32_e64 v4, v14, v4, s[4:5]
	s_or_b64 s[4:5], s[18:19], exec
; %bb.32:
	s_or_b64 exec, exec, s[40:41]
	s_andn2_b64 s[18:19], s[18:19], exec
	s_and_b64 s[4:5], s[4:5], exec
	s_or_b64 s[18:19], s[18:19], s[4:5]
	s_or_b64 exec, exec, s[38:39]
	s_and_saveexec_b64 s[38:39], s[28:29]
	s_cbranch_execz .LBB761_22
.LBB761_33:
	global_load_ubyte v5, v[2:3], off offset:96
	s_waitcnt vmcnt(0)
	v_and_b32_e32 v5, 1, v5
	v_cmp_eq_u32_e64 s[4:5], 1, v5
	s_xor_b64 s[42:43], s[4:5], -1
	s_mov_b64 s[4:5], s[18:19]
	s_and_saveexec_b64 s[40:41], s[42:43]
; %bb.34:
	v_cmp_gt_f32_e64 s[4:5], v4, v13
	s_and_b64 s[4:5], s[18:19], s[4:5]
	v_cndmask_b32_e64 v4, v13, v4, s[4:5]
	s_or_b64 s[4:5], s[18:19], exec
; %bb.35:
	s_or_b64 exec, exec, s[40:41]
	s_andn2_b64 s[18:19], s[18:19], exec
	s_and_b64 s[4:5], s[4:5], exec
	s_or_b64 s[18:19], s[18:19], s[4:5]
	s_or_b64 exec, exec, s[38:39]
	s_and_saveexec_b64 s[38:39], s[26:27]
	s_cbranch_execz .LBB761_23
.LBB761_36:
	global_load_ubyte v5, v[2:3], off offset:128
	s_waitcnt vmcnt(0)
	v_and_b32_e32 v5, 1, v5
	v_cmp_eq_u32_e64 s[4:5], 1, v5
	s_xor_b64 s[42:43], s[4:5], -1
	s_mov_b64 s[4:5], s[18:19]
	s_and_saveexec_b64 s[40:41], s[42:43]
; %bb.37:
	v_cmp_gt_f32_e64 s[4:5], v4, v12
	s_and_b64 s[4:5], s[18:19], s[4:5]
	v_cndmask_b32_e64 v4, v12, v4, s[4:5]
	s_or_b64 s[4:5], s[18:19], exec
; %bb.38:
	s_or_b64 exec, exec, s[40:41]
	s_andn2_b64 s[18:19], s[18:19], exec
	s_and_b64 s[4:5], s[4:5], exec
	s_or_b64 s[18:19], s[18:19], s[4:5]
	s_or_b64 exec, exec, s[38:39]
	s_and_saveexec_b64 s[38:39], s[24:25]
	s_cbranch_execz .LBB761_24
.LBB761_39:
	global_load_ubyte v5, v[2:3], off offset:160
	s_waitcnt vmcnt(0)
	v_and_b32_e32 v5, 1, v5
	v_cmp_eq_u32_e64 s[4:5], 1, v5
	s_xor_b64 s[42:43], s[4:5], -1
	s_mov_b64 s[4:5], s[18:19]
	s_and_saveexec_b64 s[40:41], s[42:43]
; %bb.40:
	v_cmp_gt_f32_e64 s[4:5], v4, v11
	s_and_b64 s[4:5], s[18:19], s[4:5]
	v_cndmask_b32_e64 v4, v11, v4, s[4:5]
	s_or_b64 s[4:5], s[18:19], exec
; %bb.41:
	s_or_b64 exec, exec, s[40:41]
	s_andn2_b64 s[18:19], s[18:19], exec
	s_and_b64 s[4:5], s[4:5], exec
	s_or_b64 s[18:19], s[18:19], s[4:5]
	s_or_b64 exec, exec, s[38:39]
	s_and_saveexec_b64 s[38:39], s[22:23]
	s_cbranch_execz .LBB761_25
.LBB761_42:
	global_load_ubyte v5, v[2:3], off offset:192
	s_waitcnt vmcnt(0)
	v_and_b32_e32 v5, 1, v5
	v_cmp_eq_u32_e64 s[4:5], 1, v5
	s_xor_b64 s[42:43], s[4:5], -1
	s_mov_b64 s[4:5], s[18:19]
	s_and_saveexec_b64 s[40:41], s[42:43]
; %bb.43:
	v_cmp_gt_f32_e64 s[4:5], v4, v10
	s_and_b64 s[4:5], s[18:19], s[4:5]
	v_cndmask_b32_e64 v4, v10, v4, s[4:5]
	s_or_b64 s[4:5], s[18:19], exec
; %bb.44:
	s_or_b64 exec, exec, s[40:41]
	s_andn2_b64 s[18:19], s[18:19], exec
	s_and_b64 s[4:5], s[4:5], exec
	s_or_b64 s[18:19], s[18:19], s[4:5]
	s_or_b64 exec, exec, s[38:39]
	s_and_saveexec_b64 s[38:39], s[14:15]
	s_cbranch_execz .LBB761_48
.LBB761_45:
	global_load_ubyte v5, v[2:3], off offset:224
	s_waitcnt vmcnt(0)
	v_and_b32_e32 v5, 1, v5
	v_cmp_eq_u32_e64 s[4:5], 1, v5
	s_xor_b64 s[42:43], s[4:5], -1
	s_mov_b64 s[4:5], s[18:19]
	s_and_saveexec_b64 s[40:41], s[42:43]
; %bb.46:
	v_cmp_gt_f32_e64 s[4:5], v4, v9
	s_and_b64 s[4:5], s[18:19], s[4:5]
	v_cndmask_b32_e64 v4, v9, v4, s[4:5]
	s_or_b64 s[4:5], s[18:19], exec
; %bb.47:
	s_or_b64 exec, exec, s[40:41]
	s_andn2_b64 s[18:19], s[18:19], exec
	s_and_b64 s[4:5], s[4:5], exec
	s_or_b64 s[18:19], s[18:19], s[4:5]
.LBB761_48:
	s_or_b64 exec, exec, s[38:39]
	v_mov_b32_e32 v5, 0xff800000
	v_cndmask_b32_e64 v4, v5, v4, s[18:19]
	v_mbcnt_lo_u32_b32 v5, -1, 0
	v_mbcnt_hi_u32_b32 v5, -1, v5
	v_and_b32_e32 v6, 0x60, v5
	v_add_u32_e32 v6, 32, v6
	v_xor_b32_e32 v7, 16, v5
	v_cmp_lt_i32_e64 s[4:5], v7, v6
	v_cndmask_b32_e64 v7, v5, v7, s[4:5]
	v_lshlrev_b32_e32 v7, 2, v7
	ds_bpermute_b32 v17, v7, v4
	s_waitcnt lgkmcnt(0)
	v_cmp_lt_f32_e64 s[4:5], v4, v17
	v_cndmask_b32_e64 v4, v4, v17, s[4:5]
	v_xor_b32_e32 v17, 8, v5
	v_cmp_lt_i32_e64 s[4:5], v17, v6
	v_cndmask_b32_e64 v17, v5, v17, s[4:5]
	v_lshlrev_b32_e32 v17, 2, v17
	ds_bpermute_b32 v18, v17, v4
	s_waitcnt lgkmcnt(0)
	v_cmp_lt_f32_e64 s[4:5], v4, v18
	v_cndmask_b32_e64 v4, v4, v18, s[4:5]
	;; [unrolled: 8-line block ×4, first 2 shown]
	v_xor_b32_e32 v19, 1, v5
	v_cmp_lt_i32_e64 s[4:5], v19, v6
	v_cndmask_b32_e64 v5, v5, v19, s[4:5]
	v_lshlrev_b32_e32 v21, 2, v5
	ds_bpermute_b32 v5, v21, v4
	v_mov_b32_e32 v19, 0
	s_waitcnt lgkmcnt(0)
	v_cmp_lt_f32_e64 s[4:5], v4, v5
	v_cndmask_b32_e64 v22, v4, v5, s[4:5]
	v_mov_b32_e32 v4, 0
	s_and_saveexec_b64 s[18:19], s[36:37]
	s_cbranch_execz .LBB761_52
; %bb.49:
	global_load_ubyte v5, v[2:3], off
	v_mov_b32_e32 v19, 0
	s_waitcnt vmcnt(0)
	v_and_b32_e32 v5, 1, v5
	v_cmp_eq_u32_e64 s[4:5], 1, v5
	s_xor_b64 s[4:5], s[4:5], -1
	s_and_saveexec_b64 s[36:37], s[4:5]
	s_cbranch_execz .LBB761_51
; %bb.50:
	v_sub_f32_e32 v5, v16, v22
	s_mov_b32 s4, 0x3fb8aa3b
	v_mul_f32_e32 v6, 0x3fb8aa3b, v5
	v_fma_f32 v16, v5, s4, -v6
	v_rndne_f32_e32 v19, v6
	v_fmac_f32_e32 v16, 0x32a5705f, v5
	v_sub_f32_e32 v6, v6, v19
	v_add_f32_e32 v6, v6, v16
	v_exp_f32_e32 v6, v6
	v_cvt_i32_f32_e32 v16, v19
	s_mov_b32 s4, 0xc2ce8ed0
	v_cmp_ngt_f32_e64 s[4:5], s4, v5
	v_ldexp_f32 v6, v6, v16
	v_cndmask_b32_e64 v6, 0, v6, s[4:5]
	s_mov_b32 s4, 0x42b17218
	v_mov_b32_e32 v16, 0x7f800000
	v_cmp_nlt_f32_e64 s[4:5], s4, v5
	v_cndmask_b32_e64 v19, v16, v6, s[4:5]
.LBB761_51:
	s_or_b64 exec, exec, s[36:37]
.LBB761_52:
	s_or_b64 exec, exec, s[18:19]
	v_mov_b32_e32 v16, v19
	s_and_saveexec_b64 s[18:19], s[34:35]
	s_cbranch_execz .LBB761_56
; %bb.53:
	global_load_ubyte v5, v[2:3], off offset:32
	v_mov_b32_e32 v4, 0
	v_mov_b32_e32 v16, v19
	s_waitcnt vmcnt(0)
	v_and_b32_e32 v5, 1, v5
	v_cmp_eq_u32_e64 s[4:5], 1, v5
	s_xor_b64 s[4:5], s[4:5], -1
	s_and_saveexec_b64 s[34:35], s[4:5]
	s_cbranch_execz .LBB761_55
; %bb.54:
	v_sub_f32_e32 v4, v15, v22
	s_mov_b32 s4, 0x3fb8aa3b
	v_mul_f32_e32 v5, 0x3fb8aa3b, v4
	v_fma_f32 v6, v4, s4, -v5
	v_rndne_f32_e32 v15, v5
	v_fmac_f32_e32 v6, 0x32a5705f, v4
	v_sub_f32_e32 v5, v5, v15
	v_add_f32_e32 v5, v5, v6
	v_exp_f32_e32 v5, v5
	v_cvt_i32_f32_e32 v6, v15
	s_mov_b32 s4, 0xc2ce8ed0
	v_cmp_ngt_f32_e64 s[4:5], s4, v4
	v_ldexp_f32 v5, v5, v6
	v_cndmask_b32_e64 v5, 0, v5, s[4:5]
	s_mov_b32 s4, 0x42b17218
	v_mov_b32_e32 v6, 0x7f800000
	v_cmp_nlt_f32_e64 s[4:5], s4, v4
	v_cndmask_b32_e64 v4, v6, v5, s[4:5]
	v_add_f32_e32 v16, v19, v4
.LBB761_55:
	s_or_b64 exec, exec, s[34:35]
.LBB761_56:
	s_or_b64 exec, exec, s[18:19]
	v_mov_b32_e32 v5, 0
	v_mov_b32_e32 v15, 0
	s_and_saveexec_b64 s[18:19], s[30:31]
	s_cbranch_execz .LBB761_60
; %bb.57:
	global_load_ubyte v6, v[2:3], off offset:64
	v_mov_b32_e32 v15, 0
	s_waitcnt vmcnt(0)
	v_and_b32_e32 v6, 1, v6
	v_cmp_eq_u32_e64 s[4:5], 1, v6
	s_xor_b64 s[4:5], s[4:5], -1
	s_and_saveexec_b64 s[30:31], s[4:5]
	s_cbranch_execz .LBB761_59
; %bb.58:
	v_sub_f32_e32 v6, v14, v22
	s_mov_b32 s4, 0x3fb8aa3b
	v_mul_f32_e32 v14, 0x3fb8aa3b, v6
	v_fma_f32 v15, v6, s4, -v14
	v_rndne_f32_e32 v23, v14
	v_fmac_f32_e32 v15, 0x32a5705f, v6
	v_sub_f32_e32 v14, v14, v23
	v_add_f32_e32 v14, v14, v15
	v_exp_f32_e32 v14, v14
	v_cvt_i32_f32_e32 v15, v23
	s_mov_b32 s4, 0xc2ce8ed0
	v_cmp_ngt_f32_e64 s[4:5], s4, v6
	v_ldexp_f32 v14, v14, v15
	v_cndmask_b32_e64 v14, 0, v14, s[4:5]
	s_mov_b32 s4, 0x42b17218
	v_mov_b32_e32 v15, 0x7f800000
	v_cmp_nlt_f32_e64 s[4:5], s4, v6
	v_cndmask_b32_e64 v15, v15, v14, s[4:5]
	v_add_f32_e32 v16, v16, v15
.LBB761_59:
	s_or_b64 exec, exec, s[30:31]
.LBB761_60:
	s_or_b64 exec, exec, s[18:19]
	s_and_saveexec_b64 s[18:19], s[28:29]
	s_cbranch_execz .LBB761_64
; %bb.61:
	global_load_ubyte v5, v[2:3], off offset:96
	s_waitcnt vmcnt(0)
	v_and_b32_e32 v5, 1, v5
	v_cmp_eq_u32_e64 s[4:5], 1, v5
	s_xor_b64 s[4:5], s[4:5], -1
	v_mov_b32_e32 v5, 0
	s_and_saveexec_b64 s[28:29], s[4:5]
	s_cbranch_execz .LBB761_63
; %bb.62:
	v_sub_f32_e32 v5, v13, v22
	s_mov_b32 s4, 0x3fb8aa3b
	v_mul_f32_e32 v6, 0x3fb8aa3b, v5
	v_fma_f32 v13, v5, s4, -v6
	v_rndne_f32_e32 v14, v6
	v_fmac_f32_e32 v13, 0x32a5705f, v5
	v_sub_f32_e32 v6, v6, v14
	v_add_f32_e32 v6, v6, v13
	v_exp_f32_e32 v6, v6
	v_cvt_i32_f32_e32 v13, v14
	s_mov_b32 s4, 0xc2ce8ed0
	v_cmp_ngt_f32_e64 s[4:5], s4, v5
	v_ldexp_f32 v6, v6, v13
	v_cndmask_b32_e64 v6, 0, v6, s[4:5]
	s_mov_b32 s4, 0x42b17218
	v_mov_b32_e32 v13, 0x7f800000
	v_cmp_nlt_f32_e64 s[4:5], s4, v5
	v_cndmask_b32_e64 v5, v13, v6, s[4:5]
	v_add_f32_e32 v16, v16, v5
.LBB761_63:
	s_or_b64 exec, exec, s[28:29]
.LBB761_64:
	s_or_b64 exec, exec, s[18:19]
	v_mov_b32_e32 v6, 0
	v_mov_b32_e32 v13, 0
	s_and_saveexec_b64 s[18:19], s[26:27]
	s_cbranch_execz .LBB761_68
; %bb.65:
	global_load_ubyte v13, v[2:3], off offset:128
	s_waitcnt vmcnt(0)
	v_and_b32_e32 v13, 1, v13
	v_cmp_eq_u32_e64 s[4:5], 1, v13
	s_xor_b64 s[4:5], s[4:5], -1
	v_mov_b32_e32 v13, 0
	s_and_saveexec_b64 s[26:27], s[4:5]
	s_cbranch_execz .LBB761_67
; %bb.66:
	v_sub_f32_e32 v12, v12, v22
	s_mov_b32 s4, 0x3fb8aa3b
	v_mul_f32_e32 v13, 0x3fb8aa3b, v12
	v_fma_f32 v14, v12, s4, -v13
	v_rndne_f32_e32 v23, v13
	v_fmac_f32_e32 v14, 0x32a5705f, v12
	v_sub_f32_e32 v13, v13, v23
	v_add_f32_e32 v13, v13, v14
	v_exp_f32_e32 v13, v13
	v_cvt_i32_f32_e32 v14, v23
	s_mov_b32 s4, 0xc2ce8ed0
	v_cmp_ngt_f32_e64 s[4:5], s4, v12
	v_ldexp_f32 v13, v13, v14
	v_cndmask_b32_e64 v13, 0, v13, s[4:5]
	s_mov_b32 s4, 0x42b17218
	v_mov_b32_e32 v14, 0x7f800000
	v_cmp_nlt_f32_e64 s[4:5], s4, v12
	v_cndmask_b32_e64 v13, v14, v13, s[4:5]
	v_add_f32_e32 v16, v16, v13
.LBB761_67:
	s_or_b64 exec, exec, s[26:27]
.LBB761_68:
	s_or_b64 exec, exec, s[18:19]
	s_and_saveexec_b64 s[18:19], s[24:25]
	s_cbranch_execz .LBB761_72
; %bb.69:
	global_load_ubyte v6, v[2:3], off offset:160
	s_waitcnt vmcnt(0)
	v_and_b32_e32 v6, 1, v6
	v_cmp_eq_u32_e64 s[4:5], 1, v6
	s_xor_b64 s[4:5], s[4:5], -1
	v_mov_b32_e32 v6, 0
	s_and_saveexec_b64 s[24:25], s[4:5]
	s_cbranch_execz .LBB761_71
; %bb.70:
	v_sub_f32_e32 v6, v11, v22
	s_mov_b32 s4, 0x3fb8aa3b
	v_mul_f32_e32 v11, 0x3fb8aa3b, v6
	v_fma_f32 v12, v6, s4, -v11
	v_rndne_f32_e32 v14, v11
	v_fmac_f32_e32 v12, 0x32a5705f, v6
	v_sub_f32_e32 v11, v11, v14
	v_add_f32_e32 v11, v11, v12
	v_exp_f32_e32 v11, v11
	v_cvt_i32_f32_e32 v12, v14
	s_mov_b32 s4, 0xc2ce8ed0
	v_cmp_ngt_f32_e64 s[4:5], s4, v6
	v_ldexp_f32 v11, v11, v12
	v_cndmask_b32_e64 v11, 0, v11, s[4:5]
	s_mov_b32 s4, 0x42b17218
	v_mov_b32_e32 v12, 0x7f800000
	v_cmp_nlt_f32_e64 s[4:5], s4, v6
	v_cndmask_b32_e64 v6, v12, v11, s[4:5]
	v_add_f32_e32 v16, v16, v6
.LBB761_71:
	s_or_b64 exec, exec, s[24:25]
.LBB761_72:
	s_or_b64 exec, exec, s[18:19]
	v_mov_b32_e32 v11, 0
	v_mov_b32_e32 v12, 0
	s_and_saveexec_b64 s[18:19], s[22:23]
	s_cbranch_execz .LBB761_76
; %bb.73:
	global_load_ubyte v12, v[2:3], off offset:192
	s_waitcnt vmcnt(0)
	v_and_b32_e32 v12, 1, v12
	v_cmp_eq_u32_e64 s[4:5], 1, v12
	s_xor_b64 s[4:5], s[4:5], -1
	v_mov_b32_e32 v12, 0
	s_and_saveexec_b64 s[22:23], s[4:5]
	s_cbranch_execz .LBB761_75
; %bb.74:
	v_sub_f32_e32 v10, v10, v22
	s_mov_b32 s4, 0x3fb8aa3b
	v_mul_f32_e32 v12, 0x3fb8aa3b, v10
	v_fma_f32 v14, v10, s4, -v12
	v_rndne_f32_e32 v23, v12
	v_fmac_f32_e32 v14, 0x32a5705f, v10
	v_sub_f32_e32 v12, v12, v23
	v_add_f32_e32 v12, v12, v14
	v_exp_f32_e32 v12, v12
	v_cvt_i32_f32_e32 v14, v23
	s_mov_b32 s4, 0xc2ce8ed0
	v_cmp_ngt_f32_e64 s[4:5], s4, v10
	v_ldexp_f32 v12, v12, v14
	v_cndmask_b32_e64 v12, 0, v12, s[4:5]
	s_mov_b32 s4, 0x42b17218
	v_mov_b32_e32 v14, 0x7f800000
	v_cmp_nlt_f32_e64 s[4:5], s4, v10
	v_cndmask_b32_e64 v12, v14, v12, s[4:5]
	v_add_f32_e32 v16, v16, v12
.LBB761_75:
	s_or_b64 exec, exec, s[22:23]
.LBB761_76:
	s_or_b64 exec, exec, s[18:19]
	s_and_saveexec_b64 s[18:19], s[14:15]
	s_cbranch_execz .LBB761_80
; %bb.77:
	global_load_ubyte v2, v[2:3], off offset:224
	v_mov_b32_e32 v11, 0
	s_waitcnt vmcnt(0)
	v_and_b32_e32 v2, 1, v2
	v_cmp_eq_u32_e64 s[4:5], 1, v2
	s_xor_b64 s[4:5], s[4:5], -1
	s_and_saveexec_b64 s[14:15], s[4:5]
	s_cbranch_execz .LBB761_79
; %bb.78:
	v_sub_f32_e32 v2, v9, v22
	s_mov_b32 s4, 0x3fb8aa3b
	v_mul_f32_e32 v3, 0x3fb8aa3b, v2
	v_fma_f32 v9, v2, s4, -v3
	v_rndne_f32_e32 v10, v3
	v_fmac_f32_e32 v9, 0x32a5705f, v2
	v_sub_f32_e32 v3, v3, v10
	v_add_f32_e32 v3, v3, v9
	v_exp_f32_e32 v3, v3
	v_cvt_i32_f32_e32 v9, v10
	s_mov_b32 s4, 0xc2ce8ed0
	v_cmp_ngt_f32_e64 s[4:5], s4, v2
	v_ldexp_f32 v3, v3, v9
	v_cndmask_b32_e64 v3, 0, v3, s[4:5]
	s_mov_b32 s4, 0x42b17218
	v_mov_b32_e32 v9, 0x7f800000
	v_cmp_nlt_f32_e64 s[4:5], s4, v2
	v_cndmask_b32_e64 v11, v9, v3, s[4:5]
	v_add_f32_e32 v16, v16, v11
.LBB761_79:
	s_or_b64 exec, exec, s[14:15]
.LBB761_80:
	s_or_b64 exec, exec, s[18:19]
	ds_bpermute_b32 v2, v7, v16
	v_cmp_lt_i32_e64 s[4:5], 0, v8
	s_waitcnt lgkmcnt(0)
	v_add_f32_e32 v2, v16, v2
	ds_bpermute_b32 v3, v17, v2
	s_waitcnt lgkmcnt(0)
	v_add_f32_e32 v2, v2, v3
	ds_bpermute_b32 v3, v18, v2
	;; [unrolled: 3-line block ×4, first 2 shown]
	s_and_saveexec_b64 s[14:15], s[4:5]
	s_cbranch_execz .LBB761_106
; %bb.81:
	s_and_b64 exec, exec, vcc
	s_cbranch_execz .LBB761_106
; %bb.82:
	s_waitcnt lgkmcnt(0)
	v_add_f32_e32 v2, v2, v3
	v_cmp_neq_f32_e64 s[14:15], 0, v2
	v_mov_b32_e32 v3, 0x7fc0
	s_and_saveexec_b64 s[4:5], s[14:15]
	s_cbranch_execz .LBB761_84
; %bb.83:
	v_div_scale_f32 v3, s[18:19], v2, v2, v19
	v_rcp_f32_e32 v7, v3
	v_div_scale_f32 v8, vcc, v19, v2, v19
	s_movk_i32 s18, 0x7fff
	v_fma_f32 v9, -v3, v7, 1.0
	v_fmac_f32_e32 v7, v9, v7
	v_mul_f32_e32 v9, v8, v7
	v_fma_f32 v10, -v3, v9, v8
	v_fmac_f32_e32 v9, v10, v7
	v_fma_f32 v3, -v3, v9, v8
	v_div_fmas_f32 v3, v3, v7, v9
	v_div_fixup_f32 v3, v3, v2, v19
	v_bfe_u32 v7, v3, 16, 1
	v_add3_u32 v7, v3, v7, s18
	v_lshrrev_b32_e32 v7, 16, v7
	v_mov_b32_e32 v8, 0x7fc0
	v_cmp_o_f32_e32 vcc, v3, v3
	v_cndmask_b32_e32 v3, v8, v7, vcc
.LBB761_84:
	s_or_b64 exec, exec, s[4:5]
	v_mov_b32_e32 v7, s21
	v_add_co_u32_e32 v0, vcc, s20, v0
	v_addc_co_u32_e32 v1, vcc, v7, v1, vcc
	global_store_short v[0:1], v3, off
	s_and_b64 exec, exec, s[12:13]
	s_cbranch_execz .LBB761_106
; %bb.85:
	v_mov_b32_e32 v3, 0x7fc0
	s_and_saveexec_b64 s[4:5], s[14:15]
	s_cbranch_execz .LBB761_87
; %bb.86:
	v_div_scale_f32 v3, s[12:13], v2, v2, v4
	v_rcp_f32_e32 v7, v3
	v_div_scale_f32 v8, vcc, v4, v2, v4
	s_movk_i32 s12, 0x7fff
	v_fma_f32 v9, -v3, v7, 1.0
	v_fmac_f32_e32 v7, v9, v7
	v_mul_f32_e32 v9, v8, v7
	v_fma_f32 v10, -v3, v9, v8
	v_fmac_f32_e32 v9, v10, v7
	v_fma_f32 v3, -v3, v9, v8
	v_div_fmas_f32 v3, v3, v7, v9
	v_div_fixup_f32 v3, v3, v2, v4
	v_bfe_u32 v4, v3, 16, 1
	v_add3_u32 v4, v3, v4, s12
	v_lshrrev_b32_e32 v4, 16, v4
	v_mov_b32_e32 v7, 0x7fc0
	v_cmp_o_f32_e32 vcc, v3, v3
	v_cndmask_b32_e32 v3, v7, v4, vcc
.LBB761_87:
	s_or_b64 exec, exec, s[4:5]
	global_store_short v[0:1], v3, off offset:64
	s_and_b64 exec, exec, s[10:11]
	s_cbranch_execz .LBB761_106
; %bb.88:
	v_mov_b32_e32 v3, 0x7fc0
	s_and_saveexec_b64 s[4:5], s[14:15]
	s_cbranch_execz .LBB761_90
; %bb.89:
	v_div_scale_f32 v3, s[10:11], v2, v2, v15
	v_rcp_f32_e32 v4, v3
	v_div_scale_f32 v7, vcc, v15, v2, v15
	s_movk_i32 s10, 0x7fff
	v_fma_f32 v8, -v3, v4, 1.0
	v_fmac_f32_e32 v4, v8, v4
	v_mul_f32_e32 v8, v7, v4
	v_fma_f32 v9, -v3, v8, v7
	v_fmac_f32_e32 v8, v9, v4
	v_fma_f32 v3, -v3, v8, v7
	v_div_fmas_f32 v3, v3, v4, v8
	v_div_fixup_f32 v3, v3, v2, v15
	v_bfe_u32 v4, v3, 16, 1
	v_add3_u32 v4, v3, v4, s10
	v_lshrrev_b32_e32 v4, 16, v4
	v_mov_b32_e32 v7, 0x7fc0
	v_cmp_o_f32_e32 vcc, v3, v3
	v_cndmask_b32_e32 v3, v7, v4, vcc
.LBB761_90:
	s_or_b64 exec, exec, s[4:5]
	global_store_short v[0:1], v3, off offset:128
	;; [unrolled: 28-line block ×7, first 2 shown]
.LBB761_106:
	s_endpgm
	.section	.rodata,"a",@progbits
	.p2align	6, 0x0
	.amdhsa_kernel _ZN12_GLOBAL__N_120softmax_warp_forwardIN3c108BFloat16ES2_fLi8ELb0ELb1ELi32EEEvPT0_PKT_iiiPKbib
		.amdhsa_group_segment_fixed_size 0
		.amdhsa_private_segment_fixed_size 0
		.amdhsa_kernarg_size 304
		.amdhsa_user_sgpr_count 6
		.amdhsa_user_sgpr_private_segment_buffer 1
		.amdhsa_user_sgpr_dispatch_ptr 0
		.amdhsa_user_sgpr_queue_ptr 0
		.amdhsa_user_sgpr_kernarg_segment_ptr 1
		.amdhsa_user_sgpr_dispatch_id 0
		.amdhsa_user_sgpr_flat_scratch_init 0
		.amdhsa_user_sgpr_kernarg_preload_length 0
		.amdhsa_user_sgpr_kernarg_preload_offset 0
		.amdhsa_user_sgpr_private_segment_size 0
		.amdhsa_uses_dynamic_stack 0
		.amdhsa_system_sgpr_private_segment_wavefront_offset 0
		.amdhsa_system_sgpr_workgroup_id_x 1
		.amdhsa_system_sgpr_workgroup_id_y 0
		.amdhsa_system_sgpr_workgroup_id_z 0
		.amdhsa_system_sgpr_workgroup_info 0
		.amdhsa_system_vgpr_workitem_id 1
		.amdhsa_next_free_vgpr 24
		.amdhsa_next_free_sgpr 44
		.amdhsa_accum_offset 24
		.amdhsa_reserve_vcc 1
		.amdhsa_reserve_flat_scratch 0
		.amdhsa_float_round_mode_32 0
		.amdhsa_float_round_mode_16_64 0
		.amdhsa_float_denorm_mode_32 3
		.amdhsa_float_denorm_mode_16_64 3
		.amdhsa_dx10_clamp 1
		.amdhsa_ieee_mode 1
		.amdhsa_fp16_overflow 0
		.amdhsa_tg_split 0
		.amdhsa_exception_fp_ieee_invalid_op 0
		.amdhsa_exception_fp_denorm_src 0
		.amdhsa_exception_fp_ieee_div_zero 0
		.amdhsa_exception_fp_ieee_overflow 0
		.amdhsa_exception_fp_ieee_underflow 0
		.amdhsa_exception_fp_ieee_inexact 0
		.amdhsa_exception_int_div_zero 0
	.end_amdhsa_kernel
	.section	.text._ZN12_GLOBAL__N_120softmax_warp_forwardIN3c108BFloat16ES2_fLi8ELb0ELb1ELi32EEEvPT0_PKT_iiiPKbib,"axG",@progbits,_ZN12_GLOBAL__N_120softmax_warp_forwardIN3c108BFloat16ES2_fLi8ELb0ELb1ELi32EEEvPT0_PKT_iiiPKbib,comdat
.Lfunc_end761:
	.size	_ZN12_GLOBAL__N_120softmax_warp_forwardIN3c108BFloat16ES2_fLi8ELb0ELb1ELi32EEEvPT0_PKT_iiiPKbib, .Lfunc_end761-_ZN12_GLOBAL__N_120softmax_warp_forwardIN3c108BFloat16ES2_fLi8ELb0ELb1ELi32EEEvPT0_PKT_iiiPKbib
                                        ; -- End function
	.section	.AMDGPU.csdata,"",@progbits
; Kernel info:
; codeLenInByte = 4576
; NumSgprs: 48
; NumVgprs: 24
; NumAgprs: 0
; TotalNumVgprs: 24
; ScratchSize: 0
; MemoryBound: 0
; FloatMode: 240
; IeeeMode: 1
; LDSByteSize: 0 bytes/workgroup (compile time only)
; SGPRBlocks: 5
; VGPRBlocks: 2
; NumSGPRsForWavesPerEU: 48
; NumVGPRsForWavesPerEU: 24
; AccumOffset: 24
; Occupancy: 8
; WaveLimiterHint : 0
; COMPUTE_PGM_RSRC2:SCRATCH_EN: 0
; COMPUTE_PGM_RSRC2:USER_SGPR: 6
; COMPUTE_PGM_RSRC2:TRAP_HANDLER: 0
; COMPUTE_PGM_RSRC2:TGID_X_EN: 1
; COMPUTE_PGM_RSRC2:TGID_Y_EN: 0
; COMPUTE_PGM_RSRC2:TGID_Z_EN: 0
; COMPUTE_PGM_RSRC2:TIDIG_COMP_CNT: 1
; COMPUTE_PGM_RSRC3_GFX90A:ACCUM_OFFSET: 5
; COMPUTE_PGM_RSRC3_GFX90A:TG_SPLIT: 0
	.section	.text._ZN12_GLOBAL__N_120softmax_warp_forwardIN3c108BFloat16ES2_fLi9ELb0ELb1ELi64EEEvPT0_PKT_iiiPKbib,"axG",@progbits,_ZN12_GLOBAL__N_120softmax_warp_forwardIN3c108BFloat16ES2_fLi9ELb0ELb1ELi64EEEvPT0_PKT_iiiPKbib,comdat
	.globl	_ZN12_GLOBAL__N_120softmax_warp_forwardIN3c108BFloat16ES2_fLi9ELb0ELb1ELi64EEEvPT0_PKT_iiiPKbib ; -- Begin function _ZN12_GLOBAL__N_120softmax_warp_forwardIN3c108BFloat16ES2_fLi9ELb0ELb1ELi64EEEvPT0_PKT_iiiPKbib
	.p2align	8
	.type	_ZN12_GLOBAL__N_120softmax_warp_forwardIN3c108BFloat16ES2_fLi9ELb0ELb1ELi64EEEvPT0_PKT_iiiPKbib,@function
_ZN12_GLOBAL__N_120softmax_warp_forwardIN3c108BFloat16ES2_fLi9ELb0ELb1ELi64EEEvPT0_PKT_iiiPKbib: ; @_ZN12_GLOBAL__N_120softmax_warp_forwardIN3c108BFloat16ES2_fLi9ELb0ELb1ELi64EEEvPT0_PKT_iiiPKbib
; %bb.0:
	s_load_dword s2, s[4:5], 0x3c
	s_load_dwordx4 s[16:19], s[4:5], 0x10
	s_load_dwordx2 s[0:1], s[4:5], 0x28
	v_bfe_u32 v1, v0, 10, 10
	v_and_b32_e32 v2, 0x3ff, v0
	s_waitcnt lgkmcnt(0)
	s_lshr_b32 s2, s2, 16
	s_mul_i32 s6, s6, s2
	v_add_u32_e32 v3, s6, v1
	v_mul_lo_u32 v6, v3, s17
	v_add_u32_e32 v0, v6, v2
	v_ashrrev_i32_e32 v1, 31, v0
	s_bitcmp0_b32 s1, 0
	v_pk_mov_b32 v[4:5], v[0:1], v[0:1] op_sel:[0,1]
	s_cbranch_scc1 .LBB762_2
; %bb.1:
	s_abs_i32 s1, s0
	v_cvt_f32_u32_e32 v4, s1
	v_xor_b32_e32 v5, s0, v6
	v_sub_u32_e32 v7, 0, v6
	s_sub_i32 s0, 0, s1
	v_rcp_iflag_f32_e32 v4, v4
	v_max_i32_e32 v6, v6, v7
	v_ashrrev_i32_e32 v5, 31, v5
	v_mul_f32_e32 v4, 0x4f7ffffe, v4
	v_cvt_u32_f32_e32 v4, v4
	v_mul_lo_u32 v7, s0, v4
	v_mul_hi_u32 v7, v4, v7
	v_add_u32_e32 v4, v4, v7
	v_mul_hi_u32 v4, v6, v4
	v_mul_lo_u32 v7, v4, s1
	v_sub_u32_e32 v6, v6, v7
	v_add_u32_e32 v8, 1, v4
	v_cmp_le_u32_e32 vcc, s1, v6
	v_subrev_u32_e32 v7, s1, v6
	v_cndmask_b32_e32 v4, v4, v8, vcc
	v_cndmask_b32_e32 v6, v6, v7, vcc
	v_add_u32_e32 v7, 1, v4
	v_cmp_le_u32_e32 vcc, s1, v6
	v_cndmask_b32_e32 v4, v4, v7, vcc
	v_xor_b32_e32 v4, v4, v5
	v_sub_u32_e32 v4, v4, v5
	v_mad_u64_u32 v[4:5], s[0:1], v4, s17, v[2:3]
	v_ashrrev_i32_e32 v5, 31, v4
.LBB762_2:
	s_load_dwordx4 s[20:23], s[4:5], 0x0
	v_lshlrev_b64 v[0:1], 1, v[0:1]
	v_sub_u32_e32 v8, s16, v3
	v_cmp_lt_i32_e64 s[14:15], 0, v8
	v_mov_b32_e32 v15, 0xff800000
	s_waitcnt lgkmcnt(0)
	v_mov_b32_e32 v3, s23
	v_add_co_u32_e32 v6, vcc, s22, v0
	v_addc_co_u32_e32 v7, vcc, v3, v1, vcc
	v_cmp_gt_i32_e32 vcc, s18, v2
	s_and_b64 s[36:37], s[14:15], vcc
	v_mov_b32_e32 v16, 0xff800000
	s_and_saveexec_b64 s[0:1], s[36:37]
	s_cbranch_execz .LBB762_4
; %bb.3:
	global_load_ushort v3, v[6:7], off
	s_waitcnt vmcnt(0)
	v_lshlrev_b32_e32 v16, 16, v3
.LBB762_4:
	s_or_b64 exec, exec, s[0:1]
	v_add_u32_e32 v3, 64, v2
	v_cmp_gt_i32_e64 s[12:13], s18, v3
	s_and_b64 s[34:35], s[14:15], s[12:13]
	s_and_saveexec_b64 s[0:1], s[34:35]
	s_cbranch_execz .LBB762_6
; %bb.5:
	global_load_ushort v3, v[6:7], off offset:128
	s_waitcnt vmcnt(0)
	v_lshlrev_b32_e32 v15, 16, v3
.LBB762_6:
	s_or_b64 exec, exec, s[0:1]
	v_add_u32_e32 v3, 0x80, v2
	v_cmp_gt_i32_e64 s[10:11], s18, v3
	s_and_b64 s[30:31], s[14:15], s[10:11]
	v_mov_b32_e32 v13, 0xff800000
	v_mov_b32_e32 v14, 0xff800000
	s_and_saveexec_b64 s[0:1], s[30:31]
	s_cbranch_execz .LBB762_8
; %bb.7:
	global_load_ushort v3, v[6:7], off offset:256
	s_waitcnt vmcnt(0)
	v_lshlrev_b32_e32 v14, 16, v3
.LBB762_8:
	s_or_b64 exec, exec, s[0:1]
	v_add_u32_e32 v3, 0xc0, v2
	v_cmp_gt_i32_e64 s[8:9], s18, v3
	s_and_b64 s[28:29], s[14:15], s[8:9]
	s_and_saveexec_b64 s[0:1], s[28:29]
	s_cbranch_execz .LBB762_10
; %bb.9:
	global_load_ushort v3, v[6:7], off offset:384
	s_waitcnt vmcnt(0)
	v_lshlrev_b32_e32 v13, 16, v3
.LBB762_10:
	s_or_b64 exec, exec, s[0:1]
	v_add_u32_e32 v3, 0x100, v2
	v_cmp_gt_i32_e64 s[6:7], s18, v3
	s_and_b64 s[26:27], s[14:15], s[6:7]
	v_mov_b32_e32 v11, 0xff800000
	v_mov_b32_e32 v12, 0xff800000
	s_and_saveexec_b64 s[0:1], s[26:27]
	s_cbranch_execz .LBB762_12
; %bb.11:
	global_load_ushort v3, v[6:7], off offset:512
	s_waitcnt vmcnt(0)
	v_lshlrev_b32_e32 v12, 16, v3
.LBB762_12:
	;; [unrolled: 24-line block ×3, first 2 shown]
	s_or_b64 exec, exec, s[0:1]
	v_add_u32_e32 v2, 0x1c0, v2
	v_cmp_gt_i32_e64 s[0:1], s18, v2
	s_and_b64 s[14:15], s[14:15], s[0:1]
	s_and_saveexec_b64 s[18:19], s[14:15]
	s_cbranch_execz .LBB762_18
; %bb.17:
	global_load_ushort v2, v[6:7], off offset:896
	s_waitcnt vmcnt(0)
	v_lshlrev_b32_e32 v9, 16, v2
.LBB762_18:
	s_or_b64 exec, exec, s[18:19]
	s_load_dwordx2 s[4:5], s[4:5], 0x20
	s_mov_b64 s[18:19], 0
	s_waitcnt lgkmcnt(0)
	v_mov_b32_e32 v3, s5
	v_add_co_u32_e64 v2, s[4:5], s4, v4
	v_addc_co_u32_e64 v3, s[4:5], v3, v5, s[4:5]
	s_and_saveexec_b64 s[38:39], s[36:37]
	s_cbranch_execnz .LBB762_26
; %bb.19:
	s_or_b64 exec, exec, s[38:39]
	v_mov_b32_e32 v4, v16
	s_and_saveexec_b64 s[38:39], s[34:35]
	s_cbranch_execnz .LBB762_27
.LBB762_20:
	s_or_b64 exec, exec, s[38:39]
	s_and_saveexec_b64 s[38:39], s[30:31]
	s_cbranch_execnz .LBB762_30
.LBB762_21:
	s_or_b64 exec, exec, s[38:39]
	s_and_saveexec_b64 s[38:39], s[28:29]
	s_cbranch_execnz .LBB762_33
.LBB762_22:
	s_or_b64 exec, exec, s[38:39]
	s_and_saveexec_b64 s[38:39], s[26:27]
	s_cbranch_execnz .LBB762_36
.LBB762_23:
	s_or_b64 exec, exec, s[38:39]
	s_and_saveexec_b64 s[38:39], s[24:25]
	s_cbranch_execnz .LBB762_39
.LBB762_24:
	s_or_b64 exec, exec, s[38:39]
	s_and_saveexec_b64 s[38:39], s[22:23]
	s_cbranch_execnz .LBB762_42
.LBB762_25:
	s_or_b64 exec, exec, s[38:39]
	s_and_saveexec_b64 s[38:39], s[14:15]
	s_cbranch_execnz .LBB762_45
	s_branch .LBB762_48
.LBB762_26:
	global_load_ubyte v4, v[2:3], off
	s_waitcnt vmcnt(0)
	v_and_b32_e32 v4, 1, v4
	v_cmp_eq_u32_e64 s[4:5], 1, v4
	s_xor_b64 s[4:5], s[4:5], -1
	s_and_b64 s[18:19], s[4:5], exec
	s_or_b64 exec, exec, s[38:39]
	v_mov_b32_e32 v4, v16
	s_and_saveexec_b64 s[38:39], s[34:35]
	s_cbranch_execz .LBB762_20
.LBB762_27:
	global_load_ubyte v4, v[2:3], off offset:64
	s_mov_b64 s[40:41], s[18:19]
	s_waitcnt vmcnt(0)
	v_and_b32_e32 v4, 1, v4
	v_cmp_eq_u32_e64 s[4:5], 1, v4
	s_xor_b64 s[4:5], s[4:5], -1
	v_mov_b32_e32 v4, v16
	s_and_saveexec_b64 s[42:43], s[4:5]
; %bb.28:
	v_cmp_gt_f32_e64 s[4:5], v16, v15
	s_and_b64 s[4:5], s[18:19], s[4:5]
	v_cndmask_b32_e64 v4, v15, v16, s[4:5]
	s_or_b64 s[40:41], s[18:19], exec
; %bb.29:
	s_or_b64 exec, exec, s[42:43]
	s_andn2_b64 s[4:5], s[18:19], exec
	s_and_b64 s[18:19], s[40:41], exec
	s_or_b64 s[18:19], s[4:5], s[18:19]
	s_or_b64 exec, exec, s[38:39]
	s_and_saveexec_b64 s[38:39], s[30:31]
	s_cbranch_execz .LBB762_21
.LBB762_30:
	global_load_ubyte v5, v[2:3], off offset:128
	s_waitcnt vmcnt(0)
	v_and_b32_e32 v5, 1, v5
	v_cmp_eq_u32_e64 s[4:5], 1, v5
	s_xor_b64 s[42:43], s[4:5], -1
	s_mov_b64 s[4:5], s[18:19]
	s_and_saveexec_b64 s[40:41], s[42:43]
; %bb.31:
	v_cmp_gt_f32_e64 s[4:5], v4, v14
	s_and_b64 s[4:5], s[18:19], s[4:5]
	v_cndmask_b32_e64 v4, v14, v4, s[4:5]
	s_or_b64 s[4:5], s[18:19], exec
; %bb.32:
	s_or_b64 exec, exec, s[40:41]
	s_andn2_b64 s[18:19], s[18:19], exec
	s_and_b64 s[4:5], s[4:5], exec
	s_or_b64 s[18:19], s[18:19], s[4:5]
	s_or_b64 exec, exec, s[38:39]
	s_and_saveexec_b64 s[38:39], s[28:29]
	s_cbranch_execz .LBB762_22
.LBB762_33:
	global_load_ubyte v5, v[2:3], off offset:192
	s_waitcnt vmcnt(0)
	v_and_b32_e32 v5, 1, v5
	v_cmp_eq_u32_e64 s[4:5], 1, v5
	s_xor_b64 s[42:43], s[4:5], -1
	s_mov_b64 s[4:5], s[18:19]
	s_and_saveexec_b64 s[40:41], s[42:43]
; %bb.34:
	v_cmp_gt_f32_e64 s[4:5], v4, v13
	s_and_b64 s[4:5], s[18:19], s[4:5]
	v_cndmask_b32_e64 v4, v13, v4, s[4:5]
	s_or_b64 s[4:5], s[18:19], exec
; %bb.35:
	s_or_b64 exec, exec, s[40:41]
	s_andn2_b64 s[18:19], s[18:19], exec
	s_and_b64 s[4:5], s[4:5], exec
	s_or_b64 s[18:19], s[18:19], s[4:5]
	s_or_b64 exec, exec, s[38:39]
	s_and_saveexec_b64 s[38:39], s[26:27]
	s_cbranch_execz .LBB762_23
.LBB762_36:
	global_load_ubyte v5, v[2:3], off offset:256
	s_waitcnt vmcnt(0)
	v_and_b32_e32 v5, 1, v5
	v_cmp_eq_u32_e64 s[4:5], 1, v5
	s_xor_b64 s[42:43], s[4:5], -1
	s_mov_b64 s[4:5], s[18:19]
	s_and_saveexec_b64 s[40:41], s[42:43]
; %bb.37:
	v_cmp_gt_f32_e64 s[4:5], v4, v12
	s_and_b64 s[4:5], s[18:19], s[4:5]
	v_cndmask_b32_e64 v4, v12, v4, s[4:5]
	s_or_b64 s[4:5], s[18:19], exec
; %bb.38:
	s_or_b64 exec, exec, s[40:41]
	s_andn2_b64 s[18:19], s[18:19], exec
	s_and_b64 s[4:5], s[4:5], exec
	s_or_b64 s[18:19], s[18:19], s[4:5]
	s_or_b64 exec, exec, s[38:39]
	s_and_saveexec_b64 s[38:39], s[24:25]
	s_cbranch_execz .LBB762_24
.LBB762_39:
	global_load_ubyte v5, v[2:3], off offset:320
	s_waitcnt vmcnt(0)
	v_and_b32_e32 v5, 1, v5
	v_cmp_eq_u32_e64 s[4:5], 1, v5
	s_xor_b64 s[42:43], s[4:5], -1
	s_mov_b64 s[4:5], s[18:19]
	s_and_saveexec_b64 s[40:41], s[42:43]
; %bb.40:
	v_cmp_gt_f32_e64 s[4:5], v4, v11
	s_and_b64 s[4:5], s[18:19], s[4:5]
	v_cndmask_b32_e64 v4, v11, v4, s[4:5]
	s_or_b64 s[4:5], s[18:19], exec
; %bb.41:
	s_or_b64 exec, exec, s[40:41]
	s_andn2_b64 s[18:19], s[18:19], exec
	s_and_b64 s[4:5], s[4:5], exec
	s_or_b64 s[18:19], s[18:19], s[4:5]
	s_or_b64 exec, exec, s[38:39]
	s_and_saveexec_b64 s[38:39], s[22:23]
	s_cbranch_execz .LBB762_25
.LBB762_42:
	global_load_ubyte v5, v[2:3], off offset:384
	s_waitcnt vmcnt(0)
	v_and_b32_e32 v5, 1, v5
	v_cmp_eq_u32_e64 s[4:5], 1, v5
	s_xor_b64 s[42:43], s[4:5], -1
	s_mov_b64 s[4:5], s[18:19]
	s_and_saveexec_b64 s[40:41], s[42:43]
; %bb.43:
	v_cmp_gt_f32_e64 s[4:5], v4, v10
	s_and_b64 s[4:5], s[18:19], s[4:5]
	v_cndmask_b32_e64 v4, v10, v4, s[4:5]
	s_or_b64 s[4:5], s[18:19], exec
; %bb.44:
	s_or_b64 exec, exec, s[40:41]
	s_andn2_b64 s[18:19], s[18:19], exec
	s_and_b64 s[4:5], s[4:5], exec
	s_or_b64 s[18:19], s[18:19], s[4:5]
	s_or_b64 exec, exec, s[38:39]
	s_and_saveexec_b64 s[38:39], s[14:15]
	s_cbranch_execz .LBB762_48
.LBB762_45:
	global_load_ubyte v5, v[2:3], off offset:448
	s_waitcnt vmcnt(0)
	v_and_b32_e32 v5, 1, v5
	v_cmp_eq_u32_e64 s[4:5], 1, v5
	s_xor_b64 s[42:43], s[4:5], -1
	s_mov_b64 s[4:5], s[18:19]
	s_and_saveexec_b64 s[40:41], s[42:43]
; %bb.46:
	v_cmp_gt_f32_e64 s[4:5], v4, v9
	s_and_b64 s[4:5], s[18:19], s[4:5]
	v_cndmask_b32_e64 v4, v9, v4, s[4:5]
	s_or_b64 s[4:5], s[18:19], exec
; %bb.47:
	s_or_b64 exec, exec, s[40:41]
	s_andn2_b64 s[18:19], s[18:19], exec
	s_and_b64 s[4:5], s[4:5], exec
	s_or_b64 s[18:19], s[18:19], s[4:5]
.LBB762_48:
	s_or_b64 exec, exec, s[38:39]
	v_mov_b32_e32 v5, 0xff800000
	v_cndmask_b32_e64 v4, v5, v4, s[18:19]
	v_mbcnt_lo_u32_b32 v5, -1, 0
	v_mbcnt_hi_u32_b32 v5, -1, v5
	v_and_b32_e32 v6, 64, v5
	v_add_u32_e32 v7, 64, v6
	v_xor_b32_e32 v6, 32, v5
	v_cmp_lt_i32_e64 s[4:5], v6, v7
	v_cndmask_b32_e64 v6, v5, v6, s[4:5]
	v_lshlrev_b32_e32 v6, 2, v6
	ds_bpermute_b32 v17, v6, v4
	s_waitcnt lgkmcnt(0)
	v_cmp_lt_f32_e64 s[4:5], v4, v17
	v_cndmask_b32_e64 v4, v4, v17, s[4:5]
	v_xor_b32_e32 v17, 16, v5
	v_cmp_lt_i32_e64 s[4:5], v17, v7
	v_cndmask_b32_e64 v17, v5, v17, s[4:5]
	v_lshlrev_b32_e32 v17, 2, v17
	ds_bpermute_b32 v18, v17, v4
	s_waitcnt lgkmcnt(0)
	v_cmp_lt_f32_e64 s[4:5], v4, v18
	v_cndmask_b32_e64 v4, v4, v18, s[4:5]
	;; [unrolled: 8-line block ×5, first 2 shown]
	v_xor_b32_e32 v20, 1, v5
	v_cmp_lt_i32_e64 s[4:5], v20, v7
	v_cndmask_b32_e64 v5, v5, v20, s[4:5]
	v_lshlrev_b32_e32 v22, 2, v5
	ds_bpermute_b32 v5, v22, v4
	v_mov_b32_e32 v20, 0
	s_waitcnt lgkmcnt(0)
	v_cmp_lt_f32_e64 s[4:5], v4, v5
	v_cndmask_b32_e64 v23, v4, v5, s[4:5]
	v_mov_b32_e32 v4, 0
	s_and_saveexec_b64 s[18:19], s[36:37]
	s_cbranch_execz .LBB762_52
; %bb.49:
	global_load_ubyte v5, v[2:3], off
	v_mov_b32_e32 v20, 0
	s_waitcnt vmcnt(0)
	v_and_b32_e32 v5, 1, v5
	v_cmp_eq_u32_e64 s[4:5], 1, v5
	s_xor_b64 s[4:5], s[4:5], -1
	s_and_saveexec_b64 s[36:37], s[4:5]
	s_cbranch_execz .LBB762_51
; %bb.50:
	v_sub_f32_e32 v5, v16, v23
	s_mov_b32 s4, 0x3fb8aa3b
	v_mul_f32_e32 v7, 0x3fb8aa3b, v5
	v_fma_f32 v16, v5, s4, -v7
	v_rndne_f32_e32 v20, v7
	v_fmac_f32_e32 v16, 0x32a5705f, v5
	v_sub_f32_e32 v7, v7, v20
	v_add_f32_e32 v7, v7, v16
	v_exp_f32_e32 v7, v7
	v_cvt_i32_f32_e32 v16, v20
	s_mov_b32 s4, 0xc2ce8ed0
	v_cmp_ngt_f32_e64 s[4:5], s4, v5
	v_ldexp_f32 v7, v7, v16
	v_cndmask_b32_e64 v7, 0, v7, s[4:5]
	s_mov_b32 s4, 0x42b17218
	v_mov_b32_e32 v16, 0x7f800000
	v_cmp_nlt_f32_e64 s[4:5], s4, v5
	v_cndmask_b32_e64 v20, v16, v7, s[4:5]
.LBB762_51:
	s_or_b64 exec, exec, s[36:37]
.LBB762_52:
	s_or_b64 exec, exec, s[18:19]
	v_mov_b32_e32 v16, v20
	s_and_saveexec_b64 s[18:19], s[34:35]
	s_cbranch_execz .LBB762_56
; %bb.53:
	global_load_ubyte v5, v[2:3], off offset:64
	v_mov_b32_e32 v4, 0
	v_mov_b32_e32 v16, v20
	s_waitcnt vmcnt(0)
	v_and_b32_e32 v5, 1, v5
	v_cmp_eq_u32_e64 s[4:5], 1, v5
	s_xor_b64 s[4:5], s[4:5], -1
	s_and_saveexec_b64 s[34:35], s[4:5]
	s_cbranch_execz .LBB762_55
; %bb.54:
	v_sub_f32_e32 v4, v15, v23
	s_mov_b32 s4, 0x3fb8aa3b
	v_mul_f32_e32 v5, 0x3fb8aa3b, v4
	v_fma_f32 v7, v4, s4, -v5
	v_rndne_f32_e32 v15, v5
	v_fmac_f32_e32 v7, 0x32a5705f, v4
	v_sub_f32_e32 v5, v5, v15
	v_add_f32_e32 v5, v5, v7
	v_exp_f32_e32 v5, v5
	v_cvt_i32_f32_e32 v7, v15
	s_mov_b32 s4, 0xc2ce8ed0
	v_cmp_ngt_f32_e64 s[4:5], s4, v4
	v_ldexp_f32 v5, v5, v7
	v_cndmask_b32_e64 v5, 0, v5, s[4:5]
	s_mov_b32 s4, 0x42b17218
	v_mov_b32_e32 v7, 0x7f800000
	v_cmp_nlt_f32_e64 s[4:5], s4, v4
	v_cndmask_b32_e64 v4, v7, v5, s[4:5]
	v_add_f32_e32 v16, v20, v4
.LBB762_55:
	s_or_b64 exec, exec, s[34:35]
.LBB762_56:
	s_or_b64 exec, exec, s[18:19]
	v_mov_b32_e32 v5, 0
	v_mov_b32_e32 v15, 0
	s_and_saveexec_b64 s[18:19], s[30:31]
	s_cbranch_execz .LBB762_60
; %bb.57:
	global_load_ubyte v7, v[2:3], off offset:128
	v_mov_b32_e32 v15, 0
	s_waitcnt vmcnt(0)
	v_and_b32_e32 v7, 1, v7
	v_cmp_eq_u32_e64 s[4:5], 1, v7
	s_xor_b64 s[4:5], s[4:5], -1
	s_and_saveexec_b64 s[30:31], s[4:5]
	s_cbranch_execz .LBB762_59
; %bb.58:
	v_sub_f32_e32 v7, v14, v23
	s_mov_b32 s4, 0x3fb8aa3b
	v_mul_f32_e32 v14, 0x3fb8aa3b, v7
	v_fma_f32 v15, v7, s4, -v14
	v_rndne_f32_e32 v24, v14
	v_fmac_f32_e32 v15, 0x32a5705f, v7
	v_sub_f32_e32 v14, v14, v24
	v_add_f32_e32 v14, v14, v15
	v_exp_f32_e32 v14, v14
	v_cvt_i32_f32_e32 v15, v24
	s_mov_b32 s4, 0xc2ce8ed0
	v_cmp_ngt_f32_e64 s[4:5], s4, v7
	v_ldexp_f32 v14, v14, v15
	v_cndmask_b32_e64 v14, 0, v14, s[4:5]
	s_mov_b32 s4, 0x42b17218
	v_mov_b32_e32 v15, 0x7f800000
	v_cmp_nlt_f32_e64 s[4:5], s4, v7
	v_cndmask_b32_e64 v15, v15, v14, s[4:5]
	v_add_f32_e32 v16, v16, v15
.LBB762_59:
	s_or_b64 exec, exec, s[30:31]
.LBB762_60:
	s_or_b64 exec, exec, s[18:19]
	s_and_saveexec_b64 s[18:19], s[28:29]
	s_cbranch_execz .LBB762_64
; %bb.61:
	global_load_ubyte v5, v[2:3], off offset:192
	s_waitcnt vmcnt(0)
	v_and_b32_e32 v5, 1, v5
	v_cmp_eq_u32_e64 s[4:5], 1, v5
	s_xor_b64 s[4:5], s[4:5], -1
	v_mov_b32_e32 v5, 0
	s_and_saveexec_b64 s[28:29], s[4:5]
	s_cbranch_execz .LBB762_63
; %bb.62:
	v_sub_f32_e32 v5, v13, v23
	s_mov_b32 s4, 0x3fb8aa3b
	v_mul_f32_e32 v7, 0x3fb8aa3b, v5
	v_fma_f32 v13, v5, s4, -v7
	v_rndne_f32_e32 v14, v7
	v_fmac_f32_e32 v13, 0x32a5705f, v5
	v_sub_f32_e32 v7, v7, v14
	v_add_f32_e32 v7, v7, v13
	v_exp_f32_e32 v7, v7
	v_cvt_i32_f32_e32 v13, v14
	s_mov_b32 s4, 0xc2ce8ed0
	v_cmp_ngt_f32_e64 s[4:5], s4, v5
	v_ldexp_f32 v7, v7, v13
	v_cndmask_b32_e64 v7, 0, v7, s[4:5]
	s_mov_b32 s4, 0x42b17218
	v_mov_b32_e32 v13, 0x7f800000
	v_cmp_nlt_f32_e64 s[4:5], s4, v5
	v_cndmask_b32_e64 v5, v13, v7, s[4:5]
	v_add_f32_e32 v16, v16, v5
.LBB762_63:
	s_or_b64 exec, exec, s[28:29]
.LBB762_64:
	s_or_b64 exec, exec, s[18:19]
	v_mov_b32_e32 v7, 0
	v_mov_b32_e32 v13, 0
	s_and_saveexec_b64 s[18:19], s[26:27]
	s_cbranch_execz .LBB762_68
; %bb.65:
	global_load_ubyte v13, v[2:3], off offset:256
	s_waitcnt vmcnt(0)
	v_and_b32_e32 v13, 1, v13
	v_cmp_eq_u32_e64 s[4:5], 1, v13
	s_xor_b64 s[4:5], s[4:5], -1
	v_mov_b32_e32 v13, 0
	s_and_saveexec_b64 s[26:27], s[4:5]
	s_cbranch_execz .LBB762_67
; %bb.66:
	v_sub_f32_e32 v12, v12, v23
	s_mov_b32 s4, 0x3fb8aa3b
	v_mul_f32_e32 v13, 0x3fb8aa3b, v12
	v_fma_f32 v14, v12, s4, -v13
	v_rndne_f32_e32 v24, v13
	v_fmac_f32_e32 v14, 0x32a5705f, v12
	v_sub_f32_e32 v13, v13, v24
	v_add_f32_e32 v13, v13, v14
	v_exp_f32_e32 v13, v13
	v_cvt_i32_f32_e32 v14, v24
	s_mov_b32 s4, 0xc2ce8ed0
	v_cmp_ngt_f32_e64 s[4:5], s4, v12
	v_ldexp_f32 v13, v13, v14
	v_cndmask_b32_e64 v13, 0, v13, s[4:5]
	s_mov_b32 s4, 0x42b17218
	v_mov_b32_e32 v14, 0x7f800000
	v_cmp_nlt_f32_e64 s[4:5], s4, v12
	v_cndmask_b32_e64 v13, v14, v13, s[4:5]
	v_add_f32_e32 v16, v16, v13
.LBB762_67:
	s_or_b64 exec, exec, s[26:27]
.LBB762_68:
	s_or_b64 exec, exec, s[18:19]
	s_and_saveexec_b64 s[18:19], s[24:25]
	s_cbranch_execz .LBB762_72
; %bb.69:
	global_load_ubyte v7, v[2:3], off offset:320
	s_waitcnt vmcnt(0)
	v_and_b32_e32 v7, 1, v7
	v_cmp_eq_u32_e64 s[4:5], 1, v7
	s_xor_b64 s[4:5], s[4:5], -1
	v_mov_b32_e32 v7, 0
	s_and_saveexec_b64 s[24:25], s[4:5]
	s_cbranch_execz .LBB762_71
; %bb.70:
	v_sub_f32_e32 v7, v11, v23
	s_mov_b32 s4, 0x3fb8aa3b
	v_mul_f32_e32 v11, 0x3fb8aa3b, v7
	v_fma_f32 v12, v7, s4, -v11
	v_rndne_f32_e32 v14, v11
	v_fmac_f32_e32 v12, 0x32a5705f, v7
	v_sub_f32_e32 v11, v11, v14
	v_add_f32_e32 v11, v11, v12
	v_exp_f32_e32 v11, v11
	v_cvt_i32_f32_e32 v12, v14
	s_mov_b32 s4, 0xc2ce8ed0
	v_cmp_ngt_f32_e64 s[4:5], s4, v7
	v_ldexp_f32 v11, v11, v12
	v_cndmask_b32_e64 v11, 0, v11, s[4:5]
	s_mov_b32 s4, 0x42b17218
	v_mov_b32_e32 v12, 0x7f800000
	v_cmp_nlt_f32_e64 s[4:5], s4, v7
	v_cndmask_b32_e64 v7, v12, v11, s[4:5]
	v_add_f32_e32 v16, v16, v7
.LBB762_71:
	s_or_b64 exec, exec, s[24:25]
.LBB762_72:
	s_or_b64 exec, exec, s[18:19]
	v_mov_b32_e32 v11, 0
	v_mov_b32_e32 v12, 0
	s_and_saveexec_b64 s[18:19], s[22:23]
	s_cbranch_execz .LBB762_76
; %bb.73:
	global_load_ubyte v12, v[2:3], off offset:384
	s_waitcnt vmcnt(0)
	v_and_b32_e32 v12, 1, v12
	v_cmp_eq_u32_e64 s[4:5], 1, v12
	s_xor_b64 s[4:5], s[4:5], -1
	v_mov_b32_e32 v12, 0
	s_and_saveexec_b64 s[22:23], s[4:5]
	s_cbranch_execz .LBB762_75
; %bb.74:
	v_sub_f32_e32 v10, v10, v23
	s_mov_b32 s4, 0x3fb8aa3b
	v_mul_f32_e32 v12, 0x3fb8aa3b, v10
	v_fma_f32 v14, v10, s4, -v12
	v_rndne_f32_e32 v24, v12
	v_fmac_f32_e32 v14, 0x32a5705f, v10
	v_sub_f32_e32 v12, v12, v24
	v_add_f32_e32 v12, v12, v14
	v_exp_f32_e32 v12, v12
	v_cvt_i32_f32_e32 v14, v24
	s_mov_b32 s4, 0xc2ce8ed0
	v_cmp_ngt_f32_e64 s[4:5], s4, v10
	v_ldexp_f32 v12, v12, v14
	v_cndmask_b32_e64 v12, 0, v12, s[4:5]
	s_mov_b32 s4, 0x42b17218
	v_mov_b32_e32 v14, 0x7f800000
	v_cmp_nlt_f32_e64 s[4:5], s4, v10
	v_cndmask_b32_e64 v12, v14, v12, s[4:5]
	v_add_f32_e32 v16, v16, v12
.LBB762_75:
	s_or_b64 exec, exec, s[22:23]
.LBB762_76:
	s_or_b64 exec, exec, s[18:19]
	s_and_saveexec_b64 s[18:19], s[14:15]
	s_cbranch_execz .LBB762_80
; %bb.77:
	global_load_ubyte v2, v[2:3], off offset:448
	v_mov_b32_e32 v11, 0
	s_waitcnt vmcnt(0)
	v_and_b32_e32 v2, 1, v2
	v_cmp_eq_u32_e64 s[4:5], 1, v2
	s_xor_b64 s[4:5], s[4:5], -1
	s_and_saveexec_b64 s[14:15], s[4:5]
	s_cbranch_execz .LBB762_79
; %bb.78:
	v_sub_f32_e32 v2, v9, v23
	s_mov_b32 s4, 0x3fb8aa3b
	v_mul_f32_e32 v3, 0x3fb8aa3b, v2
	v_fma_f32 v9, v2, s4, -v3
	v_rndne_f32_e32 v10, v3
	v_fmac_f32_e32 v9, 0x32a5705f, v2
	v_sub_f32_e32 v3, v3, v10
	v_add_f32_e32 v3, v3, v9
	v_exp_f32_e32 v3, v3
	v_cvt_i32_f32_e32 v9, v10
	s_mov_b32 s4, 0xc2ce8ed0
	v_cmp_ngt_f32_e64 s[4:5], s4, v2
	v_ldexp_f32 v3, v3, v9
	v_cndmask_b32_e64 v3, 0, v3, s[4:5]
	s_mov_b32 s4, 0x42b17218
	v_mov_b32_e32 v9, 0x7f800000
	v_cmp_nlt_f32_e64 s[4:5], s4, v2
	v_cndmask_b32_e64 v11, v9, v3, s[4:5]
	v_add_f32_e32 v16, v16, v11
.LBB762_79:
	s_or_b64 exec, exec, s[14:15]
.LBB762_80:
	s_or_b64 exec, exec, s[18:19]
	ds_bpermute_b32 v2, v6, v16
	v_cmp_lt_i32_e64 s[4:5], 0, v8
	s_waitcnt lgkmcnt(0)
	v_add_f32_e32 v2, v16, v2
	ds_bpermute_b32 v3, v17, v2
	s_waitcnt lgkmcnt(0)
	v_add_f32_e32 v2, v2, v3
	ds_bpermute_b32 v3, v18, v2
	s_waitcnt lgkmcnt(0)
	v_add_f32_e32 v2, v2, v3
	ds_bpermute_b32 v3, v19, v2
	s_waitcnt lgkmcnt(0)
	v_add_f32_e32 v2, v2, v3
	ds_bpermute_b32 v3, v21, v2
	s_waitcnt lgkmcnt(0)
	v_add_f32_e32 v2, v2, v3
	ds_bpermute_b32 v3, v22, v2
	s_and_saveexec_b64 s[14:15], s[4:5]
	s_cbranch_execz .LBB762_106
; %bb.81:
	s_and_b64 exec, exec, vcc
	s_cbranch_execz .LBB762_106
; %bb.82:
	s_waitcnt lgkmcnt(0)
	v_add_f32_e32 v2, v2, v3
	v_cmp_neq_f32_e64 s[14:15], 0, v2
	v_mov_b32_e32 v3, 0x7fc0
	s_and_saveexec_b64 s[4:5], s[14:15]
	s_cbranch_execz .LBB762_84
; %bb.83:
	v_div_scale_f32 v3, s[18:19], v2, v2, v20
	v_rcp_f32_e32 v6, v3
	v_div_scale_f32 v8, vcc, v20, v2, v20
	s_movk_i32 s18, 0x7fff
	v_fma_f32 v9, -v3, v6, 1.0
	v_fmac_f32_e32 v6, v9, v6
	v_mul_f32_e32 v9, v8, v6
	v_fma_f32 v10, -v3, v9, v8
	v_fmac_f32_e32 v9, v10, v6
	v_fma_f32 v3, -v3, v9, v8
	v_div_fmas_f32 v3, v3, v6, v9
	v_div_fixup_f32 v3, v3, v2, v20
	v_bfe_u32 v6, v3, 16, 1
	v_add3_u32 v6, v3, v6, s18
	v_lshrrev_b32_e32 v6, 16, v6
	v_mov_b32_e32 v8, 0x7fc0
	v_cmp_o_f32_e32 vcc, v3, v3
	v_cndmask_b32_e32 v3, v8, v6, vcc
.LBB762_84:
	s_or_b64 exec, exec, s[4:5]
	v_mov_b32_e32 v6, s21
	v_add_co_u32_e32 v0, vcc, s20, v0
	v_addc_co_u32_e32 v1, vcc, v6, v1, vcc
	global_store_short v[0:1], v3, off
	s_and_b64 exec, exec, s[12:13]
	s_cbranch_execz .LBB762_106
; %bb.85:
	v_mov_b32_e32 v3, 0x7fc0
	s_and_saveexec_b64 s[4:5], s[14:15]
	s_cbranch_execz .LBB762_87
; %bb.86:
	v_div_scale_f32 v3, s[12:13], v2, v2, v4
	v_rcp_f32_e32 v6, v3
	v_div_scale_f32 v8, vcc, v4, v2, v4
	s_movk_i32 s12, 0x7fff
	v_fma_f32 v9, -v3, v6, 1.0
	v_fmac_f32_e32 v6, v9, v6
	v_mul_f32_e32 v9, v8, v6
	v_fma_f32 v10, -v3, v9, v8
	v_fmac_f32_e32 v9, v10, v6
	v_fma_f32 v3, -v3, v9, v8
	v_div_fmas_f32 v3, v3, v6, v9
	v_div_fixup_f32 v3, v3, v2, v4
	v_bfe_u32 v4, v3, 16, 1
	v_add3_u32 v4, v3, v4, s12
	v_lshrrev_b32_e32 v4, 16, v4
	v_mov_b32_e32 v6, 0x7fc0
	v_cmp_o_f32_e32 vcc, v3, v3
	v_cndmask_b32_e32 v3, v6, v4, vcc
.LBB762_87:
	s_or_b64 exec, exec, s[4:5]
	global_store_short v[0:1], v3, off offset:128
	s_and_b64 exec, exec, s[10:11]
	s_cbranch_execz .LBB762_106
; %bb.88:
	v_mov_b32_e32 v3, 0x7fc0
	s_and_saveexec_b64 s[4:5], s[14:15]
	s_cbranch_execz .LBB762_90
; %bb.89:
	v_div_scale_f32 v3, s[10:11], v2, v2, v15
	v_rcp_f32_e32 v4, v3
	v_div_scale_f32 v6, vcc, v15, v2, v15
	s_movk_i32 s10, 0x7fff
	v_fma_f32 v8, -v3, v4, 1.0
	v_fmac_f32_e32 v4, v8, v4
	v_mul_f32_e32 v8, v6, v4
	v_fma_f32 v9, -v3, v8, v6
	v_fmac_f32_e32 v8, v9, v4
	v_fma_f32 v3, -v3, v8, v6
	v_div_fmas_f32 v3, v3, v4, v8
	v_div_fixup_f32 v3, v3, v2, v15
	v_bfe_u32 v4, v3, 16, 1
	v_add3_u32 v4, v3, v4, s10
	v_lshrrev_b32_e32 v4, 16, v4
	v_mov_b32_e32 v6, 0x7fc0
	v_cmp_o_f32_e32 vcc, v3, v3
	v_cndmask_b32_e32 v3, v6, v4, vcc
.LBB762_90:
	s_or_b64 exec, exec, s[4:5]
	global_store_short v[0:1], v3, off offset:256
	;; [unrolled: 28-line block ×7, first 2 shown]
.LBB762_106:
	s_endpgm
	.section	.rodata,"a",@progbits
	.p2align	6, 0x0
	.amdhsa_kernel _ZN12_GLOBAL__N_120softmax_warp_forwardIN3c108BFloat16ES2_fLi9ELb0ELb1ELi64EEEvPT0_PKT_iiiPKbib
		.amdhsa_group_segment_fixed_size 0
		.amdhsa_private_segment_fixed_size 0
		.amdhsa_kernarg_size 304
		.amdhsa_user_sgpr_count 6
		.amdhsa_user_sgpr_private_segment_buffer 1
		.amdhsa_user_sgpr_dispatch_ptr 0
		.amdhsa_user_sgpr_queue_ptr 0
		.amdhsa_user_sgpr_kernarg_segment_ptr 1
		.amdhsa_user_sgpr_dispatch_id 0
		.amdhsa_user_sgpr_flat_scratch_init 0
		.amdhsa_user_sgpr_kernarg_preload_length 0
		.amdhsa_user_sgpr_kernarg_preload_offset 0
		.amdhsa_user_sgpr_private_segment_size 0
		.amdhsa_uses_dynamic_stack 0
		.amdhsa_system_sgpr_private_segment_wavefront_offset 0
		.amdhsa_system_sgpr_workgroup_id_x 1
		.amdhsa_system_sgpr_workgroup_id_y 0
		.amdhsa_system_sgpr_workgroup_id_z 0
		.amdhsa_system_sgpr_workgroup_info 0
		.amdhsa_system_vgpr_workitem_id 1
		.amdhsa_next_free_vgpr 25
		.amdhsa_next_free_sgpr 44
		.amdhsa_accum_offset 28
		.amdhsa_reserve_vcc 1
		.amdhsa_reserve_flat_scratch 0
		.amdhsa_float_round_mode_32 0
		.amdhsa_float_round_mode_16_64 0
		.amdhsa_float_denorm_mode_32 3
		.amdhsa_float_denorm_mode_16_64 3
		.amdhsa_dx10_clamp 1
		.amdhsa_ieee_mode 1
		.amdhsa_fp16_overflow 0
		.amdhsa_tg_split 0
		.amdhsa_exception_fp_ieee_invalid_op 0
		.amdhsa_exception_fp_denorm_src 0
		.amdhsa_exception_fp_ieee_div_zero 0
		.amdhsa_exception_fp_ieee_overflow 0
		.amdhsa_exception_fp_ieee_underflow 0
		.amdhsa_exception_fp_ieee_inexact 0
		.amdhsa_exception_int_div_zero 0
	.end_amdhsa_kernel
	.section	.text._ZN12_GLOBAL__N_120softmax_warp_forwardIN3c108BFloat16ES2_fLi9ELb0ELb1ELi64EEEvPT0_PKT_iiiPKbib,"axG",@progbits,_ZN12_GLOBAL__N_120softmax_warp_forwardIN3c108BFloat16ES2_fLi9ELb0ELb1ELi64EEEvPT0_PKT_iiiPKbib,comdat
.Lfunc_end762:
	.size	_ZN12_GLOBAL__N_120softmax_warp_forwardIN3c108BFloat16ES2_fLi9ELb0ELb1ELi64EEEvPT0_PKT_iiiPKbib, .Lfunc_end762-_ZN12_GLOBAL__N_120softmax_warp_forwardIN3c108BFloat16ES2_fLi9ELb0ELb1ELi64EEEvPT0_PKT_iiiPKbib
                                        ; -- End function
	.section	.AMDGPU.csdata,"",@progbits
; Kernel info:
; codeLenInByte = 4644
; NumSgprs: 48
; NumVgprs: 25
; NumAgprs: 0
; TotalNumVgprs: 25
; ScratchSize: 0
; MemoryBound: 0
; FloatMode: 240
; IeeeMode: 1
; LDSByteSize: 0 bytes/workgroup (compile time only)
; SGPRBlocks: 5
; VGPRBlocks: 3
; NumSGPRsForWavesPerEU: 48
; NumVGPRsForWavesPerEU: 25
; AccumOffset: 28
; Occupancy: 8
; WaveLimiterHint : 0
; COMPUTE_PGM_RSRC2:SCRATCH_EN: 0
; COMPUTE_PGM_RSRC2:USER_SGPR: 6
; COMPUTE_PGM_RSRC2:TRAP_HANDLER: 0
; COMPUTE_PGM_RSRC2:TGID_X_EN: 1
; COMPUTE_PGM_RSRC2:TGID_Y_EN: 0
; COMPUTE_PGM_RSRC2:TGID_Z_EN: 0
; COMPUTE_PGM_RSRC2:TIDIG_COMP_CNT: 1
; COMPUTE_PGM_RSRC3_GFX90A:ACCUM_OFFSET: 6
; COMPUTE_PGM_RSRC3_GFX90A:TG_SPLIT: 0
	.section	.text._ZN12_GLOBAL__N_120softmax_warp_forwardIN3c108BFloat16ES2_fLi9ELb0ELb1ELi32EEEvPT0_PKT_iiiPKbib,"axG",@progbits,_ZN12_GLOBAL__N_120softmax_warp_forwardIN3c108BFloat16ES2_fLi9ELb0ELb1ELi32EEEvPT0_PKT_iiiPKbib,comdat
	.globl	_ZN12_GLOBAL__N_120softmax_warp_forwardIN3c108BFloat16ES2_fLi9ELb0ELb1ELi32EEEvPT0_PKT_iiiPKbib ; -- Begin function _ZN12_GLOBAL__N_120softmax_warp_forwardIN3c108BFloat16ES2_fLi9ELb0ELb1ELi32EEEvPT0_PKT_iiiPKbib
	.p2align	8
	.type	_ZN12_GLOBAL__N_120softmax_warp_forwardIN3c108BFloat16ES2_fLi9ELb0ELb1ELi32EEEvPT0_PKT_iiiPKbib,@function
_ZN12_GLOBAL__N_120softmax_warp_forwardIN3c108BFloat16ES2_fLi9ELb0ELb1ELi32EEEvPT0_PKT_iiiPKbib: ; @_ZN12_GLOBAL__N_120softmax_warp_forwardIN3c108BFloat16ES2_fLi9ELb0ELb1ELi32EEEvPT0_PKT_iiiPKbib
; %bb.0:
	s_load_dword s2, s[4:5], 0x3c
	s_load_dwordx4 s[40:43], s[4:5], 0x10
	s_load_dwordx2 s[0:1], s[4:5], 0x28
	v_bfe_u32 v1, v0, 10, 10
	v_and_b32_e32 v2, 0x3ff, v0
	s_waitcnt lgkmcnt(0)
	s_lshr_b32 s2, s2, 16
	s_mul_i32 s6, s6, s2
	v_add_u32_e32 v3, s6, v1
	v_mul_lo_u32 v6, v3, s41
	v_add_u32_e32 v0, v6, v2
	v_ashrrev_i32_e32 v1, 31, v0
	s_bitcmp0_b32 s1, 0
	v_pk_mov_b32 v[4:5], v[0:1], v[0:1] op_sel:[0,1]
	s_cbranch_scc1 .LBB763_2
; %bb.1:
	s_abs_i32 s1, s0
	v_cvt_f32_u32_e32 v4, s1
	v_xor_b32_e32 v5, s0, v6
	v_sub_u32_e32 v7, 0, v6
	s_sub_i32 s0, 0, s1
	v_rcp_iflag_f32_e32 v4, v4
	v_max_i32_e32 v6, v6, v7
	v_ashrrev_i32_e32 v5, 31, v5
	v_mul_f32_e32 v4, 0x4f7ffffe, v4
	v_cvt_u32_f32_e32 v4, v4
	v_mul_lo_u32 v7, s0, v4
	v_mul_hi_u32 v7, v4, v7
	v_add_u32_e32 v4, v4, v7
	v_mul_hi_u32 v4, v6, v4
	v_mul_lo_u32 v7, v4, s1
	v_sub_u32_e32 v6, v6, v7
	v_add_u32_e32 v8, 1, v4
	v_cmp_le_u32_e32 vcc, s1, v6
	v_subrev_u32_e32 v7, s1, v6
	v_cndmask_b32_e32 v4, v4, v8, vcc
	v_cndmask_b32_e32 v6, v6, v7, vcc
	v_add_u32_e32 v7, 1, v4
	v_cmp_le_u32_e32 vcc, s1, v6
	v_cndmask_b32_e32 v4, v4, v7, vcc
	v_xor_b32_e32 v4, v4, v5
	v_sub_u32_e32 v4, v4, v5
	v_mad_u64_u32 v[4:5], s[0:1], v4, s41, v[2:3]
	v_ashrrev_i32_e32 v5, 31, v4
.LBB763_2:
	s_load_dwordx4 s[36:39], s[4:5], 0x0
	v_lshlrev_b64 v[0:1], 1, v[0:1]
	v_sub_u32_e32 v8, s40, v3
	v_cmp_lt_i32_e64 s[30:31], 0, v8
	v_mov_b32_e32 v23, 0xff800000
	s_waitcnt lgkmcnt(0)
	v_mov_b32_e32 v3, s39
	v_add_co_u32_e32 v6, vcc, s38, v0
	v_addc_co_u32_e32 v7, vcc, v3, v1, vcc
	v_cmp_gt_i32_e32 vcc, s42, v2
	s_and_b64 s[68:69], s[30:31], vcc
	v_mov_b32_e32 v24, 0xff800000
	s_and_saveexec_b64 s[0:1], s[68:69]
	s_cbranch_execz .LBB763_4
; %bb.3:
	global_load_ushort v3, v[6:7], off
	s_waitcnt vmcnt(0)
	v_lshlrev_b32_e32 v24, 16, v3
.LBB763_4:
	s_or_b64 exec, exec, s[0:1]
	v_add_u32_e32 v3, 32, v2
	v_cmp_gt_i32_e64 s[28:29], s42, v3
	s_and_b64 s[66:67], s[30:31], s[28:29]
	s_and_saveexec_b64 s[0:1], s[66:67]
	s_cbranch_execz .LBB763_6
; %bb.5:
	global_load_ushort v3, v[6:7], off offset:64
	s_waitcnt vmcnt(0)
	v_lshlrev_b32_e32 v23, 16, v3
.LBB763_6:
	s_or_b64 exec, exec, s[0:1]
	v_add_u32_e32 v3, 64, v2
	v_cmp_gt_i32_e64 s[26:27], s42, v3
	s_and_b64 s[64:65], s[30:31], s[26:27]
	v_mov_b32_e32 v21, 0xff800000
	v_mov_b32_e32 v22, 0xff800000
	s_and_saveexec_b64 s[0:1], s[64:65]
	s_cbranch_execz .LBB763_8
; %bb.7:
	global_load_ushort v3, v[6:7], off offset:128
	s_waitcnt vmcnt(0)
	v_lshlrev_b32_e32 v22, 16, v3
.LBB763_8:
	s_or_b64 exec, exec, s[0:1]
	v_add_u32_e32 v3, 0x60, v2
	v_cmp_gt_i32_e64 s[24:25], s42, v3
	s_and_b64 s[62:63], s[30:31], s[24:25]
	s_and_saveexec_b64 s[0:1], s[62:63]
	s_cbranch_execz .LBB763_10
; %bb.9:
	global_load_ushort v3, v[6:7], off offset:192
	s_waitcnt vmcnt(0)
	v_lshlrev_b32_e32 v21, 16, v3
.LBB763_10:
	s_or_b64 exec, exec, s[0:1]
	v_add_u32_e32 v3, 0x80, v2
	v_cmp_gt_i32_e64 s[22:23], s42, v3
	s_and_b64 s[60:61], s[30:31], s[22:23]
	v_mov_b32_e32 v19, 0xff800000
	v_mov_b32_e32 v20, 0xff800000
	s_and_saveexec_b64 s[0:1], s[60:61]
	s_cbranch_execz .LBB763_12
; %bb.11:
	global_load_ushort v3, v[6:7], off offset:256
	s_waitcnt vmcnt(0)
	v_lshlrev_b32_e32 v20, 16, v3
.LBB763_12:
	;; [unrolled: 24-line block ×7, first 2 shown]
	s_or_b64 exec, exec, s[0:1]
	v_add_u32_e32 v2, 0x1e0, v2
	v_cmp_gt_i32_e64 s[0:1], s42, v2
	s_and_b64 s[30:31], s[30:31], s[0:1]
	s_and_saveexec_b64 s[42:43], s[30:31]
	s_cbranch_execz .LBB763_34
; %bb.33:
	global_load_ushort v2, v[6:7], off offset:960
	s_waitcnt vmcnt(0)
	v_lshlrev_b32_e32 v9, 16, v2
.LBB763_34:
	s_or_b64 exec, exec, s[42:43]
	s_load_dwordx2 s[4:5], s[4:5], 0x20
	s_mov_b64 s[42:43], 0
	s_waitcnt lgkmcnt(0)
	v_mov_b32_e32 v3, s5
	v_add_co_u32_e64 v2, s[4:5], s4, v4
	v_addc_co_u32_e64 v3, s[4:5], v3, v5, s[4:5]
	s_and_saveexec_b64 s[70:71], s[68:69]
	s_cbranch_execnz .LBB763_50
; %bb.35:
	s_or_b64 exec, exec, s[70:71]
	v_mov_b32_e32 v4, v24
	s_and_saveexec_b64 s[70:71], s[66:67]
	s_cbranch_execnz .LBB763_51
.LBB763_36:
	s_or_b64 exec, exec, s[70:71]
	s_and_saveexec_b64 s[70:71], s[64:65]
	s_cbranch_execnz .LBB763_54
.LBB763_37:
	s_or_b64 exec, exec, s[70:71]
	s_and_saveexec_b64 s[70:71], s[62:63]
	s_cbranch_execnz .LBB763_57
.LBB763_38:
	s_or_b64 exec, exec, s[70:71]
	s_and_saveexec_b64 s[70:71], s[60:61]
	s_cbranch_execnz .LBB763_60
.LBB763_39:
	s_or_b64 exec, exec, s[70:71]
	s_and_saveexec_b64 s[70:71], s[58:59]
	s_cbranch_execnz .LBB763_63
.LBB763_40:
	s_or_b64 exec, exec, s[70:71]
	s_and_saveexec_b64 s[70:71], s[56:57]
	s_cbranch_execnz .LBB763_66
.LBB763_41:
	s_or_b64 exec, exec, s[70:71]
	s_and_saveexec_b64 s[70:71], s[54:55]
	s_cbranch_execnz .LBB763_69
.LBB763_42:
	s_or_b64 exec, exec, s[70:71]
	s_and_saveexec_b64 s[70:71], s[52:53]
	s_cbranch_execnz .LBB763_72
.LBB763_43:
	s_or_b64 exec, exec, s[70:71]
	s_and_saveexec_b64 s[70:71], s[50:51]
	s_cbranch_execnz .LBB763_75
.LBB763_44:
	s_or_b64 exec, exec, s[70:71]
	s_and_saveexec_b64 s[70:71], s[48:49]
	s_cbranch_execnz .LBB763_78
.LBB763_45:
	s_or_b64 exec, exec, s[70:71]
	s_and_saveexec_b64 s[70:71], s[46:47]
	s_cbranch_execnz .LBB763_81
.LBB763_46:
	s_or_b64 exec, exec, s[70:71]
	s_and_saveexec_b64 s[70:71], s[44:45]
	s_cbranch_execnz .LBB763_84
.LBB763_47:
	s_or_b64 exec, exec, s[70:71]
	s_and_saveexec_b64 s[70:71], s[40:41]
	s_cbranch_execnz .LBB763_87
.LBB763_48:
	s_or_b64 exec, exec, s[70:71]
	s_and_saveexec_b64 s[70:71], s[38:39]
	s_cbranch_execnz .LBB763_90
.LBB763_49:
	s_or_b64 exec, exec, s[70:71]
	s_and_saveexec_b64 s[70:71], s[30:31]
	s_cbranch_execnz .LBB763_93
	s_branch .LBB763_96
.LBB763_50:
	global_load_ubyte v4, v[2:3], off
	s_waitcnt vmcnt(0)
	v_and_b32_e32 v4, 1, v4
	v_cmp_eq_u32_e64 s[4:5], 1, v4
	s_xor_b64 s[4:5], s[4:5], -1
	s_and_b64 s[42:43], s[4:5], exec
	s_or_b64 exec, exec, s[70:71]
	v_mov_b32_e32 v4, v24
	s_and_saveexec_b64 s[70:71], s[66:67]
	s_cbranch_execz .LBB763_36
.LBB763_51:
	global_load_ubyte v4, v[2:3], off offset:32
	s_mov_b64 s[72:73], s[42:43]
	s_waitcnt vmcnt(0)
	v_and_b32_e32 v4, 1, v4
	v_cmp_eq_u32_e64 s[4:5], 1, v4
	s_xor_b64 s[4:5], s[4:5], -1
	v_mov_b32_e32 v4, v24
	s_and_saveexec_b64 s[74:75], s[4:5]
; %bb.52:
	v_cmp_gt_f32_e64 s[4:5], v24, v23
	s_and_b64 s[4:5], s[42:43], s[4:5]
	v_cndmask_b32_e64 v4, v23, v24, s[4:5]
	s_or_b64 s[72:73], s[42:43], exec
; %bb.53:
	s_or_b64 exec, exec, s[74:75]
	s_andn2_b64 s[4:5], s[42:43], exec
	s_and_b64 s[42:43], s[72:73], exec
	s_or_b64 s[42:43], s[4:5], s[42:43]
	s_or_b64 exec, exec, s[70:71]
	s_and_saveexec_b64 s[70:71], s[64:65]
	s_cbranch_execz .LBB763_37
.LBB763_54:
	global_load_ubyte v5, v[2:3], off offset:64
	s_waitcnt vmcnt(0)
	v_and_b32_e32 v5, 1, v5
	v_cmp_eq_u32_e64 s[4:5], 1, v5
	s_xor_b64 s[74:75], s[4:5], -1
	s_mov_b64 s[4:5], s[42:43]
	s_and_saveexec_b64 s[72:73], s[74:75]
; %bb.55:
	v_cmp_gt_f32_e64 s[4:5], v4, v22
	s_and_b64 s[4:5], s[42:43], s[4:5]
	v_cndmask_b32_e64 v4, v22, v4, s[4:5]
	s_or_b64 s[4:5], s[42:43], exec
; %bb.56:
	s_or_b64 exec, exec, s[72:73]
	s_andn2_b64 s[42:43], s[42:43], exec
	s_and_b64 s[4:5], s[4:5], exec
	s_or_b64 s[42:43], s[42:43], s[4:5]
	s_or_b64 exec, exec, s[70:71]
	s_and_saveexec_b64 s[70:71], s[62:63]
	s_cbranch_execz .LBB763_38
.LBB763_57:
	global_load_ubyte v5, v[2:3], off offset:96
	s_waitcnt vmcnt(0)
	v_and_b32_e32 v5, 1, v5
	v_cmp_eq_u32_e64 s[4:5], 1, v5
	s_xor_b64 s[74:75], s[4:5], -1
	s_mov_b64 s[4:5], s[42:43]
	s_and_saveexec_b64 s[72:73], s[74:75]
; %bb.58:
	v_cmp_gt_f32_e64 s[4:5], v4, v21
	s_and_b64 s[4:5], s[42:43], s[4:5]
	v_cndmask_b32_e64 v4, v21, v4, s[4:5]
	s_or_b64 s[4:5], s[42:43], exec
; %bb.59:
	s_or_b64 exec, exec, s[72:73]
	s_andn2_b64 s[42:43], s[42:43], exec
	s_and_b64 s[4:5], s[4:5], exec
	s_or_b64 s[42:43], s[42:43], s[4:5]
	s_or_b64 exec, exec, s[70:71]
	s_and_saveexec_b64 s[70:71], s[60:61]
	s_cbranch_execz .LBB763_39
.LBB763_60:
	global_load_ubyte v5, v[2:3], off offset:128
	s_waitcnt vmcnt(0)
	v_and_b32_e32 v5, 1, v5
	v_cmp_eq_u32_e64 s[4:5], 1, v5
	s_xor_b64 s[74:75], s[4:5], -1
	s_mov_b64 s[4:5], s[42:43]
	s_and_saveexec_b64 s[72:73], s[74:75]
; %bb.61:
	v_cmp_gt_f32_e64 s[4:5], v4, v20
	s_and_b64 s[4:5], s[42:43], s[4:5]
	v_cndmask_b32_e64 v4, v20, v4, s[4:5]
	s_or_b64 s[4:5], s[42:43], exec
; %bb.62:
	s_or_b64 exec, exec, s[72:73]
	s_andn2_b64 s[42:43], s[42:43], exec
	s_and_b64 s[4:5], s[4:5], exec
	s_or_b64 s[42:43], s[42:43], s[4:5]
	s_or_b64 exec, exec, s[70:71]
	s_and_saveexec_b64 s[70:71], s[58:59]
	s_cbranch_execz .LBB763_40
.LBB763_63:
	global_load_ubyte v5, v[2:3], off offset:160
	s_waitcnt vmcnt(0)
	v_and_b32_e32 v5, 1, v5
	v_cmp_eq_u32_e64 s[4:5], 1, v5
	s_xor_b64 s[74:75], s[4:5], -1
	s_mov_b64 s[4:5], s[42:43]
	s_and_saveexec_b64 s[72:73], s[74:75]
; %bb.64:
	v_cmp_gt_f32_e64 s[4:5], v4, v19
	s_and_b64 s[4:5], s[42:43], s[4:5]
	v_cndmask_b32_e64 v4, v19, v4, s[4:5]
	s_or_b64 s[4:5], s[42:43], exec
; %bb.65:
	s_or_b64 exec, exec, s[72:73]
	s_andn2_b64 s[42:43], s[42:43], exec
	s_and_b64 s[4:5], s[4:5], exec
	s_or_b64 s[42:43], s[42:43], s[4:5]
	s_or_b64 exec, exec, s[70:71]
	s_and_saveexec_b64 s[70:71], s[56:57]
	s_cbranch_execz .LBB763_41
.LBB763_66:
	global_load_ubyte v5, v[2:3], off offset:192
	s_waitcnt vmcnt(0)
	v_and_b32_e32 v5, 1, v5
	v_cmp_eq_u32_e64 s[4:5], 1, v5
	s_xor_b64 s[74:75], s[4:5], -1
	s_mov_b64 s[4:5], s[42:43]
	s_and_saveexec_b64 s[72:73], s[74:75]
; %bb.67:
	v_cmp_gt_f32_e64 s[4:5], v4, v18
	s_and_b64 s[4:5], s[42:43], s[4:5]
	v_cndmask_b32_e64 v4, v18, v4, s[4:5]
	s_or_b64 s[4:5], s[42:43], exec
; %bb.68:
	s_or_b64 exec, exec, s[72:73]
	s_andn2_b64 s[42:43], s[42:43], exec
	s_and_b64 s[4:5], s[4:5], exec
	s_or_b64 s[42:43], s[42:43], s[4:5]
	s_or_b64 exec, exec, s[70:71]
	s_and_saveexec_b64 s[70:71], s[54:55]
	s_cbranch_execz .LBB763_42
.LBB763_69:
	global_load_ubyte v5, v[2:3], off offset:224
	s_waitcnt vmcnt(0)
	v_and_b32_e32 v5, 1, v5
	v_cmp_eq_u32_e64 s[4:5], 1, v5
	s_xor_b64 s[74:75], s[4:5], -1
	s_mov_b64 s[4:5], s[42:43]
	s_and_saveexec_b64 s[72:73], s[74:75]
; %bb.70:
	v_cmp_gt_f32_e64 s[4:5], v4, v17
	s_and_b64 s[4:5], s[42:43], s[4:5]
	v_cndmask_b32_e64 v4, v17, v4, s[4:5]
	s_or_b64 s[4:5], s[42:43], exec
; %bb.71:
	s_or_b64 exec, exec, s[72:73]
	s_andn2_b64 s[42:43], s[42:43], exec
	s_and_b64 s[4:5], s[4:5], exec
	s_or_b64 s[42:43], s[42:43], s[4:5]
	s_or_b64 exec, exec, s[70:71]
	s_and_saveexec_b64 s[70:71], s[52:53]
	s_cbranch_execz .LBB763_43
.LBB763_72:
	global_load_ubyte v5, v[2:3], off offset:256
	s_waitcnt vmcnt(0)
	v_and_b32_e32 v5, 1, v5
	v_cmp_eq_u32_e64 s[4:5], 1, v5
	s_xor_b64 s[74:75], s[4:5], -1
	s_mov_b64 s[4:5], s[42:43]
	s_and_saveexec_b64 s[72:73], s[74:75]
; %bb.73:
	v_cmp_gt_f32_e64 s[4:5], v4, v16
	s_and_b64 s[4:5], s[42:43], s[4:5]
	v_cndmask_b32_e64 v4, v16, v4, s[4:5]
	s_or_b64 s[4:5], s[42:43], exec
; %bb.74:
	s_or_b64 exec, exec, s[72:73]
	s_andn2_b64 s[42:43], s[42:43], exec
	s_and_b64 s[4:5], s[4:5], exec
	s_or_b64 s[42:43], s[42:43], s[4:5]
	s_or_b64 exec, exec, s[70:71]
	s_and_saveexec_b64 s[70:71], s[50:51]
	s_cbranch_execz .LBB763_44
.LBB763_75:
	global_load_ubyte v5, v[2:3], off offset:288
	s_waitcnt vmcnt(0)
	v_and_b32_e32 v5, 1, v5
	v_cmp_eq_u32_e64 s[4:5], 1, v5
	s_xor_b64 s[74:75], s[4:5], -1
	s_mov_b64 s[4:5], s[42:43]
	s_and_saveexec_b64 s[72:73], s[74:75]
; %bb.76:
	v_cmp_gt_f32_e64 s[4:5], v4, v15
	s_and_b64 s[4:5], s[42:43], s[4:5]
	v_cndmask_b32_e64 v4, v15, v4, s[4:5]
	s_or_b64 s[4:5], s[42:43], exec
; %bb.77:
	s_or_b64 exec, exec, s[72:73]
	s_andn2_b64 s[42:43], s[42:43], exec
	s_and_b64 s[4:5], s[4:5], exec
	s_or_b64 s[42:43], s[42:43], s[4:5]
	s_or_b64 exec, exec, s[70:71]
	s_and_saveexec_b64 s[70:71], s[48:49]
	s_cbranch_execz .LBB763_45
.LBB763_78:
	global_load_ubyte v5, v[2:3], off offset:320
	s_waitcnt vmcnt(0)
	v_and_b32_e32 v5, 1, v5
	v_cmp_eq_u32_e64 s[4:5], 1, v5
	s_xor_b64 s[74:75], s[4:5], -1
	s_mov_b64 s[4:5], s[42:43]
	s_and_saveexec_b64 s[72:73], s[74:75]
; %bb.79:
	v_cmp_gt_f32_e64 s[4:5], v4, v14
	s_and_b64 s[4:5], s[42:43], s[4:5]
	v_cndmask_b32_e64 v4, v14, v4, s[4:5]
	s_or_b64 s[4:5], s[42:43], exec
; %bb.80:
	s_or_b64 exec, exec, s[72:73]
	s_andn2_b64 s[42:43], s[42:43], exec
	s_and_b64 s[4:5], s[4:5], exec
	s_or_b64 s[42:43], s[42:43], s[4:5]
	s_or_b64 exec, exec, s[70:71]
	s_and_saveexec_b64 s[70:71], s[46:47]
	s_cbranch_execz .LBB763_46
.LBB763_81:
	global_load_ubyte v5, v[2:3], off offset:352
	s_waitcnt vmcnt(0)
	v_and_b32_e32 v5, 1, v5
	v_cmp_eq_u32_e64 s[4:5], 1, v5
	s_xor_b64 s[74:75], s[4:5], -1
	s_mov_b64 s[4:5], s[42:43]
	s_and_saveexec_b64 s[72:73], s[74:75]
; %bb.82:
	v_cmp_gt_f32_e64 s[4:5], v4, v13
	s_and_b64 s[4:5], s[42:43], s[4:5]
	v_cndmask_b32_e64 v4, v13, v4, s[4:5]
	s_or_b64 s[4:5], s[42:43], exec
; %bb.83:
	s_or_b64 exec, exec, s[72:73]
	s_andn2_b64 s[42:43], s[42:43], exec
	s_and_b64 s[4:5], s[4:5], exec
	s_or_b64 s[42:43], s[42:43], s[4:5]
	s_or_b64 exec, exec, s[70:71]
	s_and_saveexec_b64 s[70:71], s[44:45]
	s_cbranch_execz .LBB763_47
.LBB763_84:
	global_load_ubyte v5, v[2:3], off offset:384
	s_waitcnt vmcnt(0)
	v_and_b32_e32 v5, 1, v5
	v_cmp_eq_u32_e64 s[4:5], 1, v5
	s_xor_b64 s[74:75], s[4:5], -1
	s_mov_b64 s[4:5], s[42:43]
	s_and_saveexec_b64 s[72:73], s[74:75]
; %bb.85:
	v_cmp_gt_f32_e64 s[4:5], v4, v12
	s_and_b64 s[4:5], s[42:43], s[4:5]
	v_cndmask_b32_e64 v4, v12, v4, s[4:5]
	s_or_b64 s[4:5], s[42:43], exec
; %bb.86:
	s_or_b64 exec, exec, s[72:73]
	s_andn2_b64 s[42:43], s[42:43], exec
	s_and_b64 s[4:5], s[4:5], exec
	s_or_b64 s[42:43], s[42:43], s[4:5]
	s_or_b64 exec, exec, s[70:71]
	s_and_saveexec_b64 s[70:71], s[40:41]
	s_cbranch_execz .LBB763_48
.LBB763_87:
	global_load_ubyte v5, v[2:3], off offset:416
	s_waitcnt vmcnt(0)
	v_and_b32_e32 v5, 1, v5
	v_cmp_eq_u32_e64 s[4:5], 1, v5
	s_xor_b64 s[74:75], s[4:5], -1
	s_mov_b64 s[4:5], s[42:43]
	s_and_saveexec_b64 s[72:73], s[74:75]
; %bb.88:
	v_cmp_gt_f32_e64 s[4:5], v4, v11
	s_and_b64 s[4:5], s[42:43], s[4:5]
	v_cndmask_b32_e64 v4, v11, v4, s[4:5]
	s_or_b64 s[4:5], s[42:43], exec
; %bb.89:
	s_or_b64 exec, exec, s[72:73]
	s_andn2_b64 s[42:43], s[42:43], exec
	s_and_b64 s[4:5], s[4:5], exec
	s_or_b64 s[42:43], s[42:43], s[4:5]
	s_or_b64 exec, exec, s[70:71]
	s_and_saveexec_b64 s[70:71], s[38:39]
	s_cbranch_execz .LBB763_49
.LBB763_90:
	global_load_ubyte v5, v[2:3], off offset:448
	s_waitcnt vmcnt(0)
	v_and_b32_e32 v5, 1, v5
	v_cmp_eq_u32_e64 s[4:5], 1, v5
	s_xor_b64 s[74:75], s[4:5], -1
	s_mov_b64 s[4:5], s[42:43]
	s_and_saveexec_b64 s[72:73], s[74:75]
; %bb.91:
	v_cmp_gt_f32_e64 s[4:5], v4, v10
	s_and_b64 s[4:5], s[42:43], s[4:5]
	v_cndmask_b32_e64 v4, v10, v4, s[4:5]
	s_or_b64 s[4:5], s[42:43], exec
; %bb.92:
	s_or_b64 exec, exec, s[72:73]
	s_andn2_b64 s[42:43], s[42:43], exec
	s_and_b64 s[4:5], s[4:5], exec
	s_or_b64 s[42:43], s[42:43], s[4:5]
	s_or_b64 exec, exec, s[70:71]
	s_and_saveexec_b64 s[70:71], s[30:31]
	s_cbranch_execz .LBB763_96
.LBB763_93:
	global_load_ubyte v5, v[2:3], off offset:480
	s_waitcnt vmcnt(0)
	v_and_b32_e32 v5, 1, v5
	v_cmp_eq_u32_e64 s[4:5], 1, v5
	s_xor_b64 s[74:75], s[4:5], -1
	s_mov_b64 s[4:5], s[42:43]
	s_and_saveexec_b64 s[72:73], s[74:75]
; %bb.94:
	v_cmp_gt_f32_e64 s[4:5], v4, v9
	s_and_b64 s[4:5], s[42:43], s[4:5]
	v_cndmask_b32_e64 v4, v9, v4, s[4:5]
	s_or_b64 s[4:5], s[42:43], exec
; %bb.95:
	s_or_b64 exec, exec, s[72:73]
	s_andn2_b64 s[42:43], s[42:43], exec
	s_and_b64 s[4:5], s[4:5], exec
	s_or_b64 s[42:43], s[42:43], s[4:5]
.LBB763_96:
	s_or_b64 exec, exec, s[70:71]
	v_mov_b32_e32 v5, 0xff800000
	v_cndmask_b32_e64 v4, v5, v4, s[42:43]
	v_mbcnt_lo_u32_b32 v5, -1, 0
	v_mbcnt_hi_u32_b32 v5, -1, v5
	v_and_b32_e32 v6, 0x60, v5
	v_add_u32_e32 v6, 32, v6
	v_xor_b32_e32 v7, 16, v5
	v_cmp_lt_i32_e64 s[4:5], v7, v6
	v_cndmask_b32_e64 v7, v5, v7, s[4:5]
	v_lshlrev_b32_e32 v7, 2, v7
	ds_bpermute_b32 v25, v7, v4
	s_waitcnt lgkmcnt(0)
	v_cmp_lt_f32_e64 s[4:5], v4, v25
	v_cndmask_b32_e64 v4, v4, v25, s[4:5]
	v_xor_b32_e32 v25, 8, v5
	v_cmp_lt_i32_e64 s[4:5], v25, v6
	v_cndmask_b32_e64 v25, v5, v25, s[4:5]
	v_lshlrev_b32_e32 v25, 2, v25
	ds_bpermute_b32 v26, v25, v4
	s_waitcnt lgkmcnt(0)
	v_cmp_lt_f32_e64 s[4:5], v4, v26
	v_cndmask_b32_e64 v4, v4, v26, s[4:5]
	v_xor_b32_e32 v26, 4, v5
	v_cmp_lt_i32_e64 s[4:5], v26, v6
	v_cndmask_b32_e64 v26, v5, v26, s[4:5]
	v_lshlrev_b32_e32 v26, 2, v26
	ds_bpermute_b32 v27, v26, v4
	s_waitcnt lgkmcnt(0)
	v_cmp_lt_f32_e64 s[4:5], v4, v27
	v_cndmask_b32_e64 v4, v4, v27, s[4:5]
	v_xor_b32_e32 v27, 2, v5
	v_cmp_lt_i32_e64 s[4:5], v27, v6
	v_cndmask_b32_e64 v27, v5, v27, s[4:5]
	v_lshlrev_b32_e32 v28, 2, v27
	ds_bpermute_b32 v27, v28, v4
	s_waitcnt lgkmcnt(0)
	v_cmp_lt_f32_e64 s[4:5], v4, v27
	v_cndmask_b32_e64 v4, v4, v27, s[4:5]
	v_xor_b32_e32 v27, 1, v5
	v_cmp_lt_i32_e64 s[4:5], v27, v6
	v_cndmask_b32_e64 v5, v5, v27, s[4:5]
	v_lshlrev_b32_e32 v29, 2, v5
	ds_bpermute_b32 v5, v29, v4
	v_mov_b32_e32 v27, 0
	s_waitcnt lgkmcnt(0)
	v_cmp_lt_f32_e64 s[4:5], v4, v5
	v_cndmask_b32_e64 v30, v4, v5, s[4:5]
	v_mov_b32_e32 v4, 0
	s_and_saveexec_b64 s[42:43], s[68:69]
	s_cbranch_execz .LBB763_100
; %bb.97:
	global_load_ubyte v5, v[2:3], off
	v_mov_b32_e32 v27, 0
	s_waitcnt vmcnt(0)
	v_and_b32_e32 v5, 1, v5
	v_cmp_eq_u32_e64 s[4:5], 1, v5
	s_xor_b64 s[4:5], s[4:5], -1
	s_and_saveexec_b64 s[68:69], s[4:5]
	s_cbranch_execz .LBB763_99
; %bb.98:
	v_sub_f32_e32 v5, v24, v30
	s_mov_b32 s4, 0x3fb8aa3b
	v_mul_f32_e32 v6, 0x3fb8aa3b, v5
	v_fma_f32 v24, v5, s4, -v6
	v_rndne_f32_e32 v27, v6
	v_fmac_f32_e32 v24, 0x32a5705f, v5
	v_sub_f32_e32 v6, v6, v27
	v_add_f32_e32 v6, v6, v24
	v_exp_f32_e32 v6, v6
	v_cvt_i32_f32_e32 v24, v27
	s_mov_b32 s4, 0xc2ce8ed0
	v_cmp_ngt_f32_e64 s[4:5], s4, v5
	v_ldexp_f32 v6, v6, v24
	v_cndmask_b32_e64 v6, 0, v6, s[4:5]
	s_mov_b32 s4, 0x42b17218
	v_mov_b32_e32 v24, 0x7f800000
	v_cmp_nlt_f32_e64 s[4:5], s4, v5
	v_cndmask_b32_e64 v27, v24, v6, s[4:5]
.LBB763_99:
	s_or_b64 exec, exec, s[68:69]
.LBB763_100:
	s_or_b64 exec, exec, s[42:43]
	v_mov_b32_e32 v24, v27
	s_and_saveexec_b64 s[42:43], s[66:67]
	s_cbranch_execz .LBB763_104
; %bb.101:
	global_load_ubyte v5, v[2:3], off offset:32
	v_mov_b32_e32 v4, 0
	v_mov_b32_e32 v24, v27
	s_waitcnt vmcnt(0)
	v_and_b32_e32 v5, 1, v5
	v_cmp_eq_u32_e64 s[4:5], 1, v5
	s_xor_b64 s[4:5], s[4:5], -1
	s_and_saveexec_b64 s[66:67], s[4:5]
	s_cbranch_execz .LBB763_103
; %bb.102:
	v_sub_f32_e32 v4, v23, v30
	s_mov_b32 s4, 0x3fb8aa3b
	v_mul_f32_e32 v5, 0x3fb8aa3b, v4
	v_fma_f32 v6, v4, s4, -v5
	v_rndne_f32_e32 v23, v5
	v_fmac_f32_e32 v6, 0x32a5705f, v4
	v_sub_f32_e32 v5, v5, v23
	v_add_f32_e32 v5, v5, v6
	v_exp_f32_e32 v5, v5
	v_cvt_i32_f32_e32 v6, v23
	s_mov_b32 s4, 0xc2ce8ed0
	v_cmp_ngt_f32_e64 s[4:5], s4, v4
	v_ldexp_f32 v5, v5, v6
	v_cndmask_b32_e64 v5, 0, v5, s[4:5]
	s_mov_b32 s4, 0x42b17218
	v_mov_b32_e32 v6, 0x7f800000
	v_cmp_nlt_f32_e64 s[4:5], s4, v4
	v_cndmask_b32_e64 v4, v6, v5, s[4:5]
	v_add_f32_e32 v24, v27, v4
.LBB763_103:
	s_or_b64 exec, exec, s[66:67]
.LBB763_104:
	s_or_b64 exec, exec, s[42:43]
	v_mov_b32_e32 v5, 0
	v_mov_b32_e32 v23, 0
	s_and_saveexec_b64 s[42:43], s[64:65]
	s_cbranch_execz .LBB763_108
; %bb.105:
	global_load_ubyte v6, v[2:3], off offset:64
	v_mov_b32_e32 v23, 0
	s_waitcnt vmcnt(0)
	v_and_b32_e32 v6, 1, v6
	v_cmp_eq_u32_e64 s[4:5], 1, v6
	s_xor_b64 s[4:5], s[4:5], -1
	s_and_saveexec_b64 s[64:65], s[4:5]
	s_cbranch_execz .LBB763_107
; %bb.106:
	v_sub_f32_e32 v6, v22, v30
	s_mov_b32 s4, 0x3fb8aa3b
	v_mul_f32_e32 v22, 0x3fb8aa3b, v6
	v_fma_f32 v23, v6, s4, -v22
	v_rndne_f32_e32 v31, v22
	v_fmac_f32_e32 v23, 0x32a5705f, v6
	v_sub_f32_e32 v22, v22, v31
	v_add_f32_e32 v22, v22, v23
	v_exp_f32_e32 v22, v22
	v_cvt_i32_f32_e32 v23, v31
	s_mov_b32 s4, 0xc2ce8ed0
	v_cmp_ngt_f32_e64 s[4:5], s4, v6
	v_ldexp_f32 v22, v22, v23
	v_cndmask_b32_e64 v22, 0, v22, s[4:5]
	s_mov_b32 s4, 0x42b17218
	v_mov_b32_e32 v23, 0x7f800000
	v_cmp_nlt_f32_e64 s[4:5], s4, v6
	v_cndmask_b32_e64 v23, v23, v22, s[4:5]
	v_add_f32_e32 v24, v24, v23
.LBB763_107:
	s_or_b64 exec, exec, s[64:65]
.LBB763_108:
	s_or_b64 exec, exec, s[42:43]
	s_and_saveexec_b64 s[42:43], s[62:63]
	s_cbranch_execz .LBB763_112
; %bb.109:
	global_load_ubyte v5, v[2:3], off offset:96
	s_waitcnt vmcnt(0)
	v_and_b32_e32 v5, 1, v5
	v_cmp_eq_u32_e64 s[4:5], 1, v5
	s_xor_b64 s[4:5], s[4:5], -1
	v_mov_b32_e32 v5, 0
	s_and_saveexec_b64 s[62:63], s[4:5]
	s_cbranch_execz .LBB763_111
; %bb.110:
	v_sub_f32_e32 v5, v21, v30
	s_mov_b32 s4, 0x3fb8aa3b
	v_mul_f32_e32 v6, 0x3fb8aa3b, v5
	v_fma_f32 v21, v5, s4, -v6
	v_rndne_f32_e32 v22, v6
	v_fmac_f32_e32 v21, 0x32a5705f, v5
	v_sub_f32_e32 v6, v6, v22
	v_add_f32_e32 v6, v6, v21
	v_exp_f32_e32 v6, v6
	v_cvt_i32_f32_e32 v21, v22
	s_mov_b32 s4, 0xc2ce8ed0
	v_cmp_ngt_f32_e64 s[4:5], s4, v5
	v_ldexp_f32 v6, v6, v21
	v_cndmask_b32_e64 v6, 0, v6, s[4:5]
	s_mov_b32 s4, 0x42b17218
	v_mov_b32_e32 v21, 0x7f800000
	v_cmp_nlt_f32_e64 s[4:5], s4, v5
	v_cndmask_b32_e64 v5, v21, v6, s[4:5]
	v_add_f32_e32 v24, v24, v5
.LBB763_111:
	s_or_b64 exec, exec, s[62:63]
.LBB763_112:
	s_or_b64 exec, exec, s[42:43]
	v_mov_b32_e32 v6, 0
	v_mov_b32_e32 v21, 0
	s_and_saveexec_b64 s[42:43], s[60:61]
	s_cbranch_execz .LBB763_116
; %bb.113:
	global_load_ubyte v21, v[2:3], off offset:128
	s_waitcnt vmcnt(0)
	v_and_b32_e32 v21, 1, v21
	v_cmp_eq_u32_e64 s[4:5], 1, v21
	s_xor_b64 s[4:5], s[4:5], -1
	v_mov_b32_e32 v21, 0
	s_and_saveexec_b64 s[60:61], s[4:5]
	s_cbranch_execz .LBB763_115
; %bb.114:
	v_sub_f32_e32 v20, v20, v30
	s_mov_b32 s4, 0x3fb8aa3b
	v_mul_f32_e32 v21, 0x3fb8aa3b, v20
	v_fma_f32 v22, v20, s4, -v21
	v_rndne_f32_e32 v31, v21
	v_fmac_f32_e32 v22, 0x32a5705f, v20
	v_sub_f32_e32 v21, v21, v31
	v_add_f32_e32 v21, v21, v22
	v_exp_f32_e32 v21, v21
	v_cvt_i32_f32_e32 v22, v31
	s_mov_b32 s4, 0xc2ce8ed0
	v_cmp_ngt_f32_e64 s[4:5], s4, v20
	v_ldexp_f32 v21, v21, v22
	v_cndmask_b32_e64 v21, 0, v21, s[4:5]
	s_mov_b32 s4, 0x42b17218
	v_mov_b32_e32 v22, 0x7f800000
	v_cmp_nlt_f32_e64 s[4:5], s4, v20
	v_cndmask_b32_e64 v21, v22, v21, s[4:5]
	v_add_f32_e32 v24, v24, v21
.LBB763_115:
	s_or_b64 exec, exec, s[60:61]
.LBB763_116:
	s_or_b64 exec, exec, s[42:43]
	s_and_saveexec_b64 s[42:43], s[58:59]
	s_cbranch_execz .LBB763_120
; %bb.117:
	global_load_ubyte v6, v[2:3], off offset:160
	s_waitcnt vmcnt(0)
	v_and_b32_e32 v6, 1, v6
	v_cmp_eq_u32_e64 s[4:5], 1, v6
	s_xor_b64 s[4:5], s[4:5], -1
	v_mov_b32_e32 v6, 0
	s_and_saveexec_b64 s[58:59], s[4:5]
	s_cbranch_execz .LBB763_119
; %bb.118:
	v_sub_f32_e32 v6, v19, v30
	s_mov_b32 s4, 0x3fb8aa3b
	v_mul_f32_e32 v19, 0x3fb8aa3b, v6
	v_fma_f32 v20, v6, s4, -v19
	v_rndne_f32_e32 v22, v19
	v_fmac_f32_e32 v20, 0x32a5705f, v6
	v_sub_f32_e32 v19, v19, v22
	v_add_f32_e32 v19, v19, v20
	v_exp_f32_e32 v19, v19
	v_cvt_i32_f32_e32 v20, v22
	s_mov_b32 s4, 0xc2ce8ed0
	v_cmp_ngt_f32_e64 s[4:5], s4, v6
	v_ldexp_f32 v19, v19, v20
	v_cndmask_b32_e64 v19, 0, v19, s[4:5]
	s_mov_b32 s4, 0x42b17218
	v_mov_b32_e32 v20, 0x7f800000
	v_cmp_nlt_f32_e64 s[4:5], s4, v6
	v_cndmask_b32_e64 v6, v20, v19, s[4:5]
	v_add_f32_e32 v24, v24, v6
.LBB763_119:
	s_or_b64 exec, exec, s[58:59]
.LBB763_120:
	s_or_b64 exec, exec, s[42:43]
	v_mov_b32_e32 v19, 0
	v_mov_b32_e32 v20, 0
	s_and_saveexec_b64 s[42:43], s[56:57]
	s_cbranch_execz .LBB763_124
; %bb.121:
	global_load_ubyte v20, v[2:3], off offset:192
	s_waitcnt vmcnt(0)
	v_and_b32_e32 v20, 1, v20
	v_cmp_eq_u32_e64 s[4:5], 1, v20
	s_xor_b64 s[4:5], s[4:5], -1
	v_mov_b32_e32 v20, 0
	s_and_saveexec_b64 s[56:57], s[4:5]
	s_cbranch_execz .LBB763_123
; %bb.122:
	v_sub_f32_e32 v18, v18, v30
	s_mov_b32 s4, 0x3fb8aa3b
	v_mul_f32_e32 v20, 0x3fb8aa3b, v18
	v_fma_f32 v22, v18, s4, -v20
	v_rndne_f32_e32 v31, v20
	v_fmac_f32_e32 v22, 0x32a5705f, v18
	v_sub_f32_e32 v20, v20, v31
	v_add_f32_e32 v20, v20, v22
	v_exp_f32_e32 v20, v20
	v_cvt_i32_f32_e32 v22, v31
	s_mov_b32 s4, 0xc2ce8ed0
	v_cmp_ngt_f32_e64 s[4:5], s4, v18
	v_ldexp_f32 v20, v20, v22
	v_cndmask_b32_e64 v20, 0, v20, s[4:5]
	s_mov_b32 s4, 0x42b17218
	v_mov_b32_e32 v22, 0x7f800000
	v_cmp_nlt_f32_e64 s[4:5], s4, v18
	v_cndmask_b32_e64 v20, v22, v20, s[4:5]
	v_add_f32_e32 v24, v24, v20
.LBB763_123:
	s_or_b64 exec, exec, s[56:57]
.LBB763_124:
	s_or_b64 exec, exec, s[42:43]
	s_and_saveexec_b64 s[42:43], s[54:55]
	s_cbranch_execz .LBB763_128
; %bb.125:
	global_load_ubyte v18, v[2:3], off offset:224
	v_mov_b32_e32 v19, 0
	s_waitcnt vmcnt(0)
	v_and_b32_e32 v18, 1, v18
	v_cmp_eq_u32_e64 s[4:5], 1, v18
	s_xor_b64 s[4:5], s[4:5], -1
	s_and_saveexec_b64 s[54:55], s[4:5]
	s_cbranch_execz .LBB763_127
; %bb.126:
	v_sub_f32_e32 v17, v17, v30
	s_mov_b32 s4, 0x3fb8aa3b
	v_mul_f32_e32 v18, 0x3fb8aa3b, v17
	v_fma_f32 v19, v17, s4, -v18
	v_rndne_f32_e32 v22, v18
	v_fmac_f32_e32 v19, 0x32a5705f, v17
	v_sub_f32_e32 v18, v18, v22
	v_add_f32_e32 v18, v18, v19
	v_exp_f32_e32 v18, v18
	v_cvt_i32_f32_e32 v19, v22
	s_mov_b32 s4, 0xc2ce8ed0
	v_cmp_ngt_f32_e64 s[4:5], s4, v17
	v_ldexp_f32 v18, v18, v19
	v_cndmask_b32_e64 v18, 0, v18, s[4:5]
	s_mov_b32 s4, 0x42b17218
	v_mov_b32_e32 v19, 0x7f800000
	v_cmp_nlt_f32_e64 s[4:5], s4, v17
	v_cndmask_b32_e64 v19, v19, v18, s[4:5]
	v_add_f32_e32 v24, v24, v19
.LBB763_127:
	s_or_b64 exec, exec, s[54:55]
.LBB763_128:
	s_or_b64 exec, exec, s[42:43]
	v_mov_b32_e32 v17, 0
	v_mov_b32_e32 v18, 0
	s_and_saveexec_b64 s[42:43], s[52:53]
	s_cbranch_execz .LBB763_132
; %bb.129:
	global_load_ubyte v18, v[2:3], off offset:256
	s_waitcnt vmcnt(0)
	v_and_b32_e32 v18, 1, v18
	v_cmp_eq_u32_e64 s[4:5], 1, v18
	s_xor_b64 s[4:5], s[4:5], -1
	v_mov_b32_e32 v18, 0
	s_and_saveexec_b64 s[52:53], s[4:5]
	s_cbranch_execz .LBB763_131
; %bb.130:
	v_sub_f32_e32 v16, v16, v30
	s_mov_b32 s4, 0x3fb8aa3b
	v_mul_f32_e32 v18, 0x3fb8aa3b, v16
	v_fma_f32 v22, v16, s4, -v18
	v_rndne_f32_e32 v31, v18
	v_fmac_f32_e32 v22, 0x32a5705f, v16
	v_sub_f32_e32 v18, v18, v31
	v_add_f32_e32 v18, v18, v22
	v_exp_f32_e32 v18, v18
	v_cvt_i32_f32_e32 v22, v31
	s_mov_b32 s4, 0xc2ce8ed0
	v_cmp_ngt_f32_e64 s[4:5], s4, v16
	v_ldexp_f32 v18, v18, v22
	v_cndmask_b32_e64 v18, 0, v18, s[4:5]
	s_mov_b32 s4, 0x42b17218
	v_mov_b32_e32 v22, 0x7f800000
	v_cmp_nlt_f32_e64 s[4:5], s4, v16
	v_cndmask_b32_e64 v18, v22, v18, s[4:5]
	v_add_f32_e32 v24, v24, v18
.LBB763_131:
	s_or_b64 exec, exec, s[52:53]
.LBB763_132:
	s_or_b64 exec, exec, s[42:43]
	s_and_saveexec_b64 s[42:43], s[50:51]
	s_cbranch_execz .LBB763_136
; %bb.133:
	global_load_ubyte v16, v[2:3], off offset:288
	v_mov_b32_e32 v17, 0
	s_waitcnt vmcnt(0)
	v_and_b32_e32 v16, 1, v16
	v_cmp_eq_u32_e64 s[4:5], 1, v16
	s_xor_b64 s[4:5], s[4:5], -1
	s_and_saveexec_b64 s[50:51], s[4:5]
	s_cbranch_execz .LBB763_135
; %bb.134:
	v_sub_f32_e32 v15, v15, v30
	s_mov_b32 s4, 0x3fb8aa3b
	v_mul_f32_e32 v16, 0x3fb8aa3b, v15
	v_fma_f32 v17, v15, s4, -v16
	v_rndne_f32_e32 v22, v16
	v_fmac_f32_e32 v17, 0x32a5705f, v15
	v_sub_f32_e32 v16, v16, v22
	v_add_f32_e32 v16, v16, v17
	v_exp_f32_e32 v16, v16
	v_cvt_i32_f32_e32 v17, v22
	s_mov_b32 s4, 0xc2ce8ed0
	v_cmp_ngt_f32_e64 s[4:5], s4, v15
	v_ldexp_f32 v16, v16, v17
	v_cndmask_b32_e64 v16, 0, v16, s[4:5]
	s_mov_b32 s4, 0x42b17218
	v_mov_b32_e32 v17, 0x7f800000
	v_cmp_nlt_f32_e64 s[4:5], s4, v15
	v_cndmask_b32_e64 v17, v17, v16, s[4:5]
	v_add_f32_e32 v24, v24, v17
.LBB763_135:
	s_or_b64 exec, exec, s[50:51]
.LBB763_136:
	s_or_b64 exec, exec, s[42:43]
	v_mov_b32_e32 v15, 0
	v_mov_b32_e32 v16, 0
	s_and_saveexec_b64 s[42:43], s[48:49]
	s_cbranch_execz .LBB763_140
; %bb.137:
	global_load_ubyte v16, v[2:3], off offset:320
	s_waitcnt vmcnt(0)
	v_and_b32_e32 v16, 1, v16
	v_cmp_eq_u32_e64 s[4:5], 1, v16
	s_xor_b64 s[4:5], s[4:5], -1
	v_mov_b32_e32 v16, 0
	s_and_saveexec_b64 s[48:49], s[4:5]
	s_cbranch_execz .LBB763_139
; %bb.138:
	v_sub_f32_e32 v14, v14, v30
	s_mov_b32 s4, 0x3fb8aa3b
	v_mul_f32_e32 v16, 0x3fb8aa3b, v14
	v_fma_f32 v22, v14, s4, -v16
	v_rndne_f32_e32 v31, v16
	v_fmac_f32_e32 v22, 0x32a5705f, v14
	v_sub_f32_e32 v16, v16, v31
	v_add_f32_e32 v16, v16, v22
	v_exp_f32_e32 v16, v16
	v_cvt_i32_f32_e32 v22, v31
	s_mov_b32 s4, 0xc2ce8ed0
	v_cmp_ngt_f32_e64 s[4:5], s4, v14
	v_ldexp_f32 v16, v16, v22
	v_cndmask_b32_e64 v16, 0, v16, s[4:5]
	s_mov_b32 s4, 0x42b17218
	v_mov_b32_e32 v22, 0x7f800000
	v_cmp_nlt_f32_e64 s[4:5], s4, v14
	v_cndmask_b32_e64 v16, v22, v16, s[4:5]
	v_add_f32_e32 v24, v24, v16
.LBB763_139:
	s_or_b64 exec, exec, s[48:49]
.LBB763_140:
	s_or_b64 exec, exec, s[42:43]
	s_and_saveexec_b64 s[42:43], s[46:47]
	s_cbranch_execz .LBB763_144
; %bb.141:
	global_load_ubyte v14, v[2:3], off offset:352
	v_mov_b32_e32 v15, 0
	s_waitcnt vmcnt(0)
	v_and_b32_e32 v14, 1, v14
	v_cmp_eq_u32_e64 s[4:5], 1, v14
	s_xor_b64 s[4:5], s[4:5], -1
	s_and_saveexec_b64 s[46:47], s[4:5]
	s_cbranch_execz .LBB763_143
; %bb.142:
	v_sub_f32_e32 v13, v13, v30
	s_mov_b32 s4, 0x3fb8aa3b
	v_mul_f32_e32 v14, 0x3fb8aa3b, v13
	v_fma_f32 v15, v13, s4, -v14
	v_rndne_f32_e32 v22, v14
	v_fmac_f32_e32 v15, 0x32a5705f, v13
	v_sub_f32_e32 v14, v14, v22
	v_add_f32_e32 v14, v14, v15
	v_exp_f32_e32 v14, v14
	v_cvt_i32_f32_e32 v15, v22
	s_mov_b32 s4, 0xc2ce8ed0
	v_cmp_ngt_f32_e64 s[4:5], s4, v13
	v_ldexp_f32 v14, v14, v15
	v_cndmask_b32_e64 v14, 0, v14, s[4:5]
	s_mov_b32 s4, 0x42b17218
	v_mov_b32_e32 v15, 0x7f800000
	v_cmp_nlt_f32_e64 s[4:5], s4, v13
	v_cndmask_b32_e64 v15, v15, v14, s[4:5]
	v_add_f32_e32 v24, v24, v15
.LBB763_143:
	s_or_b64 exec, exec, s[46:47]
.LBB763_144:
	s_or_b64 exec, exec, s[42:43]
	v_mov_b32_e32 v13, 0
	v_mov_b32_e32 v14, 0
	s_and_saveexec_b64 s[42:43], s[44:45]
	s_cbranch_execz .LBB763_148
; %bb.145:
	global_load_ubyte v14, v[2:3], off offset:384
	s_waitcnt vmcnt(0)
	v_and_b32_e32 v14, 1, v14
	v_cmp_eq_u32_e64 s[4:5], 1, v14
	s_xor_b64 s[4:5], s[4:5], -1
	v_mov_b32_e32 v14, 0
	s_and_saveexec_b64 s[44:45], s[4:5]
	s_cbranch_execz .LBB763_147
; %bb.146:
	v_sub_f32_e32 v12, v12, v30
	s_mov_b32 s4, 0x3fb8aa3b
	v_mul_f32_e32 v14, 0x3fb8aa3b, v12
	v_fma_f32 v22, v12, s4, -v14
	v_rndne_f32_e32 v31, v14
	v_fmac_f32_e32 v22, 0x32a5705f, v12
	v_sub_f32_e32 v14, v14, v31
	v_add_f32_e32 v14, v14, v22
	v_exp_f32_e32 v14, v14
	v_cvt_i32_f32_e32 v22, v31
	s_mov_b32 s4, 0xc2ce8ed0
	v_cmp_ngt_f32_e64 s[4:5], s4, v12
	v_ldexp_f32 v14, v14, v22
	v_cndmask_b32_e64 v14, 0, v14, s[4:5]
	s_mov_b32 s4, 0x42b17218
	v_mov_b32_e32 v22, 0x7f800000
	v_cmp_nlt_f32_e64 s[4:5], s4, v12
	v_cndmask_b32_e64 v14, v22, v14, s[4:5]
	v_add_f32_e32 v24, v24, v14
.LBB763_147:
	s_or_b64 exec, exec, s[44:45]
.LBB763_148:
	s_or_b64 exec, exec, s[42:43]
	s_and_saveexec_b64 s[42:43], s[40:41]
	s_cbranch_execz .LBB763_152
; %bb.149:
	global_load_ubyte v12, v[2:3], off offset:416
	v_mov_b32_e32 v13, 0
	s_waitcnt vmcnt(0)
	v_and_b32_e32 v12, 1, v12
	v_cmp_eq_u32_e64 s[4:5], 1, v12
	s_xor_b64 s[4:5], s[4:5], -1
	s_and_saveexec_b64 s[40:41], s[4:5]
	s_cbranch_execz .LBB763_151
; %bb.150:
	v_sub_f32_e32 v11, v11, v30
	s_mov_b32 s4, 0x3fb8aa3b
	v_mul_f32_e32 v12, 0x3fb8aa3b, v11
	v_fma_f32 v13, v11, s4, -v12
	v_rndne_f32_e32 v22, v12
	v_fmac_f32_e32 v13, 0x32a5705f, v11
	v_sub_f32_e32 v12, v12, v22
	v_add_f32_e32 v12, v12, v13
	v_exp_f32_e32 v12, v12
	v_cvt_i32_f32_e32 v13, v22
	s_mov_b32 s4, 0xc2ce8ed0
	v_cmp_ngt_f32_e64 s[4:5], s4, v11
	v_ldexp_f32 v12, v12, v13
	v_cndmask_b32_e64 v12, 0, v12, s[4:5]
	s_mov_b32 s4, 0x42b17218
	v_mov_b32_e32 v13, 0x7f800000
	v_cmp_nlt_f32_e64 s[4:5], s4, v11
	v_cndmask_b32_e64 v13, v13, v12, s[4:5]
	v_add_f32_e32 v24, v24, v13
.LBB763_151:
	s_or_b64 exec, exec, s[40:41]
.LBB763_152:
	s_or_b64 exec, exec, s[42:43]
	v_mov_b32_e32 v11, 0
	v_mov_b32_e32 v12, 0
	s_and_saveexec_b64 s[40:41], s[38:39]
	s_cbranch_execz .LBB763_156
; %bb.153:
	global_load_ubyte v12, v[2:3], off offset:448
	s_waitcnt vmcnt(0)
	v_and_b32_e32 v12, 1, v12
	v_cmp_eq_u32_e64 s[4:5], 1, v12
	s_xor_b64 s[4:5], s[4:5], -1
	v_mov_b32_e32 v12, 0
	s_and_saveexec_b64 s[38:39], s[4:5]
	s_cbranch_execz .LBB763_155
; %bb.154:
	v_sub_f32_e32 v10, v10, v30
	s_mov_b32 s4, 0x3fb8aa3b
	v_mul_f32_e32 v12, 0x3fb8aa3b, v10
	v_fma_f32 v22, v10, s4, -v12
	v_rndne_f32_e32 v31, v12
	v_fmac_f32_e32 v22, 0x32a5705f, v10
	v_sub_f32_e32 v12, v12, v31
	v_add_f32_e32 v12, v12, v22
	v_exp_f32_e32 v12, v12
	v_cvt_i32_f32_e32 v22, v31
	s_mov_b32 s4, 0xc2ce8ed0
	v_cmp_ngt_f32_e64 s[4:5], s4, v10
	v_ldexp_f32 v12, v12, v22
	v_cndmask_b32_e64 v12, 0, v12, s[4:5]
	s_mov_b32 s4, 0x42b17218
	v_mov_b32_e32 v22, 0x7f800000
	v_cmp_nlt_f32_e64 s[4:5], s4, v10
	v_cndmask_b32_e64 v12, v22, v12, s[4:5]
	v_add_f32_e32 v24, v24, v12
.LBB763_155:
	s_or_b64 exec, exec, s[38:39]
.LBB763_156:
	s_or_b64 exec, exec, s[40:41]
	s_and_saveexec_b64 s[38:39], s[30:31]
	s_cbranch_execz .LBB763_160
; %bb.157:
	global_load_ubyte v2, v[2:3], off offset:480
	v_mov_b32_e32 v11, 0
	s_waitcnt vmcnt(0)
	v_and_b32_e32 v2, 1, v2
	v_cmp_eq_u32_e64 s[4:5], 1, v2
	s_xor_b64 s[4:5], s[4:5], -1
	s_and_saveexec_b64 s[30:31], s[4:5]
	s_cbranch_execz .LBB763_159
; %bb.158:
	v_sub_f32_e32 v2, v9, v30
	s_mov_b32 s4, 0x3fb8aa3b
	v_mul_f32_e32 v3, 0x3fb8aa3b, v2
	v_fma_f32 v9, v2, s4, -v3
	v_rndne_f32_e32 v10, v3
	v_fmac_f32_e32 v9, 0x32a5705f, v2
	v_sub_f32_e32 v3, v3, v10
	v_add_f32_e32 v3, v3, v9
	v_exp_f32_e32 v3, v3
	v_cvt_i32_f32_e32 v9, v10
	s_mov_b32 s4, 0xc2ce8ed0
	v_cmp_ngt_f32_e64 s[4:5], s4, v2
	v_ldexp_f32 v3, v3, v9
	v_cndmask_b32_e64 v3, 0, v3, s[4:5]
	s_mov_b32 s4, 0x42b17218
	v_mov_b32_e32 v9, 0x7f800000
	v_cmp_nlt_f32_e64 s[4:5], s4, v2
	v_cndmask_b32_e64 v11, v9, v3, s[4:5]
	v_add_f32_e32 v24, v24, v11
.LBB763_159:
	s_or_b64 exec, exec, s[30:31]
.LBB763_160:
	s_or_b64 exec, exec, s[38:39]
	ds_bpermute_b32 v2, v7, v24
	v_cmp_lt_i32_e64 s[4:5], 0, v8
	s_waitcnt lgkmcnt(0)
	v_add_f32_e32 v2, v24, v2
	ds_bpermute_b32 v3, v25, v2
	s_waitcnt lgkmcnt(0)
	v_add_f32_e32 v2, v2, v3
	ds_bpermute_b32 v3, v26, v2
	;; [unrolled: 3-line block ×4, first 2 shown]
	s_and_saveexec_b64 s[30:31], s[4:5]
	s_cbranch_execz .LBB763_210
; %bb.161:
	s_and_b64 exec, exec, vcc
	s_cbranch_execz .LBB763_210
; %bb.162:
	s_waitcnt lgkmcnt(0)
	v_add_f32_e32 v2, v2, v3
	v_cmp_neq_f32_e64 s[30:31], 0, v2
	v_mov_b32_e32 v3, 0x7fc0
	s_and_saveexec_b64 s[4:5], s[30:31]
	s_cbranch_execz .LBB763_164
; %bb.163:
	v_div_scale_f32 v3, s[38:39], v2, v2, v27
	v_rcp_f32_e32 v7, v3
	v_div_scale_f32 v8, vcc, v27, v2, v27
	s_movk_i32 s33, 0x7fff
	v_fma_f32 v9, -v3, v7, 1.0
	v_fmac_f32_e32 v7, v9, v7
	v_mul_f32_e32 v9, v8, v7
	v_fma_f32 v10, -v3, v9, v8
	v_fmac_f32_e32 v9, v10, v7
	v_fma_f32 v3, -v3, v9, v8
	v_div_fmas_f32 v3, v3, v7, v9
	v_div_fixup_f32 v3, v3, v2, v27
	v_bfe_u32 v7, v3, 16, 1
	v_add3_u32 v7, v3, v7, s33
	v_lshrrev_b32_e32 v7, 16, v7
	v_mov_b32_e32 v8, 0x7fc0
	v_cmp_o_f32_e32 vcc, v3, v3
	v_cndmask_b32_e32 v3, v8, v7, vcc
.LBB763_164:
	s_or_b64 exec, exec, s[4:5]
	v_mov_b32_e32 v7, s37
	v_add_co_u32_e32 v0, vcc, s36, v0
	v_addc_co_u32_e32 v1, vcc, v7, v1, vcc
	global_store_short v[0:1], v3, off
	s_and_b64 exec, exec, s[28:29]
	s_cbranch_execz .LBB763_210
; %bb.165:
	v_mov_b32_e32 v3, 0x7fc0
	s_and_saveexec_b64 s[4:5], s[30:31]
	s_cbranch_execz .LBB763_167
; %bb.166:
	v_div_scale_f32 v3, s[28:29], v2, v2, v4
	v_rcp_f32_e32 v7, v3
	v_div_scale_f32 v8, vcc, v4, v2, v4
	s_movk_i32 s28, 0x7fff
	v_fma_f32 v9, -v3, v7, 1.0
	v_fmac_f32_e32 v7, v9, v7
	v_mul_f32_e32 v9, v8, v7
	v_fma_f32 v10, -v3, v9, v8
	v_fmac_f32_e32 v9, v10, v7
	v_fma_f32 v3, -v3, v9, v8
	v_div_fmas_f32 v3, v3, v7, v9
	v_div_fixup_f32 v3, v3, v2, v4
	v_bfe_u32 v4, v3, 16, 1
	v_add3_u32 v4, v3, v4, s28
	v_lshrrev_b32_e32 v4, 16, v4
	v_mov_b32_e32 v7, 0x7fc0
	v_cmp_o_f32_e32 vcc, v3, v3
	v_cndmask_b32_e32 v3, v7, v4, vcc
.LBB763_167:
	s_or_b64 exec, exec, s[4:5]
	global_store_short v[0:1], v3, off offset:64
	s_and_b64 exec, exec, s[26:27]
	s_cbranch_execz .LBB763_210
; %bb.168:
	v_mov_b32_e32 v3, 0x7fc0
	s_and_saveexec_b64 s[4:5], s[30:31]
	s_cbranch_execz .LBB763_170
; %bb.169:
	v_div_scale_f32 v3, s[26:27], v2, v2, v23
	v_rcp_f32_e32 v4, v3
	v_div_scale_f32 v7, vcc, v23, v2, v23
	s_movk_i32 s26, 0x7fff
	v_fma_f32 v8, -v3, v4, 1.0
	v_fmac_f32_e32 v4, v8, v4
	v_mul_f32_e32 v8, v7, v4
	v_fma_f32 v9, -v3, v8, v7
	v_fmac_f32_e32 v8, v9, v4
	v_fma_f32 v3, -v3, v8, v7
	v_div_fmas_f32 v3, v3, v4, v8
	v_div_fixup_f32 v3, v3, v2, v23
	v_bfe_u32 v4, v3, 16, 1
	v_add3_u32 v4, v3, v4, s26
	v_lshrrev_b32_e32 v4, 16, v4
	v_mov_b32_e32 v7, 0x7fc0
	v_cmp_o_f32_e32 vcc, v3, v3
	v_cndmask_b32_e32 v3, v7, v4, vcc
.LBB763_170:
	s_or_b64 exec, exec, s[4:5]
	global_store_short v[0:1], v3, off offset:128
	;; [unrolled: 28-line block ×15, first 2 shown]
.LBB763_210:
	s_endpgm
	.section	.rodata,"a",@progbits
	.p2align	6, 0x0
	.amdhsa_kernel _ZN12_GLOBAL__N_120softmax_warp_forwardIN3c108BFloat16ES2_fLi9ELb0ELb1ELi32EEEvPT0_PKT_iiiPKbib
		.amdhsa_group_segment_fixed_size 0
		.amdhsa_private_segment_fixed_size 0
		.amdhsa_kernarg_size 304
		.amdhsa_user_sgpr_count 6
		.amdhsa_user_sgpr_private_segment_buffer 1
		.amdhsa_user_sgpr_dispatch_ptr 0
		.amdhsa_user_sgpr_queue_ptr 0
		.amdhsa_user_sgpr_kernarg_segment_ptr 1
		.amdhsa_user_sgpr_dispatch_id 0
		.amdhsa_user_sgpr_flat_scratch_init 0
		.amdhsa_user_sgpr_kernarg_preload_length 0
		.amdhsa_user_sgpr_kernarg_preload_offset 0
		.amdhsa_user_sgpr_private_segment_size 0
		.amdhsa_uses_dynamic_stack 0
		.amdhsa_system_sgpr_private_segment_wavefront_offset 0
		.amdhsa_system_sgpr_workgroup_id_x 1
		.amdhsa_system_sgpr_workgroup_id_y 0
		.amdhsa_system_sgpr_workgroup_id_z 0
		.amdhsa_system_sgpr_workgroup_info 0
		.amdhsa_system_vgpr_workitem_id 1
		.amdhsa_next_free_vgpr 32
		.amdhsa_next_free_sgpr 76
		.amdhsa_accum_offset 32
		.amdhsa_reserve_vcc 1
		.amdhsa_reserve_flat_scratch 0
		.amdhsa_float_round_mode_32 0
		.amdhsa_float_round_mode_16_64 0
		.amdhsa_float_denorm_mode_32 3
		.amdhsa_float_denorm_mode_16_64 3
		.amdhsa_dx10_clamp 1
		.amdhsa_ieee_mode 1
		.amdhsa_fp16_overflow 0
		.amdhsa_tg_split 0
		.amdhsa_exception_fp_ieee_invalid_op 0
		.amdhsa_exception_fp_denorm_src 0
		.amdhsa_exception_fp_ieee_div_zero 0
		.amdhsa_exception_fp_ieee_overflow 0
		.amdhsa_exception_fp_ieee_underflow 0
		.amdhsa_exception_fp_ieee_inexact 0
		.amdhsa_exception_int_div_zero 0
	.end_amdhsa_kernel
	.section	.text._ZN12_GLOBAL__N_120softmax_warp_forwardIN3c108BFloat16ES2_fLi9ELb0ELb1ELi32EEEvPT0_PKT_iiiPKbib,"axG",@progbits,_ZN12_GLOBAL__N_120softmax_warp_forwardIN3c108BFloat16ES2_fLi9ELb0ELb1ELi32EEEvPT0_PKT_iiiPKbib,comdat
.Lfunc_end763:
	.size	_ZN12_GLOBAL__N_120softmax_warp_forwardIN3c108BFloat16ES2_fLi9ELb0ELb1ELi32EEEvPT0_PKT_iiiPKbib, .Lfunc_end763-_ZN12_GLOBAL__N_120softmax_warp_forwardIN3c108BFloat16ES2_fLi9ELb0ELb1ELi32EEEvPT0_PKT_iiiPKbib
                                        ; -- End function
	.section	.AMDGPU.csdata,"",@progbits
; Kernel info:
; codeLenInByte = 8480
; NumSgprs: 80
; NumVgprs: 32
; NumAgprs: 0
; TotalNumVgprs: 32
; ScratchSize: 0
; MemoryBound: 0
; FloatMode: 240
; IeeeMode: 1
; LDSByteSize: 0 bytes/workgroup (compile time only)
; SGPRBlocks: 9
; VGPRBlocks: 3
; NumSGPRsForWavesPerEU: 80
; NumVGPRsForWavesPerEU: 32
; AccumOffset: 32
; Occupancy: 8
; WaveLimiterHint : 0
; COMPUTE_PGM_RSRC2:SCRATCH_EN: 0
; COMPUTE_PGM_RSRC2:USER_SGPR: 6
; COMPUTE_PGM_RSRC2:TRAP_HANDLER: 0
; COMPUTE_PGM_RSRC2:TGID_X_EN: 1
; COMPUTE_PGM_RSRC2:TGID_Y_EN: 0
; COMPUTE_PGM_RSRC2:TGID_Z_EN: 0
; COMPUTE_PGM_RSRC2:TIDIG_COMP_CNT: 1
; COMPUTE_PGM_RSRC3_GFX90A:ACCUM_OFFSET: 7
; COMPUTE_PGM_RSRC3_GFX90A:TG_SPLIT: 0
	.section	.text._ZN12_GLOBAL__N_120softmax_warp_forwardIN3c108BFloat16ES2_fLi10ELb0ELb1ELi64EEEvPT0_PKT_iiiPKbib,"axG",@progbits,_ZN12_GLOBAL__N_120softmax_warp_forwardIN3c108BFloat16ES2_fLi10ELb0ELb1ELi64EEEvPT0_PKT_iiiPKbib,comdat
	.globl	_ZN12_GLOBAL__N_120softmax_warp_forwardIN3c108BFloat16ES2_fLi10ELb0ELb1ELi64EEEvPT0_PKT_iiiPKbib ; -- Begin function _ZN12_GLOBAL__N_120softmax_warp_forwardIN3c108BFloat16ES2_fLi10ELb0ELb1ELi64EEEvPT0_PKT_iiiPKbib
	.p2align	8
	.type	_ZN12_GLOBAL__N_120softmax_warp_forwardIN3c108BFloat16ES2_fLi10ELb0ELb1ELi64EEEvPT0_PKT_iiiPKbib,@function
_ZN12_GLOBAL__N_120softmax_warp_forwardIN3c108BFloat16ES2_fLi10ELb0ELb1ELi64EEEvPT0_PKT_iiiPKbib: ; @_ZN12_GLOBAL__N_120softmax_warp_forwardIN3c108BFloat16ES2_fLi10ELb0ELb1ELi64EEEvPT0_PKT_iiiPKbib
; %bb.0:
	s_load_dword s2, s[4:5], 0x3c
	s_load_dwordx4 s[40:43], s[4:5], 0x10
	s_load_dwordx2 s[0:1], s[4:5], 0x28
	v_bfe_u32 v1, v0, 10, 10
	v_and_b32_e32 v2, 0x3ff, v0
	s_waitcnt lgkmcnt(0)
	s_lshr_b32 s2, s2, 16
	s_mul_i32 s6, s6, s2
	v_add_u32_e32 v3, s6, v1
	v_mul_lo_u32 v6, v3, s41
	v_add_u32_e32 v0, v6, v2
	v_ashrrev_i32_e32 v1, 31, v0
	s_bitcmp0_b32 s1, 0
	v_pk_mov_b32 v[4:5], v[0:1], v[0:1] op_sel:[0,1]
	s_cbranch_scc1 .LBB764_2
; %bb.1:
	s_abs_i32 s1, s0
	v_cvt_f32_u32_e32 v4, s1
	v_xor_b32_e32 v5, s0, v6
	v_sub_u32_e32 v7, 0, v6
	s_sub_i32 s0, 0, s1
	v_rcp_iflag_f32_e32 v4, v4
	v_max_i32_e32 v6, v6, v7
	v_ashrrev_i32_e32 v5, 31, v5
	v_mul_f32_e32 v4, 0x4f7ffffe, v4
	v_cvt_u32_f32_e32 v4, v4
	v_mul_lo_u32 v7, s0, v4
	v_mul_hi_u32 v7, v4, v7
	v_add_u32_e32 v4, v4, v7
	v_mul_hi_u32 v4, v6, v4
	v_mul_lo_u32 v7, v4, s1
	v_sub_u32_e32 v6, v6, v7
	v_add_u32_e32 v8, 1, v4
	v_cmp_le_u32_e32 vcc, s1, v6
	v_subrev_u32_e32 v7, s1, v6
	v_cndmask_b32_e32 v4, v4, v8, vcc
	v_cndmask_b32_e32 v6, v6, v7, vcc
	v_add_u32_e32 v7, 1, v4
	v_cmp_le_u32_e32 vcc, s1, v6
	v_cndmask_b32_e32 v4, v4, v7, vcc
	v_xor_b32_e32 v4, v4, v5
	v_sub_u32_e32 v4, v4, v5
	v_mad_u64_u32 v[4:5], s[0:1], v4, s41, v[2:3]
	v_ashrrev_i32_e32 v5, 31, v4
.LBB764_2:
	s_load_dwordx4 s[36:39], s[4:5], 0x0
	v_lshlrev_b64 v[0:1], 1, v[0:1]
	v_sub_u32_e32 v8, s40, v3
	v_cmp_lt_i32_e64 s[30:31], 0, v8
	v_mov_b32_e32 v23, 0xff800000
	s_waitcnt lgkmcnt(0)
	v_mov_b32_e32 v3, s39
	v_add_co_u32_e32 v6, vcc, s38, v0
	v_addc_co_u32_e32 v7, vcc, v3, v1, vcc
	v_cmp_gt_i32_e32 vcc, s42, v2
	s_and_b64 s[68:69], s[30:31], vcc
	v_mov_b32_e32 v24, 0xff800000
	s_and_saveexec_b64 s[0:1], s[68:69]
	s_cbranch_execz .LBB764_4
; %bb.3:
	global_load_ushort v3, v[6:7], off
	s_waitcnt vmcnt(0)
	v_lshlrev_b32_e32 v24, 16, v3
.LBB764_4:
	s_or_b64 exec, exec, s[0:1]
	v_add_u32_e32 v3, 64, v2
	v_cmp_gt_i32_e64 s[28:29], s42, v3
	s_and_b64 s[66:67], s[30:31], s[28:29]
	s_and_saveexec_b64 s[0:1], s[66:67]
	s_cbranch_execz .LBB764_6
; %bb.5:
	global_load_ushort v3, v[6:7], off offset:128
	s_waitcnt vmcnt(0)
	v_lshlrev_b32_e32 v23, 16, v3
.LBB764_6:
	s_or_b64 exec, exec, s[0:1]
	v_add_u32_e32 v3, 0x80, v2
	v_cmp_gt_i32_e64 s[26:27], s42, v3
	s_and_b64 s[64:65], s[30:31], s[26:27]
	v_mov_b32_e32 v21, 0xff800000
	v_mov_b32_e32 v22, 0xff800000
	s_and_saveexec_b64 s[0:1], s[64:65]
	s_cbranch_execz .LBB764_8
; %bb.7:
	global_load_ushort v3, v[6:7], off offset:256
	s_waitcnt vmcnt(0)
	v_lshlrev_b32_e32 v22, 16, v3
.LBB764_8:
	s_or_b64 exec, exec, s[0:1]
	v_add_u32_e32 v3, 0xc0, v2
	v_cmp_gt_i32_e64 s[24:25], s42, v3
	s_and_b64 s[62:63], s[30:31], s[24:25]
	s_and_saveexec_b64 s[0:1], s[62:63]
	s_cbranch_execz .LBB764_10
; %bb.9:
	global_load_ushort v3, v[6:7], off offset:384
	s_waitcnt vmcnt(0)
	v_lshlrev_b32_e32 v21, 16, v3
.LBB764_10:
	s_or_b64 exec, exec, s[0:1]
	v_add_u32_e32 v3, 0x100, v2
	v_cmp_gt_i32_e64 s[22:23], s42, v3
	s_and_b64 s[60:61], s[30:31], s[22:23]
	v_mov_b32_e32 v19, 0xff800000
	v_mov_b32_e32 v20, 0xff800000
	s_and_saveexec_b64 s[0:1], s[60:61]
	s_cbranch_execz .LBB764_12
; %bb.11:
	global_load_ushort v3, v[6:7], off offset:512
	s_waitcnt vmcnt(0)
	v_lshlrev_b32_e32 v20, 16, v3
.LBB764_12:
	;; [unrolled: 24-line block ×7, first 2 shown]
	s_or_b64 exec, exec, s[0:1]
	v_add_u32_e32 v2, 0x3c0, v2
	v_cmp_gt_i32_e64 s[0:1], s42, v2
	s_and_b64 s[30:31], s[30:31], s[0:1]
	s_and_saveexec_b64 s[42:43], s[30:31]
	s_cbranch_execz .LBB764_34
; %bb.33:
	global_load_ushort v2, v[6:7], off offset:1920
	s_waitcnt vmcnt(0)
	v_lshlrev_b32_e32 v9, 16, v2
.LBB764_34:
	s_or_b64 exec, exec, s[42:43]
	s_load_dwordx2 s[4:5], s[4:5], 0x20
	s_mov_b64 s[42:43], 0
	s_waitcnt lgkmcnt(0)
	v_mov_b32_e32 v3, s5
	v_add_co_u32_e64 v2, s[4:5], s4, v4
	v_addc_co_u32_e64 v3, s[4:5], v3, v5, s[4:5]
	s_and_saveexec_b64 s[70:71], s[68:69]
	s_cbranch_execnz .LBB764_50
; %bb.35:
	s_or_b64 exec, exec, s[70:71]
	v_mov_b32_e32 v4, v24
	s_and_saveexec_b64 s[70:71], s[66:67]
	s_cbranch_execnz .LBB764_51
.LBB764_36:
	s_or_b64 exec, exec, s[70:71]
	s_and_saveexec_b64 s[70:71], s[64:65]
	s_cbranch_execnz .LBB764_54
.LBB764_37:
	s_or_b64 exec, exec, s[70:71]
	s_and_saveexec_b64 s[70:71], s[62:63]
	s_cbranch_execnz .LBB764_57
.LBB764_38:
	s_or_b64 exec, exec, s[70:71]
	s_and_saveexec_b64 s[70:71], s[60:61]
	s_cbranch_execnz .LBB764_60
.LBB764_39:
	s_or_b64 exec, exec, s[70:71]
	s_and_saveexec_b64 s[70:71], s[58:59]
	s_cbranch_execnz .LBB764_63
.LBB764_40:
	s_or_b64 exec, exec, s[70:71]
	s_and_saveexec_b64 s[70:71], s[56:57]
	s_cbranch_execnz .LBB764_66
.LBB764_41:
	s_or_b64 exec, exec, s[70:71]
	s_and_saveexec_b64 s[70:71], s[54:55]
	s_cbranch_execnz .LBB764_69
.LBB764_42:
	s_or_b64 exec, exec, s[70:71]
	s_and_saveexec_b64 s[70:71], s[52:53]
	s_cbranch_execnz .LBB764_72
.LBB764_43:
	s_or_b64 exec, exec, s[70:71]
	s_and_saveexec_b64 s[70:71], s[50:51]
	s_cbranch_execnz .LBB764_75
.LBB764_44:
	s_or_b64 exec, exec, s[70:71]
	s_and_saveexec_b64 s[70:71], s[48:49]
	s_cbranch_execnz .LBB764_78
.LBB764_45:
	s_or_b64 exec, exec, s[70:71]
	s_and_saveexec_b64 s[70:71], s[46:47]
	s_cbranch_execnz .LBB764_81
.LBB764_46:
	s_or_b64 exec, exec, s[70:71]
	s_and_saveexec_b64 s[70:71], s[44:45]
	s_cbranch_execnz .LBB764_84
.LBB764_47:
	s_or_b64 exec, exec, s[70:71]
	s_and_saveexec_b64 s[70:71], s[40:41]
	s_cbranch_execnz .LBB764_87
.LBB764_48:
	s_or_b64 exec, exec, s[70:71]
	s_and_saveexec_b64 s[70:71], s[38:39]
	s_cbranch_execnz .LBB764_90
.LBB764_49:
	s_or_b64 exec, exec, s[70:71]
	s_and_saveexec_b64 s[70:71], s[30:31]
	s_cbranch_execnz .LBB764_93
	s_branch .LBB764_96
.LBB764_50:
	global_load_ubyte v4, v[2:3], off
	s_waitcnt vmcnt(0)
	v_and_b32_e32 v4, 1, v4
	v_cmp_eq_u32_e64 s[4:5], 1, v4
	s_xor_b64 s[4:5], s[4:5], -1
	s_and_b64 s[42:43], s[4:5], exec
	s_or_b64 exec, exec, s[70:71]
	v_mov_b32_e32 v4, v24
	s_and_saveexec_b64 s[70:71], s[66:67]
	s_cbranch_execz .LBB764_36
.LBB764_51:
	global_load_ubyte v4, v[2:3], off offset:64
	s_mov_b64 s[72:73], s[42:43]
	s_waitcnt vmcnt(0)
	v_and_b32_e32 v4, 1, v4
	v_cmp_eq_u32_e64 s[4:5], 1, v4
	s_xor_b64 s[4:5], s[4:5], -1
	v_mov_b32_e32 v4, v24
	s_and_saveexec_b64 s[74:75], s[4:5]
; %bb.52:
	v_cmp_gt_f32_e64 s[4:5], v24, v23
	s_and_b64 s[4:5], s[42:43], s[4:5]
	v_cndmask_b32_e64 v4, v23, v24, s[4:5]
	s_or_b64 s[72:73], s[42:43], exec
; %bb.53:
	s_or_b64 exec, exec, s[74:75]
	s_andn2_b64 s[4:5], s[42:43], exec
	s_and_b64 s[42:43], s[72:73], exec
	s_or_b64 s[42:43], s[4:5], s[42:43]
	s_or_b64 exec, exec, s[70:71]
	s_and_saveexec_b64 s[70:71], s[64:65]
	s_cbranch_execz .LBB764_37
.LBB764_54:
	global_load_ubyte v5, v[2:3], off offset:128
	s_waitcnt vmcnt(0)
	v_and_b32_e32 v5, 1, v5
	v_cmp_eq_u32_e64 s[4:5], 1, v5
	s_xor_b64 s[74:75], s[4:5], -1
	s_mov_b64 s[4:5], s[42:43]
	s_and_saveexec_b64 s[72:73], s[74:75]
; %bb.55:
	v_cmp_gt_f32_e64 s[4:5], v4, v22
	s_and_b64 s[4:5], s[42:43], s[4:5]
	v_cndmask_b32_e64 v4, v22, v4, s[4:5]
	s_or_b64 s[4:5], s[42:43], exec
; %bb.56:
	s_or_b64 exec, exec, s[72:73]
	s_andn2_b64 s[42:43], s[42:43], exec
	s_and_b64 s[4:5], s[4:5], exec
	s_or_b64 s[42:43], s[42:43], s[4:5]
	s_or_b64 exec, exec, s[70:71]
	s_and_saveexec_b64 s[70:71], s[62:63]
	s_cbranch_execz .LBB764_38
.LBB764_57:
	global_load_ubyte v5, v[2:3], off offset:192
	s_waitcnt vmcnt(0)
	v_and_b32_e32 v5, 1, v5
	v_cmp_eq_u32_e64 s[4:5], 1, v5
	s_xor_b64 s[74:75], s[4:5], -1
	s_mov_b64 s[4:5], s[42:43]
	s_and_saveexec_b64 s[72:73], s[74:75]
; %bb.58:
	v_cmp_gt_f32_e64 s[4:5], v4, v21
	s_and_b64 s[4:5], s[42:43], s[4:5]
	v_cndmask_b32_e64 v4, v21, v4, s[4:5]
	s_or_b64 s[4:5], s[42:43], exec
; %bb.59:
	s_or_b64 exec, exec, s[72:73]
	s_andn2_b64 s[42:43], s[42:43], exec
	s_and_b64 s[4:5], s[4:5], exec
	s_or_b64 s[42:43], s[42:43], s[4:5]
	s_or_b64 exec, exec, s[70:71]
	s_and_saveexec_b64 s[70:71], s[60:61]
	s_cbranch_execz .LBB764_39
.LBB764_60:
	global_load_ubyte v5, v[2:3], off offset:256
	s_waitcnt vmcnt(0)
	v_and_b32_e32 v5, 1, v5
	v_cmp_eq_u32_e64 s[4:5], 1, v5
	s_xor_b64 s[74:75], s[4:5], -1
	s_mov_b64 s[4:5], s[42:43]
	s_and_saveexec_b64 s[72:73], s[74:75]
; %bb.61:
	v_cmp_gt_f32_e64 s[4:5], v4, v20
	s_and_b64 s[4:5], s[42:43], s[4:5]
	v_cndmask_b32_e64 v4, v20, v4, s[4:5]
	s_or_b64 s[4:5], s[42:43], exec
; %bb.62:
	s_or_b64 exec, exec, s[72:73]
	s_andn2_b64 s[42:43], s[42:43], exec
	s_and_b64 s[4:5], s[4:5], exec
	s_or_b64 s[42:43], s[42:43], s[4:5]
	s_or_b64 exec, exec, s[70:71]
	s_and_saveexec_b64 s[70:71], s[58:59]
	s_cbranch_execz .LBB764_40
.LBB764_63:
	global_load_ubyte v5, v[2:3], off offset:320
	s_waitcnt vmcnt(0)
	v_and_b32_e32 v5, 1, v5
	v_cmp_eq_u32_e64 s[4:5], 1, v5
	s_xor_b64 s[74:75], s[4:5], -1
	s_mov_b64 s[4:5], s[42:43]
	s_and_saveexec_b64 s[72:73], s[74:75]
; %bb.64:
	v_cmp_gt_f32_e64 s[4:5], v4, v19
	s_and_b64 s[4:5], s[42:43], s[4:5]
	v_cndmask_b32_e64 v4, v19, v4, s[4:5]
	s_or_b64 s[4:5], s[42:43], exec
; %bb.65:
	s_or_b64 exec, exec, s[72:73]
	s_andn2_b64 s[42:43], s[42:43], exec
	s_and_b64 s[4:5], s[4:5], exec
	s_or_b64 s[42:43], s[42:43], s[4:5]
	s_or_b64 exec, exec, s[70:71]
	s_and_saveexec_b64 s[70:71], s[56:57]
	s_cbranch_execz .LBB764_41
.LBB764_66:
	global_load_ubyte v5, v[2:3], off offset:384
	s_waitcnt vmcnt(0)
	v_and_b32_e32 v5, 1, v5
	v_cmp_eq_u32_e64 s[4:5], 1, v5
	s_xor_b64 s[74:75], s[4:5], -1
	s_mov_b64 s[4:5], s[42:43]
	s_and_saveexec_b64 s[72:73], s[74:75]
; %bb.67:
	v_cmp_gt_f32_e64 s[4:5], v4, v18
	s_and_b64 s[4:5], s[42:43], s[4:5]
	v_cndmask_b32_e64 v4, v18, v4, s[4:5]
	s_or_b64 s[4:5], s[42:43], exec
; %bb.68:
	s_or_b64 exec, exec, s[72:73]
	s_andn2_b64 s[42:43], s[42:43], exec
	s_and_b64 s[4:5], s[4:5], exec
	s_or_b64 s[42:43], s[42:43], s[4:5]
	s_or_b64 exec, exec, s[70:71]
	s_and_saveexec_b64 s[70:71], s[54:55]
	s_cbranch_execz .LBB764_42
.LBB764_69:
	global_load_ubyte v5, v[2:3], off offset:448
	s_waitcnt vmcnt(0)
	v_and_b32_e32 v5, 1, v5
	v_cmp_eq_u32_e64 s[4:5], 1, v5
	s_xor_b64 s[74:75], s[4:5], -1
	s_mov_b64 s[4:5], s[42:43]
	s_and_saveexec_b64 s[72:73], s[74:75]
; %bb.70:
	v_cmp_gt_f32_e64 s[4:5], v4, v17
	s_and_b64 s[4:5], s[42:43], s[4:5]
	v_cndmask_b32_e64 v4, v17, v4, s[4:5]
	s_or_b64 s[4:5], s[42:43], exec
; %bb.71:
	s_or_b64 exec, exec, s[72:73]
	s_andn2_b64 s[42:43], s[42:43], exec
	s_and_b64 s[4:5], s[4:5], exec
	s_or_b64 s[42:43], s[42:43], s[4:5]
	s_or_b64 exec, exec, s[70:71]
	s_and_saveexec_b64 s[70:71], s[52:53]
	s_cbranch_execz .LBB764_43
.LBB764_72:
	global_load_ubyte v5, v[2:3], off offset:512
	s_waitcnt vmcnt(0)
	v_and_b32_e32 v5, 1, v5
	v_cmp_eq_u32_e64 s[4:5], 1, v5
	s_xor_b64 s[74:75], s[4:5], -1
	s_mov_b64 s[4:5], s[42:43]
	s_and_saveexec_b64 s[72:73], s[74:75]
; %bb.73:
	v_cmp_gt_f32_e64 s[4:5], v4, v16
	s_and_b64 s[4:5], s[42:43], s[4:5]
	v_cndmask_b32_e64 v4, v16, v4, s[4:5]
	s_or_b64 s[4:5], s[42:43], exec
; %bb.74:
	s_or_b64 exec, exec, s[72:73]
	s_andn2_b64 s[42:43], s[42:43], exec
	s_and_b64 s[4:5], s[4:5], exec
	s_or_b64 s[42:43], s[42:43], s[4:5]
	s_or_b64 exec, exec, s[70:71]
	s_and_saveexec_b64 s[70:71], s[50:51]
	s_cbranch_execz .LBB764_44
.LBB764_75:
	global_load_ubyte v5, v[2:3], off offset:576
	s_waitcnt vmcnt(0)
	v_and_b32_e32 v5, 1, v5
	v_cmp_eq_u32_e64 s[4:5], 1, v5
	s_xor_b64 s[74:75], s[4:5], -1
	s_mov_b64 s[4:5], s[42:43]
	s_and_saveexec_b64 s[72:73], s[74:75]
; %bb.76:
	v_cmp_gt_f32_e64 s[4:5], v4, v15
	s_and_b64 s[4:5], s[42:43], s[4:5]
	v_cndmask_b32_e64 v4, v15, v4, s[4:5]
	s_or_b64 s[4:5], s[42:43], exec
; %bb.77:
	s_or_b64 exec, exec, s[72:73]
	s_andn2_b64 s[42:43], s[42:43], exec
	s_and_b64 s[4:5], s[4:5], exec
	s_or_b64 s[42:43], s[42:43], s[4:5]
	s_or_b64 exec, exec, s[70:71]
	s_and_saveexec_b64 s[70:71], s[48:49]
	s_cbranch_execz .LBB764_45
.LBB764_78:
	global_load_ubyte v5, v[2:3], off offset:640
	s_waitcnt vmcnt(0)
	v_and_b32_e32 v5, 1, v5
	v_cmp_eq_u32_e64 s[4:5], 1, v5
	s_xor_b64 s[74:75], s[4:5], -1
	s_mov_b64 s[4:5], s[42:43]
	s_and_saveexec_b64 s[72:73], s[74:75]
; %bb.79:
	v_cmp_gt_f32_e64 s[4:5], v4, v14
	s_and_b64 s[4:5], s[42:43], s[4:5]
	v_cndmask_b32_e64 v4, v14, v4, s[4:5]
	s_or_b64 s[4:5], s[42:43], exec
; %bb.80:
	s_or_b64 exec, exec, s[72:73]
	s_andn2_b64 s[42:43], s[42:43], exec
	s_and_b64 s[4:5], s[4:5], exec
	s_or_b64 s[42:43], s[42:43], s[4:5]
	s_or_b64 exec, exec, s[70:71]
	s_and_saveexec_b64 s[70:71], s[46:47]
	s_cbranch_execz .LBB764_46
.LBB764_81:
	global_load_ubyte v5, v[2:3], off offset:704
	s_waitcnt vmcnt(0)
	v_and_b32_e32 v5, 1, v5
	v_cmp_eq_u32_e64 s[4:5], 1, v5
	s_xor_b64 s[74:75], s[4:5], -1
	s_mov_b64 s[4:5], s[42:43]
	s_and_saveexec_b64 s[72:73], s[74:75]
; %bb.82:
	v_cmp_gt_f32_e64 s[4:5], v4, v13
	s_and_b64 s[4:5], s[42:43], s[4:5]
	v_cndmask_b32_e64 v4, v13, v4, s[4:5]
	s_or_b64 s[4:5], s[42:43], exec
; %bb.83:
	s_or_b64 exec, exec, s[72:73]
	s_andn2_b64 s[42:43], s[42:43], exec
	s_and_b64 s[4:5], s[4:5], exec
	s_or_b64 s[42:43], s[42:43], s[4:5]
	s_or_b64 exec, exec, s[70:71]
	s_and_saveexec_b64 s[70:71], s[44:45]
	s_cbranch_execz .LBB764_47
.LBB764_84:
	global_load_ubyte v5, v[2:3], off offset:768
	s_waitcnt vmcnt(0)
	v_and_b32_e32 v5, 1, v5
	v_cmp_eq_u32_e64 s[4:5], 1, v5
	s_xor_b64 s[74:75], s[4:5], -1
	s_mov_b64 s[4:5], s[42:43]
	s_and_saveexec_b64 s[72:73], s[74:75]
; %bb.85:
	v_cmp_gt_f32_e64 s[4:5], v4, v12
	s_and_b64 s[4:5], s[42:43], s[4:5]
	v_cndmask_b32_e64 v4, v12, v4, s[4:5]
	s_or_b64 s[4:5], s[42:43], exec
; %bb.86:
	s_or_b64 exec, exec, s[72:73]
	s_andn2_b64 s[42:43], s[42:43], exec
	s_and_b64 s[4:5], s[4:5], exec
	s_or_b64 s[42:43], s[42:43], s[4:5]
	s_or_b64 exec, exec, s[70:71]
	s_and_saveexec_b64 s[70:71], s[40:41]
	s_cbranch_execz .LBB764_48
.LBB764_87:
	global_load_ubyte v5, v[2:3], off offset:832
	s_waitcnt vmcnt(0)
	v_and_b32_e32 v5, 1, v5
	v_cmp_eq_u32_e64 s[4:5], 1, v5
	s_xor_b64 s[74:75], s[4:5], -1
	s_mov_b64 s[4:5], s[42:43]
	s_and_saveexec_b64 s[72:73], s[74:75]
; %bb.88:
	v_cmp_gt_f32_e64 s[4:5], v4, v11
	s_and_b64 s[4:5], s[42:43], s[4:5]
	v_cndmask_b32_e64 v4, v11, v4, s[4:5]
	s_or_b64 s[4:5], s[42:43], exec
; %bb.89:
	s_or_b64 exec, exec, s[72:73]
	s_andn2_b64 s[42:43], s[42:43], exec
	s_and_b64 s[4:5], s[4:5], exec
	s_or_b64 s[42:43], s[42:43], s[4:5]
	s_or_b64 exec, exec, s[70:71]
	s_and_saveexec_b64 s[70:71], s[38:39]
	s_cbranch_execz .LBB764_49
.LBB764_90:
	global_load_ubyte v5, v[2:3], off offset:896
	s_waitcnt vmcnt(0)
	v_and_b32_e32 v5, 1, v5
	v_cmp_eq_u32_e64 s[4:5], 1, v5
	s_xor_b64 s[74:75], s[4:5], -1
	s_mov_b64 s[4:5], s[42:43]
	s_and_saveexec_b64 s[72:73], s[74:75]
; %bb.91:
	v_cmp_gt_f32_e64 s[4:5], v4, v10
	s_and_b64 s[4:5], s[42:43], s[4:5]
	v_cndmask_b32_e64 v4, v10, v4, s[4:5]
	s_or_b64 s[4:5], s[42:43], exec
; %bb.92:
	s_or_b64 exec, exec, s[72:73]
	s_andn2_b64 s[42:43], s[42:43], exec
	s_and_b64 s[4:5], s[4:5], exec
	s_or_b64 s[42:43], s[42:43], s[4:5]
	s_or_b64 exec, exec, s[70:71]
	s_and_saveexec_b64 s[70:71], s[30:31]
	s_cbranch_execz .LBB764_96
.LBB764_93:
	global_load_ubyte v5, v[2:3], off offset:960
	s_waitcnt vmcnt(0)
	v_and_b32_e32 v5, 1, v5
	v_cmp_eq_u32_e64 s[4:5], 1, v5
	s_xor_b64 s[74:75], s[4:5], -1
	s_mov_b64 s[4:5], s[42:43]
	s_and_saveexec_b64 s[72:73], s[74:75]
; %bb.94:
	v_cmp_gt_f32_e64 s[4:5], v4, v9
	s_and_b64 s[4:5], s[42:43], s[4:5]
	v_cndmask_b32_e64 v4, v9, v4, s[4:5]
	s_or_b64 s[4:5], s[42:43], exec
; %bb.95:
	s_or_b64 exec, exec, s[72:73]
	s_andn2_b64 s[42:43], s[42:43], exec
	s_and_b64 s[4:5], s[4:5], exec
	s_or_b64 s[42:43], s[42:43], s[4:5]
.LBB764_96:
	s_or_b64 exec, exec, s[70:71]
	v_mov_b32_e32 v5, 0xff800000
	v_cndmask_b32_e64 v4, v5, v4, s[42:43]
	v_mbcnt_lo_u32_b32 v5, -1, 0
	v_mbcnt_hi_u32_b32 v5, -1, v5
	v_and_b32_e32 v6, 64, v5
	v_add_u32_e32 v7, 64, v6
	v_xor_b32_e32 v6, 32, v5
	v_cmp_lt_i32_e64 s[4:5], v6, v7
	v_cndmask_b32_e64 v6, v5, v6, s[4:5]
	v_lshlrev_b32_e32 v6, 2, v6
	ds_bpermute_b32 v25, v6, v4
	s_waitcnt lgkmcnt(0)
	v_cmp_lt_f32_e64 s[4:5], v4, v25
	v_cndmask_b32_e64 v4, v4, v25, s[4:5]
	v_xor_b32_e32 v25, 16, v5
	v_cmp_lt_i32_e64 s[4:5], v25, v7
	v_cndmask_b32_e64 v25, v5, v25, s[4:5]
	v_lshlrev_b32_e32 v25, 2, v25
	ds_bpermute_b32 v26, v25, v4
	s_waitcnt lgkmcnt(0)
	v_cmp_lt_f32_e64 s[4:5], v4, v26
	v_cndmask_b32_e64 v4, v4, v26, s[4:5]
	;; [unrolled: 8-line block ×5, first 2 shown]
	v_xor_b32_e32 v28, 1, v5
	v_cmp_lt_i32_e64 s[4:5], v28, v7
	v_cndmask_b32_e64 v5, v5, v28, s[4:5]
	v_lshlrev_b32_e32 v30, 2, v5
	ds_bpermute_b32 v5, v30, v4
	v_mov_b32_e32 v28, 0
	s_waitcnt lgkmcnt(0)
	v_cmp_lt_f32_e64 s[4:5], v4, v5
	v_cndmask_b32_e64 v31, v4, v5, s[4:5]
	v_mov_b32_e32 v4, 0
	s_and_saveexec_b64 s[42:43], s[68:69]
	s_cbranch_execz .LBB764_100
; %bb.97:
	global_load_ubyte v5, v[2:3], off
	v_mov_b32_e32 v28, 0
	s_waitcnt vmcnt(0)
	v_and_b32_e32 v5, 1, v5
	v_cmp_eq_u32_e64 s[4:5], 1, v5
	s_xor_b64 s[4:5], s[4:5], -1
	s_and_saveexec_b64 s[68:69], s[4:5]
	s_cbranch_execz .LBB764_99
; %bb.98:
	v_sub_f32_e32 v5, v24, v31
	s_mov_b32 s4, 0x3fb8aa3b
	v_mul_f32_e32 v7, 0x3fb8aa3b, v5
	v_fma_f32 v24, v5, s4, -v7
	v_rndne_f32_e32 v28, v7
	v_fmac_f32_e32 v24, 0x32a5705f, v5
	v_sub_f32_e32 v7, v7, v28
	v_add_f32_e32 v7, v7, v24
	v_exp_f32_e32 v7, v7
	v_cvt_i32_f32_e32 v24, v28
	s_mov_b32 s4, 0xc2ce8ed0
	v_cmp_ngt_f32_e64 s[4:5], s4, v5
	v_ldexp_f32 v7, v7, v24
	v_cndmask_b32_e64 v7, 0, v7, s[4:5]
	s_mov_b32 s4, 0x42b17218
	v_mov_b32_e32 v24, 0x7f800000
	v_cmp_nlt_f32_e64 s[4:5], s4, v5
	v_cndmask_b32_e64 v28, v24, v7, s[4:5]
.LBB764_99:
	s_or_b64 exec, exec, s[68:69]
.LBB764_100:
	s_or_b64 exec, exec, s[42:43]
	v_mov_b32_e32 v24, v28
	s_and_saveexec_b64 s[42:43], s[66:67]
	s_cbranch_execz .LBB764_104
; %bb.101:
	global_load_ubyte v5, v[2:3], off offset:64
	v_mov_b32_e32 v4, 0
	v_mov_b32_e32 v24, v28
	s_waitcnt vmcnt(0)
	v_and_b32_e32 v5, 1, v5
	v_cmp_eq_u32_e64 s[4:5], 1, v5
	s_xor_b64 s[4:5], s[4:5], -1
	s_and_saveexec_b64 s[66:67], s[4:5]
	s_cbranch_execz .LBB764_103
; %bb.102:
	v_sub_f32_e32 v4, v23, v31
	s_mov_b32 s4, 0x3fb8aa3b
	v_mul_f32_e32 v5, 0x3fb8aa3b, v4
	v_fma_f32 v7, v4, s4, -v5
	v_rndne_f32_e32 v23, v5
	v_fmac_f32_e32 v7, 0x32a5705f, v4
	v_sub_f32_e32 v5, v5, v23
	v_add_f32_e32 v5, v5, v7
	v_exp_f32_e32 v5, v5
	v_cvt_i32_f32_e32 v7, v23
	s_mov_b32 s4, 0xc2ce8ed0
	v_cmp_ngt_f32_e64 s[4:5], s4, v4
	v_ldexp_f32 v5, v5, v7
	v_cndmask_b32_e64 v5, 0, v5, s[4:5]
	s_mov_b32 s4, 0x42b17218
	v_mov_b32_e32 v7, 0x7f800000
	v_cmp_nlt_f32_e64 s[4:5], s4, v4
	v_cndmask_b32_e64 v4, v7, v5, s[4:5]
	v_add_f32_e32 v24, v28, v4
.LBB764_103:
	s_or_b64 exec, exec, s[66:67]
.LBB764_104:
	s_or_b64 exec, exec, s[42:43]
	v_mov_b32_e32 v5, 0
	v_mov_b32_e32 v23, 0
	s_and_saveexec_b64 s[42:43], s[64:65]
	s_cbranch_execz .LBB764_108
; %bb.105:
	global_load_ubyte v7, v[2:3], off offset:128
	v_mov_b32_e32 v23, 0
	s_waitcnt vmcnt(0)
	v_and_b32_e32 v7, 1, v7
	v_cmp_eq_u32_e64 s[4:5], 1, v7
	s_xor_b64 s[4:5], s[4:5], -1
	s_and_saveexec_b64 s[64:65], s[4:5]
	s_cbranch_execz .LBB764_107
; %bb.106:
	v_sub_f32_e32 v7, v22, v31
	s_mov_b32 s4, 0x3fb8aa3b
	v_mul_f32_e32 v22, 0x3fb8aa3b, v7
	v_fma_f32 v23, v7, s4, -v22
	v_rndne_f32_e32 v32, v22
	v_fmac_f32_e32 v23, 0x32a5705f, v7
	v_sub_f32_e32 v22, v22, v32
	v_add_f32_e32 v22, v22, v23
	v_exp_f32_e32 v22, v22
	v_cvt_i32_f32_e32 v23, v32
	s_mov_b32 s4, 0xc2ce8ed0
	v_cmp_ngt_f32_e64 s[4:5], s4, v7
	v_ldexp_f32 v22, v22, v23
	v_cndmask_b32_e64 v22, 0, v22, s[4:5]
	s_mov_b32 s4, 0x42b17218
	v_mov_b32_e32 v23, 0x7f800000
	v_cmp_nlt_f32_e64 s[4:5], s4, v7
	v_cndmask_b32_e64 v23, v23, v22, s[4:5]
	v_add_f32_e32 v24, v24, v23
.LBB764_107:
	s_or_b64 exec, exec, s[64:65]
.LBB764_108:
	s_or_b64 exec, exec, s[42:43]
	s_and_saveexec_b64 s[42:43], s[62:63]
	s_cbranch_execz .LBB764_112
; %bb.109:
	global_load_ubyte v5, v[2:3], off offset:192
	s_waitcnt vmcnt(0)
	v_and_b32_e32 v5, 1, v5
	v_cmp_eq_u32_e64 s[4:5], 1, v5
	s_xor_b64 s[4:5], s[4:5], -1
	v_mov_b32_e32 v5, 0
	s_and_saveexec_b64 s[62:63], s[4:5]
	s_cbranch_execz .LBB764_111
; %bb.110:
	v_sub_f32_e32 v5, v21, v31
	s_mov_b32 s4, 0x3fb8aa3b
	v_mul_f32_e32 v7, 0x3fb8aa3b, v5
	v_fma_f32 v21, v5, s4, -v7
	v_rndne_f32_e32 v22, v7
	v_fmac_f32_e32 v21, 0x32a5705f, v5
	v_sub_f32_e32 v7, v7, v22
	v_add_f32_e32 v7, v7, v21
	v_exp_f32_e32 v7, v7
	v_cvt_i32_f32_e32 v21, v22
	s_mov_b32 s4, 0xc2ce8ed0
	v_cmp_ngt_f32_e64 s[4:5], s4, v5
	v_ldexp_f32 v7, v7, v21
	v_cndmask_b32_e64 v7, 0, v7, s[4:5]
	s_mov_b32 s4, 0x42b17218
	v_mov_b32_e32 v21, 0x7f800000
	v_cmp_nlt_f32_e64 s[4:5], s4, v5
	v_cndmask_b32_e64 v5, v21, v7, s[4:5]
	v_add_f32_e32 v24, v24, v5
.LBB764_111:
	s_or_b64 exec, exec, s[62:63]
.LBB764_112:
	s_or_b64 exec, exec, s[42:43]
	v_mov_b32_e32 v7, 0
	v_mov_b32_e32 v21, 0
	s_and_saveexec_b64 s[42:43], s[60:61]
	s_cbranch_execz .LBB764_116
; %bb.113:
	global_load_ubyte v21, v[2:3], off offset:256
	s_waitcnt vmcnt(0)
	v_and_b32_e32 v21, 1, v21
	v_cmp_eq_u32_e64 s[4:5], 1, v21
	s_xor_b64 s[4:5], s[4:5], -1
	v_mov_b32_e32 v21, 0
	s_and_saveexec_b64 s[60:61], s[4:5]
	s_cbranch_execz .LBB764_115
; %bb.114:
	v_sub_f32_e32 v20, v20, v31
	s_mov_b32 s4, 0x3fb8aa3b
	v_mul_f32_e32 v21, 0x3fb8aa3b, v20
	v_fma_f32 v22, v20, s4, -v21
	v_rndne_f32_e32 v32, v21
	v_fmac_f32_e32 v22, 0x32a5705f, v20
	v_sub_f32_e32 v21, v21, v32
	v_add_f32_e32 v21, v21, v22
	v_exp_f32_e32 v21, v21
	v_cvt_i32_f32_e32 v22, v32
	s_mov_b32 s4, 0xc2ce8ed0
	v_cmp_ngt_f32_e64 s[4:5], s4, v20
	v_ldexp_f32 v21, v21, v22
	v_cndmask_b32_e64 v21, 0, v21, s[4:5]
	s_mov_b32 s4, 0x42b17218
	v_mov_b32_e32 v22, 0x7f800000
	v_cmp_nlt_f32_e64 s[4:5], s4, v20
	v_cndmask_b32_e64 v21, v22, v21, s[4:5]
	v_add_f32_e32 v24, v24, v21
.LBB764_115:
	s_or_b64 exec, exec, s[60:61]
.LBB764_116:
	s_or_b64 exec, exec, s[42:43]
	s_and_saveexec_b64 s[42:43], s[58:59]
	s_cbranch_execz .LBB764_120
; %bb.117:
	global_load_ubyte v7, v[2:3], off offset:320
	s_waitcnt vmcnt(0)
	v_and_b32_e32 v7, 1, v7
	v_cmp_eq_u32_e64 s[4:5], 1, v7
	s_xor_b64 s[4:5], s[4:5], -1
	v_mov_b32_e32 v7, 0
	s_and_saveexec_b64 s[58:59], s[4:5]
	s_cbranch_execz .LBB764_119
; %bb.118:
	v_sub_f32_e32 v7, v19, v31
	s_mov_b32 s4, 0x3fb8aa3b
	v_mul_f32_e32 v19, 0x3fb8aa3b, v7
	v_fma_f32 v20, v7, s4, -v19
	v_rndne_f32_e32 v22, v19
	v_fmac_f32_e32 v20, 0x32a5705f, v7
	v_sub_f32_e32 v19, v19, v22
	v_add_f32_e32 v19, v19, v20
	v_exp_f32_e32 v19, v19
	v_cvt_i32_f32_e32 v20, v22
	s_mov_b32 s4, 0xc2ce8ed0
	v_cmp_ngt_f32_e64 s[4:5], s4, v7
	v_ldexp_f32 v19, v19, v20
	v_cndmask_b32_e64 v19, 0, v19, s[4:5]
	s_mov_b32 s4, 0x42b17218
	v_mov_b32_e32 v20, 0x7f800000
	v_cmp_nlt_f32_e64 s[4:5], s4, v7
	v_cndmask_b32_e64 v7, v20, v19, s[4:5]
	v_add_f32_e32 v24, v24, v7
.LBB764_119:
	s_or_b64 exec, exec, s[58:59]
.LBB764_120:
	s_or_b64 exec, exec, s[42:43]
	v_mov_b32_e32 v19, 0
	v_mov_b32_e32 v20, 0
	s_and_saveexec_b64 s[42:43], s[56:57]
	s_cbranch_execz .LBB764_124
; %bb.121:
	global_load_ubyte v20, v[2:3], off offset:384
	s_waitcnt vmcnt(0)
	v_and_b32_e32 v20, 1, v20
	v_cmp_eq_u32_e64 s[4:5], 1, v20
	s_xor_b64 s[4:5], s[4:5], -1
	v_mov_b32_e32 v20, 0
	s_and_saveexec_b64 s[56:57], s[4:5]
	s_cbranch_execz .LBB764_123
; %bb.122:
	v_sub_f32_e32 v18, v18, v31
	s_mov_b32 s4, 0x3fb8aa3b
	v_mul_f32_e32 v20, 0x3fb8aa3b, v18
	v_fma_f32 v22, v18, s4, -v20
	v_rndne_f32_e32 v32, v20
	v_fmac_f32_e32 v22, 0x32a5705f, v18
	v_sub_f32_e32 v20, v20, v32
	v_add_f32_e32 v20, v20, v22
	v_exp_f32_e32 v20, v20
	v_cvt_i32_f32_e32 v22, v32
	s_mov_b32 s4, 0xc2ce8ed0
	v_cmp_ngt_f32_e64 s[4:5], s4, v18
	v_ldexp_f32 v20, v20, v22
	v_cndmask_b32_e64 v20, 0, v20, s[4:5]
	s_mov_b32 s4, 0x42b17218
	v_mov_b32_e32 v22, 0x7f800000
	v_cmp_nlt_f32_e64 s[4:5], s4, v18
	v_cndmask_b32_e64 v20, v22, v20, s[4:5]
	v_add_f32_e32 v24, v24, v20
.LBB764_123:
	s_or_b64 exec, exec, s[56:57]
.LBB764_124:
	s_or_b64 exec, exec, s[42:43]
	s_and_saveexec_b64 s[42:43], s[54:55]
	s_cbranch_execz .LBB764_128
; %bb.125:
	global_load_ubyte v18, v[2:3], off offset:448
	v_mov_b32_e32 v19, 0
	s_waitcnt vmcnt(0)
	v_and_b32_e32 v18, 1, v18
	v_cmp_eq_u32_e64 s[4:5], 1, v18
	s_xor_b64 s[4:5], s[4:5], -1
	s_and_saveexec_b64 s[54:55], s[4:5]
	s_cbranch_execz .LBB764_127
; %bb.126:
	v_sub_f32_e32 v17, v17, v31
	s_mov_b32 s4, 0x3fb8aa3b
	v_mul_f32_e32 v18, 0x3fb8aa3b, v17
	v_fma_f32 v19, v17, s4, -v18
	v_rndne_f32_e32 v22, v18
	v_fmac_f32_e32 v19, 0x32a5705f, v17
	v_sub_f32_e32 v18, v18, v22
	v_add_f32_e32 v18, v18, v19
	v_exp_f32_e32 v18, v18
	v_cvt_i32_f32_e32 v19, v22
	s_mov_b32 s4, 0xc2ce8ed0
	v_cmp_ngt_f32_e64 s[4:5], s4, v17
	v_ldexp_f32 v18, v18, v19
	v_cndmask_b32_e64 v18, 0, v18, s[4:5]
	s_mov_b32 s4, 0x42b17218
	v_mov_b32_e32 v19, 0x7f800000
	v_cmp_nlt_f32_e64 s[4:5], s4, v17
	v_cndmask_b32_e64 v19, v19, v18, s[4:5]
	v_add_f32_e32 v24, v24, v19
.LBB764_127:
	s_or_b64 exec, exec, s[54:55]
.LBB764_128:
	s_or_b64 exec, exec, s[42:43]
	v_mov_b32_e32 v17, 0
	v_mov_b32_e32 v18, 0
	s_and_saveexec_b64 s[42:43], s[52:53]
	s_cbranch_execz .LBB764_132
; %bb.129:
	global_load_ubyte v18, v[2:3], off offset:512
	s_waitcnt vmcnt(0)
	v_and_b32_e32 v18, 1, v18
	v_cmp_eq_u32_e64 s[4:5], 1, v18
	s_xor_b64 s[4:5], s[4:5], -1
	v_mov_b32_e32 v18, 0
	s_and_saveexec_b64 s[52:53], s[4:5]
	s_cbranch_execz .LBB764_131
; %bb.130:
	v_sub_f32_e32 v16, v16, v31
	s_mov_b32 s4, 0x3fb8aa3b
	v_mul_f32_e32 v18, 0x3fb8aa3b, v16
	v_fma_f32 v22, v16, s4, -v18
	v_rndne_f32_e32 v32, v18
	v_fmac_f32_e32 v22, 0x32a5705f, v16
	v_sub_f32_e32 v18, v18, v32
	v_add_f32_e32 v18, v18, v22
	v_exp_f32_e32 v18, v18
	v_cvt_i32_f32_e32 v22, v32
	s_mov_b32 s4, 0xc2ce8ed0
	v_cmp_ngt_f32_e64 s[4:5], s4, v16
	v_ldexp_f32 v18, v18, v22
	v_cndmask_b32_e64 v18, 0, v18, s[4:5]
	s_mov_b32 s4, 0x42b17218
	v_mov_b32_e32 v22, 0x7f800000
	v_cmp_nlt_f32_e64 s[4:5], s4, v16
	v_cndmask_b32_e64 v18, v22, v18, s[4:5]
	v_add_f32_e32 v24, v24, v18
.LBB764_131:
	s_or_b64 exec, exec, s[52:53]
.LBB764_132:
	s_or_b64 exec, exec, s[42:43]
	s_and_saveexec_b64 s[42:43], s[50:51]
	s_cbranch_execz .LBB764_136
; %bb.133:
	global_load_ubyte v16, v[2:3], off offset:576
	v_mov_b32_e32 v17, 0
	s_waitcnt vmcnt(0)
	v_and_b32_e32 v16, 1, v16
	v_cmp_eq_u32_e64 s[4:5], 1, v16
	s_xor_b64 s[4:5], s[4:5], -1
	s_and_saveexec_b64 s[50:51], s[4:5]
	s_cbranch_execz .LBB764_135
; %bb.134:
	v_sub_f32_e32 v15, v15, v31
	s_mov_b32 s4, 0x3fb8aa3b
	v_mul_f32_e32 v16, 0x3fb8aa3b, v15
	v_fma_f32 v17, v15, s4, -v16
	v_rndne_f32_e32 v22, v16
	v_fmac_f32_e32 v17, 0x32a5705f, v15
	v_sub_f32_e32 v16, v16, v22
	v_add_f32_e32 v16, v16, v17
	v_exp_f32_e32 v16, v16
	v_cvt_i32_f32_e32 v17, v22
	s_mov_b32 s4, 0xc2ce8ed0
	v_cmp_ngt_f32_e64 s[4:5], s4, v15
	v_ldexp_f32 v16, v16, v17
	v_cndmask_b32_e64 v16, 0, v16, s[4:5]
	s_mov_b32 s4, 0x42b17218
	v_mov_b32_e32 v17, 0x7f800000
	v_cmp_nlt_f32_e64 s[4:5], s4, v15
	v_cndmask_b32_e64 v17, v17, v16, s[4:5]
	v_add_f32_e32 v24, v24, v17
.LBB764_135:
	s_or_b64 exec, exec, s[50:51]
.LBB764_136:
	s_or_b64 exec, exec, s[42:43]
	v_mov_b32_e32 v15, 0
	v_mov_b32_e32 v16, 0
	s_and_saveexec_b64 s[42:43], s[48:49]
	s_cbranch_execz .LBB764_140
; %bb.137:
	global_load_ubyte v16, v[2:3], off offset:640
	s_waitcnt vmcnt(0)
	v_and_b32_e32 v16, 1, v16
	v_cmp_eq_u32_e64 s[4:5], 1, v16
	s_xor_b64 s[4:5], s[4:5], -1
	v_mov_b32_e32 v16, 0
	s_and_saveexec_b64 s[48:49], s[4:5]
	s_cbranch_execz .LBB764_139
; %bb.138:
	v_sub_f32_e32 v14, v14, v31
	s_mov_b32 s4, 0x3fb8aa3b
	v_mul_f32_e32 v16, 0x3fb8aa3b, v14
	v_fma_f32 v22, v14, s4, -v16
	v_rndne_f32_e32 v32, v16
	v_fmac_f32_e32 v22, 0x32a5705f, v14
	v_sub_f32_e32 v16, v16, v32
	v_add_f32_e32 v16, v16, v22
	v_exp_f32_e32 v16, v16
	v_cvt_i32_f32_e32 v22, v32
	s_mov_b32 s4, 0xc2ce8ed0
	v_cmp_ngt_f32_e64 s[4:5], s4, v14
	v_ldexp_f32 v16, v16, v22
	v_cndmask_b32_e64 v16, 0, v16, s[4:5]
	s_mov_b32 s4, 0x42b17218
	v_mov_b32_e32 v22, 0x7f800000
	v_cmp_nlt_f32_e64 s[4:5], s4, v14
	v_cndmask_b32_e64 v16, v22, v16, s[4:5]
	v_add_f32_e32 v24, v24, v16
.LBB764_139:
	s_or_b64 exec, exec, s[48:49]
.LBB764_140:
	s_or_b64 exec, exec, s[42:43]
	s_and_saveexec_b64 s[42:43], s[46:47]
	s_cbranch_execz .LBB764_144
; %bb.141:
	global_load_ubyte v14, v[2:3], off offset:704
	v_mov_b32_e32 v15, 0
	s_waitcnt vmcnt(0)
	v_and_b32_e32 v14, 1, v14
	v_cmp_eq_u32_e64 s[4:5], 1, v14
	s_xor_b64 s[4:5], s[4:5], -1
	s_and_saveexec_b64 s[46:47], s[4:5]
	s_cbranch_execz .LBB764_143
; %bb.142:
	v_sub_f32_e32 v13, v13, v31
	s_mov_b32 s4, 0x3fb8aa3b
	v_mul_f32_e32 v14, 0x3fb8aa3b, v13
	v_fma_f32 v15, v13, s4, -v14
	v_rndne_f32_e32 v22, v14
	v_fmac_f32_e32 v15, 0x32a5705f, v13
	v_sub_f32_e32 v14, v14, v22
	v_add_f32_e32 v14, v14, v15
	v_exp_f32_e32 v14, v14
	v_cvt_i32_f32_e32 v15, v22
	s_mov_b32 s4, 0xc2ce8ed0
	v_cmp_ngt_f32_e64 s[4:5], s4, v13
	v_ldexp_f32 v14, v14, v15
	v_cndmask_b32_e64 v14, 0, v14, s[4:5]
	s_mov_b32 s4, 0x42b17218
	v_mov_b32_e32 v15, 0x7f800000
	v_cmp_nlt_f32_e64 s[4:5], s4, v13
	v_cndmask_b32_e64 v15, v15, v14, s[4:5]
	v_add_f32_e32 v24, v24, v15
.LBB764_143:
	s_or_b64 exec, exec, s[46:47]
.LBB764_144:
	s_or_b64 exec, exec, s[42:43]
	v_mov_b32_e32 v13, 0
	v_mov_b32_e32 v14, 0
	s_and_saveexec_b64 s[42:43], s[44:45]
	s_cbranch_execz .LBB764_148
; %bb.145:
	global_load_ubyte v14, v[2:3], off offset:768
	s_waitcnt vmcnt(0)
	v_and_b32_e32 v14, 1, v14
	v_cmp_eq_u32_e64 s[4:5], 1, v14
	s_xor_b64 s[4:5], s[4:5], -1
	v_mov_b32_e32 v14, 0
	s_and_saveexec_b64 s[44:45], s[4:5]
	s_cbranch_execz .LBB764_147
; %bb.146:
	v_sub_f32_e32 v12, v12, v31
	s_mov_b32 s4, 0x3fb8aa3b
	v_mul_f32_e32 v14, 0x3fb8aa3b, v12
	v_fma_f32 v22, v12, s4, -v14
	v_rndne_f32_e32 v32, v14
	v_fmac_f32_e32 v22, 0x32a5705f, v12
	v_sub_f32_e32 v14, v14, v32
	v_add_f32_e32 v14, v14, v22
	v_exp_f32_e32 v14, v14
	v_cvt_i32_f32_e32 v22, v32
	s_mov_b32 s4, 0xc2ce8ed0
	v_cmp_ngt_f32_e64 s[4:5], s4, v12
	v_ldexp_f32 v14, v14, v22
	v_cndmask_b32_e64 v14, 0, v14, s[4:5]
	s_mov_b32 s4, 0x42b17218
	v_mov_b32_e32 v22, 0x7f800000
	v_cmp_nlt_f32_e64 s[4:5], s4, v12
	v_cndmask_b32_e64 v14, v22, v14, s[4:5]
	v_add_f32_e32 v24, v24, v14
.LBB764_147:
	s_or_b64 exec, exec, s[44:45]
.LBB764_148:
	s_or_b64 exec, exec, s[42:43]
	s_and_saveexec_b64 s[42:43], s[40:41]
	s_cbranch_execz .LBB764_152
; %bb.149:
	global_load_ubyte v12, v[2:3], off offset:832
	v_mov_b32_e32 v13, 0
	s_waitcnt vmcnt(0)
	v_and_b32_e32 v12, 1, v12
	v_cmp_eq_u32_e64 s[4:5], 1, v12
	s_xor_b64 s[4:5], s[4:5], -1
	s_and_saveexec_b64 s[40:41], s[4:5]
	s_cbranch_execz .LBB764_151
; %bb.150:
	v_sub_f32_e32 v11, v11, v31
	s_mov_b32 s4, 0x3fb8aa3b
	v_mul_f32_e32 v12, 0x3fb8aa3b, v11
	v_fma_f32 v13, v11, s4, -v12
	v_rndne_f32_e32 v22, v12
	v_fmac_f32_e32 v13, 0x32a5705f, v11
	v_sub_f32_e32 v12, v12, v22
	v_add_f32_e32 v12, v12, v13
	v_exp_f32_e32 v12, v12
	v_cvt_i32_f32_e32 v13, v22
	s_mov_b32 s4, 0xc2ce8ed0
	v_cmp_ngt_f32_e64 s[4:5], s4, v11
	v_ldexp_f32 v12, v12, v13
	v_cndmask_b32_e64 v12, 0, v12, s[4:5]
	s_mov_b32 s4, 0x42b17218
	v_mov_b32_e32 v13, 0x7f800000
	v_cmp_nlt_f32_e64 s[4:5], s4, v11
	v_cndmask_b32_e64 v13, v13, v12, s[4:5]
	v_add_f32_e32 v24, v24, v13
.LBB764_151:
	s_or_b64 exec, exec, s[40:41]
.LBB764_152:
	s_or_b64 exec, exec, s[42:43]
	v_mov_b32_e32 v11, 0
	v_mov_b32_e32 v12, 0
	s_and_saveexec_b64 s[40:41], s[38:39]
	s_cbranch_execz .LBB764_156
; %bb.153:
	global_load_ubyte v12, v[2:3], off offset:896
	s_waitcnt vmcnt(0)
	v_and_b32_e32 v12, 1, v12
	v_cmp_eq_u32_e64 s[4:5], 1, v12
	s_xor_b64 s[4:5], s[4:5], -1
	v_mov_b32_e32 v12, 0
	s_and_saveexec_b64 s[38:39], s[4:5]
	s_cbranch_execz .LBB764_155
; %bb.154:
	v_sub_f32_e32 v10, v10, v31
	s_mov_b32 s4, 0x3fb8aa3b
	v_mul_f32_e32 v12, 0x3fb8aa3b, v10
	v_fma_f32 v22, v10, s4, -v12
	v_rndne_f32_e32 v32, v12
	v_fmac_f32_e32 v22, 0x32a5705f, v10
	v_sub_f32_e32 v12, v12, v32
	v_add_f32_e32 v12, v12, v22
	v_exp_f32_e32 v12, v12
	v_cvt_i32_f32_e32 v22, v32
	s_mov_b32 s4, 0xc2ce8ed0
	v_cmp_ngt_f32_e64 s[4:5], s4, v10
	v_ldexp_f32 v12, v12, v22
	v_cndmask_b32_e64 v12, 0, v12, s[4:5]
	s_mov_b32 s4, 0x42b17218
	v_mov_b32_e32 v22, 0x7f800000
	v_cmp_nlt_f32_e64 s[4:5], s4, v10
	v_cndmask_b32_e64 v12, v22, v12, s[4:5]
	v_add_f32_e32 v24, v24, v12
.LBB764_155:
	s_or_b64 exec, exec, s[38:39]
.LBB764_156:
	s_or_b64 exec, exec, s[40:41]
	s_and_saveexec_b64 s[38:39], s[30:31]
	s_cbranch_execz .LBB764_160
; %bb.157:
	global_load_ubyte v2, v[2:3], off offset:960
	v_mov_b32_e32 v11, 0
	s_waitcnt vmcnt(0)
	v_and_b32_e32 v2, 1, v2
	v_cmp_eq_u32_e64 s[4:5], 1, v2
	s_xor_b64 s[4:5], s[4:5], -1
	s_and_saveexec_b64 s[30:31], s[4:5]
	s_cbranch_execz .LBB764_159
; %bb.158:
	v_sub_f32_e32 v2, v9, v31
	s_mov_b32 s4, 0x3fb8aa3b
	v_mul_f32_e32 v3, 0x3fb8aa3b, v2
	v_fma_f32 v9, v2, s4, -v3
	v_rndne_f32_e32 v10, v3
	v_fmac_f32_e32 v9, 0x32a5705f, v2
	v_sub_f32_e32 v3, v3, v10
	v_add_f32_e32 v3, v3, v9
	v_exp_f32_e32 v3, v3
	v_cvt_i32_f32_e32 v9, v10
	s_mov_b32 s4, 0xc2ce8ed0
	v_cmp_ngt_f32_e64 s[4:5], s4, v2
	v_ldexp_f32 v3, v3, v9
	v_cndmask_b32_e64 v3, 0, v3, s[4:5]
	s_mov_b32 s4, 0x42b17218
	v_mov_b32_e32 v9, 0x7f800000
	v_cmp_nlt_f32_e64 s[4:5], s4, v2
	v_cndmask_b32_e64 v11, v9, v3, s[4:5]
	v_add_f32_e32 v24, v24, v11
.LBB764_159:
	s_or_b64 exec, exec, s[30:31]
.LBB764_160:
	s_or_b64 exec, exec, s[38:39]
	ds_bpermute_b32 v2, v6, v24
	v_cmp_lt_i32_e64 s[4:5], 0, v8
	s_waitcnt lgkmcnt(0)
	v_add_f32_e32 v2, v24, v2
	ds_bpermute_b32 v3, v25, v2
	s_waitcnt lgkmcnt(0)
	v_add_f32_e32 v2, v2, v3
	ds_bpermute_b32 v3, v26, v2
	;; [unrolled: 3-line block ×5, first 2 shown]
	s_and_saveexec_b64 s[30:31], s[4:5]
	s_cbranch_execz .LBB764_210
; %bb.161:
	s_and_b64 exec, exec, vcc
	s_cbranch_execz .LBB764_210
; %bb.162:
	s_waitcnt lgkmcnt(0)
	v_add_f32_e32 v2, v2, v3
	v_cmp_neq_f32_e64 s[30:31], 0, v2
	v_mov_b32_e32 v3, 0x7fc0
	s_and_saveexec_b64 s[4:5], s[30:31]
	s_cbranch_execz .LBB764_164
; %bb.163:
	v_div_scale_f32 v3, s[38:39], v2, v2, v28
	v_rcp_f32_e32 v6, v3
	v_div_scale_f32 v8, vcc, v28, v2, v28
	s_movk_i32 s33, 0x7fff
	v_fma_f32 v9, -v3, v6, 1.0
	v_fmac_f32_e32 v6, v9, v6
	v_mul_f32_e32 v9, v8, v6
	v_fma_f32 v10, -v3, v9, v8
	v_fmac_f32_e32 v9, v10, v6
	v_fma_f32 v3, -v3, v9, v8
	v_div_fmas_f32 v3, v3, v6, v9
	v_div_fixup_f32 v3, v3, v2, v28
	v_bfe_u32 v6, v3, 16, 1
	v_add3_u32 v6, v3, v6, s33
	v_lshrrev_b32_e32 v6, 16, v6
	v_mov_b32_e32 v8, 0x7fc0
	v_cmp_o_f32_e32 vcc, v3, v3
	v_cndmask_b32_e32 v3, v8, v6, vcc
.LBB764_164:
	s_or_b64 exec, exec, s[4:5]
	v_mov_b32_e32 v6, s37
	v_add_co_u32_e32 v0, vcc, s36, v0
	v_addc_co_u32_e32 v1, vcc, v6, v1, vcc
	global_store_short v[0:1], v3, off
	s_and_b64 exec, exec, s[28:29]
	s_cbranch_execz .LBB764_210
; %bb.165:
	v_mov_b32_e32 v3, 0x7fc0
	s_and_saveexec_b64 s[4:5], s[30:31]
	s_cbranch_execz .LBB764_167
; %bb.166:
	v_div_scale_f32 v3, s[28:29], v2, v2, v4
	v_rcp_f32_e32 v6, v3
	v_div_scale_f32 v8, vcc, v4, v2, v4
	s_movk_i32 s28, 0x7fff
	v_fma_f32 v9, -v3, v6, 1.0
	v_fmac_f32_e32 v6, v9, v6
	v_mul_f32_e32 v9, v8, v6
	v_fma_f32 v10, -v3, v9, v8
	v_fmac_f32_e32 v9, v10, v6
	v_fma_f32 v3, -v3, v9, v8
	v_div_fmas_f32 v3, v3, v6, v9
	v_div_fixup_f32 v3, v3, v2, v4
	v_bfe_u32 v4, v3, 16, 1
	v_add3_u32 v4, v3, v4, s28
	v_lshrrev_b32_e32 v4, 16, v4
	v_mov_b32_e32 v6, 0x7fc0
	v_cmp_o_f32_e32 vcc, v3, v3
	v_cndmask_b32_e32 v3, v6, v4, vcc
.LBB764_167:
	s_or_b64 exec, exec, s[4:5]
	global_store_short v[0:1], v3, off offset:128
	s_and_b64 exec, exec, s[26:27]
	s_cbranch_execz .LBB764_210
; %bb.168:
	v_mov_b32_e32 v3, 0x7fc0
	s_and_saveexec_b64 s[4:5], s[30:31]
	s_cbranch_execz .LBB764_170
; %bb.169:
	v_div_scale_f32 v3, s[26:27], v2, v2, v23
	v_rcp_f32_e32 v4, v3
	v_div_scale_f32 v6, vcc, v23, v2, v23
	s_movk_i32 s26, 0x7fff
	v_fma_f32 v8, -v3, v4, 1.0
	v_fmac_f32_e32 v4, v8, v4
	v_mul_f32_e32 v8, v6, v4
	v_fma_f32 v9, -v3, v8, v6
	v_fmac_f32_e32 v8, v9, v4
	v_fma_f32 v3, -v3, v8, v6
	v_div_fmas_f32 v3, v3, v4, v8
	v_div_fixup_f32 v3, v3, v2, v23
	v_bfe_u32 v4, v3, 16, 1
	v_add3_u32 v4, v3, v4, s26
	v_lshrrev_b32_e32 v4, 16, v4
	v_mov_b32_e32 v6, 0x7fc0
	v_cmp_o_f32_e32 vcc, v3, v3
	v_cndmask_b32_e32 v3, v6, v4, vcc
.LBB764_170:
	s_or_b64 exec, exec, s[4:5]
	global_store_short v[0:1], v3, off offset:256
	;; [unrolled: 28-line block ×15, first 2 shown]
.LBB764_210:
	s_endpgm
	.section	.rodata,"a",@progbits
	.p2align	6, 0x0
	.amdhsa_kernel _ZN12_GLOBAL__N_120softmax_warp_forwardIN3c108BFloat16ES2_fLi10ELb0ELb1ELi64EEEvPT0_PKT_iiiPKbib
		.amdhsa_group_segment_fixed_size 0
		.amdhsa_private_segment_fixed_size 0
		.amdhsa_kernarg_size 304
		.amdhsa_user_sgpr_count 6
		.amdhsa_user_sgpr_private_segment_buffer 1
		.amdhsa_user_sgpr_dispatch_ptr 0
		.amdhsa_user_sgpr_queue_ptr 0
		.amdhsa_user_sgpr_kernarg_segment_ptr 1
		.amdhsa_user_sgpr_dispatch_id 0
		.amdhsa_user_sgpr_flat_scratch_init 0
		.amdhsa_user_sgpr_kernarg_preload_length 0
		.amdhsa_user_sgpr_kernarg_preload_offset 0
		.amdhsa_user_sgpr_private_segment_size 0
		.amdhsa_uses_dynamic_stack 0
		.amdhsa_system_sgpr_private_segment_wavefront_offset 0
		.amdhsa_system_sgpr_workgroup_id_x 1
		.amdhsa_system_sgpr_workgroup_id_y 0
		.amdhsa_system_sgpr_workgroup_id_z 0
		.amdhsa_system_sgpr_workgroup_info 0
		.amdhsa_system_vgpr_workitem_id 1
		.amdhsa_next_free_vgpr 33
		.amdhsa_next_free_sgpr 76
		.amdhsa_accum_offset 36
		.amdhsa_reserve_vcc 1
		.amdhsa_reserve_flat_scratch 0
		.amdhsa_float_round_mode_32 0
		.amdhsa_float_round_mode_16_64 0
		.amdhsa_float_denorm_mode_32 3
		.amdhsa_float_denorm_mode_16_64 3
		.amdhsa_dx10_clamp 1
		.amdhsa_ieee_mode 1
		.amdhsa_fp16_overflow 0
		.amdhsa_tg_split 0
		.amdhsa_exception_fp_ieee_invalid_op 0
		.amdhsa_exception_fp_denorm_src 0
		.amdhsa_exception_fp_ieee_div_zero 0
		.amdhsa_exception_fp_ieee_overflow 0
		.amdhsa_exception_fp_ieee_underflow 0
		.amdhsa_exception_fp_ieee_inexact 0
		.amdhsa_exception_int_div_zero 0
	.end_amdhsa_kernel
	.section	.text._ZN12_GLOBAL__N_120softmax_warp_forwardIN3c108BFloat16ES2_fLi10ELb0ELb1ELi64EEEvPT0_PKT_iiiPKbib,"axG",@progbits,_ZN12_GLOBAL__N_120softmax_warp_forwardIN3c108BFloat16ES2_fLi10ELb0ELb1ELi64EEEvPT0_PKT_iiiPKbib,comdat
.Lfunc_end764:
	.size	_ZN12_GLOBAL__N_120softmax_warp_forwardIN3c108BFloat16ES2_fLi10ELb0ELb1ELi64EEEvPT0_PKT_iiiPKbib, .Lfunc_end764-_ZN12_GLOBAL__N_120softmax_warp_forwardIN3c108BFloat16ES2_fLi10ELb0ELb1ELi64EEEvPT0_PKT_iiiPKbib
                                        ; -- End function
	.section	.AMDGPU.csdata,"",@progbits
; Kernel info:
; codeLenInByte = 8548
; NumSgprs: 80
; NumVgprs: 33
; NumAgprs: 0
; TotalNumVgprs: 33
; ScratchSize: 0
; MemoryBound: 0
; FloatMode: 240
; IeeeMode: 1
; LDSByteSize: 0 bytes/workgroup (compile time only)
; SGPRBlocks: 9
; VGPRBlocks: 4
; NumSGPRsForWavesPerEU: 80
; NumVGPRsForWavesPerEU: 33
; AccumOffset: 36
; Occupancy: 8
; WaveLimiterHint : 0
; COMPUTE_PGM_RSRC2:SCRATCH_EN: 0
; COMPUTE_PGM_RSRC2:USER_SGPR: 6
; COMPUTE_PGM_RSRC2:TRAP_HANDLER: 0
; COMPUTE_PGM_RSRC2:TGID_X_EN: 1
; COMPUTE_PGM_RSRC2:TGID_Y_EN: 0
; COMPUTE_PGM_RSRC2:TGID_Z_EN: 0
; COMPUTE_PGM_RSRC2:TIDIG_COMP_CNT: 1
; COMPUTE_PGM_RSRC3_GFX90A:ACCUM_OFFSET: 8
; COMPUTE_PGM_RSRC3_GFX90A:TG_SPLIT: 0
	.section	.text._ZN12_GLOBAL__N_120softmax_warp_forwardIN3c108BFloat16ES2_fLi10ELb0ELb1ELi32EEEvPT0_PKT_iiiPKbib,"axG",@progbits,_ZN12_GLOBAL__N_120softmax_warp_forwardIN3c108BFloat16ES2_fLi10ELb0ELb1ELi32EEEvPT0_PKT_iiiPKbib,comdat
	.globl	_ZN12_GLOBAL__N_120softmax_warp_forwardIN3c108BFloat16ES2_fLi10ELb0ELb1ELi32EEEvPT0_PKT_iiiPKbib ; -- Begin function _ZN12_GLOBAL__N_120softmax_warp_forwardIN3c108BFloat16ES2_fLi10ELb0ELb1ELi32EEEvPT0_PKT_iiiPKbib
	.p2align	8
	.type	_ZN12_GLOBAL__N_120softmax_warp_forwardIN3c108BFloat16ES2_fLi10ELb0ELb1ELi32EEEvPT0_PKT_iiiPKbib,@function
_ZN12_GLOBAL__N_120softmax_warp_forwardIN3c108BFloat16ES2_fLi10ELb0ELb1ELi32EEEvPT0_PKT_iiiPKbib: ; @_ZN12_GLOBAL__N_120softmax_warp_forwardIN3c108BFloat16ES2_fLi10ELb0ELb1ELi32EEEvPT0_PKT_iiiPKbib
; %bb.0:
	s_load_dword s2, s[4:5], 0x3c
	s_load_dwordx4 s[72:75], s[4:5], 0x10
	s_load_dwordx2 s[0:1], s[4:5], 0x28
	v_bfe_u32 v1, v0, 10, 10
	v_and_b32_e32 v2, 0x3ff, v0
	s_waitcnt lgkmcnt(0)
	s_lshr_b32 s2, s2, 16
	s_mul_i32 s6, s6, s2
	v_add_u32_e32 v3, s6, v1
	v_mul_lo_u32 v6, v3, s73
	v_add_u32_e32 v0, v6, v2
	v_ashrrev_i32_e32 v1, 31, v0
	s_bitcmp0_b32 s1, 0
	v_pk_mov_b32 v[4:5], v[0:1], v[0:1] op_sel:[0,1]
	s_cbranch_scc1 .LBB765_2
; %bb.1:
	s_abs_i32 s1, s0
	v_cvt_f32_u32_e32 v4, s1
	v_xor_b32_e32 v5, s0, v6
	v_sub_u32_e32 v7, 0, v6
	s_sub_i32 s0, 0, s1
	v_rcp_iflag_f32_e32 v4, v4
	v_max_i32_e32 v6, v6, v7
	v_ashrrev_i32_e32 v5, 31, v5
	v_mul_f32_e32 v4, 0x4f7ffffe, v4
	v_cvt_u32_f32_e32 v4, v4
	v_mul_lo_u32 v7, s0, v4
	v_mul_hi_u32 v7, v4, v7
	v_add_u32_e32 v4, v4, v7
	v_mul_hi_u32 v4, v6, v4
	v_mul_lo_u32 v7, v4, s1
	v_sub_u32_e32 v6, v6, v7
	v_add_u32_e32 v8, 1, v4
	v_cmp_le_u32_e32 vcc, s1, v6
	v_subrev_u32_e32 v7, s1, v6
	v_cndmask_b32_e32 v4, v4, v8, vcc
	v_cndmask_b32_e32 v6, v6, v7, vcc
	v_add_u32_e32 v7, 1, v4
	v_cmp_le_u32_e32 vcc, s1, v6
	v_cndmask_b32_e32 v4, v4, v7, vcc
	v_xor_b32_e32 v4, v4, v5
	v_sub_u32_e32 v4, v4, v5
	v_mad_u64_u32 v[4:5], s[0:1], v4, s73, v[2:3]
	v_ashrrev_i32_e32 v5, 31, v4
.LBB765_2:
	s_load_dwordx4 s[0:3], s[4:5], 0x0
	v_lshlrev_b64 v[0:1], 1, v[0:1]
                                        ; implicit-def: $vgpr48 : SGPR spill to VGPR lane
	v_sub_u32_e32 v8, s72, v3
	v_cmp_lt_i32_e64 s[64:65], 0, v8
	v_mov_b32_e32 v39, 0xff800000
	s_waitcnt lgkmcnt(0)
	v_mov_b32_e32 v3, s3
	v_writelane_b32 v48, s0, 0
	v_add_co_u32_e32 v6, vcc, s2, v0
	v_addc_co_u32_e32 v7, vcc, v3, v1, vcc
	v_writelane_b32 v48, s1, 1
	v_cmp_gt_i32_e32 vcc, s74, v2
	v_writelane_b32 v48, s2, 2
	s_and_b64 s[36:37], s[64:65], vcc
	v_mov_b32_e32 v40, 0xff800000
	v_writelane_b32 v48, s3, 3
	s_and_saveexec_b64 s[0:1], s[36:37]
	s_cbranch_execz .LBB765_4
; %bb.3:
	global_load_ushort v3, v[6:7], off
	s_waitcnt vmcnt(0)
	v_lshlrev_b32_e32 v40, 16, v3
.LBB765_4:
	s_or_b64 exec, exec, s[0:1]
	v_add_u32_e32 v3, 32, v2
	v_cmp_gt_i32_e64 s[62:63], s74, v3
	s_and_b64 s[34:35], s[64:65], s[62:63]
	s_and_saveexec_b64 s[0:1], s[34:35]
	s_cbranch_execz .LBB765_6
; %bb.5:
	global_load_ushort v3, v[6:7], off offset:64
	s_waitcnt vmcnt(0)
	v_lshlrev_b32_e32 v39, 16, v3
.LBB765_6:
	s_or_b64 exec, exec, s[0:1]
	v_add_u32_e32 v3, 64, v2
	v_cmp_gt_i32_e64 s[60:61], s74, v3
	s_and_b64 s[30:31], s[64:65], s[60:61]
	v_mov_b32_e32 v37, 0xff800000
	v_mov_b32_e32 v38, 0xff800000
	s_and_saveexec_b64 s[0:1], s[30:31]
	s_cbranch_execz .LBB765_8
; %bb.7:
	global_load_ushort v3, v[6:7], off offset:128
	s_waitcnt vmcnt(0)
	v_lshlrev_b32_e32 v38, 16, v3
.LBB765_8:
	s_or_b64 exec, exec, s[0:1]
	v_add_u32_e32 v3, 0x60, v2
	v_cmp_gt_i32_e64 s[58:59], s74, v3
	s_and_b64 s[28:29], s[64:65], s[58:59]
	s_and_saveexec_b64 s[0:1], s[28:29]
	s_cbranch_execz .LBB765_10
; %bb.9:
	global_load_ushort v3, v[6:7], off offset:192
	s_waitcnt vmcnt(0)
	v_lshlrev_b32_e32 v37, 16, v3
.LBB765_10:
	s_or_b64 exec, exec, s[0:1]
	v_add_u32_e32 v3, 0x80, v2
	v_cmp_gt_i32_e64 s[56:57], s74, v3
	s_and_b64 s[26:27], s[64:65], s[56:57]
	v_mov_b32_e32 v35, 0xff800000
	v_mov_b32_e32 v36, 0xff800000
	s_and_saveexec_b64 s[0:1], s[26:27]
	s_cbranch_execz .LBB765_12
; %bb.11:
	global_load_ushort v3, v[6:7], off offset:256
	s_waitcnt vmcnt(0)
	v_lshlrev_b32_e32 v36, 16, v3
.LBB765_12:
	;; [unrolled: 24-line block ×5, first 2 shown]
	s_or_b64 exec, exec, s[0:1]
	v_add_u32_e32 v3, 0x160, v2
	v_cmp_gt_i32_e64 s[0:1], s74, v3
	v_writelane_b32 v48, s0, 4
	s_and_b64 s[14:15], s[64:65], s[0:1]
	v_writelane_b32 v48, s1, 5
	s_and_saveexec_b64 s[0:1], s[14:15]
	s_cbranch_execz .LBB765_26
; %bb.25:
	global_load_ushort v3, v[6:7], off offset:704
	s_waitcnt vmcnt(0)
	v_lshlrev_b32_e32 v29, 16, v3
.LBB765_26:
	s_or_b64 exec, exec, s[0:1]
	v_add_u32_e32 v3, 0x180, v2
	v_cmp_gt_i32_e64 s[0:1], s74, v3
	v_writelane_b32 v48, s0, 6
	s_and_b64 s[12:13], s[64:65], s[0:1]
	v_mov_b32_e32 v27, 0xff800000
	v_mov_b32_e32 v28, 0xff800000
	v_writelane_b32 v48, s1, 7
	s_and_saveexec_b64 s[0:1], s[12:13]
	s_cbranch_execz .LBB765_28
; %bb.27:
	global_load_ushort v3, v[6:7], off offset:768
	s_waitcnt vmcnt(0)
	v_lshlrev_b32_e32 v28, 16, v3
.LBB765_28:
	s_or_b64 exec, exec, s[0:1]
	v_add_u32_e32 v3, 0x1a0, v2
	v_cmp_gt_i32_e64 s[0:1], s74, v3
	v_writelane_b32 v48, s0, 8
	s_and_b64 s[10:11], s[64:65], s[0:1]
	v_writelane_b32 v48, s1, 9
	s_and_saveexec_b64 s[0:1], s[10:11]
	s_cbranch_execz .LBB765_30
; %bb.29:
	global_load_ushort v3, v[6:7], off offset:832
	s_waitcnt vmcnt(0)
	v_lshlrev_b32_e32 v27, 16, v3
.LBB765_30:
	s_or_b64 exec, exec, s[0:1]
	v_add_u32_e32 v3, 0x1c0, v2
	v_cmp_gt_i32_e64 s[0:1], s74, v3
	v_writelane_b32 v48, s0, 10
	s_and_b64 s[8:9], s[64:65], s[0:1]
	v_mov_b32_e32 v25, 0xff800000
	v_mov_b32_e32 v26, 0xff800000
	v_writelane_b32 v48, s1, 11
	s_and_saveexec_b64 s[0:1], s[8:9]
	s_cbranch_execz .LBB765_32
; %bb.31:
	global_load_ushort v3, v[6:7], off offset:896
	s_waitcnt vmcnt(0)
	v_lshlrev_b32_e32 v26, 16, v3
.LBB765_32:
	;; [unrolled: 28-line block ×3, first 2 shown]
	s_or_b64 exec, exec, s[0:1]
	v_add_u32_e32 v3, 0x220, v2
	v_cmp_gt_i32_e64 s[0:1], s74, v3
	v_writelane_b32 v48, s0, 16
	s_and_b64 s[2:3], s[64:65], s[0:1]
	v_writelane_b32 v48, s1, 17
	s_and_saveexec_b64 s[0:1], s[2:3]
	s_cbranch_execz .LBB765_38
; %bb.37:
	global_load_ushort v3, v[6:7], off offset:1088
	s_waitcnt vmcnt(0)
	v_lshlrev_b32_e32 v23, 16, v3
.LBB765_38:
	s_or_b64 exec, exec, s[0:1]
	v_add_u32_e32 v3, 0x240, v2
	v_cmp_gt_i32_e64 s[0:1], s74, v3
	v_writelane_b32 v48, s0, 18
	v_writelane_b32 v48, s1, 19
	s_and_b64 s[0:1], s[64:65], s[0:1]
	v_mov_b32_e32 v21, 0xff800000
	v_mov_b32_e32 v22, 0xff800000
	s_and_saveexec_b64 s[38:39], s[0:1]
	s_cbranch_execz .LBB765_40
; %bb.39:
	global_load_ushort v3, v[6:7], off offset:1152
	s_waitcnt vmcnt(0)
	v_lshlrev_b32_e32 v22, 16, v3
.LBB765_40:
	s_or_b64 exec, exec, s[38:39]
	v_add_u32_e32 v3, 0x260, v2
	v_cmp_gt_i32_e64 s[38:39], s74, v3
	v_writelane_b32 v48, s38, 20
	s_and_b64 s[94:95], s[64:65], s[38:39]
	v_writelane_b32 v48, s39, 21
	s_and_saveexec_b64 s[38:39], s[94:95]
	s_cbranch_execz .LBB765_42
; %bb.41:
	global_load_ushort v3, v[6:7], off offset:1216
	s_waitcnt vmcnt(0)
	v_lshlrev_b32_e32 v21, 16, v3
.LBB765_42:
	s_or_b64 exec, exec, s[38:39]
	v_add_u32_e32 v3, 0x280, v2
	v_cmp_gt_i32_e64 s[38:39], s74, v3
	v_writelane_b32 v48, s38, 22
	s_and_b64 s[92:93], s[64:65], s[38:39]
	v_mov_b32_e32 v19, 0xff800000
	v_mov_b32_e32 v20, 0xff800000
	v_writelane_b32 v48, s39, 23
	s_and_saveexec_b64 s[38:39], s[92:93]
	s_cbranch_execz .LBB765_44
; %bb.43:
	global_load_ushort v3, v[6:7], off offset:1280
	s_waitcnt vmcnt(0)
	v_lshlrev_b32_e32 v20, 16, v3
.LBB765_44:
	s_or_b64 exec, exec, s[38:39]
	v_add_u32_e32 v3, 0x2a0, v2
	v_cmp_gt_i32_e64 s[38:39], s74, v3
	v_writelane_b32 v48, s38, 24
	s_and_b64 s[90:91], s[64:65], s[38:39]
	v_writelane_b32 v48, s39, 25
	s_and_saveexec_b64 s[38:39], s[90:91]
	s_cbranch_execz .LBB765_46
; %bb.45:
	global_load_ushort v3, v[6:7], off offset:1344
	s_waitcnt vmcnt(0)
	v_lshlrev_b32_e32 v19, 16, v3
.LBB765_46:
	s_or_b64 exec, exec, s[38:39]
	v_add_u32_e32 v3, 0x2c0, v2
	v_cmp_gt_i32_e64 s[38:39], s74, v3
	v_writelane_b32 v48, s38, 26
	s_and_b64 s[88:89], s[64:65], s[38:39]
	v_mov_b32_e32 v17, 0xff800000
	v_mov_b32_e32 v18, 0xff800000
	v_writelane_b32 v48, s39, 27
	;; [unrolled: 28-line block ×6, first 2 shown]
	s_and_saveexec_b64 s[38:39], s[70:71]
	s_cbranch_execz .LBB765_64
; %bb.63:
	global_load_ushort v3, v[6:7], off offset:1920
	s_waitcnt vmcnt(0)
	v_lshlrev_b32_e32 v10, 16, v3
.LBB765_64:
	s_or_b64 exec, exec, s[38:39]
	v_add_u32_e32 v2, 0x3e0, v2
	v_cmp_gt_i32_e64 s[38:39], s74, v2
	v_writelane_b32 v48, s38, 44
	s_and_b64 s[64:65], s[64:65], s[38:39]
	v_writelane_b32 v48, s39, 45
	s_and_saveexec_b64 s[38:39], s[64:65]
	s_cbranch_execz .LBB765_66
; %bb.65:
	global_load_ushort v2, v[6:7], off offset:1984
	s_waitcnt vmcnt(0)
	v_lshlrev_b32_e32 v9, 16, v2
.LBB765_66:
	s_or_b64 exec, exec, s[38:39]
	s_load_dwordx2 s[4:5], s[4:5], 0x20
	s_mov_b64 s[74:75], 0
	s_waitcnt lgkmcnt(0)
	v_mov_b32_e32 v3, s5
	v_add_co_u32_e64 v2, s[4:5], s4, v4
	v_addc_co_u32_e64 v3, s[4:5], v3, v5, s[4:5]
	s_and_saveexec_b64 s[38:39], s[36:37]
	s_cbranch_execnz .LBB765_98
; %bb.67:
	s_or_b64 exec, exec, s[38:39]
	v_mov_b32_e32 v4, v40
	s_and_saveexec_b64 s[38:39], s[34:35]
	s_cbranch_execnz .LBB765_99
.LBB765_68:
	s_or_b64 exec, exec, s[38:39]
	s_and_saveexec_b64 s[38:39], s[30:31]
	s_cbranch_execnz .LBB765_102
.LBB765_69:
	s_or_b64 exec, exec, s[38:39]
	s_and_saveexec_b64 s[38:39], s[28:29]
	s_cbranch_execnz .LBB765_105
.LBB765_70:
	s_or_b64 exec, exec, s[38:39]
	s_and_saveexec_b64 s[38:39], s[26:27]
	s_cbranch_execnz .LBB765_108
.LBB765_71:
	s_or_b64 exec, exec, s[38:39]
	s_and_saveexec_b64 s[38:39], s[24:25]
	s_cbranch_execnz .LBB765_111
.LBB765_72:
	s_or_b64 exec, exec, s[38:39]
	s_and_saveexec_b64 s[38:39], s[22:23]
	s_cbranch_execnz .LBB765_114
.LBB765_73:
	s_or_b64 exec, exec, s[38:39]
	s_and_saveexec_b64 s[38:39], s[68:69]
	s_cbranch_execnz .LBB765_117
.LBB765_74:
	s_or_b64 exec, exec, s[38:39]
	s_and_saveexec_b64 s[38:39], s[20:21]
	s_cbranch_execnz .LBB765_120
.LBB765_75:
	s_or_b64 exec, exec, s[38:39]
	s_and_saveexec_b64 s[38:39], s[18:19]
	s_cbranch_execnz .LBB765_123
.LBB765_76:
	s_or_b64 exec, exec, s[38:39]
	s_and_saveexec_b64 s[38:39], s[16:17]
	s_cbranch_execnz .LBB765_126
.LBB765_77:
	s_or_b64 exec, exec, s[38:39]
	s_and_saveexec_b64 s[38:39], s[14:15]
	s_cbranch_execnz .LBB765_129
.LBB765_78:
	s_or_b64 exec, exec, s[38:39]
	s_and_saveexec_b64 s[38:39], s[12:13]
	s_cbranch_execnz .LBB765_132
.LBB765_79:
	s_or_b64 exec, exec, s[38:39]
	s_and_saveexec_b64 s[38:39], s[10:11]
	s_cbranch_execnz .LBB765_135
.LBB765_80:
	s_or_b64 exec, exec, s[38:39]
	s_and_saveexec_b64 s[38:39], s[8:9]
	s_cbranch_execnz .LBB765_138
.LBB765_81:
	s_or_b64 exec, exec, s[38:39]
	s_and_saveexec_b64 s[38:39], s[6:7]
	s_cbranch_execnz .LBB765_141
.LBB765_82:
	s_or_b64 exec, exec, s[38:39]
	s_and_saveexec_b64 s[38:39], s[66:67]
	s_cbranch_execnz .LBB765_144
.LBB765_83:
	s_or_b64 exec, exec, s[38:39]
	s_and_saveexec_b64 s[38:39], s[2:3]
	s_cbranch_execnz .LBB765_147
.LBB765_84:
	s_or_b64 exec, exec, s[38:39]
	s_and_saveexec_b64 s[38:39], s[0:1]
	s_cbranch_execnz .LBB765_150
.LBB765_85:
	s_or_b64 exec, exec, s[38:39]
	s_and_saveexec_b64 s[38:39], s[94:95]
	s_cbranch_execnz .LBB765_153
.LBB765_86:
	s_or_b64 exec, exec, s[38:39]
	s_and_saveexec_b64 s[38:39], s[92:93]
	s_cbranch_execnz .LBB765_156
.LBB765_87:
	s_or_b64 exec, exec, s[38:39]
	s_and_saveexec_b64 s[38:39], s[90:91]
	s_cbranch_execnz .LBB765_159
.LBB765_88:
	s_or_b64 exec, exec, s[38:39]
	s_and_saveexec_b64 s[38:39], s[88:89]
	s_cbranch_execnz .LBB765_162
.LBB765_89:
	s_or_b64 exec, exec, s[38:39]
	s_and_saveexec_b64 s[38:39], s[86:87]
	s_cbranch_execnz .LBB765_165
.LBB765_90:
	s_or_b64 exec, exec, s[38:39]
	s_and_saveexec_b64 s[38:39], s[84:85]
	s_cbranch_execnz .LBB765_168
.LBB765_91:
	s_or_b64 exec, exec, s[38:39]
	s_and_saveexec_b64 s[38:39], s[82:83]
	s_cbranch_execnz .LBB765_171
.LBB765_92:
	s_or_b64 exec, exec, s[38:39]
	s_and_saveexec_b64 s[38:39], s[80:81]
	s_cbranch_execnz .LBB765_174
.LBB765_93:
	s_or_b64 exec, exec, s[38:39]
	s_and_saveexec_b64 s[38:39], s[78:79]
	s_cbranch_execnz .LBB765_177
.LBB765_94:
	s_or_b64 exec, exec, s[38:39]
	s_and_saveexec_b64 s[38:39], s[76:77]
	s_cbranch_execnz .LBB765_180
.LBB765_95:
	s_or_b64 exec, exec, s[38:39]
	s_and_saveexec_b64 s[38:39], s[72:73]
	s_cbranch_execnz .LBB765_183
.LBB765_96:
	s_or_b64 exec, exec, s[38:39]
	s_and_saveexec_b64 s[38:39], s[70:71]
	s_cbranch_execnz .LBB765_186
.LBB765_97:
	s_or_b64 exec, exec, s[38:39]
	s_and_saveexec_b64 s[38:39], s[64:65]
	s_cbranch_execnz .LBB765_189
	s_branch .LBB765_192
.LBB765_98:
	global_load_ubyte v4, v[2:3], off
	s_waitcnt vmcnt(0)
	v_and_b32_e32 v4, 1, v4
	v_cmp_eq_u32_e64 s[4:5], 1, v4
	s_xor_b64 s[4:5], s[4:5], -1
	s_and_b64 s[74:75], s[4:5], exec
	s_or_b64 exec, exec, s[38:39]
	v_mov_b32_e32 v4, v40
	s_and_saveexec_b64 s[38:39], s[34:35]
	s_cbranch_execz .LBB765_68
.LBB765_99:
	global_load_ubyte v4, v[2:3], off offset:32
	s_mov_b64 s[40:41], s[74:75]
	s_waitcnt vmcnt(0)
	v_and_b32_e32 v4, 1, v4
	v_cmp_eq_u32_e64 s[4:5], 1, v4
	s_xor_b64 s[4:5], s[4:5], -1
	v_mov_b32_e32 v4, v40
	s_and_saveexec_b64 s[42:43], s[4:5]
; %bb.100:
	v_cmp_gt_f32_e64 s[4:5], v40, v39
	s_and_b64 s[4:5], s[74:75], s[4:5]
	v_cndmask_b32_e64 v4, v39, v40, s[4:5]
	s_or_b64 s[40:41], s[74:75], exec
; %bb.101:
	s_or_b64 exec, exec, s[42:43]
	s_andn2_b64 s[4:5], s[74:75], exec
	s_and_b64 s[40:41], s[40:41], exec
	s_or_b64 s[74:75], s[4:5], s[40:41]
	s_or_b64 exec, exec, s[38:39]
	s_and_saveexec_b64 s[38:39], s[30:31]
	s_cbranch_execz .LBB765_69
.LBB765_102:
	global_load_ubyte v5, v[2:3], off offset:64
	s_waitcnt vmcnt(0)
	v_and_b32_e32 v5, 1, v5
	v_cmp_eq_u32_e64 s[4:5], 1, v5
	s_xor_b64 s[42:43], s[4:5], -1
	s_mov_b64 s[4:5], s[74:75]
	s_and_saveexec_b64 s[40:41], s[42:43]
; %bb.103:
	v_cmp_gt_f32_e64 s[4:5], v4, v38
	s_and_b64 s[4:5], s[74:75], s[4:5]
	v_cndmask_b32_e64 v4, v38, v4, s[4:5]
	s_or_b64 s[4:5], s[74:75], exec
; %bb.104:
	s_or_b64 exec, exec, s[40:41]
	s_andn2_b64 s[40:41], s[74:75], exec
	s_and_b64 s[4:5], s[4:5], exec
	s_or_b64 s[74:75], s[40:41], s[4:5]
	s_or_b64 exec, exec, s[38:39]
	s_and_saveexec_b64 s[38:39], s[28:29]
	s_cbranch_execz .LBB765_70
.LBB765_105:
	global_load_ubyte v5, v[2:3], off offset:96
	s_waitcnt vmcnt(0)
	v_and_b32_e32 v5, 1, v5
	v_cmp_eq_u32_e64 s[4:5], 1, v5
	s_xor_b64 s[42:43], s[4:5], -1
	s_mov_b64 s[4:5], s[74:75]
	s_and_saveexec_b64 s[40:41], s[42:43]
; %bb.106:
	v_cmp_gt_f32_e64 s[4:5], v4, v37
	s_and_b64 s[4:5], s[74:75], s[4:5]
	v_cndmask_b32_e64 v4, v37, v4, s[4:5]
	s_or_b64 s[4:5], s[74:75], exec
; %bb.107:
	s_or_b64 exec, exec, s[40:41]
	s_andn2_b64 s[40:41], s[74:75], exec
	s_and_b64 s[4:5], s[4:5], exec
	s_or_b64 s[74:75], s[40:41], s[4:5]
	s_or_b64 exec, exec, s[38:39]
	s_and_saveexec_b64 s[38:39], s[26:27]
	s_cbranch_execz .LBB765_71
.LBB765_108:
	global_load_ubyte v5, v[2:3], off offset:128
	s_waitcnt vmcnt(0)
	v_and_b32_e32 v5, 1, v5
	v_cmp_eq_u32_e64 s[4:5], 1, v5
	s_xor_b64 s[42:43], s[4:5], -1
	s_mov_b64 s[4:5], s[74:75]
	s_and_saveexec_b64 s[40:41], s[42:43]
; %bb.109:
	v_cmp_gt_f32_e64 s[4:5], v4, v36
	s_and_b64 s[4:5], s[74:75], s[4:5]
	v_cndmask_b32_e64 v4, v36, v4, s[4:5]
	s_or_b64 s[4:5], s[74:75], exec
; %bb.110:
	s_or_b64 exec, exec, s[40:41]
	s_andn2_b64 s[40:41], s[74:75], exec
	s_and_b64 s[4:5], s[4:5], exec
	s_or_b64 s[74:75], s[40:41], s[4:5]
	s_or_b64 exec, exec, s[38:39]
	s_and_saveexec_b64 s[38:39], s[24:25]
	s_cbranch_execz .LBB765_72
.LBB765_111:
	global_load_ubyte v5, v[2:3], off offset:160
	s_waitcnt vmcnt(0)
	v_and_b32_e32 v5, 1, v5
	v_cmp_eq_u32_e64 s[4:5], 1, v5
	s_xor_b64 s[42:43], s[4:5], -1
	s_mov_b64 s[4:5], s[74:75]
	s_and_saveexec_b64 s[40:41], s[42:43]
; %bb.112:
	v_cmp_gt_f32_e64 s[4:5], v4, v35
	s_and_b64 s[4:5], s[74:75], s[4:5]
	v_cndmask_b32_e64 v4, v35, v4, s[4:5]
	s_or_b64 s[4:5], s[74:75], exec
; %bb.113:
	s_or_b64 exec, exec, s[40:41]
	s_andn2_b64 s[40:41], s[74:75], exec
	s_and_b64 s[4:5], s[4:5], exec
	s_or_b64 s[74:75], s[40:41], s[4:5]
	s_or_b64 exec, exec, s[38:39]
	s_and_saveexec_b64 s[38:39], s[22:23]
	s_cbranch_execz .LBB765_73
.LBB765_114:
	global_load_ubyte v5, v[2:3], off offset:192
	s_waitcnt vmcnt(0)
	v_and_b32_e32 v5, 1, v5
	v_cmp_eq_u32_e64 s[4:5], 1, v5
	s_xor_b64 s[42:43], s[4:5], -1
	s_mov_b64 s[4:5], s[74:75]
	s_and_saveexec_b64 s[40:41], s[42:43]
; %bb.115:
	v_cmp_gt_f32_e64 s[4:5], v4, v34
	s_and_b64 s[4:5], s[74:75], s[4:5]
	v_cndmask_b32_e64 v4, v34, v4, s[4:5]
	s_or_b64 s[4:5], s[74:75], exec
; %bb.116:
	s_or_b64 exec, exec, s[40:41]
	s_andn2_b64 s[40:41], s[74:75], exec
	s_and_b64 s[4:5], s[4:5], exec
	s_or_b64 s[74:75], s[40:41], s[4:5]
	s_or_b64 exec, exec, s[38:39]
	s_and_saveexec_b64 s[38:39], s[68:69]
	s_cbranch_execz .LBB765_74
.LBB765_117:
	global_load_ubyte v5, v[2:3], off offset:224
	s_waitcnt vmcnt(0)
	v_and_b32_e32 v5, 1, v5
	v_cmp_eq_u32_e64 s[4:5], 1, v5
	s_xor_b64 s[42:43], s[4:5], -1
	s_mov_b64 s[4:5], s[74:75]
	s_and_saveexec_b64 s[40:41], s[42:43]
; %bb.118:
	v_cmp_gt_f32_e64 s[4:5], v4, v33
	s_and_b64 s[4:5], s[74:75], s[4:5]
	v_cndmask_b32_e64 v4, v33, v4, s[4:5]
	s_or_b64 s[4:5], s[74:75], exec
; %bb.119:
	s_or_b64 exec, exec, s[40:41]
	s_andn2_b64 s[40:41], s[74:75], exec
	s_and_b64 s[4:5], s[4:5], exec
	s_or_b64 s[74:75], s[40:41], s[4:5]
	s_or_b64 exec, exec, s[38:39]
	s_and_saveexec_b64 s[38:39], s[20:21]
	s_cbranch_execz .LBB765_75
.LBB765_120:
	global_load_ubyte v5, v[2:3], off offset:256
	s_waitcnt vmcnt(0)
	v_and_b32_e32 v5, 1, v5
	v_cmp_eq_u32_e64 s[4:5], 1, v5
	s_xor_b64 s[42:43], s[4:5], -1
	s_mov_b64 s[4:5], s[74:75]
	s_and_saveexec_b64 s[40:41], s[42:43]
; %bb.121:
	v_cmp_gt_f32_e64 s[4:5], v4, v32
	s_and_b64 s[4:5], s[74:75], s[4:5]
	v_cndmask_b32_e64 v4, v32, v4, s[4:5]
	s_or_b64 s[4:5], s[74:75], exec
; %bb.122:
	s_or_b64 exec, exec, s[40:41]
	s_andn2_b64 s[40:41], s[74:75], exec
	s_and_b64 s[4:5], s[4:5], exec
	s_or_b64 s[74:75], s[40:41], s[4:5]
	s_or_b64 exec, exec, s[38:39]
	s_and_saveexec_b64 s[38:39], s[18:19]
	s_cbranch_execz .LBB765_76
.LBB765_123:
	global_load_ubyte v5, v[2:3], off offset:288
	s_waitcnt vmcnt(0)
	v_and_b32_e32 v5, 1, v5
	v_cmp_eq_u32_e64 s[4:5], 1, v5
	s_xor_b64 s[42:43], s[4:5], -1
	s_mov_b64 s[4:5], s[74:75]
	s_and_saveexec_b64 s[40:41], s[42:43]
; %bb.124:
	v_cmp_gt_f32_e64 s[4:5], v4, v31
	s_and_b64 s[4:5], s[74:75], s[4:5]
	v_cndmask_b32_e64 v4, v31, v4, s[4:5]
	s_or_b64 s[4:5], s[74:75], exec
; %bb.125:
	s_or_b64 exec, exec, s[40:41]
	s_andn2_b64 s[40:41], s[74:75], exec
	s_and_b64 s[4:5], s[4:5], exec
	s_or_b64 s[74:75], s[40:41], s[4:5]
	s_or_b64 exec, exec, s[38:39]
	s_and_saveexec_b64 s[38:39], s[16:17]
	s_cbranch_execz .LBB765_77
.LBB765_126:
	global_load_ubyte v5, v[2:3], off offset:320
	s_waitcnt vmcnt(0)
	v_and_b32_e32 v5, 1, v5
	v_cmp_eq_u32_e64 s[4:5], 1, v5
	s_xor_b64 s[42:43], s[4:5], -1
	s_mov_b64 s[4:5], s[74:75]
	s_and_saveexec_b64 s[40:41], s[42:43]
; %bb.127:
	v_cmp_gt_f32_e64 s[4:5], v4, v30
	s_and_b64 s[4:5], s[74:75], s[4:5]
	v_cndmask_b32_e64 v4, v30, v4, s[4:5]
	s_or_b64 s[4:5], s[74:75], exec
; %bb.128:
	s_or_b64 exec, exec, s[40:41]
	s_andn2_b64 s[40:41], s[74:75], exec
	s_and_b64 s[4:5], s[4:5], exec
	s_or_b64 s[74:75], s[40:41], s[4:5]
	s_or_b64 exec, exec, s[38:39]
	s_and_saveexec_b64 s[38:39], s[14:15]
	s_cbranch_execz .LBB765_78
.LBB765_129:
	global_load_ubyte v5, v[2:3], off offset:352
	s_waitcnt vmcnt(0)
	v_and_b32_e32 v5, 1, v5
	v_cmp_eq_u32_e64 s[4:5], 1, v5
	s_xor_b64 s[42:43], s[4:5], -1
	s_mov_b64 s[4:5], s[74:75]
	s_and_saveexec_b64 s[40:41], s[42:43]
; %bb.130:
	v_cmp_gt_f32_e64 s[4:5], v4, v29
	s_and_b64 s[4:5], s[74:75], s[4:5]
	v_cndmask_b32_e64 v4, v29, v4, s[4:5]
	s_or_b64 s[4:5], s[74:75], exec
; %bb.131:
	s_or_b64 exec, exec, s[40:41]
	s_andn2_b64 s[40:41], s[74:75], exec
	s_and_b64 s[4:5], s[4:5], exec
	s_or_b64 s[74:75], s[40:41], s[4:5]
	s_or_b64 exec, exec, s[38:39]
	s_and_saveexec_b64 s[38:39], s[12:13]
	s_cbranch_execz .LBB765_79
.LBB765_132:
	global_load_ubyte v5, v[2:3], off offset:384
	s_waitcnt vmcnt(0)
	v_and_b32_e32 v5, 1, v5
	v_cmp_eq_u32_e64 s[4:5], 1, v5
	s_xor_b64 s[42:43], s[4:5], -1
	s_mov_b64 s[4:5], s[74:75]
	s_and_saveexec_b64 s[40:41], s[42:43]
; %bb.133:
	v_cmp_gt_f32_e64 s[4:5], v4, v28
	s_and_b64 s[4:5], s[74:75], s[4:5]
	v_cndmask_b32_e64 v4, v28, v4, s[4:5]
	s_or_b64 s[4:5], s[74:75], exec
; %bb.134:
	s_or_b64 exec, exec, s[40:41]
	s_andn2_b64 s[40:41], s[74:75], exec
	s_and_b64 s[4:5], s[4:5], exec
	s_or_b64 s[74:75], s[40:41], s[4:5]
	s_or_b64 exec, exec, s[38:39]
	s_and_saveexec_b64 s[38:39], s[10:11]
	s_cbranch_execz .LBB765_80
.LBB765_135:
	global_load_ubyte v5, v[2:3], off offset:416
	s_waitcnt vmcnt(0)
	v_and_b32_e32 v5, 1, v5
	v_cmp_eq_u32_e64 s[4:5], 1, v5
	s_xor_b64 s[42:43], s[4:5], -1
	s_mov_b64 s[4:5], s[74:75]
	s_and_saveexec_b64 s[40:41], s[42:43]
; %bb.136:
	v_cmp_gt_f32_e64 s[4:5], v4, v27
	s_and_b64 s[4:5], s[74:75], s[4:5]
	v_cndmask_b32_e64 v4, v27, v4, s[4:5]
	s_or_b64 s[4:5], s[74:75], exec
; %bb.137:
	s_or_b64 exec, exec, s[40:41]
	s_andn2_b64 s[40:41], s[74:75], exec
	s_and_b64 s[4:5], s[4:5], exec
	s_or_b64 s[74:75], s[40:41], s[4:5]
	s_or_b64 exec, exec, s[38:39]
	s_and_saveexec_b64 s[38:39], s[8:9]
	s_cbranch_execz .LBB765_81
.LBB765_138:
	global_load_ubyte v5, v[2:3], off offset:448
	s_waitcnt vmcnt(0)
	v_and_b32_e32 v5, 1, v5
	v_cmp_eq_u32_e64 s[4:5], 1, v5
	s_xor_b64 s[42:43], s[4:5], -1
	s_mov_b64 s[4:5], s[74:75]
	s_and_saveexec_b64 s[40:41], s[42:43]
; %bb.139:
	v_cmp_gt_f32_e64 s[4:5], v4, v26
	s_and_b64 s[4:5], s[74:75], s[4:5]
	v_cndmask_b32_e64 v4, v26, v4, s[4:5]
	s_or_b64 s[4:5], s[74:75], exec
; %bb.140:
	s_or_b64 exec, exec, s[40:41]
	s_andn2_b64 s[40:41], s[74:75], exec
	s_and_b64 s[4:5], s[4:5], exec
	s_or_b64 s[74:75], s[40:41], s[4:5]
	s_or_b64 exec, exec, s[38:39]
	s_and_saveexec_b64 s[38:39], s[6:7]
	s_cbranch_execz .LBB765_82
.LBB765_141:
	global_load_ubyte v5, v[2:3], off offset:480
	s_waitcnt vmcnt(0)
	v_and_b32_e32 v5, 1, v5
	v_cmp_eq_u32_e64 s[4:5], 1, v5
	s_xor_b64 s[42:43], s[4:5], -1
	s_mov_b64 s[4:5], s[74:75]
	s_and_saveexec_b64 s[40:41], s[42:43]
; %bb.142:
	v_cmp_gt_f32_e64 s[4:5], v4, v25
	s_and_b64 s[4:5], s[74:75], s[4:5]
	v_cndmask_b32_e64 v4, v25, v4, s[4:5]
	s_or_b64 s[4:5], s[74:75], exec
; %bb.143:
	s_or_b64 exec, exec, s[40:41]
	s_andn2_b64 s[40:41], s[74:75], exec
	s_and_b64 s[4:5], s[4:5], exec
	s_or_b64 s[74:75], s[40:41], s[4:5]
	s_or_b64 exec, exec, s[38:39]
	s_and_saveexec_b64 s[38:39], s[66:67]
	s_cbranch_execz .LBB765_83
.LBB765_144:
	global_load_ubyte v5, v[2:3], off offset:512
	s_waitcnt vmcnt(0)
	v_and_b32_e32 v5, 1, v5
	v_cmp_eq_u32_e64 s[4:5], 1, v5
	s_xor_b64 s[42:43], s[4:5], -1
	s_mov_b64 s[4:5], s[74:75]
	s_and_saveexec_b64 s[40:41], s[42:43]
; %bb.145:
	v_cmp_gt_f32_e64 s[4:5], v4, v24
	s_and_b64 s[4:5], s[74:75], s[4:5]
	v_cndmask_b32_e64 v4, v24, v4, s[4:5]
	s_or_b64 s[4:5], s[74:75], exec
; %bb.146:
	s_or_b64 exec, exec, s[40:41]
	s_andn2_b64 s[40:41], s[74:75], exec
	s_and_b64 s[4:5], s[4:5], exec
	s_or_b64 s[74:75], s[40:41], s[4:5]
	s_or_b64 exec, exec, s[38:39]
	s_and_saveexec_b64 s[38:39], s[2:3]
	s_cbranch_execz .LBB765_84
.LBB765_147:
	global_load_ubyte v5, v[2:3], off offset:544
	s_waitcnt vmcnt(0)
	v_and_b32_e32 v5, 1, v5
	v_cmp_eq_u32_e64 s[4:5], 1, v5
	s_xor_b64 s[42:43], s[4:5], -1
	s_mov_b64 s[4:5], s[74:75]
	s_and_saveexec_b64 s[40:41], s[42:43]
; %bb.148:
	v_cmp_gt_f32_e64 s[4:5], v4, v23
	s_and_b64 s[4:5], s[74:75], s[4:5]
	v_cndmask_b32_e64 v4, v23, v4, s[4:5]
	s_or_b64 s[4:5], s[74:75], exec
; %bb.149:
	s_or_b64 exec, exec, s[40:41]
	s_andn2_b64 s[40:41], s[74:75], exec
	s_and_b64 s[4:5], s[4:5], exec
	s_or_b64 s[74:75], s[40:41], s[4:5]
	s_or_b64 exec, exec, s[38:39]
	s_and_saveexec_b64 s[38:39], s[0:1]
	s_cbranch_execz .LBB765_85
.LBB765_150:
	global_load_ubyte v5, v[2:3], off offset:576
	s_waitcnt vmcnt(0)
	v_and_b32_e32 v5, 1, v5
	v_cmp_eq_u32_e64 s[4:5], 1, v5
	s_xor_b64 s[42:43], s[4:5], -1
	s_mov_b64 s[4:5], s[74:75]
	s_and_saveexec_b64 s[40:41], s[42:43]
; %bb.151:
	v_cmp_gt_f32_e64 s[4:5], v4, v22
	s_and_b64 s[4:5], s[74:75], s[4:5]
	v_cndmask_b32_e64 v4, v22, v4, s[4:5]
	s_or_b64 s[4:5], s[74:75], exec
; %bb.152:
	s_or_b64 exec, exec, s[40:41]
	s_andn2_b64 s[40:41], s[74:75], exec
	s_and_b64 s[4:5], s[4:5], exec
	s_or_b64 s[74:75], s[40:41], s[4:5]
	s_or_b64 exec, exec, s[38:39]
	s_and_saveexec_b64 s[38:39], s[94:95]
	s_cbranch_execz .LBB765_86
.LBB765_153:
	global_load_ubyte v5, v[2:3], off offset:608
	s_waitcnt vmcnt(0)
	v_and_b32_e32 v5, 1, v5
	v_cmp_eq_u32_e64 s[4:5], 1, v5
	s_xor_b64 s[42:43], s[4:5], -1
	s_mov_b64 s[4:5], s[74:75]
	s_and_saveexec_b64 s[40:41], s[42:43]
; %bb.154:
	v_cmp_gt_f32_e64 s[4:5], v4, v21
	s_and_b64 s[4:5], s[74:75], s[4:5]
	v_cndmask_b32_e64 v4, v21, v4, s[4:5]
	s_or_b64 s[4:5], s[74:75], exec
; %bb.155:
	s_or_b64 exec, exec, s[40:41]
	s_andn2_b64 s[40:41], s[74:75], exec
	s_and_b64 s[4:5], s[4:5], exec
	s_or_b64 s[74:75], s[40:41], s[4:5]
	s_or_b64 exec, exec, s[38:39]
	s_and_saveexec_b64 s[38:39], s[92:93]
	s_cbranch_execz .LBB765_87
.LBB765_156:
	global_load_ubyte v5, v[2:3], off offset:640
	s_waitcnt vmcnt(0)
	v_and_b32_e32 v5, 1, v5
	v_cmp_eq_u32_e64 s[4:5], 1, v5
	s_xor_b64 s[42:43], s[4:5], -1
	s_mov_b64 s[4:5], s[74:75]
	s_and_saveexec_b64 s[40:41], s[42:43]
; %bb.157:
	v_cmp_gt_f32_e64 s[4:5], v4, v20
	s_and_b64 s[4:5], s[74:75], s[4:5]
	v_cndmask_b32_e64 v4, v20, v4, s[4:5]
	s_or_b64 s[4:5], s[74:75], exec
; %bb.158:
	s_or_b64 exec, exec, s[40:41]
	s_andn2_b64 s[40:41], s[74:75], exec
	s_and_b64 s[4:5], s[4:5], exec
	s_or_b64 s[74:75], s[40:41], s[4:5]
	s_or_b64 exec, exec, s[38:39]
	s_and_saveexec_b64 s[38:39], s[90:91]
	s_cbranch_execz .LBB765_88
.LBB765_159:
	global_load_ubyte v5, v[2:3], off offset:672
	s_waitcnt vmcnt(0)
	v_and_b32_e32 v5, 1, v5
	v_cmp_eq_u32_e64 s[4:5], 1, v5
	s_xor_b64 s[42:43], s[4:5], -1
	s_mov_b64 s[4:5], s[74:75]
	s_and_saveexec_b64 s[40:41], s[42:43]
; %bb.160:
	v_cmp_gt_f32_e64 s[4:5], v4, v19
	s_and_b64 s[4:5], s[74:75], s[4:5]
	v_cndmask_b32_e64 v4, v19, v4, s[4:5]
	s_or_b64 s[4:5], s[74:75], exec
; %bb.161:
	s_or_b64 exec, exec, s[40:41]
	s_andn2_b64 s[40:41], s[74:75], exec
	s_and_b64 s[4:5], s[4:5], exec
	s_or_b64 s[74:75], s[40:41], s[4:5]
	s_or_b64 exec, exec, s[38:39]
	s_and_saveexec_b64 s[38:39], s[88:89]
	s_cbranch_execz .LBB765_89
.LBB765_162:
	global_load_ubyte v5, v[2:3], off offset:704
	s_waitcnt vmcnt(0)
	v_and_b32_e32 v5, 1, v5
	v_cmp_eq_u32_e64 s[4:5], 1, v5
	s_xor_b64 s[42:43], s[4:5], -1
	s_mov_b64 s[4:5], s[74:75]
	s_and_saveexec_b64 s[40:41], s[42:43]
; %bb.163:
	v_cmp_gt_f32_e64 s[4:5], v4, v18
	s_and_b64 s[4:5], s[74:75], s[4:5]
	v_cndmask_b32_e64 v4, v18, v4, s[4:5]
	s_or_b64 s[4:5], s[74:75], exec
; %bb.164:
	s_or_b64 exec, exec, s[40:41]
	s_andn2_b64 s[40:41], s[74:75], exec
	s_and_b64 s[4:5], s[4:5], exec
	s_or_b64 s[74:75], s[40:41], s[4:5]
	s_or_b64 exec, exec, s[38:39]
	s_and_saveexec_b64 s[38:39], s[86:87]
	s_cbranch_execz .LBB765_90
.LBB765_165:
	global_load_ubyte v5, v[2:3], off offset:736
	s_waitcnt vmcnt(0)
	v_and_b32_e32 v5, 1, v5
	v_cmp_eq_u32_e64 s[4:5], 1, v5
	s_xor_b64 s[42:43], s[4:5], -1
	s_mov_b64 s[4:5], s[74:75]
	s_and_saveexec_b64 s[40:41], s[42:43]
; %bb.166:
	v_cmp_gt_f32_e64 s[4:5], v4, v17
	s_and_b64 s[4:5], s[74:75], s[4:5]
	v_cndmask_b32_e64 v4, v17, v4, s[4:5]
	s_or_b64 s[4:5], s[74:75], exec
; %bb.167:
	s_or_b64 exec, exec, s[40:41]
	s_andn2_b64 s[40:41], s[74:75], exec
	s_and_b64 s[4:5], s[4:5], exec
	s_or_b64 s[74:75], s[40:41], s[4:5]
	s_or_b64 exec, exec, s[38:39]
	s_and_saveexec_b64 s[38:39], s[84:85]
	s_cbranch_execz .LBB765_91
.LBB765_168:
	global_load_ubyte v5, v[2:3], off offset:768
	s_waitcnt vmcnt(0)
	v_and_b32_e32 v5, 1, v5
	v_cmp_eq_u32_e64 s[4:5], 1, v5
	s_xor_b64 s[42:43], s[4:5], -1
	s_mov_b64 s[4:5], s[74:75]
	s_and_saveexec_b64 s[40:41], s[42:43]
; %bb.169:
	v_cmp_gt_f32_e64 s[4:5], v4, v16
	s_and_b64 s[4:5], s[74:75], s[4:5]
	v_cndmask_b32_e64 v4, v16, v4, s[4:5]
	s_or_b64 s[4:5], s[74:75], exec
; %bb.170:
	s_or_b64 exec, exec, s[40:41]
	s_andn2_b64 s[40:41], s[74:75], exec
	s_and_b64 s[4:5], s[4:5], exec
	s_or_b64 s[74:75], s[40:41], s[4:5]
	s_or_b64 exec, exec, s[38:39]
	s_and_saveexec_b64 s[38:39], s[82:83]
	s_cbranch_execz .LBB765_92
.LBB765_171:
	global_load_ubyte v5, v[2:3], off offset:800
	s_waitcnt vmcnt(0)
	v_and_b32_e32 v5, 1, v5
	v_cmp_eq_u32_e64 s[4:5], 1, v5
	s_xor_b64 s[42:43], s[4:5], -1
	s_mov_b64 s[4:5], s[74:75]
	s_and_saveexec_b64 s[40:41], s[42:43]
; %bb.172:
	v_cmp_gt_f32_e64 s[4:5], v4, v15
	s_and_b64 s[4:5], s[74:75], s[4:5]
	v_cndmask_b32_e64 v4, v15, v4, s[4:5]
	s_or_b64 s[4:5], s[74:75], exec
; %bb.173:
	s_or_b64 exec, exec, s[40:41]
	s_andn2_b64 s[40:41], s[74:75], exec
	s_and_b64 s[4:5], s[4:5], exec
	s_or_b64 s[74:75], s[40:41], s[4:5]
	s_or_b64 exec, exec, s[38:39]
	s_and_saveexec_b64 s[38:39], s[80:81]
	s_cbranch_execz .LBB765_93
.LBB765_174:
	global_load_ubyte v5, v[2:3], off offset:832
	s_waitcnt vmcnt(0)
	v_and_b32_e32 v5, 1, v5
	v_cmp_eq_u32_e64 s[4:5], 1, v5
	s_xor_b64 s[42:43], s[4:5], -1
	s_mov_b64 s[4:5], s[74:75]
	s_and_saveexec_b64 s[40:41], s[42:43]
; %bb.175:
	v_cmp_gt_f32_e64 s[4:5], v4, v14
	s_and_b64 s[4:5], s[74:75], s[4:5]
	v_cndmask_b32_e64 v4, v14, v4, s[4:5]
	s_or_b64 s[4:5], s[74:75], exec
; %bb.176:
	s_or_b64 exec, exec, s[40:41]
	s_andn2_b64 s[40:41], s[74:75], exec
	s_and_b64 s[4:5], s[4:5], exec
	s_or_b64 s[74:75], s[40:41], s[4:5]
	s_or_b64 exec, exec, s[38:39]
	s_and_saveexec_b64 s[38:39], s[78:79]
	s_cbranch_execz .LBB765_94
.LBB765_177:
	global_load_ubyte v5, v[2:3], off offset:864
	s_waitcnt vmcnt(0)
	v_and_b32_e32 v5, 1, v5
	v_cmp_eq_u32_e64 s[4:5], 1, v5
	s_xor_b64 s[42:43], s[4:5], -1
	s_mov_b64 s[4:5], s[74:75]
	s_and_saveexec_b64 s[40:41], s[42:43]
; %bb.178:
	v_cmp_gt_f32_e64 s[4:5], v4, v13
	s_and_b64 s[4:5], s[74:75], s[4:5]
	v_cndmask_b32_e64 v4, v13, v4, s[4:5]
	s_or_b64 s[4:5], s[74:75], exec
; %bb.179:
	s_or_b64 exec, exec, s[40:41]
	s_andn2_b64 s[40:41], s[74:75], exec
	s_and_b64 s[4:5], s[4:5], exec
	s_or_b64 s[74:75], s[40:41], s[4:5]
	s_or_b64 exec, exec, s[38:39]
	s_and_saveexec_b64 s[38:39], s[76:77]
	s_cbranch_execz .LBB765_95
.LBB765_180:
	global_load_ubyte v5, v[2:3], off offset:896
	s_waitcnt vmcnt(0)
	v_and_b32_e32 v5, 1, v5
	v_cmp_eq_u32_e64 s[4:5], 1, v5
	s_xor_b64 s[42:43], s[4:5], -1
	s_mov_b64 s[4:5], s[74:75]
	s_and_saveexec_b64 s[40:41], s[42:43]
; %bb.181:
	v_cmp_gt_f32_e64 s[4:5], v4, v12
	s_and_b64 s[4:5], s[74:75], s[4:5]
	v_cndmask_b32_e64 v4, v12, v4, s[4:5]
	s_or_b64 s[4:5], s[74:75], exec
; %bb.182:
	s_or_b64 exec, exec, s[40:41]
	s_andn2_b64 s[40:41], s[74:75], exec
	s_and_b64 s[4:5], s[4:5], exec
	s_or_b64 s[74:75], s[40:41], s[4:5]
	s_or_b64 exec, exec, s[38:39]
	s_and_saveexec_b64 s[38:39], s[72:73]
	s_cbranch_execz .LBB765_96
.LBB765_183:
	global_load_ubyte v5, v[2:3], off offset:928
	s_waitcnt vmcnt(0)
	v_and_b32_e32 v5, 1, v5
	v_cmp_eq_u32_e64 s[4:5], 1, v5
	s_xor_b64 s[42:43], s[4:5], -1
	s_mov_b64 s[4:5], s[74:75]
	s_and_saveexec_b64 s[40:41], s[42:43]
; %bb.184:
	v_cmp_gt_f32_e64 s[4:5], v4, v11
	s_and_b64 s[4:5], s[74:75], s[4:5]
	v_cndmask_b32_e64 v4, v11, v4, s[4:5]
	s_or_b64 s[4:5], s[74:75], exec
; %bb.185:
	s_or_b64 exec, exec, s[40:41]
	s_andn2_b64 s[40:41], s[74:75], exec
	s_and_b64 s[4:5], s[4:5], exec
	s_or_b64 s[74:75], s[40:41], s[4:5]
	s_or_b64 exec, exec, s[38:39]
	s_and_saveexec_b64 s[38:39], s[70:71]
	s_cbranch_execz .LBB765_97
.LBB765_186:
	global_load_ubyte v5, v[2:3], off offset:960
	s_waitcnt vmcnt(0)
	v_and_b32_e32 v5, 1, v5
	v_cmp_eq_u32_e64 s[4:5], 1, v5
	s_xor_b64 s[42:43], s[4:5], -1
	s_mov_b64 s[4:5], s[74:75]
	s_and_saveexec_b64 s[40:41], s[42:43]
; %bb.187:
	v_cmp_gt_f32_e64 s[4:5], v4, v10
	s_and_b64 s[4:5], s[74:75], s[4:5]
	v_cndmask_b32_e64 v4, v10, v4, s[4:5]
	s_or_b64 s[4:5], s[74:75], exec
; %bb.188:
	s_or_b64 exec, exec, s[40:41]
	s_andn2_b64 s[40:41], s[74:75], exec
	s_and_b64 s[4:5], s[4:5], exec
	s_or_b64 s[74:75], s[40:41], s[4:5]
	s_or_b64 exec, exec, s[38:39]
	s_and_saveexec_b64 s[38:39], s[64:65]
	s_cbranch_execz .LBB765_192
.LBB765_189:
	global_load_ubyte v5, v[2:3], off offset:992
	s_waitcnt vmcnt(0)
	v_and_b32_e32 v5, 1, v5
	v_cmp_eq_u32_e64 s[4:5], 1, v5
	s_xor_b64 s[42:43], s[4:5], -1
	s_mov_b64 s[4:5], s[74:75]
	s_and_saveexec_b64 s[40:41], s[42:43]
; %bb.190:
	v_cmp_gt_f32_e64 s[4:5], v4, v9
	s_and_b64 s[4:5], s[74:75], s[4:5]
	v_cndmask_b32_e64 v4, v9, v4, s[4:5]
	s_or_b64 s[4:5], s[74:75], exec
; %bb.191:
	s_or_b64 exec, exec, s[40:41]
	s_andn2_b64 s[40:41], s[74:75], exec
	s_and_b64 s[4:5], s[4:5], exec
	s_or_b64 s[74:75], s[40:41], s[4:5]
.LBB765_192:
	s_or_b64 exec, exec, s[38:39]
	v_mov_b32_e32 v5, 0xff800000
	v_cndmask_b32_e64 v4, v5, v4, s[74:75]
	v_mbcnt_lo_u32_b32 v5, -1, 0
	v_mbcnt_hi_u32_b32 v5, -1, v5
	v_and_b32_e32 v6, 0x60, v5
	v_add_u32_e32 v7, 32, v6
	v_xor_b32_e32 v6, 16, v5
	v_cmp_lt_i32_e64 s[4:5], v6, v7
	v_cndmask_b32_e64 v6, v5, v6, s[4:5]
	v_lshlrev_b32_e32 v6, 2, v6
	ds_bpermute_b32 v41, v6, v4
	v_xor_b32_e32 v42, 8, v5
	v_xor_b32_e32 v43, 4, v5
	;; [unrolled: 1-line block ×4, first 2 shown]
	s_waitcnt lgkmcnt(0)
	v_cmp_lt_f32_e64 s[4:5], v4, v41
	v_cndmask_b32_e64 v4, v4, v41, s[4:5]
	v_cmp_lt_i32_e64 s[4:5], v42, v7
	v_cndmask_b32_e64 v41, v5, v42, s[4:5]
	v_lshlrev_b32_e32 v41, 2, v41
	ds_bpermute_b32 v42, v41, v4
	s_waitcnt lgkmcnt(0)
	v_cmp_lt_f32_e64 s[4:5], v4, v42
	v_cndmask_b32_e64 v4, v4, v42, s[4:5]
	v_cmp_lt_i32_e64 s[4:5], v43, v7
	v_cndmask_b32_e64 v42, v5, v43, s[4:5]
	v_lshlrev_b32_e32 v42, 2, v42
	ds_bpermute_b32 v43, v42, v4
	;; [unrolled: 7-line block ×4, first 2 shown]
	v_mov_b32_e32 v4, 0
	s_waitcnt lgkmcnt(0)
	v_cmp_lt_f32_e64 s[4:5], v44, v5
	v_cndmask_b32_e64 v46, v44, v5, s[4:5]
	v_mov_b32_e32 v44, 0
	s_and_saveexec_b64 s[74:75], s[36:37]
	s_cbranch_execz .LBB765_196
; %bb.193:
	global_load_ubyte v5, v[2:3], off
	v_mov_b32_e32 v44, 0
	s_waitcnt vmcnt(0)
	v_and_b32_e32 v5, 1, v5
	v_cmp_eq_u32_e64 s[4:5], 1, v5
	s_xor_b64 s[4:5], s[4:5], -1
	s_and_saveexec_b64 s[36:37], s[4:5]
	s_cbranch_execz .LBB765_195
; %bb.194:
	v_sub_f32_e32 v5, v40, v46
	s_mov_b32 s4, 0x3fb8aa3b
	v_mul_f32_e32 v7, 0x3fb8aa3b, v5
	v_fma_f32 v40, v5, s4, -v7
	v_rndne_f32_e32 v44, v7
	v_fmac_f32_e32 v40, 0x32a5705f, v5
	v_sub_f32_e32 v7, v7, v44
	v_add_f32_e32 v7, v7, v40
	v_exp_f32_e32 v7, v7
	v_cvt_i32_f32_e32 v40, v44
	s_mov_b32 s4, 0xc2ce8ed0
	v_cmp_ngt_f32_e64 s[4:5], s4, v5
	v_ldexp_f32 v7, v7, v40
	v_cndmask_b32_e64 v7, 0, v7, s[4:5]
	s_mov_b32 s4, 0x42b17218
	v_mov_b32_e32 v40, 0x7f800000
	v_cmp_nlt_f32_e64 s[4:5], s4, v5
	v_cndmask_b32_e64 v44, v40, v7, s[4:5]
.LBB765_195:
	s_or_b64 exec, exec, s[36:37]
.LBB765_196:
	s_or_b64 exec, exec, s[74:75]
	v_mov_b32_e32 v40, v44
	s_and_saveexec_b64 s[36:37], s[34:35]
	s_cbranch_execz .LBB765_200
; %bb.197:
	global_load_ubyte v5, v[2:3], off offset:32
	v_mov_b32_e32 v4, 0
	v_mov_b32_e32 v40, v44
	s_waitcnt vmcnt(0)
	v_and_b32_e32 v5, 1, v5
	v_cmp_eq_u32_e64 s[4:5], 1, v5
	s_xor_b64 s[4:5], s[4:5], -1
	s_and_saveexec_b64 s[34:35], s[4:5]
	s_cbranch_execz .LBB765_199
; %bb.198:
	v_sub_f32_e32 v4, v39, v46
	s_mov_b32 s4, 0x3fb8aa3b
	v_mul_f32_e32 v5, 0x3fb8aa3b, v4
	v_fma_f32 v7, v4, s4, -v5
	v_rndne_f32_e32 v39, v5
	v_fmac_f32_e32 v7, 0x32a5705f, v4
	v_sub_f32_e32 v5, v5, v39
	v_add_f32_e32 v5, v5, v7
	v_exp_f32_e32 v5, v5
	v_cvt_i32_f32_e32 v7, v39
	s_mov_b32 s4, 0xc2ce8ed0
	v_cmp_ngt_f32_e64 s[4:5], s4, v4
	v_ldexp_f32 v5, v5, v7
	v_cndmask_b32_e64 v5, 0, v5, s[4:5]
	s_mov_b32 s4, 0x42b17218
	v_mov_b32_e32 v7, 0x7f800000
	v_cmp_nlt_f32_e64 s[4:5], s4, v4
	v_cndmask_b32_e64 v4, v7, v5, s[4:5]
	v_add_f32_e32 v40, v44, v4
.LBB765_199:
	s_or_b64 exec, exec, s[34:35]
.LBB765_200:
	s_or_b64 exec, exec, s[36:37]
	v_mov_b32_e32 v5, 0
	v_mov_b32_e32 v39, 0
	s_and_saveexec_b64 s[34:35], s[30:31]
	s_cbranch_execz .LBB765_204
; %bb.201:
	global_load_ubyte v7, v[2:3], off offset:64
	v_mov_b32_e32 v39, 0
	s_waitcnt vmcnt(0)
	v_and_b32_e32 v7, 1, v7
	v_cmp_eq_u32_e64 s[4:5], 1, v7
	s_xor_b64 s[4:5], s[4:5], -1
	s_and_saveexec_b64 s[30:31], s[4:5]
	s_cbranch_execz .LBB765_203
; %bb.202:
	v_sub_f32_e32 v7, v38, v46
	s_mov_b32 s4, 0x3fb8aa3b
	v_mul_f32_e32 v38, 0x3fb8aa3b, v7
	v_fma_f32 v39, v7, s4, -v38
	v_rndne_f32_e32 v47, v38
	v_fmac_f32_e32 v39, 0x32a5705f, v7
	v_sub_f32_e32 v38, v38, v47
	v_add_f32_e32 v38, v38, v39
	v_exp_f32_e32 v38, v38
	v_cvt_i32_f32_e32 v39, v47
	s_mov_b32 s4, 0xc2ce8ed0
	v_cmp_ngt_f32_e64 s[4:5], s4, v7
	v_ldexp_f32 v38, v38, v39
	v_cndmask_b32_e64 v38, 0, v38, s[4:5]
	s_mov_b32 s4, 0x42b17218
	v_mov_b32_e32 v39, 0x7f800000
	v_cmp_nlt_f32_e64 s[4:5], s4, v7
	v_cndmask_b32_e64 v39, v39, v38, s[4:5]
	v_add_f32_e32 v40, v40, v39
.LBB765_203:
	s_or_b64 exec, exec, s[30:31]
.LBB765_204:
	s_or_b64 exec, exec, s[34:35]
	s_and_saveexec_b64 s[30:31], s[28:29]
	s_cbranch_execz .LBB765_208
; %bb.205:
	global_load_ubyte v5, v[2:3], off offset:96
	s_waitcnt vmcnt(0)
	v_and_b32_e32 v5, 1, v5
	v_cmp_eq_u32_e64 s[4:5], 1, v5
	s_xor_b64 s[4:5], s[4:5], -1
	v_mov_b32_e32 v5, 0
	s_and_saveexec_b64 s[28:29], s[4:5]
	s_cbranch_execz .LBB765_207
; %bb.206:
	v_sub_f32_e32 v5, v37, v46
	s_mov_b32 s4, 0x3fb8aa3b
	v_mul_f32_e32 v7, 0x3fb8aa3b, v5
	v_fma_f32 v37, v5, s4, -v7
	v_rndne_f32_e32 v38, v7
	v_fmac_f32_e32 v37, 0x32a5705f, v5
	v_sub_f32_e32 v7, v7, v38
	v_add_f32_e32 v7, v7, v37
	v_exp_f32_e32 v7, v7
	v_cvt_i32_f32_e32 v37, v38
	s_mov_b32 s4, 0xc2ce8ed0
	v_cmp_ngt_f32_e64 s[4:5], s4, v5
	v_ldexp_f32 v7, v7, v37
	v_cndmask_b32_e64 v7, 0, v7, s[4:5]
	s_mov_b32 s4, 0x42b17218
	v_mov_b32_e32 v37, 0x7f800000
	v_cmp_nlt_f32_e64 s[4:5], s4, v5
	v_cndmask_b32_e64 v5, v37, v7, s[4:5]
	v_add_f32_e32 v40, v40, v5
.LBB765_207:
	s_or_b64 exec, exec, s[28:29]
.LBB765_208:
	s_or_b64 exec, exec, s[30:31]
	v_mov_b32_e32 v7, 0
	v_mov_b32_e32 v37, 0
	s_and_saveexec_b64 s[28:29], s[26:27]
	s_cbranch_execz .LBB765_212
; %bb.209:
	global_load_ubyte v37, v[2:3], off offset:128
	s_waitcnt vmcnt(0)
	v_and_b32_e32 v37, 1, v37
	v_cmp_eq_u32_e64 s[4:5], 1, v37
	s_xor_b64 s[4:5], s[4:5], -1
	v_mov_b32_e32 v37, 0
	s_and_saveexec_b64 s[26:27], s[4:5]
	s_cbranch_execz .LBB765_211
; %bb.210:
	v_sub_f32_e32 v36, v36, v46
	s_mov_b32 s4, 0x3fb8aa3b
	v_mul_f32_e32 v37, 0x3fb8aa3b, v36
	v_fma_f32 v38, v36, s4, -v37
	v_rndne_f32_e32 v47, v37
	v_fmac_f32_e32 v38, 0x32a5705f, v36
	v_sub_f32_e32 v37, v37, v47
	v_add_f32_e32 v37, v37, v38
	v_exp_f32_e32 v37, v37
	v_cvt_i32_f32_e32 v38, v47
	s_mov_b32 s4, 0xc2ce8ed0
	v_cmp_ngt_f32_e64 s[4:5], s4, v36
	v_ldexp_f32 v37, v37, v38
	v_cndmask_b32_e64 v37, 0, v37, s[4:5]
	s_mov_b32 s4, 0x42b17218
	v_mov_b32_e32 v38, 0x7f800000
	v_cmp_nlt_f32_e64 s[4:5], s4, v36
	v_cndmask_b32_e64 v37, v38, v37, s[4:5]
	v_add_f32_e32 v40, v40, v37
.LBB765_211:
	s_or_b64 exec, exec, s[26:27]
.LBB765_212:
	s_or_b64 exec, exec, s[28:29]
	s_and_saveexec_b64 s[26:27], s[24:25]
	s_cbranch_execz .LBB765_216
; %bb.213:
	global_load_ubyte v7, v[2:3], off offset:160
	s_waitcnt vmcnt(0)
	v_and_b32_e32 v7, 1, v7
	v_cmp_eq_u32_e64 s[4:5], 1, v7
	s_xor_b64 s[4:5], s[4:5], -1
	v_mov_b32_e32 v7, 0
	s_and_saveexec_b64 s[24:25], s[4:5]
	s_cbranch_execz .LBB765_215
; %bb.214:
	v_sub_f32_e32 v7, v35, v46
	s_mov_b32 s4, 0x3fb8aa3b
	v_mul_f32_e32 v35, 0x3fb8aa3b, v7
	v_fma_f32 v36, v7, s4, -v35
	v_rndne_f32_e32 v38, v35
	v_fmac_f32_e32 v36, 0x32a5705f, v7
	v_sub_f32_e32 v35, v35, v38
	v_add_f32_e32 v35, v35, v36
	v_exp_f32_e32 v35, v35
	v_cvt_i32_f32_e32 v36, v38
	s_mov_b32 s4, 0xc2ce8ed0
	v_cmp_ngt_f32_e64 s[4:5], s4, v7
	v_ldexp_f32 v35, v35, v36
	v_cndmask_b32_e64 v35, 0, v35, s[4:5]
	s_mov_b32 s4, 0x42b17218
	v_mov_b32_e32 v36, 0x7f800000
	v_cmp_nlt_f32_e64 s[4:5], s4, v7
	v_cndmask_b32_e64 v7, v36, v35, s[4:5]
	v_add_f32_e32 v40, v40, v7
.LBB765_215:
	s_or_b64 exec, exec, s[24:25]
.LBB765_216:
	s_or_b64 exec, exec, s[26:27]
	v_mov_b32_e32 v35, 0
	v_mov_b32_e32 v36, 0
	s_and_saveexec_b64 s[24:25], s[22:23]
	s_cbranch_execz .LBB765_220
; %bb.217:
	global_load_ubyte v36, v[2:3], off offset:192
	s_waitcnt vmcnt(0)
	v_and_b32_e32 v36, 1, v36
	v_cmp_eq_u32_e64 s[4:5], 1, v36
	s_xor_b64 s[4:5], s[4:5], -1
	v_mov_b32_e32 v36, 0
	s_and_saveexec_b64 s[22:23], s[4:5]
	s_cbranch_execz .LBB765_219
; %bb.218:
	v_sub_f32_e32 v34, v34, v46
	s_mov_b32 s4, 0x3fb8aa3b
	v_mul_f32_e32 v36, 0x3fb8aa3b, v34
	v_fma_f32 v38, v34, s4, -v36
	v_rndne_f32_e32 v47, v36
	v_fmac_f32_e32 v38, 0x32a5705f, v34
	v_sub_f32_e32 v36, v36, v47
	v_add_f32_e32 v36, v36, v38
	v_exp_f32_e32 v36, v36
	v_cvt_i32_f32_e32 v38, v47
	s_mov_b32 s4, 0xc2ce8ed0
	v_cmp_ngt_f32_e64 s[4:5], s4, v34
	v_ldexp_f32 v36, v36, v38
	v_cndmask_b32_e64 v36, 0, v36, s[4:5]
	s_mov_b32 s4, 0x42b17218
	v_mov_b32_e32 v38, 0x7f800000
	v_cmp_nlt_f32_e64 s[4:5], s4, v34
	v_cndmask_b32_e64 v36, v38, v36, s[4:5]
	v_add_f32_e32 v40, v40, v36
.LBB765_219:
	s_or_b64 exec, exec, s[22:23]
.LBB765_220:
	s_or_b64 exec, exec, s[24:25]
	s_and_saveexec_b64 s[22:23], s[68:69]
	s_cbranch_execz .LBB765_224
; %bb.221:
	global_load_ubyte v34, v[2:3], off offset:224
	v_mov_b32_e32 v35, 0
	s_waitcnt vmcnt(0)
	v_and_b32_e32 v34, 1, v34
	v_cmp_eq_u32_e64 s[4:5], 1, v34
	s_xor_b64 s[4:5], s[4:5], -1
	s_and_saveexec_b64 s[24:25], s[4:5]
	s_cbranch_execz .LBB765_223
; %bb.222:
	v_sub_f32_e32 v33, v33, v46
	s_mov_b32 s4, 0x3fb8aa3b
	v_mul_f32_e32 v34, 0x3fb8aa3b, v33
	v_fma_f32 v35, v33, s4, -v34
	v_rndne_f32_e32 v38, v34
	v_fmac_f32_e32 v35, 0x32a5705f, v33
	v_sub_f32_e32 v34, v34, v38
	v_add_f32_e32 v34, v34, v35
	v_exp_f32_e32 v34, v34
	v_cvt_i32_f32_e32 v35, v38
	s_mov_b32 s4, 0xc2ce8ed0
	v_cmp_ngt_f32_e64 s[4:5], s4, v33
	v_ldexp_f32 v34, v34, v35
	v_cndmask_b32_e64 v34, 0, v34, s[4:5]
	s_mov_b32 s4, 0x42b17218
	v_mov_b32_e32 v35, 0x7f800000
	v_cmp_nlt_f32_e64 s[4:5], s4, v33
	v_cndmask_b32_e64 v35, v35, v34, s[4:5]
	v_add_f32_e32 v40, v40, v35
.LBB765_223:
	s_or_b64 exec, exec, s[24:25]
.LBB765_224:
	s_or_b64 exec, exec, s[22:23]
	v_mov_b32_e32 v33, 0
	v_mov_b32_e32 v34, 0
	s_and_saveexec_b64 s[22:23], s[20:21]
	s_cbranch_execz .LBB765_228
; %bb.225:
	global_load_ubyte v34, v[2:3], off offset:256
	s_waitcnt vmcnt(0)
	v_and_b32_e32 v34, 1, v34
	v_cmp_eq_u32_e64 s[4:5], 1, v34
	s_xor_b64 s[4:5], s[4:5], -1
	v_mov_b32_e32 v34, 0
	s_and_saveexec_b64 s[20:21], s[4:5]
	s_cbranch_execz .LBB765_227
; %bb.226:
	v_sub_f32_e32 v32, v32, v46
	s_mov_b32 s4, 0x3fb8aa3b
	v_mul_f32_e32 v34, 0x3fb8aa3b, v32
	v_fma_f32 v38, v32, s4, -v34
	v_rndne_f32_e32 v47, v34
	v_fmac_f32_e32 v38, 0x32a5705f, v32
	v_sub_f32_e32 v34, v34, v47
	v_add_f32_e32 v34, v34, v38
	v_exp_f32_e32 v34, v34
	v_cvt_i32_f32_e32 v38, v47
	s_mov_b32 s4, 0xc2ce8ed0
	v_cmp_ngt_f32_e64 s[4:5], s4, v32
	v_ldexp_f32 v34, v34, v38
	v_cndmask_b32_e64 v34, 0, v34, s[4:5]
	s_mov_b32 s4, 0x42b17218
	v_mov_b32_e32 v38, 0x7f800000
	v_cmp_nlt_f32_e64 s[4:5], s4, v32
	v_cndmask_b32_e64 v34, v38, v34, s[4:5]
	v_add_f32_e32 v40, v40, v34
.LBB765_227:
	s_or_b64 exec, exec, s[20:21]
.LBB765_228:
	s_or_b64 exec, exec, s[22:23]
	s_and_saveexec_b64 s[20:21], s[18:19]
	s_cbranch_execz .LBB765_232
; %bb.229:
	global_load_ubyte v32, v[2:3], off offset:288
	v_mov_b32_e32 v33, 0
	s_waitcnt vmcnt(0)
	v_and_b32_e32 v32, 1, v32
	v_cmp_eq_u32_e64 s[4:5], 1, v32
	s_xor_b64 s[4:5], s[4:5], -1
	s_and_saveexec_b64 s[18:19], s[4:5]
	s_cbranch_execz .LBB765_231
; %bb.230:
	v_sub_f32_e32 v31, v31, v46
	s_mov_b32 s4, 0x3fb8aa3b
	v_mul_f32_e32 v32, 0x3fb8aa3b, v31
	v_fma_f32 v33, v31, s4, -v32
	v_rndne_f32_e32 v38, v32
	v_fmac_f32_e32 v33, 0x32a5705f, v31
	v_sub_f32_e32 v32, v32, v38
	v_add_f32_e32 v32, v32, v33
	v_exp_f32_e32 v32, v32
	v_cvt_i32_f32_e32 v33, v38
	s_mov_b32 s4, 0xc2ce8ed0
	v_cmp_ngt_f32_e64 s[4:5], s4, v31
	v_ldexp_f32 v32, v32, v33
	v_cndmask_b32_e64 v32, 0, v32, s[4:5]
	s_mov_b32 s4, 0x42b17218
	v_mov_b32_e32 v33, 0x7f800000
	v_cmp_nlt_f32_e64 s[4:5], s4, v31
	v_cndmask_b32_e64 v33, v33, v32, s[4:5]
	v_add_f32_e32 v40, v40, v33
.LBB765_231:
	s_or_b64 exec, exec, s[18:19]
.LBB765_232:
	s_or_b64 exec, exec, s[20:21]
	v_mov_b32_e32 v31, 0
	v_mov_b32_e32 v32, 0
	s_and_saveexec_b64 s[18:19], s[16:17]
	s_cbranch_execz .LBB765_236
; %bb.233:
	global_load_ubyte v32, v[2:3], off offset:320
	s_waitcnt vmcnt(0)
	v_and_b32_e32 v32, 1, v32
	v_cmp_eq_u32_e64 s[4:5], 1, v32
	s_xor_b64 s[4:5], s[4:5], -1
	v_mov_b32_e32 v32, 0
	s_and_saveexec_b64 s[16:17], s[4:5]
	s_cbranch_execz .LBB765_235
; %bb.234:
	v_sub_f32_e32 v30, v30, v46
	s_mov_b32 s4, 0x3fb8aa3b
	v_mul_f32_e32 v32, 0x3fb8aa3b, v30
	v_fma_f32 v38, v30, s4, -v32
	v_rndne_f32_e32 v47, v32
	v_fmac_f32_e32 v38, 0x32a5705f, v30
	v_sub_f32_e32 v32, v32, v47
	v_add_f32_e32 v32, v32, v38
	v_exp_f32_e32 v32, v32
	v_cvt_i32_f32_e32 v38, v47
	s_mov_b32 s4, 0xc2ce8ed0
	v_cmp_ngt_f32_e64 s[4:5], s4, v30
	v_ldexp_f32 v32, v32, v38
	v_cndmask_b32_e64 v32, 0, v32, s[4:5]
	s_mov_b32 s4, 0x42b17218
	v_mov_b32_e32 v38, 0x7f800000
	v_cmp_nlt_f32_e64 s[4:5], s4, v30
	v_cndmask_b32_e64 v32, v38, v32, s[4:5]
	v_add_f32_e32 v40, v40, v32
.LBB765_235:
	s_or_b64 exec, exec, s[16:17]
.LBB765_236:
	s_or_b64 exec, exec, s[18:19]
	s_and_saveexec_b64 s[16:17], s[14:15]
	s_cbranch_execz .LBB765_240
; %bb.237:
	global_load_ubyte v30, v[2:3], off offset:352
	v_mov_b32_e32 v31, 0
	s_waitcnt vmcnt(0)
	v_and_b32_e32 v30, 1, v30
	v_cmp_eq_u32_e64 s[4:5], 1, v30
	s_xor_b64 s[4:5], s[4:5], -1
	s_and_saveexec_b64 s[14:15], s[4:5]
	s_cbranch_execz .LBB765_239
; %bb.238:
	v_sub_f32_e32 v29, v29, v46
	s_mov_b32 s4, 0x3fb8aa3b
	v_mul_f32_e32 v30, 0x3fb8aa3b, v29
	v_fma_f32 v31, v29, s4, -v30
	v_rndne_f32_e32 v38, v30
	v_fmac_f32_e32 v31, 0x32a5705f, v29
	v_sub_f32_e32 v30, v30, v38
	v_add_f32_e32 v30, v30, v31
	v_exp_f32_e32 v30, v30
	v_cvt_i32_f32_e32 v31, v38
	s_mov_b32 s4, 0xc2ce8ed0
	v_cmp_ngt_f32_e64 s[4:5], s4, v29
	v_ldexp_f32 v30, v30, v31
	v_cndmask_b32_e64 v30, 0, v30, s[4:5]
	s_mov_b32 s4, 0x42b17218
	v_mov_b32_e32 v31, 0x7f800000
	v_cmp_nlt_f32_e64 s[4:5], s4, v29
	v_cndmask_b32_e64 v31, v31, v30, s[4:5]
	v_add_f32_e32 v40, v40, v31
.LBB765_239:
	s_or_b64 exec, exec, s[14:15]
.LBB765_240:
	s_or_b64 exec, exec, s[16:17]
	v_mov_b32_e32 v29, 0
	v_mov_b32_e32 v30, 0
	s_and_saveexec_b64 s[14:15], s[12:13]
	s_cbranch_execz .LBB765_244
; %bb.241:
	global_load_ubyte v30, v[2:3], off offset:384
	s_waitcnt vmcnt(0)
	v_and_b32_e32 v30, 1, v30
	v_cmp_eq_u32_e64 s[4:5], 1, v30
	s_xor_b64 s[4:5], s[4:5], -1
	v_mov_b32_e32 v30, 0
	s_and_saveexec_b64 s[12:13], s[4:5]
	s_cbranch_execz .LBB765_243
; %bb.242:
	v_sub_f32_e32 v28, v28, v46
	s_mov_b32 s4, 0x3fb8aa3b
	v_mul_f32_e32 v30, 0x3fb8aa3b, v28
	v_fma_f32 v38, v28, s4, -v30
	v_rndne_f32_e32 v47, v30
	v_fmac_f32_e32 v38, 0x32a5705f, v28
	v_sub_f32_e32 v30, v30, v47
	v_add_f32_e32 v30, v30, v38
	v_exp_f32_e32 v30, v30
	v_cvt_i32_f32_e32 v38, v47
	s_mov_b32 s4, 0xc2ce8ed0
	v_cmp_ngt_f32_e64 s[4:5], s4, v28
	v_ldexp_f32 v30, v30, v38
	v_cndmask_b32_e64 v30, 0, v30, s[4:5]
	s_mov_b32 s4, 0x42b17218
	v_mov_b32_e32 v38, 0x7f800000
	v_cmp_nlt_f32_e64 s[4:5], s4, v28
	v_cndmask_b32_e64 v30, v38, v30, s[4:5]
	v_add_f32_e32 v40, v40, v30
.LBB765_243:
	s_or_b64 exec, exec, s[12:13]
.LBB765_244:
	s_or_b64 exec, exec, s[14:15]
	s_and_saveexec_b64 s[12:13], s[10:11]
	s_cbranch_execz .LBB765_248
; %bb.245:
	global_load_ubyte v28, v[2:3], off offset:416
	v_mov_b32_e32 v29, 0
	s_waitcnt vmcnt(0)
	v_and_b32_e32 v28, 1, v28
	v_cmp_eq_u32_e64 s[4:5], 1, v28
	s_xor_b64 s[4:5], s[4:5], -1
	s_and_saveexec_b64 s[10:11], s[4:5]
	s_cbranch_execz .LBB765_247
; %bb.246:
	v_sub_f32_e32 v27, v27, v46
	s_mov_b32 s4, 0x3fb8aa3b
	v_mul_f32_e32 v28, 0x3fb8aa3b, v27
	v_fma_f32 v29, v27, s4, -v28
	v_rndne_f32_e32 v38, v28
	v_fmac_f32_e32 v29, 0x32a5705f, v27
	v_sub_f32_e32 v28, v28, v38
	v_add_f32_e32 v28, v28, v29
	v_exp_f32_e32 v28, v28
	v_cvt_i32_f32_e32 v29, v38
	s_mov_b32 s4, 0xc2ce8ed0
	v_cmp_ngt_f32_e64 s[4:5], s4, v27
	v_ldexp_f32 v28, v28, v29
	v_cndmask_b32_e64 v28, 0, v28, s[4:5]
	s_mov_b32 s4, 0x42b17218
	v_mov_b32_e32 v29, 0x7f800000
	v_cmp_nlt_f32_e64 s[4:5], s4, v27
	v_cndmask_b32_e64 v29, v29, v28, s[4:5]
	v_add_f32_e32 v40, v40, v29
.LBB765_247:
	s_or_b64 exec, exec, s[10:11]
.LBB765_248:
	s_or_b64 exec, exec, s[12:13]
	v_mov_b32_e32 v27, 0
	v_mov_b32_e32 v28, 0
	s_and_saveexec_b64 s[10:11], s[8:9]
	s_cbranch_execz .LBB765_252
; %bb.249:
	global_load_ubyte v28, v[2:3], off offset:448
	s_waitcnt vmcnt(0)
	v_and_b32_e32 v28, 1, v28
	v_cmp_eq_u32_e64 s[4:5], 1, v28
	s_xor_b64 s[4:5], s[4:5], -1
	v_mov_b32_e32 v28, 0
	s_and_saveexec_b64 s[8:9], s[4:5]
	s_cbranch_execz .LBB765_251
; %bb.250:
	v_sub_f32_e32 v26, v26, v46
	s_mov_b32 s4, 0x3fb8aa3b
	v_mul_f32_e32 v28, 0x3fb8aa3b, v26
	v_fma_f32 v38, v26, s4, -v28
	v_rndne_f32_e32 v47, v28
	v_fmac_f32_e32 v38, 0x32a5705f, v26
	v_sub_f32_e32 v28, v28, v47
	v_add_f32_e32 v28, v28, v38
	v_exp_f32_e32 v28, v28
	v_cvt_i32_f32_e32 v38, v47
	s_mov_b32 s4, 0xc2ce8ed0
	v_cmp_ngt_f32_e64 s[4:5], s4, v26
	v_ldexp_f32 v28, v28, v38
	v_cndmask_b32_e64 v28, 0, v28, s[4:5]
	s_mov_b32 s4, 0x42b17218
	v_mov_b32_e32 v38, 0x7f800000
	v_cmp_nlt_f32_e64 s[4:5], s4, v26
	v_cndmask_b32_e64 v28, v38, v28, s[4:5]
	v_add_f32_e32 v40, v40, v28
.LBB765_251:
	s_or_b64 exec, exec, s[8:9]
.LBB765_252:
	s_or_b64 exec, exec, s[10:11]
	s_and_saveexec_b64 s[8:9], s[6:7]
	s_cbranch_execz .LBB765_256
; %bb.253:
	global_load_ubyte v26, v[2:3], off offset:480
	v_mov_b32_e32 v27, 0
	s_waitcnt vmcnt(0)
	v_and_b32_e32 v26, 1, v26
	v_cmp_eq_u32_e64 s[4:5], 1, v26
	s_xor_b64 s[4:5], s[4:5], -1
	s_and_saveexec_b64 s[6:7], s[4:5]
	s_cbranch_execz .LBB765_255
; %bb.254:
	v_sub_f32_e32 v25, v25, v46
	s_mov_b32 s4, 0x3fb8aa3b
	v_mul_f32_e32 v26, 0x3fb8aa3b, v25
	v_fma_f32 v27, v25, s4, -v26
	v_rndne_f32_e32 v38, v26
	v_fmac_f32_e32 v27, 0x32a5705f, v25
	v_sub_f32_e32 v26, v26, v38
	v_add_f32_e32 v26, v26, v27
	v_exp_f32_e32 v26, v26
	v_cvt_i32_f32_e32 v27, v38
	s_mov_b32 s4, 0xc2ce8ed0
	v_cmp_ngt_f32_e64 s[4:5], s4, v25
	v_ldexp_f32 v26, v26, v27
	v_cndmask_b32_e64 v26, 0, v26, s[4:5]
	s_mov_b32 s4, 0x42b17218
	v_mov_b32_e32 v27, 0x7f800000
	v_cmp_nlt_f32_e64 s[4:5], s4, v25
	v_cndmask_b32_e64 v27, v27, v26, s[4:5]
	v_add_f32_e32 v40, v40, v27
.LBB765_255:
	s_or_b64 exec, exec, s[6:7]
.LBB765_256:
	s_or_b64 exec, exec, s[8:9]
	v_mov_b32_e32 v25, 0
	v_mov_b32_e32 v26, 0
	s_and_saveexec_b64 s[6:7], s[66:67]
	s_cbranch_execz .LBB765_260
; %bb.257:
	global_load_ubyte v26, v[2:3], off offset:512
	s_waitcnt vmcnt(0)
	v_and_b32_e32 v26, 1, v26
	v_cmp_eq_u32_e64 s[4:5], 1, v26
	s_xor_b64 s[4:5], s[4:5], -1
	v_mov_b32_e32 v26, 0
	s_and_saveexec_b64 s[8:9], s[4:5]
	s_cbranch_execz .LBB765_259
; %bb.258:
	v_sub_f32_e32 v24, v24, v46
	s_mov_b32 s4, 0x3fb8aa3b
	v_mul_f32_e32 v26, 0x3fb8aa3b, v24
	v_fma_f32 v38, v24, s4, -v26
	v_rndne_f32_e32 v47, v26
	v_fmac_f32_e32 v38, 0x32a5705f, v24
	v_sub_f32_e32 v26, v26, v47
	v_add_f32_e32 v26, v26, v38
	v_exp_f32_e32 v26, v26
	v_cvt_i32_f32_e32 v38, v47
	s_mov_b32 s4, 0xc2ce8ed0
	v_cmp_ngt_f32_e64 s[4:5], s4, v24
	v_ldexp_f32 v26, v26, v38
	v_cndmask_b32_e64 v26, 0, v26, s[4:5]
	s_mov_b32 s4, 0x42b17218
	v_mov_b32_e32 v38, 0x7f800000
	v_cmp_nlt_f32_e64 s[4:5], s4, v24
	v_cndmask_b32_e64 v26, v38, v26, s[4:5]
	v_add_f32_e32 v40, v40, v26
.LBB765_259:
	s_or_b64 exec, exec, s[8:9]
.LBB765_260:
	s_or_b64 exec, exec, s[6:7]
	s_and_saveexec_b64 s[6:7], s[2:3]
	s_cbranch_execz .LBB765_264
; %bb.261:
	global_load_ubyte v24, v[2:3], off offset:544
	v_mov_b32_e32 v25, 0
	s_waitcnt vmcnt(0)
	v_and_b32_e32 v24, 1, v24
	v_cmp_eq_u32_e64 s[4:5], 1, v24
	s_xor_b64 s[4:5], s[4:5], -1
	s_and_saveexec_b64 s[2:3], s[4:5]
	s_cbranch_execz .LBB765_263
; %bb.262:
	v_sub_f32_e32 v23, v23, v46
	s_mov_b32 s4, 0x3fb8aa3b
	v_mul_f32_e32 v24, 0x3fb8aa3b, v23
	v_fma_f32 v25, v23, s4, -v24
	v_rndne_f32_e32 v38, v24
	v_fmac_f32_e32 v25, 0x32a5705f, v23
	v_sub_f32_e32 v24, v24, v38
	v_add_f32_e32 v24, v24, v25
	v_exp_f32_e32 v24, v24
	v_cvt_i32_f32_e32 v25, v38
	s_mov_b32 s4, 0xc2ce8ed0
	v_cmp_ngt_f32_e64 s[4:5], s4, v23
	v_ldexp_f32 v24, v24, v25
	v_cndmask_b32_e64 v24, 0, v24, s[4:5]
	s_mov_b32 s4, 0x42b17218
	v_mov_b32_e32 v25, 0x7f800000
	v_cmp_nlt_f32_e64 s[4:5], s4, v23
	v_cndmask_b32_e64 v25, v25, v24, s[4:5]
	v_add_f32_e32 v40, v40, v25
.LBB765_263:
	s_or_b64 exec, exec, s[2:3]
.LBB765_264:
	s_or_b64 exec, exec, s[6:7]
	v_mov_b32_e32 v23, 0
	v_mov_b32_e32 v24, 0
	s_and_saveexec_b64 s[2:3], s[0:1]
	s_cbranch_execz .LBB765_268
; %bb.265:
	global_load_ubyte v24, v[2:3], off offset:576
	s_waitcnt vmcnt(0)
	v_and_b32_e32 v24, 1, v24
	v_cmp_eq_u32_e64 s[4:5], 1, v24
	s_xor_b64 s[4:5], s[4:5], -1
	v_mov_b32_e32 v24, 0
	s_and_saveexec_b64 s[0:1], s[4:5]
	s_cbranch_execz .LBB765_267
; %bb.266:
	v_sub_f32_e32 v22, v22, v46
	s_mov_b32 s4, 0x3fb8aa3b
	v_mul_f32_e32 v24, 0x3fb8aa3b, v22
	v_fma_f32 v38, v22, s4, -v24
	v_rndne_f32_e32 v47, v24
	v_fmac_f32_e32 v38, 0x32a5705f, v22
	v_sub_f32_e32 v24, v24, v47
	v_add_f32_e32 v24, v24, v38
	v_exp_f32_e32 v24, v24
	v_cvt_i32_f32_e32 v38, v47
	s_mov_b32 s4, 0xc2ce8ed0
	v_cmp_ngt_f32_e64 s[4:5], s4, v22
	v_ldexp_f32 v24, v24, v38
	v_cndmask_b32_e64 v24, 0, v24, s[4:5]
	s_mov_b32 s4, 0x42b17218
	v_mov_b32_e32 v38, 0x7f800000
	v_cmp_nlt_f32_e64 s[4:5], s4, v22
	v_cndmask_b32_e64 v24, v38, v24, s[4:5]
	v_add_f32_e32 v40, v40, v24
.LBB765_267:
	s_or_b64 exec, exec, s[0:1]
.LBB765_268:
	s_or_b64 exec, exec, s[2:3]
	s_and_saveexec_b64 s[0:1], s[94:95]
	s_cbranch_execz .LBB765_272
; %bb.269:
	global_load_ubyte v22, v[2:3], off offset:608
	v_mov_b32_e32 v23, 0
	s_waitcnt vmcnt(0)
	v_and_b32_e32 v22, 1, v22
	v_cmp_eq_u32_e64 s[4:5], 1, v22
	s_xor_b64 s[4:5], s[4:5], -1
	s_and_saveexec_b64 s[2:3], s[4:5]
	s_cbranch_execz .LBB765_271
; %bb.270:
	v_sub_f32_e32 v21, v21, v46
	s_mov_b32 s4, 0x3fb8aa3b
	v_mul_f32_e32 v22, 0x3fb8aa3b, v21
	v_fma_f32 v23, v21, s4, -v22
	v_rndne_f32_e32 v38, v22
	v_fmac_f32_e32 v23, 0x32a5705f, v21
	v_sub_f32_e32 v22, v22, v38
	v_add_f32_e32 v22, v22, v23
	v_exp_f32_e32 v22, v22
	v_cvt_i32_f32_e32 v23, v38
	s_mov_b32 s4, 0xc2ce8ed0
	v_cmp_ngt_f32_e64 s[4:5], s4, v21
	v_ldexp_f32 v22, v22, v23
	v_cndmask_b32_e64 v22, 0, v22, s[4:5]
	s_mov_b32 s4, 0x42b17218
	v_mov_b32_e32 v23, 0x7f800000
	v_cmp_nlt_f32_e64 s[4:5], s4, v21
	v_cndmask_b32_e64 v23, v23, v22, s[4:5]
	v_add_f32_e32 v40, v40, v23
.LBB765_271:
	s_or_b64 exec, exec, s[2:3]
.LBB765_272:
	s_or_b64 exec, exec, s[0:1]
	v_mov_b32_e32 v21, 0
	v_mov_b32_e32 v22, 0
	s_and_saveexec_b64 s[0:1], s[92:93]
	s_cbranch_execz .LBB765_276
; %bb.273:
	global_load_ubyte v22, v[2:3], off offset:640
	s_waitcnt vmcnt(0)
	v_and_b32_e32 v22, 1, v22
	v_cmp_eq_u32_e64 s[4:5], 1, v22
	s_xor_b64 s[4:5], s[4:5], -1
	v_mov_b32_e32 v22, 0
	s_and_saveexec_b64 s[2:3], s[4:5]
	s_cbranch_execz .LBB765_275
; %bb.274:
	v_sub_f32_e32 v20, v20, v46
	s_mov_b32 s4, 0x3fb8aa3b
	v_mul_f32_e32 v22, 0x3fb8aa3b, v20
	v_fma_f32 v38, v20, s4, -v22
	v_rndne_f32_e32 v47, v22
	v_fmac_f32_e32 v38, 0x32a5705f, v20
	v_sub_f32_e32 v22, v22, v47
	v_add_f32_e32 v22, v22, v38
	v_exp_f32_e32 v22, v22
	v_cvt_i32_f32_e32 v38, v47
	s_mov_b32 s4, 0xc2ce8ed0
	v_cmp_ngt_f32_e64 s[4:5], s4, v20
	v_ldexp_f32 v22, v22, v38
	v_cndmask_b32_e64 v22, 0, v22, s[4:5]
	s_mov_b32 s4, 0x42b17218
	v_mov_b32_e32 v38, 0x7f800000
	v_cmp_nlt_f32_e64 s[4:5], s4, v20
	v_cndmask_b32_e64 v22, v38, v22, s[4:5]
	v_add_f32_e32 v40, v40, v22
.LBB765_275:
	s_or_b64 exec, exec, s[2:3]
.LBB765_276:
	s_or_b64 exec, exec, s[0:1]
	s_and_saveexec_b64 s[0:1], s[90:91]
	s_cbranch_execz .LBB765_280
; %bb.277:
	global_load_ubyte v20, v[2:3], off offset:672
	v_mov_b32_e32 v21, 0
	s_waitcnt vmcnt(0)
	v_and_b32_e32 v20, 1, v20
	v_cmp_eq_u32_e64 s[4:5], 1, v20
	s_xor_b64 s[4:5], s[4:5], -1
	s_and_saveexec_b64 s[2:3], s[4:5]
	s_cbranch_execz .LBB765_279
; %bb.278:
	v_sub_f32_e32 v19, v19, v46
	s_mov_b32 s4, 0x3fb8aa3b
	v_mul_f32_e32 v20, 0x3fb8aa3b, v19
	v_fma_f32 v21, v19, s4, -v20
	v_rndne_f32_e32 v38, v20
	v_fmac_f32_e32 v21, 0x32a5705f, v19
	v_sub_f32_e32 v20, v20, v38
	v_add_f32_e32 v20, v20, v21
	v_exp_f32_e32 v20, v20
	v_cvt_i32_f32_e32 v21, v38
	s_mov_b32 s4, 0xc2ce8ed0
	v_cmp_ngt_f32_e64 s[4:5], s4, v19
	v_ldexp_f32 v20, v20, v21
	v_cndmask_b32_e64 v20, 0, v20, s[4:5]
	s_mov_b32 s4, 0x42b17218
	v_mov_b32_e32 v21, 0x7f800000
	v_cmp_nlt_f32_e64 s[4:5], s4, v19
	v_cndmask_b32_e64 v21, v21, v20, s[4:5]
	v_add_f32_e32 v40, v40, v21
.LBB765_279:
	s_or_b64 exec, exec, s[2:3]
.LBB765_280:
	s_or_b64 exec, exec, s[0:1]
	v_mov_b32_e32 v19, 0
	v_mov_b32_e32 v20, 0
	s_and_saveexec_b64 s[0:1], s[88:89]
	s_cbranch_execz .LBB765_284
; %bb.281:
	global_load_ubyte v20, v[2:3], off offset:704
	s_waitcnt vmcnt(0)
	v_and_b32_e32 v20, 1, v20
	v_cmp_eq_u32_e64 s[4:5], 1, v20
	s_xor_b64 s[4:5], s[4:5], -1
	v_mov_b32_e32 v20, 0
	s_and_saveexec_b64 s[2:3], s[4:5]
	s_cbranch_execz .LBB765_283
; %bb.282:
	v_sub_f32_e32 v18, v18, v46
	s_mov_b32 s4, 0x3fb8aa3b
	v_mul_f32_e32 v20, 0x3fb8aa3b, v18
	v_fma_f32 v38, v18, s4, -v20
	v_rndne_f32_e32 v47, v20
	v_fmac_f32_e32 v38, 0x32a5705f, v18
	v_sub_f32_e32 v20, v20, v47
	v_add_f32_e32 v20, v20, v38
	v_exp_f32_e32 v20, v20
	v_cvt_i32_f32_e32 v38, v47
	s_mov_b32 s4, 0xc2ce8ed0
	v_cmp_ngt_f32_e64 s[4:5], s4, v18
	v_ldexp_f32 v20, v20, v38
	v_cndmask_b32_e64 v20, 0, v20, s[4:5]
	s_mov_b32 s4, 0x42b17218
	v_mov_b32_e32 v38, 0x7f800000
	v_cmp_nlt_f32_e64 s[4:5], s4, v18
	v_cndmask_b32_e64 v20, v38, v20, s[4:5]
	v_add_f32_e32 v40, v40, v20
.LBB765_283:
	s_or_b64 exec, exec, s[2:3]
.LBB765_284:
	s_or_b64 exec, exec, s[0:1]
	s_and_saveexec_b64 s[0:1], s[86:87]
	s_cbranch_execz .LBB765_288
; %bb.285:
	global_load_ubyte v18, v[2:3], off offset:736
	v_mov_b32_e32 v19, 0
	s_waitcnt vmcnt(0)
	v_and_b32_e32 v18, 1, v18
	v_cmp_eq_u32_e64 s[4:5], 1, v18
	s_xor_b64 s[4:5], s[4:5], -1
	s_and_saveexec_b64 s[2:3], s[4:5]
	s_cbranch_execz .LBB765_287
; %bb.286:
	v_sub_f32_e32 v17, v17, v46
	s_mov_b32 s4, 0x3fb8aa3b
	v_mul_f32_e32 v18, 0x3fb8aa3b, v17
	v_fma_f32 v19, v17, s4, -v18
	v_rndne_f32_e32 v38, v18
	v_fmac_f32_e32 v19, 0x32a5705f, v17
	v_sub_f32_e32 v18, v18, v38
	v_add_f32_e32 v18, v18, v19
	v_exp_f32_e32 v18, v18
	v_cvt_i32_f32_e32 v19, v38
	s_mov_b32 s4, 0xc2ce8ed0
	v_cmp_ngt_f32_e64 s[4:5], s4, v17
	v_ldexp_f32 v18, v18, v19
	v_cndmask_b32_e64 v18, 0, v18, s[4:5]
	s_mov_b32 s4, 0x42b17218
	v_mov_b32_e32 v19, 0x7f800000
	v_cmp_nlt_f32_e64 s[4:5], s4, v17
	v_cndmask_b32_e64 v19, v19, v18, s[4:5]
	v_add_f32_e32 v40, v40, v19
.LBB765_287:
	s_or_b64 exec, exec, s[2:3]
.LBB765_288:
	s_or_b64 exec, exec, s[0:1]
	v_mov_b32_e32 v17, 0
	v_mov_b32_e32 v18, 0
	s_and_saveexec_b64 s[0:1], s[84:85]
	s_cbranch_execz .LBB765_292
; %bb.289:
	global_load_ubyte v18, v[2:3], off offset:768
	s_waitcnt vmcnt(0)
	v_and_b32_e32 v18, 1, v18
	v_cmp_eq_u32_e64 s[4:5], 1, v18
	s_xor_b64 s[4:5], s[4:5], -1
	v_mov_b32_e32 v18, 0
	s_and_saveexec_b64 s[2:3], s[4:5]
	s_cbranch_execz .LBB765_291
; %bb.290:
	v_sub_f32_e32 v16, v16, v46
	s_mov_b32 s4, 0x3fb8aa3b
	v_mul_f32_e32 v18, 0x3fb8aa3b, v16
	v_fma_f32 v38, v16, s4, -v18
	v_rndne_f32_e32 v47, v18
	v_fmac_f32_e32 v38, 0x32a5705f, v16
	v_sub_f32_e32 v18, v18, v47
	v_add_f32_e32 v18, v18, v38
	v_exp_f32_e32 v18, v18
	v_cvt_i32_f32_e32 v38, v47
	s_mov_b32 s4, 0xc2ce8ed0
	v_cmp_ngt_f32_e64 s[4:5], s4, v16
	v_ldexp_f32 v18, v18, v38
	v_cndmask_b32_e64 v18, 0, v18, s[4:5]
	s_mov_b32 s4, 0x42b17218
	v_mov_b32_e32 v38, 0x7f800000
	v_cmp_nlt_f32_e64 s[4:5], s4, v16
	v_cndmask_b32_e64 v18, v38, v18, s[4:5]
	v_add_f32_e32 v40, v40, v18
.LBB765_291:
	s_or_b64 exec, exec, s[2:3]
.LBB765_292:
	s_or_b64 exec, exec, s[0:1]
	s_and_saveexec_b64 s[0:1], s[82:83]
	s_cbranch_execz .LBB765_296
; %bb.293:
	global_load_ubyte v16, v[2:3], off offset:800
	v_mov_b32_e32 v17, 0
	s_waitcnt vmcnt(0)
	v_and_b32_e32 v16, 1, v16
	v_cmp_eq_u32_e64 s[4:5], 1, v16
	s_xor_b64 s[4:5], s[4:5], -1
	s_and_saveexec_b64 s[2:3], s[4:5]
	s_cbranch_execz .LBB765_295
; %bb.294:
	v_sub_f32_e32 v15, v15, v46
	s_mov_b32 s4, 0x3fb8aa3b
	v_mul_f32_e32 v16, 0x3fb8aa3b, v15
	v_fma_f32 v17, v15, s4, -v16
	v_rndne_f32_e32 v38, v16
	v_fmac_f32_e32 v17, 0x32a5705f, v15
	v_sub_f32_e32 v16, v16, v38
	v_add_f32_e32 v16, v16, v17
	v_exp_f32_e32 v16, v16
	v_cvt_i32_f32_e32 v17, v38
	s_mov_b32 s4, 0xc2ce8ed0
	v_cmp_ngt_f32_e64 s[4:5], s4, v15
	v_ldexp_f32 v16, v16, v17
	v_cndmask_b32_e64 v16, 0, v16, s[4:5]
	s_mov_b32 s4, 0x42b17218
	v_mov_b32_e32 v17, 0x7f800000
	v_cmp_nlt_f32_e64 s[4:5], s4, v15
	v_cndmask_b32_e64 v17, v17, v16, s[4:5]
	v_add_f32_e32 v40, v40, v17
.LBB765_295:
	s_or_b64 exec, exec, s[2:3]
.LBB765_296:
	s_or_b64 exec, exec, s[0:1]
	v_mov_b32_e32 v15, 0
	v_mov_b32_e32 v16, 0
	s_and_saveexec_b64 s[0:1], s[80:81]
	s_cbranch_execz .LBB765_300
; %bb.297:
	global_load_ubyte v16, v[2:3], off offset:832
	s_waitcnt vmcnt(0)
	v_and_b32_e32 v16, 1, v16
	v_cmp_eq_u32_e64 s[4:5], 1, v16
	s_xor_b64 s[4:5], s[4:5], -1
	v_mov_b32_e32 v16, 0
	s_and_saveexec_b64 s[2:3], s[4:5]
	s_cbranch_execz .LBB765_299
; %bb.298:
	v_sub_f32_e32 v14, v14, v46
	s_mov_b32 s4, 0x3fb8aa3b
	v_mul_f32_e32 v16, 0x3fb8aa3b, v14
	v_fma_f32 v38, v14, s4, -v16
	v_rndne_f32_e32 v47, v16
	v_fmac_f32_e32 v38, 0x32a5705f, v14
	v_sub_f32_e32 v16, v16, v47
	v_add_f32_e32 v16, v16, v38
	v_exp_f32_e32 v16, v16
	v_cvt_i32_f32_e32 v38, v47
	s_mov_b32 s4, 0xc2ce8ed0
	v_cmp_ngt_f32_e64 s[4:5], s4, v14
	v_ldexp_f32 v16, v16, v38
	v_cndmask_b32_e64 v16, 0, v16, s[4:5]
	s_mov_b32 s4, 0x42b17218
	v_mov_b32_e32 v38, 0x7f800000
	v_cmp_nlt_f32_e64 s[4:5], s4, v14
	v_cndmask_b32_e64 v16, v38, v16, s[4:5]
	v_add_f32_e32 v40, v40, v16
.LBB765_299:
	s_or_b64 exec, exec, s[2:3]
.LBB765_300:
	s_or_b64 exec, exec, s[0:1]
	s_and_saveexec_b64 s[0:1], s[78:79]
	s_cbranch_execz .LBB765_304
; %bb.301:
	global_load_ubyte v14, v[2:3], off offset:864
	v_mov_b32_e32 v15, 0
	s_waitcnt vmcnt(0)
	v_and_b32_e32 v14, 1, v14
	v_cmp_eq_u32_e64 s[4:5], 1, v14
	s_xor_b64 s[4:5], s[4:5], -1
	s_and_saveexec_b64 s[2:3], s[4:5]
	s_cbranch_execz .LBB765_303
; %bb.302:
	v_sub_f32_e32 v13, v13, v46
	s_mov_b32 s4, 0x3fb8aa3b
	v_mul_f32_e32 v14, 0x3fb8aa3b, v13
	v_fma_f32 v15, v13, s4, -v14
	v_rndne_f32_e32 v38, v14
	v_fmac_f32_e32 v15, 0x32a5705f, v13
	v_sub_f32_e32 v14, v14, v38
	v_add_f32_e32 v14, v14, v15
	v_exp_f32_e32 v14, v14
	v_cvt_i32_f32_e32 v15, v38
	s_mov_b32 s4, 0xc2ce8ed0
	v_cmp_ngt_f32_e64 s[4:5], s4, v13
	v_ldexp_f32 v14, v14, v15
	v_cndmask_b32_e64 v14, 0, v14, s[4:5]
	s_mov_b32 s4, 0x42b17218
	v_mov_b32_e32 v15, 0x7f800000
	v_cmp_nlt_f32_e64 s[4:5], s4, v13
	v_cndmask_b32_e64 v15, v15, v14, s[4:5]
	v_add_f32_e32 v40, v40, v15
.LBB765_303:
	s_or_b64 exec, exec, s[2:3]
.LBB765_304:
	s_or_b64 exec, exec, s[0:1]
	v_mov_b32_e32 v13, 0
	v_mov_b32_e32 v14, 0
	s_and_saveexec_b64 s[0:1], s[76:77]
	s_cbranch_execz .LBB765_308
; %bb.305:
	global_load_ubyte v14, v[2:3], off offset:896
	s_waitcnt vmcnt(0)
	v_and_b32_e32 v14, 1, v14
	v_cmp_eq_u32_e64 s[4:5], 1, v14
	s_xor_b64 s[4:5], s[4:5], -1
	v_mov_b32_e32 v14, 0
	s_and_saveexec_b64 s[2:3], s[4:5]
	s_cbranch_execz .LBB765_307
; %bb.306:
	v_sub_f32_e32 v12, v12, v46
	s_mov_b32 s4, 0x3fb8aa3b
	v_mul_f32_e32 v14, 0x3fb8aa3b, v12
	v_fma_f32 v38, v12, s4, -v14
	v_rndne_f32_e32 v47, v14
	v_fmac_f32_e32 v38, 0x32a5705f, v12
	v_sub_f32_e32 v14, v14, v47
	v_add_f32_e32 v14, v14, v38
	v_exp_f32_e32 v14, v14
	v_cvt_i32_f32_e32 v38, v47
	s_mov_b32 s4, 0xc2ce8ed0
	v_cmp_ngt_f32_e64 s[4:5], s4, v12
	v_ldexp_f32 v14, v14, v38
	v_cndmask_b32_e64 v14, 0, v14, s[4:5]
	s_mov_b32 s4, 0x42b17218
	v_mov_b32_e32 v38, 0x7f800000
	v_cmp_nlt_f32_e64 s[4:5], s4, v12
	v_cndmask_b32_e64 v14, v38, v14, s[4:5]
	v_add_f32_e32 v40, v40, v14
.LBB765_307:
	s_or_b64 exec, exec, s[2:3]
.LBB765_308:
	s_or_b64 exec, exec, s[0:1]
	s_and_saveexec_b64 s[0:1], s[72:73]
	s_cbranch_execz .LBB765_312
; %bb.309:
	global_load_ubyte v12, v[2:3], off offset:928
	v_mov_b32_e32 v13, 0
	s_waitcnt vmcnt(0)
	v_and_b32_e32 v12, 1, v12
	v_cmp_eq_u32_e64 s[4:5], 1, v12
	s_xor_b64 s[4:5], s[4:5], -1
	s_and_saveexec_b64 s[2:3], s[4:5]
	s_cbranch_execz .LBB765_311
; %bb.310:
	v_sub_f32_e32 v11, v11, v46
	s_mov_b32 s4, 0x3fb8aa3b
	v_mul_f32_e32 v12, 0x3fb8aa3b, v11
	v_fma_f32 v13, v11, s4, -v12
	v_rndne_f32_e32 v38, v12
	v_fmac_f32_e32 v13, 0x32a5705f, v11
	v_sub_f32_e32 v12, v12, v38
	v_add_f32_e32 v12, v12, v13
	v_exp_f32_e32 v12, v12
	v_cvt_i32_f32_e32 v13, v38
	s_mov_b32 s4, 0xc2ce8ed0
	v_cmp_ngt_f32_e64 s[4:5], s4, v11
	v_ldexp_f32 v12, v12, v13
	v_cndmask_b32_e64 v12, 0, v12, s[4:5]
	s_mov_b32 s4, 0x42b17218
	v_mov_b32_e32 v13, 0x7f800000
	v_cmp_nlt_f32_e64 s[4:5], s4, v11
	v_cndmask_b32_e64 v13, v13, v12, s[4:5]
	v_add_f32_e32 v40, v40, v13
.LBB765_311:
	s_or_b64 exec, exec, s[2:3]
.LBB765_312:
	s_or_b64 exec, exec, s[0:1]
	v_mov_b32_e32 v11, 0
	v_mov_b32_e32 v12, 0
	s_and_saveexec_b64 s[0:1], s[70:71]
	s_cbranch_execz .LBB765_316
; %bb.313:
	global_load_ubyte v12, v[2:3], off offset:960
	s_waitcnt vmcnt(0)
	v_and_b32_e32 v12, 1, v12
	v_cmp_eq_u32_e64 s[4:5], 1, v12
	s_xor_b64 s[4:5], s[4:5], -1
	v_mov_b32_e32 v12, 0
	s_and_saveexec_b64 s[2:3], s[4:5]
	s_cbranch_execz .LBB765_315
; %bb.314:
	v_sub_f32_e32 v10, v10, v46
	s_mov_b32 s4, 0x3fb8aa3b
	v_mul_f32_e32 v12, 0x3fb8aa3b, v10
	v_fma_f32 v38, v10, s4, -v12
	v_rndne_f32_e32 v47, v12
	v_fmac_f32_e32 v38, 0x32a5705f, v10
	v_sub_f32_e32 v12, v12, v47
	v_add_f32_e32 v12, v12, v38
	v_exp_f32_e32 v12, v12
	v_cvt_i32_f32_e32 v38, v47
	s_mov_b32 s4, 0xc2ce8ed0
	v_cmp_ngt_f32_e64 s[4:5], s4, v10
	v_ldexp_f32 v12, v12, v38
	v_cndmask_b32_e64 v12, 0, v12, s[4:5]
	s_mov_b32 s4, 0x42b17218
	v_mov_b32_e32 v38, 0x7f800000
	v_cmp_nlt_f32_e64 s[4:5], s4, v10
	v_cndmask_b32_e64 v12, v38, v12, s[4:5]
	v_add_f32_e32 v40, v40, v12
.LBB765_315:
	s_or_b64 exec, exec, s[2:3]
.LBB765_316:
	s_or_b64 exec, exec, s[0:1]
	s_and_saveexec_b64 s[0:1], s[64:65]
	s_cbranch_execz .LBB765_320
; %bb.317:
	global_load_ubyte v2, v[2:3], off offset:992
	v_mov_b32_e32 v11, 0
	s_waitcnt vmcnt(0)
	v_and_b32_e32 v2, 1, v2
	v_cmp_eq_u32_e64 s[4:5], 1, v2
	s_xor_b64 s[4:5], s[4:5], -1
	s_and_saveexec_b64 s[2:3], s[4:5]
	s_cbranch_execz .LBB765_319
; %bb.318:
	v_sub_f32_e32 v2, v9, v46
	s_mov_b32 s4, 0x3fb8aa3b
	v_mul_f32_e32 v3, 0x3fb8aa3b, v2
	v_fma_f32 v9, v2, s4, -v3
	v_rndne_f32_e32 v10, v3
	v_fmac_f32_e32 v9, 0x32a5705f, v2
	v_sub_f32_e32 v3, v3, v10
	v_add_f32_e32 v3, v3, v9
	v_exp_f32_e32 v3, v3
	v_cvt_i32_f32_e32 v9, v10
	s_mov_b32 s4, 0xc2ce8ed0
	v_cmp_ngt_f32_e64 s[4:5], s4, v2
	v_ldexp_f32 v3, v3, v9
	v_cndmask_b32_e64 v3, 0, v3, s[4:5]
	s_mov_b32 s4, 0x42b17218
	v_mov_b32_e32 v9, 0x7f800000
	v_cmp_nlt_f32_e64 s[4:5], s4, v2
	v_cndmask_b32_e64 v11, v9, v3, s[4:5]
	v_add_f32_e32 v40, v40, v11
.LBB765_319:
	s_or_b64 exec, exec, s[2:3]
.LBB765_320:
	s_or_b64 exec, exec, s[0:1]
	ds_bpermute_b32 v2, v6, v40
	v_cmp_lt_i32_e64 s[4:5], 0, v8
	s_waitcnt lgkmcnt(0)
	v_add_f32_e32 v2, v40, v2
	ds_bpermute_b32 v3, v41, v2
	s_waitcnt lgkmcnt(0)
	v_add_f32_e32 v2, v2, v3
	ds_bpermute_b32 v3, v42, v2
	s_waitcnt lgkmcnt(0)
	v_add_f32_e32 v2, v2, v3
	ds_bpermute_b32 v3, v43, v2
	s_waitcnt lgkmcnt(0)
	v_add_f32_e32 v2, v2, v3
	ds_bpermute_b32 v3, v45, v2
	s_and_saveexec_b64 s[0:1], s[4:5]
	s_cbranch_execz .LBB765_418
; %bb.321:
	s_and_b64 exec, exec, vcc
	s_cbranch_execz .LBB765_418
; %bb.322:
	s_waitcnt lgkmcnt(0)
	v_add_f32_e32 v2, v2, v3
	v_cmp_neq_f32_e64 s[64:65], 0, v2
	v_mov_b32_e32 v3, 0x7fc0
	s_and_saveexec_b64 s[0:1], s[64:65]
	s_cbranch_execz .LBB765_324
; %bb.323:
	v_div_scale_f32 v3, s[2:3], v2, v2, v44
	v_rcp_f32_e32 v6, v3
	v_div_scale_f32 v8, vcc, v44, v2, v44
	s_movk_i32 s2, 0x7fff
	v_fma_f32 v9, -v3, v6, 1.0
	v_fmac_f32_e32 v6, v9, v6
	v_mul_f32_e32 v9, v8, v6
	v_fma_f32 v10, -v3, v9, v8
	v_fmac_f32_e32 v9, v10, v6
	v_fma_f32 v3, -v3, v9, v8
	v_div_fmas_f32 v3, v3, v6, v9
	v_div_fixup_f32 v3, v3, v2, v44
	v_bfe_u32 v6, v3, 16, 1
	v_add3_u32 v6, v3, v6, s2
	v_lshrrev_b32_e32 v6, 16, v6
	v_mov_b32_e32 v8, 0x7fc0
	v_cmp_o_f32_e32 vcc, v3, v3
	v_cndmask_b32_e32 v3, v8, v6, vcc
.LBB765_324:
	s_or_b64 exec, exec, s[0:1]
	v_readlane_b32 s0, v48, 0
	v_readlane_b32 s1, v48, 1
	v_mov_b32_e32 v6, s1
	v_add_co_u32_e32 v0, vcc, s0, v0
	v_addc_co_u32_e32 v1, vcc, v6, v1, vcc
	v_readlane_b32 s2, v48, 2
	v_readlane_b32 s3, v48, 3
	global_store_short v[0:1], v3, off
	s_and_b64 exec, exec, s[62:63]
	s_cbranch_execz .LBB765_418
; %bb.325:
	v_mov_b32_e32 v3, 0x7fc0
	s_and_saveexec_b64 s[0:1], s[64:65]
	s_cbranch_execz .LBB765_327
; %bb.326:
	v_div_scale_f32 v3, s[2:3], v2, v2, v4
	v_rcp_f32_e32 v6, v3
	v_div_scale_f32 v8, vcc, v4, v2, v4
	s_movk_i32 s2, 0x7fff
	v_fma_f32 v9, -v3, v6, 1.0
	v_fmac_f32_e32 v6, v9, v6
	v_mul_f32_e32 v9, v8, v6
	v_fma_f32 v10, -v3, v9, v8
	v_fmac_f32_e32 v9, v10, v6
	v_fma_f32 v3, -v3, v9, v8
	v_div_fmas_f32 v3, v3, v6, v9
	v_div_fixup_f32 v3, v3, v2, v4
	v_bfe_u32 v4, v3, 16, 1
	v_add3_u32 v4, v3, v4, s2
	v_lshrrev_b32_e32 v4, 16, v4
	v_mov_b32_e32 v6, 0x7fc0
	v_cmp_o_f32_e32 vcc, v3, v3
	v_cndmask_b32_e32 v3, v6, v4, vcc
.LBB765_327:
	s_or_b64 exec, exec, s[0:1]
	global_store_short v[0:1], v3, off offset:64
	s_and_b64 exec, exec, s[60:61]
	s_cbranch_execz .LBB765_418
; %bb.328:
	v_mov_b32_e32 v3, 0x7fc0
	s_and_saveexec_b64 s[0:1], s[64:65]
	s_cbranch_execz .LBB765_330
; %bb.329:
	v_div_scale_f32 v3, s[2:3], v2, v2, v39
	v_rcp_f32_e32 v4, v3
	v_div_scale_f32 v6, vcc, v39, v2, v39
	s_movk_i32 s2, 0x7fff
	v_fma_f32 v8, -v3, v4, 1.0
	v_fmac_f32_e32 v4, v8, v4
	v_mul_f32_e32 v8, v6, v4
	v_fma_f32 v9, -v3, v8, v6
	v_fmac_f32_e32 v8, v9, v4
	v_fma_f32 v3, -v3, v8, v6
	v_div_fmas_f32 v3, v3, v4, v8
	v_div_fixup_f32 v3, v3, v2, v39
	v_bfe_u32 v4, v3, 16, 1
	v_add3_u32 v4, v3, v4, s2
	v_lshrrev_b32_e32 v4, 16, v4
	v_mov_b32_e32 v6, 0x7fc0
	v_cmp_o_f32_e32 vcc, v3, v3
	v_cndmask_b32_e32 v3, v6, v4, vcc
.LBB765_330:
	s_or_b64 exec, exec, s[0:1]
	global_store_short v[0:1], v3, off offset:128
	;; [unrolled: 28-line block ×9, first 2 shown]
	s_and_b64 exec, exec, s[44:45]
	s_cbranch_execz .LBB765_418
; %bb.352:
	v_mov_b32_e32 v3, 0x7fc0
	s_and_saveexec_b64 s[0:1], s[64:65]
	s_cbranch_execz .LBB765_354
; %bb.353:
	v_div_scale_f32 v3, s[2:3], v2, v2, v32
	v_rcp_f32_e32 v4, v3
	v_div_scale_f32 v5, vcc, v32, v2, v32
	s_movk_i32 s2, 0x7fff
	v_fma_f32 v6, -v3, v4, 1.0
	v_fmac_f32_e32 v4, v6, v4
	v_mul_f32_e32 v6, v5, v4
	v_fma_f32 v7, -v3, v6, v5
	v_fmac_f32_e32 v6, v7, v4
	v_fma_f32 v3, -v3, v6, v5
	v_div_fmas_f32 v3, v3, v4, v6
	v_div_fixup_f32 v3, v3, v2, v32
	v_bfe_u32 v4, v3, 16, 1
	v_add3_u32 v4, v3, v4, s2
	v_lshrrev_b32_e32 v4, 16, v4
	v_mov_b32_e32 v5, 0x7fc0
	v_cmp_o_f32_e32 vcc, v3, v3
	v_cndmask_b32_e32 v3, v5, v4, vcc
.LBB765_354:
	s_or_b64 exec, exec, s[0:1]
	v_readlane_b32 s0, v48, 4
	v_readlane_b32 s1, v48, 5
	global_store_short v[0:1], v3, off offset:640
	s_and_b64 exec, exec, s[0:1]
	s_cbranch_execz .LBB765_418
; %bb.355:
	v_mov_b32_e32 v3, 0x7fc0
	s_and_saveexec_b64 s[0:1], s[64:65]
	s_cbranch_execz .LBB765_357
; %bb.356:
	v_div_scale_f32 v3, s[2:3], v2, v2, v31
	v_rcp_f32_e32 v4, v3
	v_div_scale_f32 v5, vcc, v31, v2, v31
	s_movk_i32 s2, 0x7fff
	v_fma_f32 v6, -v3, v4, 1.0
	v_fmac_f32_e32 v4, v6, v4
	v_mul_f32_e32 v6, v5, v4
	v_fma_f32 v7, -v3, v6, v5
	v_fmac_f32_e32 v6, v7, v4
	v_fma_f32 v3, -v3, v6, v5
	v_div_fmas_f32 v3, v3, v4, v6
	v_div_fixup_f32 v3, v3, v2, v31
	v_bfe_u32 v4, v3, 16, 1
	v_add3_u32 v4, v3, v4, s2
	v_lshrrev_b32_e32 v4, 16, v4
	v_mov_b32_e32 v5, 0x7fc0
	v_cmp_o_f32_e32 vcc, v3, v3
	v_cndmask_b32_e32 v3, v5, v4, vcc
.LBB765_357:
	s_or_b64 exec, exec, s[0:1]
	v_readlane_b32 s0, v48, 6
	v_readlane_b32 s1, v48, 7
	global_store_short v[0:1], v3, off offset:704
	;; [unrolled: 30-line block ×21, first 2 shown]
	s_and_b64 exec, exec, s[0:1]
	s_cbranch_execz .LBB765_418
; %bb.415:
	v_mov_b32_e32 v3, 0x7fc0
	s_and_saveexec_b64 s[0:1], s[64:65]
	s_cbranch_execz .LBB765_417
; %bb.416:
	v_div_scale_f32 v3, s[2:3], v2, v2, v11
	v_rcp_f32_e32 v4, v3
	v_div_scale_f32 v5, vcc, v11, v2, v11
	s_movk_i32 s2, 0x7fff
	v_fma_f32 v6, -v3, v4, 1.0
	v_fmac_f32_e32 v4, v6, v4
	v_mul_f32_e32 v6, v5, v4
	v_fma_f32 v7, -v3, v6, v5
	v_fmac_f32_e32 v6, v7, v4
	v_fma_f32 v3, -v3, v6, v5
	v_div_fmas_f32 v3, v3, v4, v6
	v_div_fixup_f32 v2, v3, v2, v11
	v_bfe_u32 v3, v2, 16, 1
	v_add3_u32 v3, v2, v3, s2
	v_lshrrev_b32_e32 v3, 16, v3
	v_mov_b32_e32 v4, 0x7fc0
	v_cmp_o_f32_e32 vcc, v2, v2
	v_cndmask_b32_e32 v3, v4, v3, vcc
.LBB765_417:
	s_or_b64 exec, exec, s[0:1]
	global_store_short v[0:1], v3, off offset:1984
.LBB765_418:
	s_endpgm
	.section	.rodata,"a",@progbits
	.p2align	6, 0x0
	.amdhsa_kernel _ZN12_GLOBAL__N_120softmax_warp_forwardIN3c108BFloat16ES2_fLi10ELb0ELb1ELi32EEEvPT0_PKT_iiiPKbib
		.amdhsa_group_segment_fixed_size 0
		.amdhsa_private_segment_fixed_size 0
		.amdhsa_kernarg_size 304
		.amdhsa_user_sgpr_count 6
		.amdhsa_user_sgpr_private_segment_buffer 1
		.amdhsa_user_sgpr_dispatch_ptr 0
		.amdhsa_user_sgpr_queue_ptr 0
		.amdhsa_user_sgpr_kernarg_segment_ptr 1
		.amdhsa_user_sgpr_dispatch_id 0
		.amdhsa_user_sgpr_flat_scratch_init 0
		.amdhsa_user_sgpr_kernarg_preload_length 0
		.amdhsa_user_sgpr_kernarg_preload_offset 0
		.amdhsa_user_sgpr_private_segment_size 0
		.amdhsa_uses_dynamic_stack 0
		.amdhsa_system_sgpr_private_segment_wavefront_offset 0
		.amdhsa_system_sgpr_workgroup_id_x 1
		.amdhsa_system_sgpr_workgroup_id_y 0
		.amdhsa_system_sgpr_workgroup_id_z 0
		.amdhsa_system_sgpr_workgroup_info 0
		.amdhsa_system_vgpr_workitem_id 1
		.amdhsa_next_free_vgpr 49
		.amdhsa_next_free_sgpr 96
		.amdhsa_accum_offset 52
		.amdhsa_reserve_vcc 1
		.amdhsa_reserve_flat_scratch 0
		.amdhsa_float_round_mode_32 0
		.amdhsa_float_round_mode_16_64 0
		.amdhsa_float_denorm_mode_32 3
		.amdhsa_float_denorm_mode_16_64 3
		.amdhsa_dx10_clamp 1
		.amdhsa_ieee_mode 1
		.amdhsa_fp16_overflow 0
		.amdhsa_tg_split 0
		.amdhsa_exception_fp_ieee_invalid_op 0
		.amdhsa_exception_fp_denorm_src 0
		.amdhsa_exception_fp_ieee_div_zero 0
		.amdhsa_exception_fp_ieee_overflow 0
		.amdhsa_exception_fp_ieee_underflow 0
		.amdhsa_exception_fp_ieee_inexact 0
		.amdhsa_exception_int_div_zero 0
	.end_amdhsa_kernel
	.section	.text._ZN12_GLOBAL__N_120softmax_warp_forwardIN3c108BFloat16ES2_fLi10ELb0ELb1ELi32EEEvPT0_PKT_iiiPKbib,"axG",@progbits,_ZN12_GLOBAL__N_120softmax_warp_forwardIN3c108BFloat16ES2_fLi10ELb0ELb1ELi32EEEvPT0_PKT_iiiPKbib,comdat
.Lfunc_end765:
	.size	_ZN12_GLOBAL__N_120softmax_warp_forwardIN3c108BFloat16ES2_fLi10ELb0ELb1ELi32EEEvPT0_PKT_iiiPKbib, .Lfunc_end765-_ZN12_GLOBAL__N_120softmax_warp_forwardIN3c108BFloat16ES2_fLi10ELb0ELb1ELi32EEEvPT0_PKT_iiiPKbib
                                        ; -- End function
	.section	.AMDGPU.csdata,"",@progbits
; Kernel info:
; codeLenInByte = 17024
; NumSgprs: 100
; NumVgprs: 49
; NumAgprs: 0
; TotalNumVgprs: 49
; ScratchSize: 0
; MemoryBound: 0
; FloatMode: 240
; IeeeMode: 1
; LDSByteSize: 0 bytes/workgroup (compile time only)
; SGPRBlocks: 12
; VGPRBlocks: 6
; NumSGPRsForWavesPerEU: 100
; NumVGPRsForWavesPerEU: 49
; AccumOffset: 52
; Occupancy: 8
; WaveLimiterHint : 0
; COMPUTE_PGM_RSRC2:SCRATCH_EN: 0
; COMPUTE_PGM_RSRC2:USER_SGPR: 6
; COMPUTE_PGM_RSRC2:TRAP_HANDLER: 0
; COMPUTE_PGM_RSRC2:TGID_X_EN: 1
; COMPUTE_PGM_RSRC2:TGID_Y_EN: 0
; COMPUTE_PGM_RSRC2:TGID_Z_EN: 0
; COMPUTE_PGM_RSRC2:TIDIG_COMP_CNT: 1
; COMPUTE_PGM_RSRC3_GFX90A:ACCUM_OFFSET: 12
; COMPUTE_PGM_RSRC3_GFX90A:TG_SPLIT: 0
	.section	.text._ZN12_GLOBAL__N_120softmax_warp_forwardIN3c108BFloat16ES2_fLi11ELb0ELb1ELi64EEEvPT0_PKT_iiiPKbib,"axG",@progbits,_ZN12_GLOBAL__N_120softmax_warp_forwardIN3c108BFloat16ES2_fLi11ELb0ELb1ELi64EEEvPT0_PKT_iiiPKbib,comdat
	.globl	_ZN12_GLOBAL__N_120softmax_warp_forwardIN3c108BFloat16ES2_fLi11ELb0ELb1ELi64EEEvPT0_PKT_iiiPKbib ; -- Begin function _ZN12_GLOBAL__N_120softmax_warp_forwardIN3c108BFloat16ES2_fLi11ELb0ELb1ELi64EEEvPT0_PKT_iiiPKbib
	.p2align	8
	.type	_ZN12_GLOBAL__N_120softmax_warp_forwardIN3c108BFloat16ES2_fLi11ELb0ELb1ELi64EEEvPT0_PKT_iiiPKbib,@function
_ZN12_GLOBAL__N_120softmax_warp_forwardIN3c108BFloat16ES2_fLi11ELb0ELb1ELi64EEEvPT0_PKT_iiiPKbib: ; @_ZN12_GLOBAL__N_120softmax_warp_forwardIN3c108BFloat16ES2_fLi11ELb0ELb1ELi64EEEvPT0_PKT_iiiPKbib
; %bb.0:
	s_load_dword s2, s[4:5], 0x3c
	s_load_dwordx4 s[72:75], s[4:5], 0x10
	s_load_dwordx2 s[0:1], s[4:5], 0x28
	v_bfe_u32 v1, v0, 10, 10
	v_and_b32_e32 v2, 0x3ff, v0
	s_waitcnt lgkmcnt(0)
	s_lshr_b32 s2, s2, 16
	s_mul_i32 s6, s6, s2
	v_add_u32_e32 v3, s6, v1
	v_mul_lo_u32 v6, v3, s73
	v_add_u32_e32 v0, v6, v2
	v_ashrrev_i32_e32 v1, 31, v0
	s_bitcmp0_b32 s1, 0
	v_pk_mov_b32 v[4:5], v[0:1], v[0:1] op_sel:[0,1]
	s_cbranch_scc1 .LBB766_2
; %bb.1:
	s_abs_i32 s1, s0
	v_cvt_f32_u32_e32 v4, s1
	v_xor_b32_e32 v5, s0, v6
	v_sub_u32_e32 v7, 0, v6
	s_sub_i32 s0, 0, s1
	v_rcp_iflag_f32_e32 v4, v4
	v_max_i32_e32 v6, v6, v7
	v_ashrrev_i32_e32 v5, 31, v5
	v_mul_f32_e32 v4, 0x4f7ffffe, v4
	v_cvt_u32_f32_e32 v4, v4
	v_mul_lo_u32 v7, s0, v4
	v_mul_hi_u32 v7, v4, v7
	v_add_u32_e32 v4, v4, v7
	v_mul_hi_u32 v4, v6, v4
	v_mul_lo_u32 v7, v4, s1
	v_sub_u32_e32 v6, v6, v7
	v_add_u32_e32 v8, 1, v4
	v_cmp_le_u32_e32 vcc, s1, v6
	v_subrev_u32_e32 v7, s1, v6
	v_cndmask_b32_e32 v4, v4, v8, vcc
	v_cndmask_b32_e32 v6, v6, v7, vcc
	v_add_u32_e32 v7, 1, v4
	v_cmp_le_u32_e32 vcc, s1, v6
	v_cndmask_b32_e32 v4, v4, v7, vcc
	v_xor_b32_e32 v4, v4, v5
	v_sub_u32_e32 v4, v4, v5
	v_mad_u64_u32 v[4:5], s[0:1], v4, s73, v[2:3]
	v_ashrrev_i32_e32 v5, 31, v4
.LBB766_2:
	s_load_dwordx4 s[0:3], s[4:5], 0x0
	v_lshlrev_b64 v[0:1], 1, v[0:1]
                                        ; implicit-def: $vgpr49 : SGPR spill to VGPR lane
	v_sub_u32_e32 v8, s72, v3
	v_cmp_lt_i32_e64 s[64:65], 0, v8
	v_mov_b32_e32 v39, 0xff800000
	s_waitcnt lgkmcnt(0)
	v_mov_b32_e32 v3, s3
	v_writelane_b32 v49, s0, 0
	v_add_co_u32_e32 v6, vcc, s2, v0
	v_addc_co_u32_e32 v7, vcc, v3, v1, vcc
	v_writelane_b32 v49, s1, 1
	v_cmp_gt_i32_e32 vcc, s74, v2
	v_writelane_b32 v49, s2, 2
	s_and_b64 s[36:37], s[64:65], vcc
	v_mov_b32_e32 v40, 0xff800000
	v_writelane_b32 v49, s3, 3
	s_and_saveexec_b64 s[0:1], s[36:37]
	s_cbranch_execz .LBB766_4
; %bb.3:
	global_load_ushort v3, v[6:7], off
	s_waitcnt vmcnt(0)
	v_lshlrev_b32_e32 v40, 16, v3
.LBB766_4:
	s_or_b64 exec, exec, s[0:1]
	v_add_u32_e32 v3, 64, v2
	v_cmp_gt_i32_e64 s[62:63], s74, v3
	s_and_b64 s[34:35], s[64:65], s[62:63]
	s_and_saveexec_b64 s[0:1], s[34:35]
	s_cbranch_execz .LBB766_6
; %bb.5:
	global_load_ushort v3, v[6:7], off offset:128
	s_waitcnt vmcnt(0)
	v_lshlrev_b32_e32 v39, 16, v3
.LBB766_6:
	s_or_b64 exec, exec, s[0:1]
	v_add_u32_e32 v3, 0x80, v2
	v_cmp_gt_i32_e64 s[60:61], s74, v3
	s_and_b64 s[30:31], s[64:65], s[60:61]
	v_mov_b32_e32 v37, 0xff800000
	v_mov_b32_e32 v38, 0xff800000
	s_and_saveexec_b64 s[0:1], s[30:31]
	s_cbranch_execz .LBB766_8
; %bb.7:
	global_load_ushort v3, v[6:7], off offset:256
	s_waitcnt vmcnt(0)
	v_lshlrev_b32_e32 v38, 16, v3
.LBB766_8:
	s_or_b64 exec, exec, s[0:1]
	v_add_u32_e32 v3, 0xc0, v2
	v_cmp_gt_i32_e64 s[58:59], s74, v3
	s_and_b64 s[28:29], s[64:65], s[58:59]
	s_and_saveexec_b64 s[0:1], s[28:29]
	s_cbranch_execz .LBB766_10
; %bb.9:
	global_load_ushort v3, v[6:7], off offset:384
	s_waitcnt vmcnt(0)
	v_lshlrev_b32_e32 v37, 16, v3
.LBB766_10:
	s_or_b64 exec, exec, s[0:1]
	v_add_u32_e32 v3, 0x100, v2
	v_cmp_gt_i32_e64 s[56:57], s74, v3
	s_and_b64 s[26:27], s[64:65], s[56:57]
	v_mov_b32_e32 v35, 0xff800000
	v_mov_b32_e32 v36, 0xff800000
	s_and_saveexec_b64 s[0:1], s[26:27]
	s_cbranch_execz .LBB766_12
; %bb.11:
	global_load_ushort v3, v[6:7], off offset:512
	s_waitcnt vmcnt(0)
	v_lshlrev_b32_e32 v36, 16, v3
.LBB766_12:
	;; [unrolled: 24-line block ×5, first 2 shown]
	s_or_b64 exec, exec, s[0:1]
	v_add_u32_e32 v3, 0x2c0, v2
	v_cmp_gt_i32_e64 s[0:1], s74, v3
	v_writelane_b32 v49, s0, 4
	s_and_b64 s[14:15], s[64:65], s[0:1]
	v_writelane_b32 v49, s1, 5
	s_and_saveexec_b64 s[0:1], s[14:15]
	s_cbranch_execz .LBB766_26
; %bb.25:
	global_load_ushort v3, v[6:7], off offset:1408
	s_waitcnt vmcnt(0)
	v_lshlrev_b32_e32 v29, 16, v3
.LBB766_26:
	s_or_b64 exec, exec, s[0:1]
	v_add_u32_e32 v3, 0x300, v2
	v_cmp_gt_i32_e64 s[0:1], s74, v3
	v_writelane_b32 v49, s0, 6
	s_and_b64 s[12:13], s[64:65], s[0:1]
	v_mov_b32_e32 v27, 0xff800000
	v_mov_b32_e32 v28, 0xff800000
	v_writelane_b32 v49, s1, 7
	s_and_saveexec_b64 s[0:1], s[12:13]
	s_cbranch_execz .LBB766_28
; %bb.27:
	global_load_ushort v3, v[6:7], off offset:1536
	s_waitcnt vmcnt(0)
	v_lshlrev_b32_e32 v28, 16, v3
.LBB766_28:
	s_or_b64 exec, exec, s[0:1]
	v_add_u32_e32 v3, 0x340, v2
	v_cmp_gt_i32_e64 s[0:1], s74, v3
	v_writelane_b32 v49, s0, 8
	s_and_b64 s[10:11], s[64:65], s[0:1]
	v_writelane_b32 v49, s1, 9
	s_and_saveexec_b64 s[0:1], s[10:11]
	s_cbranch_execz .LBB766_30
; %bb.29:
	global_load_ushort v3, v[6:7], off offset:1664
	s_waitcnt vmcnt(0)
	v_lshlrev_b32_e32 v27, 16, v3
.LBB766_30:
	s_or_b64 exec, exec, s[0:1]
	v_add_u32_e32 v3, 0x380, v2
	v_cmp_gt_i32_e64 s[0:1], s74, v3
	v_writelane_b32 v49, s0, 10
	s_and_b64 s[8:9], s[64:65], s[0:1]
	v_mov_b32_e32 v25, 0xff800000
	v_mov_b32_e32 v26, 0xff800000
	v_writelane_b32 v49, s1, 11
	s_and_saveexec_b64 s[0:1], s[8:9]
	s_cbranch_execz .LBB766_32
; %bb.31:
	global_load_ushort v3, v[6:7], off offset:1792
	s_waitcnt vmcnt(0)
	v_lshlrev_b32_e32 v26, 16, v3
.LBB766_32:
	s_or_b64 exec, exec, s[0:1]
	v_add_u32_e32 v3, 0x3c0, v2
	v_cmp_gt_i32_e64 s[0:1], s74, v3
	v_writelane_b32 v49, s0, 12
	s_and_b64 s[6:7], s[64:65], s[0:1]
	v_writelane_b32 v49, s1, 13
	s_and_saveexec_b64 s[0:1], s[6:7]
	s_cbranch_execz .LBB766_34
; %bb.33:
	global_load_ushort v3, v[6:7], off offset:1920
	s_waitcnt vmcnt(0)
	v_lshlrev_b32_e32 v25, 16, v3
.LBB766_34:
	s_or_b64 exec, exec, s[0:1]
	v_or_b32_e32 v3, 0x400, v2
	v_cmp_gt_i32_e64 s[0:1], s74, v3
	v_writelane_b32 v49, s0, 14
	s_and_b64 s[66:67], s[64:65], s[0:1]
	v_mov_b32_e32 v23, 0xff800000
	v_mov_b32_e32 v24, 0xff800000
	v_writelane_b32 v49, s1, 15
	s_and_saveexec_b64 s[0:1], s[66:67]
	s_cbranch_execz .LBB766_36
; %bb.35:
	global_load_ushort v3, v[6:7], off offset:2048
	s_waitcnt vmcnt(0)
	v_lshlrev_b32_e32 v24, 16, v3
.LBB766_36:
	s_or_b64 exec, exec, s[0:1]
	v_add_u32_e32 v3, 0x440, v2
	v_cmp_gt_i32_e64 s[0:1], s74, v3
	v_writelane_b32 v49, s0, 16
	s_and_b64 s[2:3], s[64:65], s[0:1]
	v_writelane_b32 v49, s1, 17
	s_and_saveexec_b64 s[0:1], s[2:3]
	s_cbranch_execz .LBB766_38
; %bb.37:
	global_load_ushort v3, v[6:7], off offset:2176
	s_waitcnt vmcnt(0)
	v_lshlrev_b32_e32 v23, 16, v3
.LBB766_38:
	s_or_b64 exec, exec, s[0:1]
	v_add_u32_e32 v3, 0x480, v2
	v_cmp_gt_i32_e64 s[0:1], s74, v3
	v_writelane_b32 v49, s0, 18
	v_writelane_b32 v49, s1, 19
	s_and_b64 s[0:1], s[64:65], s[0:1]
	v_mov_b32_e32 v21, 0xff800000
	v_mov_b32_e32 v22, 0xff800000
	s_and_saveexec_b64 s[38:39], s[0:1]
	s_cbranch_execz .LBB766_40
; %bb.39:
	global_load_ushort v3, v[6:7], off offset:2304
	s_waitcnt vmcnt(0)
	v_lshlrev_b32_e32 v22, 16, v3
.LBB766_40:
	s_or_b64 exec, exec, s[38:39]
	v_add_u32_e32 v3, 0x4c0, v2
	v_cmp_gt_i32_e64 s[38:39], s74, v3
	v_writelane_b32 v49, s38, 20
	s_and_b64 s[94:95], s[64:65], s[38:39]
	v_writelane_b32 v49, s39, 21
	s_and_saveexec_b64 s[38:39], s[94:95]
	s_cbranch_execz .LBB766_42
; %bb.41:
	global_load_ushort v3, v[6:7], off offset:2432
	s_waitcnt vmcnt(0)
	v_lshlrev_b32_e32 v21, 16, v3
.LBB766_42:
	s_or_b64 exec, exec, s[38:39]
	v_add_u32_e32 v3, 0x500, v2
	v_cmp_gt_i32_e64 s[38:39], s74, v3
	v_writelane_b32 v49, s38, 22
	s_and_b64 s[92:93], s[64:65], s[38:39]
	v_mov_b32_e32 v19, 0xff800000
	v_mov_b32_e32 v20, 0xff800000
	v_writelane_b32 v49, s39, 23
	s_and_saveexec_b64 s[38:39], s[92:93]
	s_cbranch_execz .LBB766_44
; %bb.43:
	global_load_ushort v3, v[6:7], off offset:2560
	s_waitcnt vmcnt(0)
	v_lshlrev_b32_e32 v20, 16, v3
.LBB766_44:
	s_or_b64 exec, exec, s[38:39]
	v_add_u32_e32 v3, 0x540, v2
	v_cmp_gt_i32_e64 s[38:39], s74, v3
	v_writelane_b32 v49, s38, 24
	s_and_b64 s[90:91], s[64:65], s[38:39]
	v_writelane_b32 v49, s39, 25
	s_and_saveexec_b64 s[38:39], s[90:91]
	s_cbranch_execz .LBB766_46
; %bb.45:
	global_load_ushort v3, v[6:7], off offset:2688
	s_waitcnt vmcnt(0)
	v_lshlrev_b32_e32 v19, 16, v3
.LBB766_46:
	s_or_b64 exec, exec, s[38:39]
	v_add_u32_e32 v3, 0x580, v2
	v_cmp_gt_i32_e64 s[38:39], s74, v3
	v_writelane_b32 v49, s38, 26
	s_and_b64 s[88:89], s[64:65], s[38:39]
	v_mov_b32_e32 v17, 0xff800000
	v_mov_b32_e32 v18, 0xff800000
	v_writelane_b32 v49, s39, 27
	;; [unrolled: 28-line block ×6, first 2 shown]
	s_and_saveexec_b64 s[38:39], s[70:71]
	s_cbranch_execz .LBB766_64
; %bb.63:
	global_load_ushort v3, v[6:7], off offset:3840
	s_waitcnt vmcnt(0)
	v_lshlrev_b32_e32 v10, 16, v3
.LBB766_64:
	s_or_b64 exec, exec, s[38:39]
	v_add_u32_e32 v2, 0x7c0, v2
	v_cmp_gt_i32_e64 s[38:39], s74, v2
	v_writelane_b32 v49, s38, 44
	s_and_b64 s[64:65], s[64:65], s[38:39]
	v_writelane_b32 v49, s39, 45
	s_and_saveexec_b64 s[38:39], s[64:65]
	s_cbranch_execz .LBB766_66
; %bb.65:
	global_load_ushort v2, v[6:7], off offset:3968
	s_waitcnt vmcnt(0)
	v_lshlrev_b32_e32 v9, 16, v2
.LBB766_66:
	s_or_b64 exec, exec, s[38:39]
	s_load_dwordx2 s[4:5], s[4:5], 0x20
	s_mov_b64 s[74:75], 0
	s_waitcnt lgkmcnt(0)
	v_mov_b32_e32 v3, s5
	v_add_co_u32_e64 v2, s[4:5], s4, v4
	v_addc_co_u32_e64 v3, s[4:5], v3, v5, s[4:5]
	s_and_saveexec_b64 s[38:39], s[36:37]
	s_cbranch_execnz .LBB766_98
; %bb.67:
	s_or_b64 exec, exec, s[38:39]
	v_mov_b32_e32 v4, v40
	s_and_saveexec_b64 s[38:39], s[34:35]
	s_cbranch_execnz .LBB766_99
.LBB766_68:
	s_or_b64 exec, exec, s[38:39]
	s_and_saveexec_b64 s[38:39], s[30:31]
	s_cbranch_execnz .LBB766_102
.LBB766_69:
	s_or_b64 exec, exec, s[38:39]
	s_and_saveexec_b64 s[38:39], s[28:29]
	s_cbranch_execnz .LBB766_105
.LBB766_70:
	s_or_b64 exec, exec, s[38:39]
	s_and_saveexec_b64 s[38:39], s[26:27]
	s_cbranch_execnz .LBB766_108
.LBB766_71:
	s_or_b64 exec, exec, s[38:39]
	s_and_saveexec_b64 s[38:39], s[24:25]
	s_cbranch_execnz .LBB766_111
.LBB766_72:
	s_or_b64 exec, exec, s[38:39]
	s_and_saveexec_b64 s[38:39], s[22:23]
	s_cbranch_execnz .LBB766_114
.LBB766_73:
	s_or_b64 exec, exec, s[38:39]
	s_and_saveexec_b64 s[38:39], s[68:69]
	s_cbranch_execnz .LBB766_117
.LBB766_74:
	s_or_b64 exec, exec, s[38:39]
	s_and_saveexec_b64 s[38:39], s[20:21]
	s_cbranch_execnz .LBB766_120
.LBB766_75:
	s_or_b64 exec, exec, s[38:39]
	s_and_saveexec_b64 s[38:39], s[18:19]
	s_cbranch_execnz .LBB766_123
.LBB766_76:
	s_or_b64 exec, exec, s[38:39]
	s_and_saveexec_b64 s[38:39], s[16:17]
	s_cbranch_execnz .LBB766_126
.LBB766_77:
	s_or_b64 exec, exec, s[38:39]
	s_and_saveexec_b64 s[38:39], s[14:15]
	s_cbranch_execnz .LBB766_129
.LBB766_78:
	s_or_b64 exec, exec, s[38:39]
	s_and_saveexec_b64 s[38:39], s[12:13]
	s_cbranch_execnz .LBB766_132
.LBB766_79:
	s_or_b64 exec, exec, s[38:39]
	s_and_saveexec_b64 s[38:39], s[10:11]
	s_cbranch_execnz .LBB766_135
.LBB766_80:
	s_or_b64 exec, exec, s[38:39]
	s_and_saveexec_b64 s[38:39], s[8:9]
	s_cbranch_execnz .LBB766_138
.LBB766_81:
	s_or_b64 exec, exec, s[38:39]
	s_and_saveexec_b64 s[38:39], s[6:7]
	s_cbranch_execnz .LBB766_141
.LBB766_82:
	s_or_b64 exec, exec, s[38:39]
	s_and_saveexec_b64 s[38:39], s[66:67]
	s_cbranch_execnz .LBB766_144
.LBB766_83:
	s_or_b64 exec, exec, s[38:39]
	s_and_saveexec_b64 s[38:39], s[2:3]
	s_cbranch_execnz .LBB766_147
.LBB766_84:
	s_or_b64 exec, exec, s[38:39]
	s_and_saveexec_b64 s[38:39], s[0:1]
	s_cbranch_execnz .LBB766_150
.LBB766_85:
	s_or_b64 exec, exec, s[38:39]
	s_and_saveexec_b64 s[38:39], s[94:95]
	s_cbranch_execnz .LBB766_153
.LBB766_86:
	s_or_b64 exec, exec, s[38:39]
	s_and_saveexec_b64 s[38:39], s[92:93]
	s_cbranch_execnz .LBB766_156
.LBB766_87:
	s_or_b64 exec, exec, s[38:39]
	s_and_saveexec_b64 s[38:39], s[90:91]
	s_cbranch_execnz .LBB766_159
.LBB766_88:
	s_or_b64 exec, exec, s[38:39]
	s_and_saveexec_b64 s[38:39], s[88:89]
	s_cbranch_execnz .LBB766_162
.LBB766_89:
	s_or_b64 exec, exec, s[38:39]
	s_and_saveexec_b64 s[38:39], s[86:87]
	s_cbranch_execnz .LBB766_165
.LBB766_90:
	s_or_b64 exec, exec, s[38:39]
	s_and_saveexec_b64 s[38:39], s[84:85]
	s_cbranch_execnz .LBB766_168
.LBB766_91:
	s_or_b64 exec, exec, s[38:39]
	s_and_saveexec_b64 s[38:39], s[82:83]
	s_cbranch_execnz .LBB766_171
.LBB766_92:
	s_or_b64 exec, exec, s[38:39]
	s_and_saveexec_b64 s[38:39], s[80:81]
	s_cbranch_execnz .LBB766_174
.LBB766_93:
	s_or_b64 exec, exec, s[38:39]
	s_and_saveexec_b64 s[38:39], s[78:79]
	s_cbranch_execnz .LBB766_177
.LBB766_94:
	s_or_b64 exec, exec, s[38:39]
	s_and_saveexec_b64 s[38:39], s[76:77]
	s_cbranch_execnz .LBB766_180
.LBB766_95:
	s_or_b64 exec, exec, s[38:39]
	s_and_saveexec_b64 s[38:39], s[72:73]
	s_cbranch_execnz .LBB766_183
.LBB766_96:
	s_or_b64 exec, exec, s[38:39]
	s_and_saveexec_b64 s[38:39], s[70:71]
	s_cbranch_execnz .LBB766_186
.LBB766_97:
	s_or_b64 exec, exec, s[38:39]
	s_and_saveexec_b64 s[38:39], s[64:65]
	s_cbranch_execnz .LBB766_189
	s_branch .LBB766_192
.LBB766_98:
	global_load_ubyte v4, v[2:3], off
	s_waitcnt vmcnt(0)
	v_and_b32_e32 v4, 1, v4
	v_cmp_eq_u32_e64 s[4:5], 1, v4
	s_xor_b64 s[4:5], s[4:5], -1
	s_and_b64 s[74:75], s[4:5], exec
	s_or_b64 exec, exec, s[38:39]
	v_mov_b32_e32 v4, v40
	s_and_saveexec_b64 s[38:39], s[34:35]
	s_cbranch_execz .LBB766_68
.LBB766_99:
	global_load_ubyte v4, v[2:3], off offset:64
	s_mov_b64 s[40:41], s[74:75]
	s_waitcnt vmcnt(0)
	v_and_b32_e32 v4, 1, v4
	v_cmp_eq_u32_e64 s[4:5], 1, v4
	s_xor_b64 s[4:5], s[4:5], -1
	v_mov_b32_e32 v4, v40
	s_and_saveexec_b64 s[42:43], s[4:5]
; %bb.100:
	v_cmp_gt_f32_e64 s[4:5], v40, v39
	s_and_b64 s[4:5], s[74:75], s[4:5]
	v_cndmask_b32_e64 v4, v39, v40, s[4:5]
	s_or_b64 s[40:41], s[74:75], exec
; %bb.101:
	s_or_b64 exec, exec, s[42:43]
	s_andn2_b64 s[4:5], s[74:75], exec
	s_and_b64 s[40:41], s[40:41], exec
	s_or_b64 s[74:75], s[4:5], s[40:41]
	s_or_b64 exec, exec, s[38:39]
	s_and_saveexec_b64 s[38:39], s[30:31]
	s_cbranch_execz .LBB766_69
.LBB766_102:
	global_load_ubyte v5, v[2:3], off offset:128
	s_waitcnt vmcnt(0)
	v_and_b32_e32 v5, 1, v5
	v_cmp_eq_u32_e64 s[4:5], 1, v5
	s_xor_b64 s[42:43], s[4:5], -1
	s_mov_b64 s[4:5], s[74:75]
	s_and_saveexec_b64 s[40:41], s[42:43]
; %bb.103:
	v_cmp_gt_f32_e64 s[4:5], v4, v38
	s_and_b64 s[4:5], s[74:75], s[4:5]
	v_cndmask_b32_e64 v4, v38, v4, s[4:5]
	s_or_b64 s[4:5], s[74:75], exec
; %bb.104:
	s_or_b64 exec, exec, s[40:41]
	s_andn2_b64 s[40:41], s[74:75], exec
	s_and_b64 s[4:5], s[4:5], exec
	s_or_b64 s[74:75], s[40:41], s[4:5]
	s_or_b64 exec, exec, s[38:39]
	s_and_saveexec_b64 s[38:39], s[28:29]
	s_cbranch_execz .LBB766_70
.LBB766_105:
	global_load_ubyte v5, v[2:3], off offset:192
	s_waitcnt vmcnt(0)
	v_and_b32_e32 v5, 1, v5
	v_cmp_eq_u32_e64 s[4:5], 1, v5
	s_xor_b64 s[42:43], s[4:5], -1
	s_mov_b64 s[4:5], s[74:75]
	s_and_saveexec_b64 s[40:41], s[42:43]
; %bb.106:
	v_cmp_gt_f32_e64 s[4:5], v4, v37
	s_and_b64 s[4:5], s[74:75], s[4:5]
	v_cndmask_b32_e64 v4, v37, v4, s[4:5]
	s_or_b64 s[4:5], s[74:75], exec
; %bb.107:
	s_or_b64 exec, exec, s[40:41]
	s_andn2_b64 s[40:41], s[74:75], exec
	s_and_b64 s[4:5], s[4:5], exec
	s_or_b64 s[74:75], s[40:41], s[4:5]
	s_or_b64 exec, exec, s[38:39]
	s_and_saveexec_b64 s[38:39], s[26:27]
	s_cbranch_execz .LBB766_71
.LBB766_108:
	global_load_ubyte v5, v[2:3], off offset:256
	s_waitcnt vmcnt(0)
	v_and_b32_e32 v5, 1, v5
	v_cmp_eq_u32_e64 s[4:5], 1, v5
	s_xor_b64 s[42:43], s[4:5], -1
	s_mov_b64 s[4:5], s[74:75]
	s_and_saveexec_b64 s[40:41], s[42:43]
; %bb.109:
	v_cmp_gt_f32_e64 s[4:5], v4, v36
	s_and_b64 s[4:5], s[74:75], s[4:5]
	v_cndmask_b32_e64 v4, v36, v4, s[4:5]
	s_or_b64 s[4:5], s[74:75], exec
; %bb.110:
	s_or_b64 exec, exec, s[40:41]
	s_andn2_b64 s[40:41], s[74:75], exec
	s_and_b64 s[4:5], s[4:5], exec
	s_or_b64 s[74:75], s[40:41], s[4:5]
	s_or_b64 exec, exec, s[38:39]
	s_and_saveexec_b64 s[38:39], s[24:25]
	s_cbranch_execz .LBB766_72
.LBB766_111:
	global_load_ubyte v5, v[2:3], off offset:320
	s_waitcnt vmcnt(0)
	v_and_b32_e32 v5, 1, v5
	v_cmp_eq_u32_e64 s[4:5], 1, v5
	s_xor_b64 s[42:43], s[4:5], -1
	s_mov_b64 s[4:5], s[74:75]
	s_and_saveexec_b64 s[40:41], s[42:43]
; %bb.112:
	v_cmp_gt_f32_e64 s[4:5], v4, v35
	s_and_b64 s[4:5], s[74:75], s[4:5]
	v_cndmask_b32_e64 v4, v35, v4, s[4:5]
	s_or_b64 s[4:5], s[74:75], exec
; %bb.113:
	s_or_b64 exec, exec, s[40:41]
	s_andn2_b64 s[40:41], s[74:75], exec
	s_and_b64 s[4:5], s[4:5], exec
	s_or_b64 s[74:75], s[40:41], s[4:5]
	s_or_b64 exec, exec, s[38:39]
	s_and_saveexec_b64 s[38:39], s[22:23]
	s_cbranch_execz .LBB766_73
.LBB766_114:
	global_load_ubyte v5, v[2:3], off offset:384
	s_waitcnt vmcnt(0)
	v_and_b32_e32 v5, 1, v5
	v_cmp_eq_u32_e64 s[4:5], 1, v5
	s_xor_b64 s[42:43], s[4:5], -1
	s_mov_b64 s[4:5], s[74:75]
	s_and_saveexec_b64 s[40:41], s[42:43]
; %bb.115:
	v_cmp_gt_f32_e64 s[4:5], v4, v34
	s_and_b64 s[4:5], s[74:75], s[4:5]
	v_cndmask_b32_e64 v4, v34, v4, s[4:5]
	s_or_b64 s[4:5], s[74:75], exec
; %bb.116:
	s_or_b64 exec, exec, s[40:41]
	s_andn2_b64 s[40:41], s[74:75], exec
	s_and_b64 s[4:5], s[4:5], exec
	s_or_b64 s[74:75], s[40:41], s[4:5]
	s_or_b64 exec, exec, s[38:39]
	s_and_saveexec_b64 s[38:39], s[68:69]
	s_cbranch_execz .LBB766_74
.LBB766_117:
	global_load_ubyte v5, v[2:3], off offset:448
	s_waitcnt vmcnt(0)
	v_and_b32_e32 v5, 1, v5
	v_cmp_eq_u32_e64 s[4:5], 1, v5
	s_xor_b64 s[42:43], s[4:5], -1
	s_mov_b64 s[4:5], s[74:75]
	s_and_saveexec_b64 s[40:41], s[42:43]
; %bb.118:
	v_cmp_gt_f32_e64 s[4:5], v4, v33
	s_and_b64 s[4:5], s[74:75], s[4:5]
	v_cndmask_b32_e64 v4, v33, v4, s[4:5]
	s_or_b64 s[4:5], s[74:75], exec
; %bb.119:
	s_or_b64 exec, exec, s[40:41]
	s_andn2_b64 s[40:41], s[74:75], exec
	s_and_b64 s[4:5], s[4:5], exec
	s_or_b64 s[74:75], s[40:41], s[4:5]
	s_or_b64 exec, exec, s[38:39]
	s_and_saveexec_b64 s[38:39], s[20:21]
	s_cbranch_execz .LBB766_75
.LBB766_120:
	global_load_ubyte v5, v[2:3], off offset:512
	s_waitcnt vmcnt(0)
	v_and_b32_e32 v5, 1, v5
	v_cmp_eq_u32_e64 s[4:5], 1, v5
	s_xor_b64 s[42:43], s[4:5], -1
	s_mov_b64 s[4:5], s[74:75]
	s_and_saveexec_b64 s[40:41], s[42:43]
; %bb.121:
	v_cmp_gt_f32_e64 s[4:5], v4, v32
	s_and_b64 s[4:5], s[74:75], s[4:5]
	v_cndmask_b32_e64 v4, v32, v4, s[4:5]
	s_or_b64 s[4:5], s[74:75], exec
; %bb.122:
	s_or_b64 exec, exec, s[40:41]
	s_andn2_b64 s[40:41], s[74:75], exec
	s_and_b64 s[4:5], s[4:5], exec
	s_or_b64 s[74:75], s[40:41], s[4:5]
	s_or_b64 exec, exec, s[38:39]
	s_and_saveexec_b64 s[38:39], s[18:19]
	s_cbranch_execz .LBB766_76
.LBB766_123:
	global_load_ubyte v5, v[2:3], off offset:576
	s_waitcnt vmcnt(0)
	v_and_b32_e32 v5, 1, v5
	v_cmp_eq_u32_e64 s[4:5], 1, v5
	s_xor_b64 s[42:43], s[4:5], -1
	s_mov_b64 s[4:5], s[74:75]
	s_and_saveexec_b64 s[40:41], s[42:43]
; %bb.124:
	v_cmp_gt_f32_e64 s[4:5], v4, v31
	s_and_b64 s[4:5], s[74:75], s[4:5]
	v_cndmask_b32_e64 v4, v31, v4, s[4:5]
	s_or_b64 s[4:5], s[74:75], exec
; %bb.125:
	s_or_b64 exec, exec, s[40:41]
	s_andn2_b64 s[40:41], s[74:75], exec
	s_and_b64 s[4:5], s[4:5], exec
	s_or_b64 s[74:75], s[40:41], s[4:5]
	s_or_b64 exec, exec, s[38:39]
	s_and_saveexec_b64 s[38:39], s[16:17]
	s_cbranch_execz .LBB766_77
.LBB766_126:
	global_load_ubyte v5, v[2:3], off offset:640
	s_waitcnt vmcnt(0)
	v_and_b32_e32 v5, 1, v5
	v_cmp_eq_u32_e64 s[4:5], 1, v5
	s_xor_b64 s[42:43], s[4:5], -1
	s_mov_b64 s[4:5], s[74:75]
	s_and_saveexec_b64 s[40:41], s[42:43]
; %bb.127:
	v_cmp_gt_f32_e64 s[4:5], v4, v30
	s_and_b64 s[4:5], s[74:75], s[4:5]
	v_cndmask_b32_e64 v4, v30, v4, s[4:5]
	s_or_b64 s[4:5], s[74:75], exec
; %bb.128:
	s_or_b64 exec, exec, s[40:41]
	s_andn2_b64 s[40:41], s[74:75], exec
	s_and_b64 s[4:5], s[4:5], exec
	s_or_b64 s[74:75], s[40:41], s[4:5]
	s_or_b64 exec, exec, s[38:39]
	s_and_saveexec_b64 s[38:39], s[14:15]
	s_cbranch_execz .LBB766_78
.LBB766_129:
	global_load_ubyte v5, v[2:3], off offset:704
	s_waitcnt vmcnt(0)
	v_and_b32_e32 v5, 1, v5
	v_cmp_eq_u32_e64 s[4:5], 1, v5
	s_xor_b64 s[42:43], s[4:5], -1
	s_mov_b64 s[4:5], s[74:75]
	s_and_saveexec_b64 s[40:41], s[42:43]
; %bb.130:
	v_cmp_gt_f32_e64 s[4:5], v4, v29
	s_and_b64 s[4:5], s[74:75], s[4:5]
	v_cndmask_b32_e64 v4, v29, v4, s[4:5]
	s_or_b64 s[4:5], s[74:75], exec
; %bb.131:
	s_or_b64 exec, exec, s[40:41]
	s_andn2_b64 s[40:41], s[74:75], exec
	s_and_b64 s[4:5], s[4:5], exec
	s_or_b64 s[74:75], s[40:41], s[4:5]
	s_or_b64 exec, exec, s[38:39]
	s_and_saveexec_b64 s[38:39], s[12:13]
	s_cbranch_execz .LBB766_79
.LBB766_132:
	global_load_ubyte v5, v[2:3], off offset:768
	s_waitcnt vmcnt(0)
	v_and_b32_e32 v5, 1, v5
	v_cmp_eq_u32_e64 s[4:5], 1, v5
	s_xor_b64 s[42:43], s[4:5], -1
	s_mov_b64 s[4:5], s[74:75]
	s_and_saveexec_b64 s[40:41], s[42:43]
; %bb.133:
	v_cmp_gt_f32_e64 s[4:5], v4, v28
	s_and_b64 s[4:5], s[74:75], s[4:5]
	v_cndmask_b32_e64 v4, v28, v4, s[4:5]
	s_or_b64 s[4:5], s[74:75], exec
; %bb.134:
	s_or_b64 exec, exec, s[40:41]
	s_andn2_b64 s[40:41], s[74:75], exec
	s_and_b64 s[4:5], s[4:5], exec
	s_or_b64 s[74:75], s[40:41], s[4:5]
	s_or_b64 exec, exec, s[38:39]
	s_and_saveexec_b64 s[38:39], s[10:11]
	s_cbranch_execz .LBB766_80
.LBB766_135:
	global_load_ubyte v5, v[2:3], off offset:832
	s_waitcnt vmcnt(0)
	v_and_b32_e32 v5, 1, v5
	v_cmp_eq_u32_e64 s[4:5], 1, v5
	s_xor_b64 s[42:43], s[4:5], -1
	s_mov_b64 s[4:5], s[74:75]
	s_and_saveexec_b64 s[40:41], s[42:43]
; %bb.136:
	v_cmp_gt_f32_e64 s[4:5], v4, v27
	s_and_b64 s[4:5], s[74:75], s[4:5]
	v_cndmask_b32_e64 v4, v27, v4, s[4:5]
	s_or_b64 s[4:5], s[74:75], exec
; %bb.137:
	s_or_b64 exec, exec, s[40:41]
	s_andn2_b64 s[40:41], s[74:75], exec
	s_and_b64 s[4:5], s[4:5], exec
	s_or_b64 s[74:75], s[40:41], s[4:5]
	s_or_b64 exec, exec, s[38:39]
	s_and_saveexec_b64 s[38:39], s[8:9]
	s_cbranch_execz .LBB766_81
.LBB766_138:
	global_load_ubyte v5, v[2:3], off offset:896
	s_waitcnt vmcnt(0)
	v_and_b32_e32 v5, 1, v5
	v_cmp_eq_u32_e64 s[4:5], 1, v5
	s_xor_b64 s[42:43], s[4:5], -1
	s_mov_b64 s[4:5], s[74:75]
	s_and_saveexec_b64 s[40:41], s[42:43]
; %bb.139:
	v_cmp_gt_f32_e64 s[4:5], v4, v26
	s_and_b64 s[4:5], s[74:75], s[4:5]
	v_cndmask_b32_e64 v4, v26, v4, s[4:5]
	s_or_b64 s[4:5], s[74:75], exec
; %bb.140:
	s_or_b64 exec, exec, s[40:41]
	s_andn2_b64 s[40:41], s[74:75], exec
	s_and_b64 s[4:5], s[4:5], exec
	s_or_b64 s[74:75], s[40:41], s[4:5]
	s_or_b64 exec, exec, s[38:39]
	s_and_saveexec_b64 s[38:39], s[6:7]
	s_cbranch_execz .LBB766_82
.LBB766_141:
	global_load_ubyte v5, v[2:3], off offset:960
	s_waitcnt vmcnt(0)
	v_and_b32_e32 v5, 1, v5
	v_cmp_eq_u32_e64 s[4:5], 1, v5
	s_xor_b64 s[42:43], s[4:5], -1
	s_mov_b64 s[4:5], s[74:75]
	s_and_saveexec_b64 s[40:41], s[42:43]
; %bb.142:
	v_cmp_gt_f32_e64 s[4:5], v4, v25
	s_and_b64 s[4:5], s[74:75], s[4:5]
	v_cndmask_b32_e64 v4, v25, v4, s[4:5]
	s_or_b64 s[4:5], s[74:75], exec
; %bb.143:
	s_or_b64 exec, exec, s[40:41]
	s_andn2_b64 s[40:41], s[74:75], exec
	s_and_b64 s[4:5], s[4:5], exec
	s_or_b64 s[74:75], s[40:41], s[4:5]
	s_or_b64 exec, exec, s[38:39]
	s_and_saveexec_b64 s[38:39], s[66:67]
	s_cbranch_execz .LBB766_83
.LBB766_144:
	global_load_ubyte v5, v[2:3], off offset:1024
	s_waitcnt vmcnt(0)
	v_and_b32_e32 v5, 1, v5
	v_cmp_eq_u32_e64 s[4:5], 1, v5
	s_xor_b64 s[42:43], s[4:5], -1
	s_mov_b64 s[4:5], s[74:75]
	s_and_saveexec_b64 s[40:41], s[42:43]
; %bb.145:
	v_cmp_gt_f32_e64 s[4:5], v4, v24
	s_and_b64 s[4:5], s[74:75], s[4:5]
	v_cndmask_b32_e64 v4, v24, v4, s[4:5]
	s_or_b64 s[4:5], s[74:75], exec
; %bb.146:
	s_or_b64 exec, exec, s[40:41]
	s_andn2_b64 s[40:41], s[74:75], exec
	s_and_b64 s[4:5], s[4:5], exec
	s_or_b64 s[74:75], s[40:41], s[4:5]
	s_or_b64 exec, exec, s[38:39]
	s_and_saveexec_b64 s[38:39], s[2:3]
	s_cbranch_execz .LBB766_84
.LBB766_147:
	global_load_ubyte v5, v[2:3], off offset:1088
	s_waitcnt vmcnt(0)
	v_and_b32_e32 v5, 1, v5
	v_cmp_eq_u32_e64 s[4:5], 1, v5
	s_xor_b64 s[42:43], s[4:5], -1
	s_mov_b64 s[4:5], s[74:75]
	s_and_saveexec_b64 s[40:41], s[42:43]
; %bb.148:
	v_cmp_gt_f32_e64 s[4:5], v4, v23
	s_and_b64 s[4:5], s[74:75], s[4:5]
	v_cndmask_b32_e64 v4, v23, v4, s[4:5]
	s_or_b64 s[4:5], s[74:75], exec
; %bb.149:
	s_or_b64 exec, exec, s[40:41]
	s_andn2_b64 s[40:41], s[74:75], exec
	s_and_b64 s[4:5], s[4:5], exec
	s_or_b64 s[74:75], s[40:41], s[4:5]
	s_or_b64 exec, exec, s[38:39]
	s_and_saveexec_b64 s[38:39], s[0:1]
	s_cbranch_execz .LBB766_85
.LBB766_150:
	global_load_ubyte v5, v[2:3], off offset:1152
	s_waitcnt vmcnt(0)
	v_and_b32_e32 v5, 1, v5
	v_cmp_eq_u32_e64 s[4:5], 1, v5
	s_xor_b64 s[42:43], s[4:5], -1
	s_mov_b64 s[4:5], s[74:75]
	s_and_saveexec_b64 s[40:41], s[42:43]
; %bb.151:
	v_cmp_gt_f32_e64 s[4:5], v4, v22
	s_and_b64 s[4:5], s[74:75], s[4:5]
	v_cndmask_b32_e64 v4, v22, v4, s[4:5]
	s_or_b64 s[4:5], s[74:75], exec
; %bb.152:
	s_or_b64 exec, exec, s[40:41]
	s_andn2_b64 s[40:41], s[74:75], exec
	s_and_b64 s[4:5], s[4:5], exec
	s_or_b64 s[74:75], s[40:41], s[4:5]
	s_or_b64 exec, exec, s[38:39]
	s_and_saveexec_b64 s[38:39], s[94:95]
	s_cbranch_execz .LBB766_86
.LBB766_153:
	global_load_ubyte v5, v[2:3], off offset:1216
	s_waitcnt vmcnt(0)
	v_and_b32_e32 v5, 1, v5
	v_cmp_eq_u32_e64 s[4:5], 1, v5
	s_xor_b64 s[42:43], s[4:5], -1
	s_mov_b64 s[4:5], s[74:75]
	s_and_saveexec_b64 s[40:41], s[42:43]
; %bb.154:
	v_cmp_gt_f32_e64 s[4:5], v4, v21
	s_and_b64 s[4:5], s[74:75], s[4:5]
	v_cndmask_b32_e64 v4, v21, v4, s[4:5]
	s_or_b64 s[4:5], s[74:75], exec
; %bb.155:
	s_or_b64 exec, exec, s[40:41]
	s_andn2_b64 s[40:41], s[74:75], exec
	s_and_b64 s[4:5], s[4:5], exec
	s_or_b64 s[74:75], s[40:41], s[4:5]
	s_or_b64 exec, exec, s[38:39]
	s_and_saveexec_b64 s[38:39], s[92:93]
	s_cbranch_execz .LBB766_87
.LBB766_156:
	global_load_ubyte v5, v[2:3], off offset:1280
	s_waitcnt vmcnt(0)
	v_and_b32_e32 v5, 1, v5
	v_cmp_eq_u32_e64 s[4:5], 1, v5
	s_xor_b64 s[42:43], s[4:5], -1
	s_mov_b64 s[4:5], s[74:75]
	s_and_saveexec_b64 s[40:41], s[42:43]
; %bb.157:
	v_cmp_gt_f32_e64 s[4:5], v4, v20
	s_and_b64 s[4:5], s[74:75], s[4:5]
	v_cndmask_b32_e64 v4, v20, v4, s[4:5]
	s_or_b64 s[4:5], s[74:75], exec
; %bb.158:
	s_or_b64 exec, exec, s[40:41]
	s_andn2_b64 s[40:41], s[74:75], exec
	s_and_b64 s[4:5], s[4:5], exec
	s_or_b64 s[74:75], s[40:41], s[4:5]
	s_or_b64 exec, exec, s[38:39]
	s_and_saveexec_b64 s[38:39], s[90:91]
	s_cbranch_execz .LBB766_88
.LBB766_159:
	global_load_ubyte v5, v[2:3], off offset:1344
	s_waitcnt vmcnt(0)
	v_and_b32_e32 v5, 1, v5
	v_cmp_eq_u32_e64 s[4:5], 1, v5
	s_xor_b64 s[42:43], s[4:5], -1
	s_mov_b64 s[4:5], s[74:75]
	s_and_saveexec_b64 s[40:41], s[42:43]
; %bb.160:
	v_cmp_gt_f32_e64 s[4:5], v4, v19
	s_and_b64 s[4:5], s[74:75], s[4:5]
	v_cndmask_b32_e64 v4, v19, v4, s[4:5]
	s_or_b64 s[4:5], s[74:75], exec
; %bb.161:
	s_or_b64 exec, exec, s[40:41]
	s_andn2_b64 s[40:41], s[74:75], exec
	s_and_b64 s[4:5], s[4:5], exec
	s_or_b64 s[74:75], s[40:41], s[4:5]
	s_or_b64 exec, exec, s[38:39]
	s_and_saveexec_b64 s[38:39], s[88:89]
	s_cbranch_execz .LBB766_89
.LBB766_162:
	global_load_ubyte v5, v[2:3], off offset:1408
	s_waitcnt vmcnt(0)
	v_and_b32_e32 v5, 1, v5
	v_cmp_eq_u32_e64 s[4:5], 1, v5
	s_xor_b64 s[42:43], s[4:5], -1
	s_mov_b64 s[4:5], s[74:75]
	s_and_saveexec_b64 s[40:41], s[42:43]
; %bb.163:
	v_cmp_gt_f32_e64 s[4:5], v4, v18
	s_and_b64 s[4:5], s[74:75], s[4:5]
	v_cndmask_b32_e64 v4, v18, v4, s[4:5]
	s_or_b64 s[4:5], s[74:75], exec
; %bb.164:
	s_or_b64 exec, exec, s[40:41]
	s_andn2_b64 s[40:41], s[74:75], exec
	s_and_b64 s[4:5], s[4:5], exec
	s_or_b64 s[74:75], s[40:41], s[4:5]
	s_or_b64 exec, exec, s[38:39]
	s_and_saveexec_b64 s[38:39], s[86:87]
	s_cbranch_execz .LBB766_90
.LBB766_165:
	global_load_ubyte v5, v[2:3], off offset:1472
	s_waitcnt vmcnt(0)
	v_and_b32_e32 v5, 1, v5
	v_cmp_eq_u32_e64 s[4:5], 1, v5
	s_xor_b64 s[42:43], s[4:5], -1
	s_mov_b64 s[4:5], s[74:75]
	s_and_saveexec_b64 s[40:41], s[42:43]
; %bb.166:
	v_cmp_gt_f32_e64 s[4:5], v4, v17
	s_and_b64 s[4:5], s[74:75], s[4:5]
	v_cndmask_b32_e64 v4, v17, v4, s[4:5]
	s_or_b64 s[4:5], s[74:75], exec
; %bb.167:
	s_or_b64 exec, exec, s[40:41]
	s_andn2_b64 s[40:41], s[74:75], exec
	s_and_b64 s[4:5], s[4:5], exec
	s_or_b64 s[74:75], s[40:41], s[4:5]
	s_or_b64 exec, exec, s[38:39]
	s_and_saveexec_b64 s[38:39], s[84:85]
	s_cbranch_execz .LBB766_91
.LBB766_168:
	global_load_ubyte v5, v[2:3], off offset:1536
	s_waitcnt vmcnt(0)
	v_and_b32_e32 v5, 1, v5
	v_cmp_eq_u32_e64 s[4:5], 1, v5
	s_xor_b64 s[42:43], s[4:5], -1
	s_mov_b64 s[4:5], s[74:75]
	s_and_saveexec_b64 s[40:41], s[42:43]
; %bb.169:
	v_cmp_gt_f32_e64 s[4:5], v4, v16
	s_and_b64 s[4:5], s[74:75], s[4:5]
	v_cndmask_b32_e64 v4, v16, v4, s[4:5]
	s_or_b64 s[4:5], s[74:75], exec
; %bb.170:
	s_or_b64 exec, exec, s[40:41]
	s_andn2_b64 s[40:41], s[74:75], exec
	s_and_b64 s[4:5], s[4:5], exec
	s_or_b64 s[74:75], s[40:41], s[4:5]
	s_or_b64 exec, exec, s[38:39]
	s_and_saveexec_b64 s[38:39], s[82:83]
	s_cbranch_execz .LBB766_92
.LBB766_171:
	global_load_ubyte v5, v[2:3], off offset:1600
	s_waitcnt vmcnt(0)
	v_and_b32_e32 v5, 1, v5
	v_cmp_eq_u32_e64 s[4:5], 1, v5
	s_xor_b64 s[42:43], s[4:5], -1
	s_mov_b64 s[4:5], s[74:75]
	s_and_saveexec_b64 s[40:41], s[42:43]
; %bb.172:
	v_cmp_gt_f32_e64 s[4:5], v4, v15
	s_and_b64 s[4:5], s[74:75], s[4:5]
	v_cndmask_b32_e64 v4, v15, v4, s[4:5]
	s_or_b64 s[4:5], s[74:75], exec
; %bb.173:
	s_or_b64 exec, exec, s[40:41]
	s_andn2_b64 s[40:41], s[74:75], exec
	s_and_b64 s[4:5], s[4:5], exec
	s_or_b64 s[74:75], s[40:41], s[4:5]
	s_or_b64 exec, exec, s[38:39]
	s_and_saveexec_b64 s[38:39], s[80:81]
	s_cbranch_execz .LBB766_93
.LBB766_174:
	global_load_ubyte v5, v[2:3], off offset:1664
	s_waitcnt vmcnt(0)
	v_and_b32_e32 v5, 1, v5
	v_cmp_eq_u32_e64 s[4:5], 1, v5
	s_xor_b64 s[42:43], s[4:5], -1
	s_mov_b64 s[4:5], s[74:75]
	s_and_saveexec_b64 s[40:41], s[42:43]
; %bb.175:
	v_cmp_gt_f32_e64 s[4:5], v4, v14
	s_and_b64 s[4:5], s[74:75], s[4:5]
	v_cndmask_b32_e64 v4, v14, v4, s[4:5]
	s_or_b64 s[4:5], s[74:75], exec
; %bb.176:
	s_or_b64 exec, exec, s[40:41]
	s_andn2_b64 s[40:41], s[74:75], exec
	s_and_b64 s[4:5], s[4:5], exec
	s_or_b64 s[74:75], s[40:41], s[4:5]
	s_or_b64 exec, exec, s[38:39]
	s_and_saveexec_b64 s[38:39], s[78:79]
	s_cbranch_execz .LBB766_94
.LBB766_177:
	global_load_ubyte v5, v[2:3], off offset:1728
	s_waitcnt vmcnt(0)
	v_and_b32_e32 v5, 1, v5
	v_cmp_eq_u32_e64 s[4:5], 1, v5
	s_xor_b64 s[42:43], s[4:5], -1
	s_mov_b64 s[4:5], s[74:75]
	s_and_saveexec_b64 s[40:41], s[42:43]
; %bb.178:
	v_cmp_gt_f32_e64 s[4:5], v4, v13
	s_and_b64 s[4:5], s[74:75], s[4:5]
	v_cndmask_b32_e64 v4, v13, v4, s[4:5]
	s_or_b64 s[4:5], s[74:75], exec
; %bb.179:
	s_or_b64 exec, exec, s[40:41]
	s_andn2_b64 s[40:41], s[74:75], exec
	s_and_b64 s[4:5], s[4:5], exec
	s_or_b64 s[74:75], s[40:41], s[4:5]
	s_or_b64 exec, exec, s[38:39]
	s_and_saveexec_b64 s[38:39], s[76:77]
	s_cbranch_execz .LBB766_95
.LBB766_180:
	global_load_ubyte v5, v[2:3], off offset:1792
	s_waitcnt vmcnt(0)
	v_and_b32_e32 v5, 1, v5
	v_cmp_eq_u32_e64 s[4:5], 1, v5
	s_xor_b64 s[42:43], s[4:5], -1
	s_mov_b64 s[4:5], s[74:75]
	s_and_saveexec_b64 s[40:41], s[42:43]
; %bb.181:
	v_cmp_gt_f32_e64 s[4:5], v4, v12
	s_and_b64 s[4:5], s[74:75], s[4:5]
	v_cndmask_b32_e64 v4, v12, v4, s[4:5]
	s_or_b64 s[4:5], s[74:75], exec
; %bb.182:
	s_or_b64 exec, exec, s[40:41]
	s_andn2_b64 s[40:41], s[74:75], exec
	s_and_b64 s[4:5], s[4:5], exec
	s_or_b64 s[74:75], s[40:41], s[4:5]
	s_or_b64 exec, exec, s[38:39]
	s_and_saveexec_b64 s[38:39], s[72:73]
	s_cbranch_execz .LBB766_96
.LBB766_183:
	global_load_ubyte v5, v[2:3], off offset:1856
	s_waitcnt vmcnt(0)
	v_and_b32_e32 v5, 1, v5
	v_cmp_eq_u32_e64 s[4:5], 1, v5
	s_xor_b64 s[42:43], s[4:5], -1
	s_mov_b64 s[4:5], s[74:75]
	s_and_saveexec_b64 s[40:41], s[42:43]
; %bb.184:
	v_cmp_gt_f32_e64 s[4:5], v4, v11
	s_and_b64 s[4:5], s[74:75], s[4:5]
	v_cndmask_b32_e64 v4, v11, v4, s[4:5]
	s_or_b64 s[4:5], s[74:75], exec
; %bb.185:
	s_or_b64 exec, exec, s[40:41]
	s_andn2_b64 s[40:41], s[74:75], exec
	s_and_b64 s[4:5], s[4:5], exec
	s_or_b64 s[74:75], s[40:41], s[4:5]
	s_or_b64 exec, exec, s[38:39]
	s_and_saveexec_b64 s[38:39], s[70:71]
	s_cbranch_execz .LBB766_97
.LBB766_186:
	global_load_ubyte v5, v[2:3], off offset:1920
	s_waitcnt vmcnt(0)
	v_and_b32_e32 v5, 1, v5
	v_cmp_eq_u32_e64 s[4:5], 1, v5
	s_xor_b64 s[42:43], s[4:5], -1
	s_mov_b64 s[4:5], s[74:75]
	s_and_saveexec_b64 s[40:41], s[42:43]
; %bb.187:
	v_cmp_gt_f32_e64 s[4:5], v4, v10
	s_and_b64 s[4:5], s[74:75], s[4:5]
	v_cndmask_b32_e64 v4, v10, v4, s[4:5]
	s_or_b64 s[4:5], s[74:75], exec
; %bb.188:
	s_or_b64 exec, exec, s[40:41]
	s_andn2_b64 s[40:41], s[74:75], exec
	s_and_b64 s[4:5], s[4:5], exec
	s_or_b64 s[74:75], s[40:41], s[4:5]
	s_or_b64 exec, exec, s[38:39]
	s_and_saveexec_b64 s[38:39], s[64:65]
	s_cbranch_execz .LBB766_192
.LBB766_189:
	global_load_ubyte v5, v[2:3], off offset:1984
	s_waitcnt vmcnt(0)
	v_and_b32_e32 v5, 1, v5
	v_cmp_eq_u32_e64 s[4:5], 1, v5
	s_xor_b64 s[42:43], s[4:5], -1
	s_mov_b64 s[4:5], s[74:75]
	s_and_saveexec_b64 s[40:41], s[42:43]
; %bb.190:
	v_cmp_gt_f32_e64 s[4:5], v4, v9
	s_and_b64 s[4:5], s[74:75], s[4:5]
	v_cndmask_b32_e64 v4, v9, v4, s[4:5]
	s_or_b64 s[4:5], s[74:75], exec
; %bb.191:
	s_or_b64 exec, exec, s[40:41]
	s_andn2_b64 s[40:41], s[74:75], exec
	s_and_b64 s[4:5], s[4:5], exec
	s_or_b64 s[74:75], s[40:41], s[4:5]
.LBB766_192:
	s_or_b64 exec, exec, s[38:39]
	v_mov_b32_e32 v5, 0xff800000
	v_cndmask_b32_e64 v4, v5, v4, s[74:75]
	v_mbcnt_lo_u32_b32 v5, -1, 0
	v_mbcnt_hi_u32_b32 v5, -1, v5
	v_and_b32_e32 v6, 64, v5
	v_add_u32_e32 v44, 64, v6
	v_xor_b32_e32 v6, 32, v5
	v_cmp_lt_i32_e64 s[4:5], v6, v44
	v_cndmask_b32_e64 v6, v5, v6, s[4:5]
	v_lshlrev_b32_e32 v6, 2, v6
	ds_bpermute_b32 v7, v6, v4
	v_xor_b32_e32 v41, 16, v5
	v_xor_b32_e32 v42, 8, v5
	;; [unrolled: 1-line block ×4, first 2 shown]
	s_waitcnt lgkmcnt(0)
	v_cmp_lt_f32_e64 s[4:5], v4, v7
	v_cndmask_b32_e64 v4, v4, v7, s[4:5]
	v_cmp_lt_i32_e64 s[4:5], v41, v44
	v_cndmask_b32_e64 v7, v5, v41, s[4:5]
	v_lshlrev_b32_e32 v7, 2, v7
	ds_bpermute_b32 v41, v7, v4
	v_xor_b32_e32 v46, 1, v5
	s_waitcnt lgkmcnt(0)
	v_cmp_lt_f32_e64 s[4:5], v4, v41
	v_cndmask_b32_e64 v4, v4, v41, s[4:5]
	v_cmp_lt_i32_e64 s[4:5], v42, v44
	v_cndmask_b32_e64 v41, v5, v42, s[4:5]
	v_lshlrev_b32_e32 v41, 2, v41
	ds_bpermute_b32 v42, v41, v4
	s_waitcnt lgkmcnt(0)
	v_cmp_lt_f32_e64 s[4:5], v4, v42
	v_cndmask_b32_e64 v4, v4, v42, s[4:5]
	v_cmp_lt_i32_e64 s[4:5], v43, v44
	v_cndmask_b32_e64 v42, v5, v43, s[4:5]
	v_lshlrev_b32_e32 v42, 2, v42
	ds_bpermute_b32 v43, v42, v4
	;; [unrolled: 7-line block ×4, first 2 shown]
	v_mov_b32_e32 v4, 0
	v_mov_b32_e32 v44, 0
	s_waitcnt lgkmcnt(0)
	v_cmp_lt_f32_e64 s[4:5], v47, v5
	v_cndmask_b32_e64 v46, v47, v5, s[4:5]
	s_and_saveexec_b64 s[74:75], s[36:37]
	s_cbranch_execz .LBB766_196
; %bb.193:
	global_load_ubyte v5, v[2:3], off
	v_mov_b32_e32 v44, 0
	s_waitcnt vmcnt(0)
	v_and_b32_e32 v5, 1, v5
	v_cmp_eq_u32_e64 s[4:5], 1, v5
	s_xor_b64 s[4:5], s[4:5], -1
	s_and_saveexec_b64 s[36:37], s[4:5]
	s_cbranch_execz .LBB766_195
; %bb.194:
	v_sub_f32_e32 v5, v40, v46
	s_mov_b32 s4, 0x3fb8aa3b
	v_mul_f32_e32 v40, 0x3fb8aa3b, v5
	v_fma_f32 v44, v5, s4, -v40
	v_rndne_f32_e32 v47, v40
	v_fmac_f32_e32 v44, 0x32a5705f, v5
	v_sub_f32_e32 v40, v40, v47
	v_add_f32_e32 v40, v40, v44
	v_exp_f32_e32 v40, v40
	v_cvt_i32_f32_e32 v44, v47
	s_mov_b32 s4, 0xc2ce8ed0
	v_cmp_ngt_f32_e64 s[4:5], s4, v5
	v_ldexp_f32 v40, v40, v44
	v_cndmask_b32_e64 v40, 0, v40, s[4:5]
	s_mov_b32 s4, 0x42b17218
	v_mov_b32_e32 v44, 0x7f800000
	v_cmp_nlt_f32_e64 s[4:5], s4, v5
	v_cndmask_b32_e64 v44, v44, v40, s[4:5]
.LBB766_195:
	s_or_b64 exec, exec, s[36:37]
.LBB766_196:
	s_or_b64 exec, exec, s[74:75]
	v_mov_b32_e32 v40, v44
	s_and_saveexec_b64 s[36:37], s[34:35]
	s_cbranch_execz .LBB766_200
; %bb.197:
	global_load_ubyte v5, v[2:3], off offset:64
	v_mov_b32_e32 v4, 0
	v_mov_b32_e32 v40, v44
	s_waitcnt vmcnt(0)
	v_and_b32_e32 v5, 1, v5
	v_cmp_eq_u32_e64 s[4:5], 1, v5
	s_xor_b64 s[4:5], s[4:5], -1
	s_and_saveexec_b64 s[34:35], s[4:5]
	s_cbranch_execz .LBB766_199
; %bb.198:
	v_sub_f32_e32 v4, v39, v46
	s_mov_b32 s4, 0x3fb8aa3b
	v_mul_f32_e32 v5, 0x3fb8aa3b, v4
	v_fma_f32 v39, v4, s4, -v5
	v_rndne_f32_e32 v40, v5
	v_fmac_f32_e32 v39, 0x32a5705f, v4
	v_sub_f32_e32 v5, v5, v40
	v_add_f32_e32 v5, v5, v39
	v_exp_f32_e32 v5, v5
	v_cvt_i32_f32_e32 v39, v40
	s_mov_b32 s4, 0xc2ce8ed0
	v_cmp_ngt_f32_e64 s[4:5], s4, v4
	v_ldexp_f32 v5, v5, v39
	v_cndmask_b32_e64 v5, 0, v5, s[4:5]
	s_mov_b32 s4, 0x42b17218
	v_mov_b32_e32 v39, 0x7f800000
	v_cmp_nlt_f32_e64 s[4:5], s4, v4
	v_cndmask_b32_e64 v4, v39, v5, s[4:5]
	v_add_f32_e32 v40, v44, v4
.LBB766_199:
	s_or_b64 exec, exec, s[34:35]
.LBB766_200:
	s_or_b64 exec, exec, s[36:37]
	v_mov_b32_e32 v5, 0
	v_mov_b32_e32 v39, 0
	s_and_saveexec_b64 s[34:35], s[30:31]
	s_cbranch_execz .LBB766_204
; %bb.201:
	global_load_ubyte v39, v[2:3], off offset:128
	s_waitcnt vmcnt(0)
	v_and_b32_e32 v39, 1, v39
	v_cmp_eq_u32_e64 s[4:5], 1, v39
	s_xor_b64 s[4:5], s[4:5], -1
	v_mov_b32_e32 v39, 0
	s_and_saveexec_b64 s[30:31], s[4:5]
	s_cbranch_execz .LBB766_203
; %bb.202:
	v_sub_f32_e32 v38, v38, v46
	s_mov_b32 s4, 0x3fb8aa3b
	v_mul_f32_e32 v39, 0x3fb8aa3b, v38
	v_fma_f32 v47, v38, s4, -v39
	v_rndne_f32_e32 v48, v39
	v_fmac_f32_e32 v47, 0x32a5705f, v38
	v_sub_f32_e32 v39, v39, v48
	v_add_f32_e32 v39, v39, v47
	v_exp_f32_e32 v39, v39
	v_cvt_i32_f32_e32 v47, v48
	s_mov_b32 s4, 0xc2ce8ed0
	v_cmp_ngt_f32_e64 s[4:5], s4, v38
	v_ldexp_f32 v39, v39, v47
	v_cndmask_b32_e64 v39, 0, v39, s[4:5]
	s_mov_b32 s4, 0x42b17218
	v_mov_b32_e32 v47, 0x7f800000
	v_cmp_nlt_f32_e64 s[4:5], s4, v38
	v_cndmask_b32_e64 v39, v47, v39, s[4:5]
	v_add_f32_e32 v40, v40, v39
.LBB766_203:
	s_or_b64 exec, exec, s[30:31]
.LBB766_204:
	s_or_b64 exec, exec, s[34:35]
	s_and_saveexec_b64 s[30:31], s[28:29]
	s_cbranch_execz .LBB766_208
; %bb.205:
	global_load_ubyte v5, v[2:3], off offset:192
	s_waitcnt vmcnt(0)
	v_and_b32_e32 v5, 1, v5
	v_cmp_eq_u32_e64 s[4:5], 1, v5
	s_xor_b64 s[4:5], s[4:5], -1
	v_mov_b32_e32 v5, 0
	s_and_saveexec_b64 s[28:29], s[4:5]
	s_cbranch_execz .LBB766_207
; %bb.206:
	v_sub_f32_e32 v5, v37, v46
	s_mov_b32 s4, 0x3fb8aa3b
	v_mul_f32_e32 v37, 0x3fb8aa3b, v5
	v_fma_f32 v38, v5, s4, -v37
	v_rndne_f32_e32 v47, v37
	v_fmac_f32_e32 v38, 0x32a5705f, v5
	v_sub_f32_e32 v37, v37, v47
	v_add_f32_e32 v37, v37, v38
	v_exp_f32_e32 v37, v37
	v_cvt_i32_f32_e32 v38, v47
	s_mov_b32 s4, 0xc2ce8ed0
	v_cmp_ngt_f32_e64 s[4:5], s4, v5
	v_ldexp_f32 v37, v37, v38
	v_cndmask_b32_e64 v37, 0, v37, s[4:5]
	s_mov_b32 s4, 0x42b17218
	v_mov_b32_e32 v38, 0x7f800000
	v_cmp_nlt_f32_e64 s[4:5], s4, v5
	v_cndmask_b32_e64 v5, v38, v37, s[4:5]
	v_add_f32_e32 v40, v40, v5
.LBB766_207:
	s_or_b64 exec, exec, s[28:29]
.LBB766_208:
	s_or_b64 exec, exec, s[30:31]
	v_mov_b32_e32 v37, 0
	v_mov_b32_e32 v38, 0
	s_and_saveexec_b64 s[28:29], s[26:27]
	s_cbranch_execz .LBB766_212
; %bb.209:
	global_load_ubyte v38, v[2:3], off offset:256
	s_waitcnt vmcnt(0)
	v_and_b32_e32 v38, 1, v38
	v_cmp_eq_u32_e64 s[4:5], 1, v38
	s_xor_b64 s[4:5], s[4:5], -1
	v_mov_b32_e32 v38, 0
	s_and_saveexec_b64 s[26:27], s[4:5]
	s_cbranch_execz .LBB766_211
; %bb.210:
	v_sub_f32_e32 v36, v36, v46
	s_mov_b32 s4, 0x3fb8aa3b
	v_mul_f32_e32 v38, 0x3fb8aa3b, v36
	v_fma_f32 v47, v36, s4, -v38
	v_rndne_f32_e32 v48, v38
	v_fmac_f32_e32 v47, 0x32a5705f, v36
	v_sub_f32_e32 v38, v38, v48
	v_add_f32_e32 v38, v38, v47
	v_exp_f32_e32 v38, v38
	v_cvt_i32_f32_e32 v47, v48
	s_mov_b32 s4, 0xc2ce8ed0
	v_cmp_ngt_f32_e64 s[4:5], s4, v36
	v_ldexp_f32 v38, v38, v47
	v_cndmask_b32_e64 v38, 0, v38, s[4:5]
	s_mov_b32 s4, 0x42b17218
	v_mov_b32_e32 v47, 0x7f800000
	v_cmp_nlt_f32_e64 s[4:5], s4, v36
	v_cndmask_b32_e64 v38, v47, v38, s[4:5]
	v_add_f32_e32 v40, v40, v38
.LBB766_211:
	s_or_b64 exec, exec, s[26:27]
.LBB766_212:
	s_or_b64 exec, exec, s[28:29]
	s_and_saveexec_b64 s[26:27], s[24:25]
	s_cbranch_execz .LBB766_216
; %bb.213:
	global_load_ubyte v36, v[2:3], off offset:320
	v_mov_b32_e32 v37, 0
	s_waitcnt vmcnt(0)
	v_and_b32_e32 v36, 1, v36
	v_cmp_eq_u32_e64 s[4:5], 1, v36
	s_xor_b64 s[4:5], s[4:5], -1
	s_and_saveexec_b64 s[24:25], s[4:5]
	s_cbranch_execz .LBB766_215
; %bb.214:
	v_sub_f32_e32 v35, v35, v46
	s_mov_b32 s4, 0x3fb8aa3b
	v_mul_f32_e32 v36, 0x3fb8aa3b, v35
	v_fma_f32 v37, v35, s4, -v36
	v_rndne_f32_e32 v47, v36
	v_fmac_f32_e32 v37, 0x32a5705f, v35
	v_sub_f32_e32 v36, v36, v47
	v_add_f32_e32 v36, v36, v37
	v_exp_f32_e32 v36, v36
	v_cvt_i32_f32_e32 v37, v47
	s_mov_b32 s4, 0xc2ce8ed0
	v_cmp_ngt_f32_e64 s[4:5], s4, v35
	v_ldexp_f32 v36, v36, v37
	v_cndmask_b32_e64 v36, 0, v36, s[4:5]
	s_mov_b32 s4, 0x42b17218
	v_mov_b32_e32 v37, 0x7f800000
	v_cmp_nlt_f32_e64 s[4:5], s4, v35
	v_cndmask_b32_e64 v37, v37, v36, s[4:5]
	v_add_f32_e32 v40, v40, v37
.LBB766_215:
	s_or_b64 exec, exec, s[24:25]
.LBB766_216:
	s_or_b64 exec, exec, s[26:27]
	v_mov_b32_e32 v35, 0
	v_mov_b32_e32 v36, 0
	s_and_saveexec_b64 s[24:25], s[22:23]
	s_cbranch_execz .LBB766_220
; %bb.217:
	global_load_ubyte v36, v[2:3], off offset:384
	s_waitcnt vmcnt(0)
	v_and_b32_e32 v36, 1, v36
	v_cmp_eq_u32_e64 s[4:5], 1, v36
	s_xor_b64 s[4:5], s[4:5], -1
	v_mov_b32_e32 v36, 0
	s_and_saveexec_b64 s[22:23], s[4:5]
	s_cbranch_execz .LBB766_219
; %bb.218:
	v_sub_f32_e32 v34, v34, v46
	s_mov_b32 s4, 0x3fb8aa3b
	v_mul_f32_e32 v36, 0x3fb8aa3b, v34
	v_fma_f32 v47, v34, s4, -v36
	v_rndne_f32_e32 v48, v36
	v_fmac_f32_e32 v47, 0x32a5705f, v34
	v_sub_f32_e32 v36, v36, v48
	v_add_f32_e32 v36, v36, v47
	v_exp_f32_e32 v36, v36
	v_cvt_i32_f32_e32 v47, v48
	s_mov_b32 s4, 0xc2ce8ed0
	v_cmp_ngt_f32_e64 s[4:5], s4, v34
	v_ldexp_f32 v36, v36, v47
	v_cndmask_b32_e64 v36, 0, v36, s[4:5]
	s_mov_b32 s4, 0x42b17218
	v_mov_b32_e32 v47, 0x7f800000
	v_cmp_nlt_f32_e64 s[4:5], s4, v34
	v_cndmask_b32_e64 v36, v47, v36, s[4:5]
	v_add_f32_e32 v40, v40, v36
.LBB766_219:
	s_or_b64 exec, exec, s[22:23]
.LBB766_220:
	s_or_b64 exec, exec, s[24:25]
	s_and_saveexec_b64 s[22:23], s[68:69]
	s_cbranch_execz .LBB766_224
; %bb.221:
	global_load_ubyte v34, v[2:3], off offset:448
	v_mov_b32_e32 v35, 0
	s_waitcnt vmcnt(0)
	v_and_b32_e32 v34, 1, v34
	v_cmp_eq_u32_e64 s[4:5], 1, v34
	s_xor_b64 s[4:5], s[4:5], -1
	s_and_saveexec_b64 s[24:25], s[4:5]
	s_cbranch_execz .LBB766_223
; %bb.222:
	v_sub_f32_e32 v33, v33, v46
	s_mov_b32 s4, 0x3fb8aa3b
	v_mul_f32_e32 v34, 0x3fb8aa3b, v33
	v_fma_f32 v35, v33, s4, -v34
	v_rndne_f32_e32 v47, v34
	v_fmac_f32_e32 v35, 0x32a5705f, v33
	v_sub_f32_e32 v34, v34, v47
	v_add_f32_e32 v34, v34, v35
	v_exp_f32_e32 v34, v34
	v_cvt_i32_f32_e32 v35, v47
	s_mov_b32 s4, 0xc2ce8ed0
	v_cmp_ngt_f32_e64 s[4:5], s4, v33
	v_ldexp_f32 v34, v34, v35
	v_cndmask_b32_e64 v34, 0, v34, s[4:5]
	s_mov_b32 s4, 0x42b17218
	v_mov_b32_e32 v35, 0x7f800000
	v_cmp_nlt_f32_e64 s[4:5], s4, v33
	v_cndmask_b32_e64 v35, v35, v34, s[4:5]
	v_add_f32_e32 v40, v40, v35
.LBB766_223:
	s_or_b64 exec, exec, s[24:25]
.LBB766_224:
	s_or_b64 exec, exec, s[22:23]
	v_mov_b32_e32 v33, 0
	v_mov_b32_e32 v34, 0
	s_and_saveexec_b64 s[22:23], s[20:21]
	s_cbranch_execz .LBB766_228
; %bb.225:
	global_load_ubyte v34, v[2:3], off offset:512
	s_waitcnt vmcnt(0)
	v_and_b32_e32 v34, 1, v34
	v_cmp_eq_u32_e64 s[4:5], 1, v34
	s_xor_b64 s[4:5], s[4:5], -1
	v_mov_b32_e32 v34, 0
	s_and_saveexec_b64 s[20:21], s[4:5]
	s_cbranch_execz .LBB766_227
; %bb.226:
	v_sub_f32_e32 v32, v32, v46
	s_mov_b32 s4, 0x3fb8aa3b
	v_mul_f32_e32 v34, 0x3fb8aa3b, v32
	v_fma_f32 v47, v32, s4, -v34
	v_rndne_f32_e32 v48, v34
	v_fmac_f32_e32 v47, 0x32a5705f, v32
	v_sub_f32_e32 v34, v34, v48
	v_add_f32_e32 v34, v34, v47
	v_exp_f32_e32 v34, v34
	v_cvt_i32_f32_e32 v47, v48
	s_mov_b32 s4, 0xc2ce8ed0
	v_cmp_ngt_f32_e64 s[4:5], s4, v32
	v_ldexp_f32 v34, v34, v47
	v_cndmask_b32_e64 v34, 0, v34, s[4:5]
	s_mov_b32 s4, 0x42b17218
	v_mov_b32_e32 v47, 0x7f800000
	v_cmp_nlt_f32_e64 s[4:5], s4, v32
	v_cndmask_b32_e64 v34, v47, v34, s[4:5]
	v_add_f32_e32 v40, v40, v34
.LBB766_227:
	s_or_b64 exec, exec, s[20:21]
.LBB766_228:
	s_or_b64 exec, exec, s[22:23]
	s_and_saveexec_b64 s[20:21], s[18:19]
	s_cbranch_execz .LBB766_232
; %bb.229:
	global_load_ubyte v32, v[2:3], off offset:576
	v_mov_b32_e32 v33, 0
	s_waitcnt vmcnt(0)
	v_and_b32_e32 v32, 1, v32
	v_cmp_eq_u32_e64 s[4:5], 1, v32
	s_xor_b64 s[4:5], s[4:5], -1
	s_and_saveexec_b64 s[18:19], s[4:5]
	s_cbranch_execz .LBB766_231
; %bb.230:
	v_sub_f32_e32 v31, v31, v46
	s_mov_b32 s4, 0x3fb8aa3b
	v_mul_f32_e32 v32, 0x3fb8aa3b, v31
	v_fma_f32 v33, v31, s4, -v32
	v_rndne_f32_e32 v47, v32
	v_fmac_f32_e32 v33, 0x32a5705f, v31
	v_sub_f32_e32 v32, v32, v47
	v_add_f32_e32 v32, v32, v33
	v_exp_f32_e32 v32, v32
	v_cvt_i32_f32_e32 v33, v47
	s_mov_b32 s4, 0xc2ce8ed0
	v_cmp_ngt_f32_e64 s[4:5], s4, v31
	v_ldexp_f32 v32, v32, v33
	v_cndmask_b32_e64 v32, 0, v32, s[4:5]
	s_mov_b32 s4, 0x42b17218
	v_mov_b32_e32 v33, 0x7f800000
	v_cmp_nlt_f32_e64 s[4:5], s4, v31
	v_cndmask_b32_e64 v33, v33, v32, s[4:5]
	v_add_f32_e32 v40, v40, v33
.LBB766_231:
	s_or_b64 exec, exec, s[18:19]
.LBB766_232:
	s_or_b64 exec, exec, s[20:21]
	v_mov_b32_e32 v31, 0
	v_mov_b32_e32 v32, 0
	s_and_saveexec_b64 s[18:19], s[16:17]
	s_cbranch_execz .LBB766_236
; %bb.233:
	global_load_ubyte v32, v[2:3], off offset:640
	s_waitcnt vmcnt(0)
	v_and_b32_e32 v32, 1, v32
	v_cmp_eq_u32_e64 s[4:5], 1, v32
	s_xor_b64 s[4:5], s[4:5], -1
	v_mov_b32_e32 v32, 0
	s_and_saveexec_b64 s[16:17], s[4:5]
	s_cbranch_execz .LBB766_235
; %bb.234:
	v_sub_f32_e32 v30, v30, v46
	s_mov_b32 s4, 0x3fb8aa3b
	v_mul_f32_e32 v32, 0x3fb8aa3b, v30
	v_fma_f32 v47, v30, s4, -v32
	v_rndne_f32_e32 v48, v32
	v_fmac_f32_e32 v47, 0x32a5705f, v30
	v_sub_f32_e32 v32, v32, v48
	v_add_f32_e32 v32, v32, v47
	v_exp_f32_e32 v32, v32
	v_cvt_i32_f32_e32 v47, v48
	s_mov_b32 s4, 0xc2ce8ed0
	v_cmp_ngt_f32_e64 s[4:5], s4, v30
	v_ldexp_f32 v32, v32, v47
	v_cndmask_b32_e64 v32, 0, v32, s[4:5]
	s_mov_b32 s4, 0x42b17218
	v_mov_b32_e32 v47, 0x7f800000
	v_cmp_nlt_f32_e64 s[4:5], s4, v30
	v_cndmask_b32_e64 v32, v47, v32, s[4:5]
	v_add_f32_e32 v40, v40, v32
.LBB766_235:
	s_or_b64 exec, exec, s[16:17]
.LBB766_236:
	s_or_b64 exec, exec, s[18:19]
	s_and_saveexec_b64 s[16:17], s[14:15]
	s_cbranch_execz .LBB766_240
; %bb.237:
	global_load_ubyte v30, v[2:3], off offset:704
	v_mov_b32_e32 v31, 0
	s_waitcnt vmcnt(0)
	v_and_b32_e32 v30, 1, v30
	v_cmp_eq_u32_e64 s[4:5], 1, v30
	s_xor_b64 s[4:5], s[4:5], -1
	s_and_saveexec_b64 s[14:15], s[4:5]
	s_cbranch_execz .LBB766_239
; %bb.238:
	v_sub_f32_e32 v29, v29, v46
	s_mov_b32 s4, 0x3fb8aa3b
	v_mul_f32_e32 v30, 0x3fb8aa3b, v29
	v_fma_f32 v31, v29, s4, -v30
	v_rndne_f32_e32 v47, v30
	v_fmac_f32_e32 v31, 0x32a5705f, v29
	v_sub_f32_e32 v30, v30, v47
	v_add_f32_e32 v30, v30, v31
	v_exp_f32_e32 v30, v30
	v_cvt_i32_f32_e32 v31, v47
	s_mov_b32 s4, 0xc2ce8ed0
	v_cmp_ngt_f32_e64 s[4:5], s4, v29
	v_ldexp_f32 v30, v30, v31
	v_cndmask_b32_e64 v30, 0, v30, s[4:5]
	s_mov_b32 s4, 0x42b17218
	v_mov_b32_e32 v31, 0x7f800000
	v_cmp_nlt_f32_e64 s[4:5], s4, v29
	v_cndmask_b32_e64 v31, v31, v30, s[4:5]
	v_add_f32_e32 v40, v40, v31
.LBB766_239:
	s_or_b64 exec, exec, s[14:15]
.LBB766_240:
	s_or_b64 exec, exec, s[16:17]
	v_mov_b32_e32 v29, 0
	v_mov_b32_e32 v30, 0
	s_and_saveexec_b64 s[14:15], s[12:13]
	s_cbranch_execz .LBB766_244
; %bb.241:
	global_load_ubyte v30, v[2:3], off offset:768
	s_waitcnt vmcnt(0)
	v_and_b32_e32 v30, 1, v30
	v_cmp_eq_u32_e64 s[4:5], 1, v30
	s_xor_b64 s[4:5], s[4:5], -1
	v_mov_b32_e32 v30, 0
	s_and_saveexec_b64 s[12:13], s[4:5]
	s_cbranch_execz .LBB766_243
; %bb.242:
	v_sub_f32_e32 v28, v28, v46
	s_mov_b32 s4, 0x3fb8aa3b
	v_mul_f32_e32 v30, 0x3fb8aa3b, v28
	v_fma_f32 v47, v28, s4, -v30
	v_rndne_f32_e32 v48, v30
	v_fmac_f32_e32 v47, 0x32a5705f, v28
	v_sub_f32_e32 v30, v30, v48
	v_add_f32_e32 v30, v30, v47
	v_exp_f32_e32 v30, v30
	v_cvt_i32_f32_e32 v47, v48
	s_mov_b32 s4, 0xc2ce8ed0
	v_cmp_ngt_f32_e64 s[4:5], s4, v28
	v_ldexp_f32 v30, v30, v47
	v_cndmask_b32_e64 v30, 0, v30, s[4:5]
	s_mov_b32 s4, 0x42b17218
	v_mov_b32_e32 v47, 0x7f800000
	v_cmp_nlt_f32_e64 s[4:5], s4, v28
	v_cndmask_b32_e64 v30, v47, v30, s[4:5]
	v_add_f32_e32 v40, v40, v30
.LBB766_243:
	s_or_b64 exec, exec, s[12:13]
.LBB766_244:
	s_or_b64 exec, exec, s[14:15]
	s_and_saveexec_b64 s[12:13], s[10:11]
	s_cbranch_execz .LBB766_248
; %bb.245:
	global_load_ubyte v28, v[2:3], off offset:832
	v_mov_b32_e32 v29, 0
	s_waitcnt vmcnt(0)
	v_and_b32_e32 v28, 1, v28
	v_cmp_eq_u32_e64 s[4:5], 1, v28
	s_xor_b64 s[4:5], s[4:5], -1
	s_and_saveexec_b64 s[10:11], s[4:5]
	s_cbranch_execz .LBB766_247
; %bb.246:
	v_sub_f32_e32 v27, v27, v46
	s_mov_b32 s4, 0x3fb8aa3b
	v_mul_f32_e32 v28, 0x3fb8aa3b, v27
	v_fma_f32 v29, v27, s4, -v28
	v_rndne_f32_e32 v47, v28
	v_fmac_f32_e32 v29, 0x32a5705f, v27
	v_sub_f32_e32 v28, v28, v47
	v_add_f32_e32 v28, v28, v29
	v_exp_f32_e32 v28, v28
	v_cvt_i32_f32_e32 v29, v47
	s_mov_b32 s4, 0xc2ce8ed0
	v_cmp_ngt_f32_e64 s[4:5], s4, v27
	v_ldexp_f32 v28, v28, v29
	v_cndmask_b32_e64 v28, 0, v28, s[4:5]
	s_mov_b32 s4, 0x42b17218
	v_mov_b32_e32 v29, 0x7f800000
	v_cmp_nlt_f32_e64 s[4:5], s4, v27
	v_cndmask_b32_e64 v29, v29, v28, s[4:5]
	v_add_f32_e32 v40, v40, v29
.LBB766_247:
	s_or_b64 exec, exec, s[10:11]
.LBB766_248:
	s_or_b64 exec, exec, s[12:13]
	v_mov_b32_e32 v27, 0
	v_mov_b32_e32 v28, 0
	s_and_saveexec_b64 s[10:11], s[8:9]
	s_cbranch_execz .LBB766_252
; %bb.249:
	global_load_ubyte v28, v[2:3], off offset:896
	s_waitcnt vmcnt(0)
	v_and_b32_e32 v28, 1, v28
	v_cmp_eq_u32_e64 s[4:5], 1, v28
	s_xor_b64 s[4:5], s[4:5], -1
	v_mov_b32_e32 v28, 0
	s_and_saveexec_b64 s[8:9], s[4:5]
	s_cbranch_execz .LBB766_251
; %bb.250:
	v_sub_f32_e32 v26, v26, v46
	s_mov_b32 s4, 0x3fb8aa3b
	v_mul_f32_e32 v28, 0x3fb8aa3b, v26
	v_fma_f32 v47, v26, s4, -v28
	v_rndne_f32_e32 v48, v28
	v_fmac_f32_e32 v47, 0x32a5705f, v26
	v_sub_f32_e32 v28, v28, v48
	v_add_f32_e32 v28, v28, v47
	v_exp_f32_e32 v28, v28
	v_cvt_i32_f32_e32 v47, v48
	s_mov_b32 s4, 0xc2ce8ed0
	v_cmp_ngt_f32_e64 s[4:5], s4, v26
	v_ldexp_f32 v28, v28, v47
	v_cndmask_b32_e64 v28, 0, v28, s[4:5]
	s_mov_b32 s4, 0x42b17218
	v_mov_b32_e32 v47, 0x7f800000
	v_cmp_nlt_f32_e64 s[4:5], s4, v26
	v_cndmask_b32_e64 v28, v47, v28, s[4:5]
	v_add_f32_e32 v40, v40, v28
.LBB766_251:
	s_or_b64 exec, exec, s[8:9]
.LBB766_252:
	s_or_b64 exec, exec, s[10:11]
	s_and_saveexec_b64 s[8:9], s[6:7]
	s_cbranch_execz .LBB766_256
; %bb.253:
	global_load_ubyte v26, v[2:3], off offset:960
	v_mov_b32_e32 v27, 0
	s_waitcnt vmcnt(0)
	v_and_b32_e32 v26, 1, v26
	v_cmp_eq_u32_e64 s[4:5], 1, v26
	s_xor_b64 s[4:5], s[4:5], -1
	s_and_saveexec_b64 s[6:7], s[4:5]
	s_cbranch_execz .LBB766_255
; %bb.254:
	v_sub_f32_e32 v25, v25, v46
	s_mov_b32 s4, 0x3fb8aa3b
	v_mul_f32_e32 v26, 0x3fb8aa3b, v25
	v_fma_f32 v27, v25, s4, -v26
	v_rndne_f32_e32 v47, v26
	v_fmac_f32_e32 v27, 0x32a5705f, v25
	v_sub_f32_e32 v26, v26, v47
	v_add_f32_e32 v26, v26, v27
	v_exp_f32_e32 v26, v26
	v_cvt_i32_f32_e32 v27, v47
	s_mov_b32 s4, 0xc2ce8ed0
	v_cmp_ngt_f32_e64 s[4:5], s4, v25
	v_ldexp_f32 v26, v26, v27
	v_cndmask_b32_e64 v26, 0, v26, s[4:5]
	s_mov_b32 s4, 0x42b17218
	v_mov_b32_e32 v27, 0x7f800000
	v_cmp_nlt_f32_e64 s[4:5], s4, v25
	v_cndmask_b32_e64 v27, v27, v26, s[4:5]
	v_add_f32_e32 v40, v40, v27
.LBB766_255:
	s_or_b64 exec, exec, s[6:7]
.LBB766_256:
	s_or_b64 exec, exec, s[8:9]
	v_mov_b32_e32 v25, 0
	v_mov_b32_e32 v26, 0
	s_and_saveexec_b64 s[6:7], s[66:67]
	s_cbranch_execz .LBB766_260
; %bb.257:
	global_load_ubyte v26, v[2:3], off offset:1024
	s_waitcnt vmcnt(0)
	v_and_b32_e32 v26, 1, v26
	v_cmp_eq_u32_e64 s[4:5], 1, v26
	s_xor_b64 s[4:5], s[4:5], -1
	v_mov_b32_e32 v26, 0
	s_and_saveexec_b64 s[8:9], s[4:5]
	s_cbranch_execz .LBB766_259
; %bb.258:
	v_sub_f32_e32 v24, v24, v46
	s_mov_b32 s4, 0x3fb8aa3b
	v_mul_f32_e32 v26, 0x3fb8aa3b, v24
	v_fma_f32 v47, v24, s4, -v26
	v_rndne_f32_e32 v48, v26
	v_fmac_f32_e32 v47, 0x32a5705f, v24
	v_sub_f32_e32 v26, v26, v48
	v_add_f32_e32 v26, v26, v47
	v_exp_f32_e32 v26, v26
	v_cvt_i32_f32_e32 v47, v48
	s_mov_b32 s4, 0xc2ce8ed0
	v_cmp_ngt_f32_e64 s[4:5], s4, v24
	v_ldexp_f32 v26, v26, v47
	v_cndmask_b32_e64 v26, 0, v26, s[4:5]
	s_mov_b32 s4, 0x42b17218
	v_mov_b32_e32 v47, 0x7f800000
	v_cmp_nlt_f32_e64 s[4:5], s4, v24
	v_cndmask_b32_e64 v26, v47, v26, s[4:5]
	v_add_f32_e32 v40, v40, v26
.LBB766_259:
	s_or_b64 exec, exec, s[8:9]
.LBB766_260:
	s_or_b64 exec, exec, s[6:7]
	s_and_saveexec_b64 s[6:7], s[2:3]
	s_cbranch_execz .LBB766_264
; %bb.261:
	global_load_ubyte v24, v[2:3], off offset:1088
	v_mov_b32_e32 v25, 0
	s_waitcnt vmcnt(0)
	v_and_b32_e32 v24, 1, v24
	v_cmp_eq_u32_e64 s[4:5], 1, v24
	s_xor_b64 s[4:5], s[4:5], -1
	s_and_saveexec_b64 s[2:3], s[4:5]
	s_cbranch_execz .LBB766_263
; %bb.262:
	v_sub_f32_e32 v23, v23, v46
	s_mov_b32 s4, 0x3fb8aa3b
	v_mul_f32_e32 v24, 0x3fb8aa3b, v23
	v_fma_f32 v25, v23, s4, -v24
	v_rndne_f32_e32 v47, v24
	v_fmac_f32_e32 v25, 0x32a5705f, v23
	v_sub_f32_e32 v24, v24, v47
	v_add_f32_e32 v24, v24, v25
	v_exp_f32_e32 v24, v24
	v_cvt_i32_f32_e32 v25, v47
	s_mov_b32 s4, 0xc2ce8ed0
	v_cmp_ngt_f32_e64 s[4:5], s4, v23
	v_ldexp_f32 v24, v24, v25
	v_cndmask_b32_e64 v24, 0, v24, s[4:5]
	s_mov_b32 s4, 0x42b17218
	v_mov_b32_e32 v25, 0x7f800000
	v_cmp_nlt_f32_e64 s[4:5], s4, v23
	v_cndmask_b32_e64 v25, v25, v24, s[4:5]
	v_add_f32_e32 v40, v40, v25
.LBB766_263:
	s_or_b64 exec, exec, s[2:3]
.LBB766_264:
	s_or_b64 exec, exec, s[6:7]
	v_mov_b32_e32 v23, 0
	v_mov_b32_e32 v24, 0
	s_and_saveexec_b64 s[2:3], s[0:1]
	s_cbranch_execz .LBB766_268
; %bb.265:
	global_load_ubyte v24, v[2:3], off offset:1152
	s_waitcnt vmcnt(0)
	v_and_b32_e32 v24, 1, v24
	v_cmp_eq_u32_e64 s[4:5], 1, v24
	s_xor_b64 s[4:5], s[4:5], -1
	v_mov_b32_e32 v24, 0
	s_and_saveexec_b64 s[0:1], s[4:5]
	s_cbranch_execz .LBB766_267
; %bb.266:
	v_sub_f32_e32 v22, v22, v46
	s_mov_b32 s4, 0x3fb8aa3b
	v_mul_f32_e32 v24, 0x3fb8aa3b, v22
	v_fma_f32 v47, v22, s4, -v24
	v_rndne_f32_e32 v48, v24
	v_fmac_f32_e32 v47, 0x32a5705f, v22
	v_sub_f32_e32 v24, v24, v48
	v_add_f32_e32 v24, v24, v47
	v_exp_f32_e32 v24, v24
	v_cvt_i32_f32_e32 v47, v48
	s_mov_b32 s4, 0xc2ce8ed0
	v_cmp_ngt_f32_e64 s[4:5], s4, v22
	v_ldexp_f32 v24, v24, v47
	v_cndmask_b32_e64 v24, 0, v24, s[4:5]
	s_mov_b32 s4, 0x42b17218
	v_mov_b32_e32 v47, 0x7f800000
	v_cmp_nlt_f32_e64 s[4:5], s4, v22
	v_cndmask_b32_e64 v24, v47, v24, s[4:5]
	v_add_f32_e32 v40, v40, v24
.LBB766_267:
	s_or_b64 exec, exec, s[0:1]
.LBB766_268:
	s_or_b64 exec, exec, s[2:3]
	s_and_saveexec_b64 s[0:1], s[94:95]
	s_cbranch_execz .LBB766_272
; %bb.269:
	global_load_ubyte v22, v[2:3], off offset:1216
	v_mov_b32_e32 v23, 0
	s_waitcnt vmcnt(0)
	v_and_b32_e32 v22, 1, v22
	v_cmp_eq_u32_e64 s[4:5], 1, v22
	s_xor_b64 s[4:5], s[4:5], -1
	s_and_saveexec_b64 s[2:3], s[4:5]
	s_cbranch_execz .LBB766_271
; %bb.270:
	v_sub_f32_e32 v21, v21, v46
	s_mov_b32 s4, 0x3fb8aa3b
	v_mul_f32_e32 v22, 0x3fb8aa3b, v21
	v_fma_f32 v23, v21, s4, -v22
	v_rndne_f32_e32 v47, v22
	v_fmac_f32_e32 v23, 0x32a5705f, v21
	v_sub_f32_e32 v22, v22, v47
	v_add_f32_e32 v22, v22, v23
	v_exp_f32_e32 v22, v22
	v_cvt_i32_f32_e32 v23, v47
	s_mov_b32 s4, 0xc2ce8ed0
	v_cmp_ngt_f32_e64 s[4:5], s4, v21
	v_ldexp_f32 v22, v22, v23
	v_cndmask_b32_e64 v22, 0, v22, s[4:5]
	s_mov_b32 s4, 0x42b17218
	v_mov_b32_e32 v23, 0x7f800000
	v_cmp_nlt_f32_e64 s[4:5], s4, v21
	v_cndmask_b32_e64 v23, v23, v22, s[4:5]
	v_add_f32_e32 v40, v40, v23
.LBB766_271:
	s_or_b64 exec, exec, s[2:3]
.LBB766_272:
	s_or_b64 exec, exec, s[0:1]
	v_mov_b32_e32 v21, 0
	v_mov_b32_e32 v22, 0
	s_and_saveexec_b64 s[0:1], s[92:93]
	s_cbranch_execz .LBB766_276
; %bb.273:
	global_load_ubyte v22, v[2:3], off offset:1280
	s_waitcnt vmcnt(0)
	v_and_b32_e32 v22, 1, v22
	v_cmp_eq_u32_e64 s[4:5], 1, v22
	s_xor_b64 s[4:5], s[4:5], -1
	v_mov_b32_e32 v22, 0
	s_and_saveexec_b64 s[2:3], s[4:5]
	s_cbranch_execz .LBB766_275
; %bb.274:
	v_sub_f32_e32 v20, v20, v46
	s_mov_b32 s4, 0x3fb8aa3b
	v_mul_f32_e32 v22, 0x3fb8aa3b, v20
	v_fma_f32 v47, v20, s4, -v22
	v_rndne_f32_e32 v48, v22
	v_fmac_f32_e32 v47, 0x32a5705f, v20
	v_sub_f32_e32 v22, v22, v48
	v_add_f32_e32 v22, v22, v47
	v_exp_f32_e32 v22, v22
	v_cvt_i32_f32_e32 v47, v48
	s_mov_b32 s4, 0xc2ce8ed0
	v_cmp_ngt_f32_e64 s[4:5], s4, v20
	v_ldexp_f32 v22, v22, v47
	v_cndmask_b32_e64 v22, 0, v22, s[4:5]
	s_mov_b32 s4, 0x42b17218
	v_mov_b32_e32 v47, 0x7f800000
	v_cmp_nlt_f32_e64 s[4:5], s4, v20
	v_cndmask_b32_e64 v22, v47, v22, s[4:5]
	v_add_f32_e32 v40, v40, v22
.LBB766_275:
	s_or_b64 exec, exec, s[2:3]
.LBB766_276:
	s_or_b64 exec, exec, s[0:1]
	s_and_saveexec_b64 s[0:1], s[90:91]
	s_cbranch_execz .LBB766_280
; %bb.277:
	global_load_ubyte v20, v[2:3], off offset:1344
	v_mov_b32_e32 v21, 0
	s_waitcnt vmcnt(0)
	v_and_b32_e32 v20, 1, v20
	v_cmp_eq_u32_e64 s[4:5], 1, v20
	s_xor_b64 s[4:5], s[4:5], -1
	s_and_saveexec_b64 s[2:3], s[4:5]
	s_cbranch_execz .LBB766_279
; %bb.278:
	v_sub_f32_e32 v19, v19, v46
	s_mov_b32 s4, 0x3fb8aa3b
	v_mul_f32_e32 v20, 0x3fb8aa3b, v19
	v_fma_f32 v21, v19, s4, -v20
	v_rndne_f32_e32 v47, v20
	v_fmac_f32_e32 v21, 0x32a5705f, v19
	v_sub_f32_e32 v20, v20, v47
	v_add_f32_e32 v20, v20, v21
	v_exp_f32_e32 v20, v20
	v_cvt_i32_f32_e32 v21, v47
	s_mov_b32 s4, 0xc2ce8ed0
	v_cmp_ngt_f32_e64 s[4:5], s4, v19
	v_ldexp_f32 v20, v20, v21
	v_cndmask_b32_e64 v20, 0, v20, s[4:5]
	s_mov_b32 s4, 0x42b17218
	v_mov_b32_e32 v21, 0x7f800000
	v_cmp_nlt_f32_e64 s[4:5], s4, v19
	v_cndmask_b32_e64 v21, v21, v20, s[4:5]
	v_add_f32_e32 v40, v40, v21
.LBB766_279:
	s_or_b64 exec, exec, s[2:3]
.LBB766_280:
	s_or_b64 exec, exec, s[0:1]
	v_mov_b32_e32 v19, 0
	v_mov_b32_e32 v20, 0
	s_and_saveexec_b64 s[0:1], s[88:89]
	s_cbranch_execz .LBB766_284
; %bb.281:
	global_load_ubyte v20, v[2:3], off offset:1408
	s_waitcnt vmcnt(0)
	v_and_b32_e32 v20, 1, v20
	v_cmp_eq_u32_e64 s[4:5], 1, v20
	s_xor_b64 s[4:5], s[4:5], -1
	v_mov_b32_e32 v20, 0
	s_and_saveexec_b64 s[2:3], s[4:5]
	s_cbranch_execz .LBB766_283
; %bb.282:
	v_sub_f32_e32 v18, v18, v46
	s_mov_b32 s4, 0x3fb8aa3b
	v_mul_f32_e32 v20, 0x3fb8aa3b, v18
	v_fma_f32 v47, v18, s4, -v20
	v_rndne_f32_e32 v48, v20
	v_fmac_f32_e32 v47, 0x32a5705f, v18
	v_sub_f32_e32 v20, v20, v48
	v_add_f32_e32 v20, v20, v47
	v_exp_f32_e32 v20, v20
	v_cvt_i32_f32_e32 v47, v48
	s_mov_b32 s4, 0xc2ce8ed0
	v_cmp_ngt_f32_e64 s[4:5], s4, v18
	v_ldexp_f32 v20, v20, v47
	v_cndmask_b32_e64 v20, 0, v20, s[4:5]
	s_mov_b32 s4, 0x42b17218
	v_mov_b32_e32 v47, 0x7f800000
	v_cmp_nlt_f32_e64 s[4:5], s4, v18
	v_cndmask_b32_e64 v20, v47, v20, s[4:5]
	v_add_f32_e32 v40, v40, v20
.LBB766_283:
	s_or_b64 exec, exec, s[2:3]
.LBB766_284:
	s_or_b64 exec, exec, s[0:1]
	s_and_saveexec_b64 s[0:1], s[86:87]
	s_cbranch_execz .LBB766_288
; %bb.285:
	global_load_ubyte v18, v[2:3], off offset:1472
	v_mov_b32_e32 v19, 0
	s_waitcnt vmcnt(0)
	v_and_b32_e32 v18, 1, v18
	v_cmp_eq_u32_e64 s[4:5], 1, v18
	s_xor_b64 s[4:5], s[4:5], -1
	s_and_saveexec_b64 s[2:3], s[4:5]
	s_cbranch_execz .LBB766_287
; %bb.286:
	v_sub_f32_e32 v17, v17, v46
	s_mov_b32 s4, 0x3fb8aa3b
	v_mul_f32_e32 v18, 0x3fb8aa3b, v17
	v_fma_f32 v19, v17, s4, -v18
	v_rndne_f32_e32 v47, v18
	v_fmac_f32_e32 v19, 0x32a5705f, v17
	v_sub_f32_e32 v18, v18, v47
	v_add_f32_e32 v18, v18, v19
	v_exp_f32_e32 v18, v18
	v_cvt_i32_f32_e32 v19, v47
	s_mov_b32 s4, 0xc2ce8ed0
	v_cmp_ngt_f32_e64 s[4:5], s4, v17
	v_ldexp_f32 v18, v18, v19
	v_cndmask_b32_e64 v18, 0, v18, s[4:5]
	s_mov_b32 s4, 0x42b17218
	v_mov_b32_e32 v19, 0x7f800000
	v_cmp_nlt_f32_e64 s[4:5], s4, v17
	v_cndmask_b32_e64 v19, v19, v18, s[4:5]
	v_add_f32_e32 v40, v40, v19
.LBB766_287:
	s_or_b64 exec, exec, s[2:3]
.LBB766_288:
	s_or_b64 exec, exec, s[0:1]
	v_mov_b32_e32 v17, 0
	v_mov_b32_e32 v18, 0
	s_and_saveexec_b64 s[0:1], s[84:85]
	s_cbranch_execz .LBB766_292
; %bb.289:
	global_load_ubyte v18, v[2:3], off offset:1536
	s_waitcnt vmcnt(0)
	v_and_b32_e32 v18, 1, v18
	v_cmp_eq_u32_e64 s[4:5], 1, v18
	s_xor_b64 s[4:5], s[4:5], -1
	v_mov_b32_e32 v18, 0
	s_and_saveexec_b64 s[2:3], s[4:5]
	s_cbranch_execz .LBB766_291
; %bb.290:
	v_sub_f32_e32 v16, v16, v46
	s_mov_b32 s4, 0x3fb8aa3b
	v_mul_f32_e32 v18, 0x3fb8aa3b, v16
	v_fma_f32 v47, v16, s4, -v18
	v_rndne_f32_e32 v48, v18
	v_fmac_f32_e32 v47, 0x32a5705f, v16
	v_sub_f32_e32 v18, v18, v48
	v_add_f32_e32 v18, v18, v47
	v_exp_f32_e32 v18, v18
	v_cvt_i32_f32_e32 v47, v48
	s_mov_b32 s4, 0xc2ce8ed0
	v_cmp_ngt_f32_e64 s[4:5], s4, v16
	v_ldexp_f32 v18, v18, v47
	v_cndmask_b32_e64 v18, 0, v18, s[4:5]
	s_mov_b32 s4, 0x42b17218
	v_mov_b32_e32 v47, 0x7f800000
	v_cmp_nlt_f32_e64 s[4:5], s4, v16
	v_cndmask_b32_e64 v18, v47, v18, s[4:5]
	v_add_f32_e32 v40, v40, v18
.LBB766_291:
	s_or_b64 exec, exec, s[2:3]
.LBB766_292:
	s_or_b64 exec, exec, s[0:1]
	s_and_saveexec_b64 s[0:1], s[82:83]
	s_cbranch_execz .LBB766_296
; %bb.293:
	global_load_ubyte v16, v[2:3], off offset:1600
	v_mov_b32_e32 v17, 0
	s_waitcnt vmcnt(0)
	v_and_b32_e32 v16, 1, v16
	v_cmp_eq_u32_e64 s[4:5], 1, v16
	s_xor_b64 s[4:5], s[4:5], -1
	s_and_saveexec_b64 s[2:3], s[4:5]
	s_cbranch_execz .LBB766_295
; %bb.294:
	v_sub_f32_e32 v15, v15, v46
	s_mov_b32 s4, 0x3fb8aa3b
	v_mul_f32_e32 v16, 0x3fb8aa3b, v15
	v_fma_f32 v17, v15, s4, -v16
	v_rndne_f32_e32 v47, v16
	v_fmac_f32_e32 v17, 0x32a5705f, v15
	v_sub_f32_e32 v16, v16, v47
	v_add_f32_e32 v16, v16, v17
	v_exp_f32_e32 v16, v16
	v_cvt_i32_f32_e32 v17, v47
	s_mov_b32 s4, 0xc2ce8ed0
	v_cmp_ngt_f32_e64 s[4:5], s4, v15
	v_ldexp_f32 v16, v16, v17
	v_cndmask_b32_e64 v16, 0, v16, s[4:5]
	s_mov_b32 s4, 0x42b17218
	v_mov_b32_e32 v17, 0x7f800000
	v_cmp_nlt_f32_e64 s[4:5], s4, v15
	v_cndmask_b32_e64 v17, v17, v16, s[4:5]
	v_add_f32_e32 v40, v40, v17
.LBB766_295:
	s_or_b64 exec, exec, s[2:3]
.LBB766_296:
	s_or_b64 exec, exec, s[0:1]
	v_mov_b32_e32 v15, 0
	v_mov_b32_e32 v16, 0
	s_and_saveexec_b64 s[0:1], s[80:81]
	s_cbranch_execz .LBB766_300
; %bb.297:
	global_load_ubyte v16, v[2:3], off offset:1664
	s_waitcnt vmcnt(0)
	v_and_b32_e32 v16, 1, v16
	v_cmp_eq_u32_e64 s[4:5], 1, v16
	s_xor_b64 s[4:5], s[4:5], -1
	v_mov_b32_e32 v16, 0
	s_and_saveexec_b64 s[2:3], s[4:5]
	s_cbranch_execz .LBB766_299
; %bb.298:
	v_sub_f32_e32 v14, v14, v46
	s_mov_b32 s4, 0x3fb8aa3b
	v_mul_f32_e32 v16, 0x3fb8aa3b, v14
	v_fma_f32 v47, v14, s4, -v16
	v_rndne_f32_e32 v48, v16
	v_fmac_f32_e32 v47, 0x32a5705f, v14
	v_sub_f32_e32 v16, v16, v48
	v_add_f32_e32 v16, v16, v47
	v_exp_f32_e32 v16, v16
	v_cvt_i32_f32_e32 v47, v48
	s_mov_b32 s4, 0xc2ce8ed0
	v_cmp_ngt_f32_e64 s[4:5], s4, v14
	v_ldexp_f32 v16, v16, v47
	v_cndmask_b32_e64 v16, 0, v16, s[4:5]
	s_mov_b32 s4, 0x42b17218
	v_mov_b32_e32 v47, 0x7f800000
	v_cmp_nlt_f32_e64 s[4:5], s4, v14
	v_cndmask_b32_e64 v16, v47, v16, s[4:5]
	v_add_f32_e32 v40, v40, v16
.LBB766_299:
	s_or_b64 exec, exec, s[2:3]
.LBB766_300:
	s_or_b64 exec, exec, s[0:1]
	s_and_saveexec_b64 s[0:1], s[78:79]
	s_cbranch_execz .LBB766_304
; %bb.301:
	global_load_ubyte v14, v[2:3], off offset:1728
	v_mov_b32_e32 v15, 0
	s_waitcnt vmcnt(0)
	v_and_b32_e32 v14, 1, v14
	v_cmp_eq_u32_e64 s[4:5], 1, v14
	s_xor_b64 s[4:5], s[4:5], -1
	s_and_saveexec_b64 s[2:3], s[4:5]
	s_cbranch_execz .LBB766_303
; %bb.302:
	v_sub_f32_e32 v13, v13, v46
	s_mov_b32 s4, 0x3fb8aa3b
	v_mul_f32_e32 v14, 0x3fb8aa3b, v13
	v_fma_f32 v15, v13, s4, -v14
	v_rndne_f32_e32 v47, v14
	v_fmac_f32_e32 v15, 0x32a5705f, v13
	v_sub_f32_e32 v14, v14, v47
	v_add_f32_e32 v14, v14, v15
	v_exp_f32_e32 v14, v14
	v_cvt_i32_f32_e32 v15, v47
	s_mov_b32 s4, 0xc2ce8ed0
	v_cmp_ngt_f32_e64 s[4:5], s4, v13
	v_ldexp_f32 v14, v14, v15
	v_cndmask_b32_e64 v14, 0, v14, s[4:5]
	s_mov_b32 s4, 0x42b17218
	v_mov_b32_e32 v15, 0x7f800000
	v_cmp_nlt_f32_e64 s[4:5], s4, v13
	v_cndmask_b32_e64 v15, v15, v14, s[4:5]
	v_add_f32_e32 v40, v40, v15
.LBB766_303:
	s_or_b64 exec, exec, s[2:3]
.LBB766_304:
	s_or_b64 exec, exec, s[0:1]
	v_mov_b32_e32 v13, 0
	v_mov_b32_e32 v14, 0
	s_and_saveexec_b64 s[0:1], s[76:77]
	s_cbranch_execz .LBB766_308
; %bb.305:
	global_load_ubyte v14, v[2:3], off offset:1792
	s_waitcnt vmcnt(0)
	v_and_b32_e32 v14, 1, v14
	v_cmp_eq_u32_e64 s[4:5], 1, v14
	s_xor_b64 s[4:5], s[4:5], -1
	v_mov_b32_e32 v14, 0
	s_and_saveexec_b64 s[2:3], s[4:5]
	s_cbranch_execz .LBB766_307
; %bb.306:
	v_sub_f32_e32 v12, v12, v46
	s_mov_b32 s4, 0x3fb8aa3b
	v_mul_f32_e32 v14, 0x3fb8aa3b, v12
	v_fma_f32 v47, v12, s4, -v14
	v_rndne_f32_e32 v48, v14
	v_fmac_f32_e32 v47, 0x32a5705f, v12
	v_sub_f32_e32 v14, v14, v48
	v_add_f32_e32 v14, v14, v47
	v_exp_f32_e32 v14, v14
	v_cvt_i32_f32_e32 v47, v48
	s_mov_b32 s4, 0xc2ce8ed0
	v_cmp_ngt_f32_e64 s[4:5], s4, v12
	v_ldexp_f32 v14, v14, v47
	v_cndmask_b32_e64 v14, 0, v14, s[4:5]
	s_mov_b32 s4, 0x42b17218
	v_mov_b32_e32 v47, 0x7f800000
	v_cmp_nlt_f32_e64 s[4:5], s4, v12
	v_cndmask_b32_e64 v14, v47, v14, s[4:5]
	v_add_f32_e32 v40, v40, v14
.LBB766_307:
	s_or_b64 exec, exec, s[2:3]
.LBB766_308:
	s_or_b64 exec, exec, s[0:1]
	s_and_saveexec_b64 s[0:1], s[72:73]
	s_cbranch_execz .LBB766_312
; %bb.309:
	global_load_ubyte v12, v[2:3], off offset:1856
	v_mov_b32_e32 v13, 0
	s_waitcnt vmcnt(0)
	v_and_b32_e32 v12, 1, v12
	v_cmp_eq_u32_e64 s[4:5], 1, v12
	s_xor_b64 s[4:5], s[4:5], -1
	s_and_saveexec_b64 s[2:3], s[4:5]
	s_cbranch_execz .LBB766_311
; %bb.310:
	v_sub_f32_e32 v11, v11, v46
	s_mov_b32 s4, 0x3fb8aa3b
	v_mul_f32_e32 v12, 0x3fb8aa3b, v11
	v_fma_f32 v13, v11, s4, -v12
	v_rndne_f32_e32 v47, v12
	v_fmac_f32_e32 v13, 0x32a5705f, v11
	v_sub_f32_e32 v12, v12, v47
	v_add_f32_e32 v12, v12, v13
	v_exp_f32_e32 v12, v12
	v_cvt_i32_f32_e32 v13, v47
	s_mov_b32 s4, 0xc2ce8ed0
	v_cmp_ngt_f32_e64 s[4:5], s4, v11
	v_ldexp_f32 v12, v12, v13
	v_cndmask_b32_e64 v12, 0, v12, s[4:5]
	s_mov_b32 s4, 0x42b17218
	v_mov_b32_e32 v13, 0x7f800000
	v_cmp_nlt_f32_e64 s[4:5], s4, v11
	v_cndmask_b32_e64 v13, v13, v12, s[4:5]
	v_add_f32_e32 v40, v40, v13
.LBB766_311:
	s_or_b64 exec, exec, s[2:3]
.LBB766_312:
	s_or_b64 exec, exec, s[0:1]
	v_mov_b32_e32 v11, 0
	v_mov_b32_e32 v12, 0
	s_and_saveexec_b64 s[0:1], s[70:71]
	s_cbranch_execz .LBB766_316
; %bb.313:
	global_load_ubyte v12, v[2:3], off offset:1920
	s_waitcnt vmcnt(0)
	v_and_b32_e32 v12, 1, v12
	v_cmp_eq_u32_e64 s[4:5], 1, v12
	s_xor_b64 s[4:5], s[4:5], -1
	v_mov_b32_e32 v12, 0
	s_and_saveexec_b64 s[2:3], s[4:5]
	s_cbranch_execz .LBB766_315
; %bb.314:
	v_sub_f32_e32 v10, v10, v46
	s_mov_b32 s4, 0x3fb8aa3b
	v_mul_f32_e32 v12, 0x3fb8aa3b, v10
	v_fma_f32 v47, v10, s4, -v12
	v_rndne_f32_e32 v48, v12
	v_fmac_f32_e32 v47, 0x32a5705f, v10
	v_sub_f32_e32 v12, v12, v48
	v_add_f32_e32 v12, v12, v47
	v_exp_f32_e32 v12, v12
	v_cvt_i32_f32_e32 v47, v48
	s_mov_b32 s4, 0xc2ce8ed0
	v_cmp_ngt_f32_e64 s[4:5], s4, v10
	v_ldexp_f32 v12, v12, v47
	v_cndmask_b32_e64 v12, 0, v12, s[4:5]
	s_mov_b32 s4, 0x42b17218
	v_mov_b32_e32 v47, 0x7f800000
	v_cmp_nlt_f32_e64 s[4:5], s4, v10
	v_cndmask_b32_e64 v12, v47, v12, s[4:5]
	v_add_f32_e32 v40, v40, v12
.LBB766_315:
	s_or_b64 exec, exec, s[2:3]
.LBB766_316:
	s_or_b64 exec, exec, s[0:1]
	s_and_saveexec_b64 s[0:1], s[64:65]
	s_cbranch_execz .LBB766_320
; %bb.317:
	global_load_ubyte v2, v[2:3], off offset:1984
	v_mov_b32_e32 v11, 0
	s_waitcnt vmcnt(0)
	v_and_b32_e32 v2, 1, v2
	v_cmp_eq_u32_e64 s[4:5], 1, v2
	s_xor_b64 s[4:5], s[4:5], -1
	s_and_saveexec_b64 s[2:3], s[4:5]
	s_cbranch_execz .LBB766_319
; %bb.318:
	v_sub_f32_e32 v2, v9, v46
	s_mov_b32 s4, 0x3fb8aa3b
	v_mul_f32_e32 v3, 0x3fb8aa3b, v2
	v_fma_f32 v9, v2, s4, -v3
	v_rndne_f32_e32 v10, v3
	v_fmac_f32_e32 v9, 0x32a5705f, v2
	v_sub_f32_e32 v3, v3, v10
	v_add_f32_e32 v3, v3, v9
	v_exp_f32_e32 v3, v3
	v_cvt_i32_f32_e32 v9, v10
	s_mov_b32 s4, 0xc2ce8ed0
	v_cmp_ngt_f32_e64 s[4:5], s4, v2
	v_ldexp_f32 v3, v3, v9
	v_cndmask_b32_e64 v3, 0, v3, s[4:5]
	s_mov_b32 s4, 0x42b17218
	v_mov_b32_e32 v9, 0x7f800000
	v_cmp_nlt_f32_e64 s[4:5], s4, v2
	v_cndmask_b32_e64 v11, v9, v3, s[4:5]
	v_add_f32_e32 v40, v40, v11
.LBB766_319:
	s_or_b64 exec, exec, s[2:3]
.LBB766_320:
	s_or_b64 exec, exec, s[0:1]
	ds_bpermute_b32 v2, v6, v40
	v_cmp_lt_i32_e64 s[4:5], 0, v8
	s_waitcnt lgkmcnt(0)
	v_add_f32_e32 v2, v40, v2
	ds_bpermute_b32 v3, v7, v2
	s_waitcnt lgkmcnt(0)
	v_add_f32_e32 v2, v2, v3
	ds_bpermute_b32 v3, v41, v2
	;; [unrolled: 3-line block ×5, first 2 shown]
	s_and_saveexec_b64 s[0:1], s[4:5]
	s_cbranch_execz .LBB766_418
; %bb.321:
	s_and_b64 exec, exec, vcc
	s_cbranch_execz .LBB766_418
; %bb.322:
	s_waitcnt lgkmcnt(0)
	v_add_f32_e32 v2, v2, v3
	v_cmp_neq_f32_e64 s[64:65], 0, v2
	v_mov_b32_e32 v3, 0x7fc0
	s_and_saveexec_b64 s[0:1], s[64:65]
	s_cbranch_execz .LBB766_324
; %bb.323:
	v_div_scale_f32 v3, s[2:3], v2, v2, v44
	v_rcp_f32_e32 v6, v3
	v_div_scale_f32 v7, vcc, v44, v2, v44
	s_movk_i32 s2, 0x7fff
	v_fma_f32 v8, -v3, v6, 1.0
	v_fmac_f32_e32 v6, v8, v6
	v_mul_f32_e32 v8, v7, v6
	v_fma_f32 v9, -v3, v8, v7
	v_fmac_f32_e32 v8, v9, v6
	v_fma_f32 v3, -v3, v8, v7
	v_div_fmas_f32 v3, v3, v6, v8
	v_div_fixup_f32 v3, v3, v2, v44
	v_bfe_u32 v6, v3, 16, 1
	v_add3_u32 v6, v3, v6, s2
	v_lshrrev_b32_e32 v6, 16, v6
	v_mov_b32_e32 v7, 0x7fc0
	v_cmp_o_f32_e32 vcc, v3, v3
	v_cndmask_b32_e32 v3, v7, v6, vcc
.LBB766_324:
	s_or_b64 exec, exec, s[0:1]
	v_readlane_b32 s0, v49, 0
	v_readlane_b32 s1, v49, 1
	v_mov_b32_e32 v6, s1
	v_add_co_u32_e32 v0, vcc, s0, v0
	v_addc_co_u32_e32 v1, vcc, v6, v1, vcc
	v_readlane_b32 s2, v49, 2
	v_readlane_b32 s3, v49, 3
	global_store_short v[0:1], v3, off
	s_and_b64 exec, exec, s[62:63]
	s_cbranch_execz .LBB766_418
; %bb.325:
	v_mov_b32_e32 v3, 0x7fc0
	s_and_saveexec_b64 s[0:1], s[64:65]
	s_cbranch_execz .LBB766_327
; %bb.326:
	v_div_scale_f32 v3, s[2:3], v2, v2, v4
	v_rcp_f32_e32 v6, v3
	v_div_scale_f32 v7, vcc, v4, v2, v4
	s_movk_i32 s2, 0x7fff
	v_fma_f32 v8, -v3, v6, 1.0
	v_fmac_f32_e32 v6, v8, v6
	v_mul_f32_e32 v8, v7, v6
	v_fma_f32 v9, -v3, v8, v7
	v_fmac_f32_e32 v8, v9, v6
	v_fma_f32 v3, -v3, v8, v7
	v_div_fmas_f32 v3, v3, v6, v8
	v_div_fixup_f32 v3, v3, v2, v4
	v_bfe_u32 v4, v3, 16, 1
	v_add3_u32 v4, v3, v4, s2
	v_lshrrev_b32_e32 v4, 16, v4
	v_mov_b32_e32 v6, 0x7fc0
	v_cmp_o_f32_e32 vcc, v3, v3
	v_cndmask_b32_e32 v3, v6, v4, vcc
.LBB766_327:
	s_or_b64 exec, exec, s[0:1]
	global_store_short v[0:1], v3, off offset:128
	s_and_b64 exec, exec, s[60:61]
	s_cbranch_execz .LBB766_418
; %bb.328:
	v_mov_b32_e32 v3, 0x7fc0
	s_and_saveexec_b64 s[0:1], s[64:65]
	s_cbranch_execz .LBB766_330
; %bb.329:
	v_div_scale_f32 v3, s[2:3], v2, v2, v39
	v_rcp_f32_e32 v4, v3
	v_div_scale_f32 v6, vcc, v39, v2, v39
	s_movk_i32 s2, 0x7fff
	v_fma_f32 v7, -v3, v4, 1.0
	v_fmac_f32_e32 v4, v7, v4
	v_mul_f32_e32 v7, v6, v4
	v_fma_f32 v8, -v3, v7, v6
	v_fmac_f32_e32 v7, v8, v4
	v_fma_f32 v3, -v3, v7, v6
	v_div_fmas_f32 v3, v3, v4, v7
	v_div_fixup_f32 v3, v3, v2, v39
	v_bfe_u32 v4, v3, 16, 1
	v_add3_u32 v4, v3, v4, s2
	v_lshrrev_b32_e32 v4, 16, v4
	v_mov_b32_e32 v6, 0x7fc0
	v_cmp_o_f32_e32 vcc, v3, v3
	v_cndmask_b32_e32 v3, v6, v4, vcc
.LBB766_330:
	s_or_b64 exec, exec, s[0:1]
	global_store_short v[0:1], v3, off offset:256
	s_and_b64 exec, exec, s[58:59]
	s_cbranch_execz .LBB766_418
; %bb.331:
	v_mov_b32_e32 v3, 0x7fc0
	s_and_saveexec_b64 s[0:1], s[64:65]
	s_cbranch_execz .LBB766_333
; %bb.332:
	v_div_scale_f32 v3, s[2:3], v2, v2, v5
	v_rcp_f32_e32 v4, v3
	v_div_scale_f32 v6, vcc, v5, v2, v5
	s_movk_i32 s2, 0x7fff
	v_fma_f32 v7, -v3, v4, 1.0
	v_fmac_f32_e32 v4, v7, v4
	v_mul_f32_e32 v7, v6, v4
	v_fma_f32 v8, -v3, v7, v6
	v_fmac_f32_e32 v7, v8, v4
	v_fma_f32 v3, -v3, v7, v6
	v_div_fmas_f32 v3, v3, v4, v7
	v_div_fixup_f32 v3, v3, v2, v5
	v_bfe_u32 v4, v3, 16, 1
	v_add3_u32 v4, v3, v4, s2
	v_lshrrev_b32_e32 v4, 16, v4
	v_mov_b32_e32 v5, 0x7fc0
	v_cmp_o_f32_e32 vcc, v3, v3
	v_cndmask_b32_e32 v3, v5, v4, vcc
.LBB766_333:
	s_or_b64 exec, exec, s[0:1]
	global_store_short v[0:1], v3, off offset:384
	s_and_b64 exec, exec, s[56:57]
	s_cbranch_execz .LBB766_418
; %bb.334:
	v_mov_b32_e32 v3, 0x7fc0
	s_and_saveexec_b64 s[0:1], s[64:65]
	s_cbranch_execz .LBB766_336
; %bb.335:
	v_div_scale_f32 v3, s[2:3], v2, v2, v38
	v_rcp_f32_e32 v4, v3
	v_div_scale_f32 v5, vcc, v38, v2, v38
	s_movk_i32 s2, 0x7fff
	v_fma_f32 v6, -v3, v4, 1.0
	v_fmac_f32_e32 v4, v6, v4
	v_mul_f32_e32 v6, v5, v4
	v_fma_f32 v7, -v3, v6, v5
	v_fmac_f32_e32 v6, v7, v4
	v_fma_f32 v3, -v3, v6, v5
	v_div_fmas_f32 v3, v3, v4, v6
	v_div_fixup_f32 v3, v3, v2, v38
	v_bfe_u32 v4, v3, 16, 1
	v_add3_u32 v4, v3, v4, s2
	v_lshrrev_b32_e32 v4, 16, v4
	v_mov_b32_e32 v5, 0x7fc0
	v_cmp_o_f32_e32 vcc, v3, v3
	v_cndmask_b32_e32 v3, v5, v4, vcc
.LBB766_336:
	s_or_b64 exec, exec, s[0:1]
	global_store_short v[0:1], v3, off offset:512
	s_and_b64 exec, exec, s[54:55]
	s_cbranch_execz .LBB766_418
; %bb.337:
	v_mov_b32_e32 v3, 0x7fc0
	s_and_saveexec_b64 s[0:1], s[64:65]
	s_cbranch_execz .LBB766_339
; %bb.338:
	v_div_scale_f32 v3, s[2:3], v2, v2, v37
	v_rcp_f32_e32 v4, v3
	v_div_scale_f32 v5, vcc, v37, v2, v37
	s_movk_i32 s2, 0x7fff
	v_fma_f32 v6, -v3, v4, 1.0
	v_fmac_f32_e32 v4, v6, v4
	v_mul_f32_e32 v6, v5, v4
	v_fma_f32 v7, -v3, v6, v5
	v_fmac_f32_e32 v6, v7, v4
	v_fma_f32 v3, -v3, v6, v5
	v_div_fmas_f32 v3, v3, v4, v6
	v_div_fixup_f32 v3, v3, v2, v37
	v_bfe_u32 v4, v3, 16, 1
	v_add3_u32 v4, v3, v4, s2
	v_lshrrev_b32_e32 v4, 16, v4
	v_mov_b32_e32 v5, 0x7fc0
	v_cmp_o_f32_e32 vcc, v3, v3
	v_cndmask_b32_e32 v3, v5, v4, vcc
.LBB766_339:
	s_or_b64 exec, exec, s[0:1]
	global_store_short v[0:1], v3, off offset:640
	s_and_b64 exec, exec, s[52:53]
	s_cbranch_execz .LBB766_418
; %bb.340:
	v_mov_b32_e32 v3, 0x7fc0
	s_and_saveexec_b64 s[0:1], s[64:65]
	s_cbranch_execz .LBB766_342
; %bb.341:
	v_div_scale_f32 v3, s[2:3], v2, v2, v36
	v_rcp_f32_e32 v4, v3
	v_div_scale_f32 v5, vcc, v36, v2, v36
	s_movk_i32 s2, 0x7fff
	v_fma_f32 v6, -v3, v4, 1.0
	v_fmac_f32_e32 v4, v6, v4
	v_mul_f32_e32 v6, v5, v4
	v_fma_f32 v7, -v3, v6, v5
	v_fmac_f32_e32 v6, v7, v4
	v_fma_f32 v3, -v3, v6, v5
	v_div_fmas_f32 v3, v3, v4, v6
	v_div_fixup_f32 v3, v3, v2, v36
	v_bfe_u32 v4, v3, 16, 1
	v_add3_u32 v4, v3, v4, s2
	v_lshrrev_b32_e32 v4, 16, v4
	v_mov_b32_e32 v5, 0x7fc0
	v_cmp_o_f32_e32 vcc, v3, v3
	v_cndmask_b32_e32 v3, v5, v4, vcc
.LBB766_342:
	s_or_b64 exec, exec, s[0:1]
	global_store_short v[0:1], v3, off offset:768
	s_and_b64 exec, exec, s[50:51]
	s_cbranch_execz .LBB766_418
; %bb.343:
	v_mov_b32_e32 v3, 0x7fc0
	s_and_saveexec_b64 s[0:1], s[64:65]
	s_cbranch_execz .LBB766_345
; %bb.344:
	v_div_scale_f32 v3, s[2:3], v2, v2, v35
	v_rcp_f32_e32 v4, v3
	v_div_scale_f32 v5, vcc, v35, v2, v35
	s_movk_i32 s2, 0x7fff
	v_fma_f32 v6, -v3, v4, 1.0
	v_fmac_f32_e32 v4, v6, v4
	v_mul_f32_e32 v6, v5, v4
	v_fma_f32 v7, -v3, v6, v5
	v_fmac_f32_e32 v6, v7, v4
	v_fma_f32 v3, -v3, v6, v5
	v_div_fmas_f32 v3, v3, v4, v6
	v_div_fixup_f32 v3, v3, v2, v35
	v_bfe_u32 v4, v3, 16, 1
	v_add3_u32 v4, v3, v4, s2
	v_lshrrev_b32_e32 v4, 16, v4
	v_mov_b32_e32 v5, 0x7fc0
	v_cmp_o_f32_e32 vcc, v3, v3
	v_cndmask_b32_e32 v3, v5, v4, vcc
.LBB766_345:
	s_or_b64 exec, exec, s[0:1]
	global_store_short v[0:1], v3, off offset:896
	s_and_b64 exec, exec, s[48:49]
	s_cbranch_execz .LBB766_418
; %bb.346:
	v_mov_b32_e32 v3, 0x7fc0
	s_and_saveexec_b64 s[0:1], s[64:65]
	s_cbranch_execz .LBB766_348
; %bb.347:
	v_div_scale_f32 v3, s[2:3], v2, v2, v34
	v_rcp_f32_e32 v4, v3
	v_div_scale_f32 v5, vcc, v34, v2, v34
	s_movk_i32 s2, 0x7fff
	v_fma_f32 v6, -v3, v4, 1.0
	v_fmac_f32_e32 v4, v6, v4
	v_mul_f32_e32 v6, v5, v4
	v_fma_f32 v7, -v3, v6, v5
	v_fmac_f32_e32 v6, v7, v4
	v_fma_f32 v3, -v3, v6, v5
	v_div_fmas_f32 v3, v3, v4, v6
	v_div_fixup_f32 v3, v3, v2, v34
	v_bfe_u32 v4, v3, 16, 1
	v_add3_u32 v4, v3, v4, s2
	v_lshrrev_b32_e32 v4, 16, v4
	v_mov_b32_e32 v5, 0x7fc0
	v_cmp_o_f32_e32 vcc, v3, v3
	v_cndmask_b32_e32 v3, v5, v4, vcc
.LBB766_348:
	s_or_b64 exec, exec, s[0:1]
	global_store_short v[0:1], v3, off offset:1024
	s_and_b64 exec, exec, s[46:47]
	s_cbranch_execz .LBB766_418
; %bb.349:
	v_mov_b32_e32 v3, 0x7fc0
	s_and_saveexec_b64 s[0:1], s[64:65]
	s_cbranch_execz .LBB766_351
; %bb.350:
	v_div_scale_f32 v3, s[2:3], v2, v2, v33
	v_rcp_f32_e32 v4, v3
	v_div_scale_f32 v5, vcc, v33, v2, v33
	s_movk_i32 s2, 0x7fff
	v_fma_f32 v6, -v3, v4, 1.0
	v_fmac_f32_e32 v4, v6, v4
	v_mul_f32_e32 v6, v5, v4
	v_fma_f32 v7, -v3, v6, v5
	v_fmac_f32_e32 v6, v7, v4
	v_fma_f32 v3, -v3, v6, v5
	v_div_fmas_f32 v3, v3, v4, v6
	v_div_fixup_f32 v3, v3, v2, v33
	v_bfe_u32 v4, v3, 16, 1
	v_add3_u32 v4, v3, v4, s2
	v_lshrrev_b32_e32 v4, 16, v4
	v_mov_b32_e32 v5, 0x7fc0
	v_cmp_o_f32_e32 vcc, v3, v3
	v_cndmask_b32_e32 v3, v5, v4, vcc
.LBB766_351:
	s_or_b64 exec, exec, s[0:1]
	global_store_short v[0:1], v3, off offset:1152
	s_and_b64 exec, exec, s[44:45]
	s_cbranch_execz .LBB766_418
; %bb.352:
	v_mov_b32_e32 v3, 0x7fc0
	s_and_saveexec_b64 s[0:1], s[64:65]
	s_cbranch_execz .LBB766_354
; %bb.353:
	v_div_scale_f32 v3, s[2:3], v2, v2, v32
	v_rcp_f32_e32 v4, v3
	v_div_scale_f32 v5, vcc, v32, v2, v32
	s_movk_i32 s2, 0x7fff
	v_fma_f32 v6, -v3, v4, 1.0
	v_fmac_f32_e32 v4, v6, v4
	v_mul_f32_e32 v6, v5, v4
	v_fma_f32 v7, -v3, v6, v5
	v_fmac_f32_e32 v6, v7, v4
	v_fma_f32 v3, -v3, v6, v5
	v_div_fmas_f32 v3, v3, v4, v6
	v_div_fixup_f32 v3, v3, v2, v32
	v_bfe_u32 v4, v3, 16, 1
	v_add3_u32 v4, v3, v4, s2
	v_lshrrev_b32_e32 v4, 16, v4
	v_mov_b32_e32 v5, 0x7fc0
	v_cmp_o_f32_e32 vcc, v3, v3
	v_cndmask_b32_e32 v3, v5, v4, vcc
.LBB766_354:
	s_or_b64 exec, exec, s[0:1]
	v_readlane_b32 s0, v49, 4
	v_readlane_b32 s1, v49, 5
	global_store_short v[0:1], v3, off offset:1280
	s_and_b64 exec, exec, s[0:1]
	s_cbranch_execz .LBB766_418
; %bb.355:
	v_mov_b32_e32 v3, 0x7fc0
	s_and_saveexec_b64 s[0:1], s[64:65]
	s_cbranch_execz .LBB766_357
; %bb.356:
	v_div_scale_f32 v3, s[2:3], v2, v2, v31
	v_rcp_f32_e32 v4, v3
	v_div_scale_f32 v5, vcc, v31, v2, v31
	s_movk_i32 s2, 0x7fff
	v_fma_f32 v6, -v3, v4, 1.0
	v_fmac_f32_e32 v4, v6, v4
	v_mul_f32_e32 v6, v5, v4
	v_fma_f32 v7, -v3, v6, v5
	v_fmac_f32_e32 v6, v7, v4
	v_fma_f32 v3, -v3, v6, v5
	v_div_fmas_f32 v3, v3, v4, v6
	v_div_fixup_f32 v3, v3, v2, v31
	v_bfe_u32 v4, v3, 16, 1
	v_add3_u32 v4, v3, v4, s2
	v_lshrrev_b32_e32 v4, 16, v4
	v_mov_b32_e32 v5, 0x7fc0
	v_cmp_o_f32_e32 vcc, v3, v3
	v_cndmask_b32_e32 v3, v5, v4, vcc
.LBB766_357:
	s_or_b64 exec, exec, s[0:1]
	v_readlane_b32 s0, v49, 6
	v_readlane_b32 s1, v49, 7
	global_store_short v[0:1], v3, off offset:1408
	;; [unrolled: 30-line block ×21, first 2 shown]
	s_and_b64 exec, exec, s[0:1]
	s_cbranch_execz .LBB766_418
; %bb.415:
	v_mov_b32_e32 v3, 0x7fc0
	s_and_saveexec_b64 s[0:1], s[64:65]
	s_cbranch_execz .LBB766_417
; %bb.416:
	v_div_scale_f32 v3, s[2:3], v2, v2, v11
	v_rcp_f32_e32 v4, v3
	v_div_scale_f32 v5, vcc, v11, v2, v11
	s_movk_i32 s2, 0x7fff
	v_fma_f32 v6, -v3, v4, 1.0
	v_fmac_f32_e32 v4, v6, v4
	v_mul_f32_e32 v6, v5, v4
	v_fma_f32 v7, -v3, v6, v5
	v_fmac_f32_e32 v6, v7, v4
	v_fma_f32 v3, -v3, v6, v5
	v_div_fmas_f32 v3, v3, v4, v6
	v_div_fixup_f32 v2, v3, v2, v11
	v_bfe_u32 v3, v2, 16, 1
	v_add3_u32 v3, v2, v3, s2
	v_lshrrev_b32_e32 v3, 16, v3
	v_mov_b32_e32 v4, 0x7fc0
	v_cmp_o_f32_e32 vcc, v2, v2
	v_cndmask_b32_e32 v3, v4, v3, vcc
.LBB766_417:
	s_or_b64 exec, exec, s[0:1]
	global_store_short v[0:1], v3, off offset:3968
.LBB766_418:
	s_endpgm
	.section	.rodata,"a",@progbits
	.p2align	6, 0x0
	.amdhsa_kernel _ZN12_GLOBAL__N_120softmax_warp_forwardIN3c108BFloat16ES2_fLi11ELb0ELb1ELi64EEEvPT0_PKT_iiiPKbib
		.amdhsa_group_segment_fixed_size 0
		.amdhsa_private_segment_fixed_size 0
		.amdhsa_kernarg_size 304
		.amdhsa_user_sgpr_count 6
		.amdhsa_user_sgpr_private_segment_buffer 1
		.amdhsa_user_sgpr_dispatch_ptr 0
		.amdhsa_user_sgpr_queue_ptr 0
		.amdhsa_user_sgpr_kernarg_segment_ptr 1
		.amdhsa_user_sgpr_dispatch_id 0
		.amdhsa_user_sgpr_flat_scratch_init 0
		.amdhsa_user_sgpr_kernarg_preload_length 0
		.amdhsa_user_sgpr_kernarg_preload_offset 0
		.amdhsa_user_sgpr_private_segment_size 0
		.amdhsa_uses_dynamic_stack 0
		.amdhsa_system_sgpr_private_segment_wavefront_offset 0
		.amdhsa_system_sgpr_workgroup_id_x 1
		.amdhsa_system_sgpr_workgroup_id_y 0
		.amdhsa_system_sgpr_workgroup_id_z 0
		.amdhsa_system_sgpr_workgroup_info 0
		.amdhsa_system_vgpr_workitem_id 1
		.amdhsa_next_free_vgpr 50
		.amdhsa_next_free_sgpr 96
		.amdhsa_accum_offset 52
		.amdhsa_reserve_vcc 1
		.amdhsa_reserve_flat_scratch 0
		.amdhsa_float_round_mode_32 0
		.amdhsa_float_round_mode_16_64 0
		.amdhsa_float_denorm_mode_32 3
		.amdhsa_float_denorm_mode_16_64 3
		.amdhsa_dx10_clamp 1
		.amdhsa_ieee_mode 1
		.amdhsa_fp16_overflow 0
		.amdhsa_tg_split 0
		.amdhsa_exception_fp_ieee_invalid_op 0
		.amdhsa_exception_fp_denorm_src 0
		.amdhsa_exception_fp_ieee_div_zero 0
		.amdhsa_exception_fp_ieee_overflow 0
		.amdhsa_exception_fp_ieee_underflow 0
		.amdhsa_exception_fp_ieee_inexact 0
		.amdhsa_exception_int_div_zero 0
	.end_amdhsa_kernel
	.section	.text._ZN12_GLOBAL__N_120softmax_warp_forwardIN3c108BFloat16ES2_fLi11ELb0ELb1ELi64EEEvPT0_PKT_iiiPKbib,"axG",@progbits,_ZN12_GLOBAL__N_120softmax_warp_forwardIN3c108BFloat16ES2_fLi11ELb0ELb1ELi64EEEvPT0_PKT_iiiPKbib,comdat
.Lfunc_end766:
	.size	_ZN12_GLOBAL__N_120softmax_warp_forwardIN3c108BFloat16ES2_fLi11ELb0ELb1ELi64EEEvPT0_PKT_iiiPKbib, .Lfunc_end766-_ZN12_GLOBAL__N_120softmax_warp_forwardIN3c108BFloat16ES2_fLi11ELb0ELb1ELi64EEEvPT0_PKT_iiiPKbib
                                        ; -- End function
	.section	.AMDGPU.csdata,"",@progbits
; Kernel info:
; codeLenInByte = 17092
; NumSgprs: 100
; NumVgprs: 50
; NumAgprs: 0
; TotalNumVgprs: 50
; ScratchSize: 0
; MemoryBound: 0
; FloatMode: 240
; IeeeMode: 1
; LDSByteSize: 0 bytes/workgroup (compile time only)
; SGPRBlocks: 12
; VGPRBlocks: 6
; NumSGPRsForWavesPerEU: 100
; NumVGPRsForWavesPerEU: 50
; AccumOffset: 52
; Occupancy: 8
; WaveLimiterHint : 0
; COMPUTE_PGM_RSRC2:SCRATCH_EN: 0
; COMPUTE_PGM_RSRC2:USER_SGPR: 6
; COMPUTE_PGM_RSRC2:TRAP_HANDLER: 0
; COMPUTE_PGM_RSRC2:TGID_X_EN: 1
; COMPUTE_PGM_RSRC2:TGID_Y_EN: 0
; COMPUTE_PGM_RSRC2:TGID_Z_EN: 0
; COMPUTE_PGM_RSRC2:TIDIG_COMP_CNT: 1
; COMPUTE_PGM_RSRC3_GFX90A:ACCUM_OFFSET: 12
; COMPUTE_PGM_RSRC3_GFX90A:TG_SPLIT: 0
	.section	.text._ZN12_GLOBAL__N_120softmax_warp_forwardIN3c108BFloat16ES2_fLi11ELb0ELb1ELi32EEEvPT0_PKT_iiiPKbib,"axG",@progbits,_ZN12_GLOBAL__N_120softmax_warp_forwardIN3c108BFloat16ES2_fLi11ELb0ELb1ELi32EEEvPT0_PKT_iiiPKbib,comdat
	.globl	_ZN12_GLOBAL__N_120softmax_warp_forwardIN3c108BFloat16ES2_fLi11ELb0ELb1ELi32EEEvPT0_PKT_iiiPKbib ; -- Begin function _ZN12_GLOBAL__N_120softmax_warp_forwardIN3c108BFloat16ES2_fLi11ELb0ELb1ELi32EEEvPT0_PKT_iiiPKbib
	.p2align	8
	.type	_ZN12_GLOBAL__N_120softmax_warp_forwardIN3c108BFloat16ES2_fLi11ELb0ELb1ELi32EEEvPT0_PKT_iiiPKbib,@function
_ZN12_GLOBAL__N_120softmax_warp_forwardIN3c108BFloat16ES2_fLi11ELb0ELb1ELi32EEEvPT0_PKT_iiiPKbib: ; @_ZN12_GLOBAL__N_120softmax_warp_forwardIN3c108BFloat16ES2_fLi11ELb0ELb1ELi32EEEvPT0_PKT_iiiPKbib
; %bb.0:
	s_load_dword s2, s[4:5], 0x3c
	s_load_dwordx4 s[44:47], s[4:5], 0x10
	s_load_dwordx2 s[0:1], s[4:5], 0x28
	v_bfe_u32 v1, v0, 10, 10
	v_and_b32_e32 v2, 0x3ff, v0
	s_waitcnt lgkmcnt(0)
	s_lshr_b32 s2, s2, 16
	s_mul_i32 s6, s6, s2
	v_add_u32_e32 v3, s6, v1
	v_mul_lo_u32 v6, v3, s45
	v_add_u32_e32 v0, v6, v2
	v_ashrrev_i32_e32 v1, 31, v0
	s_bitcmp0_b32 s1, 0
	v_pk_mov_b32 v[4:5], v[0:1], v[0:1] op_sel:[0,1]
	s_cbranch_scc1 .LBB767_2
; %bb.1:
	s_abs_i32 s1, s0
	v_cvt_f32_u32_e32 v4, s1
	v_xor_b32_e32 v5, s0, v6
	v_sub_u32_e32 v7, 0, v6
	s_sub_i32 s0, 0, s1
	v_rcp_iflag_f32_e32 v4, v4
	v_max_i32_e32 v6, v6, v7
	v_ashrrev_i32_e32 v5, 31, v5
	v_mul_f32_e32 v4, 0x4f7ffffe, v4
	v_cvt_u32_f32_e32 v4, v4
	v_mul_lo_u32 v7, s0, v4
	v_mul_hi_u32 v7, v4, v7
	v_add_u32_e32 v4, v4, v7
	v_mul_hi_u32 v4, v6, v4
	v_mul_lo_u32 v7, v4, s1
	v_sub_u32_e32 v6, v6, v7
	v_add_u32_e32 v8, 1, v4
	v_cmp_le_u32_e32 vcc, s1, v6
	v_subrev_u32_e32 v7, s1, v6
	v_cndmask_b32_e32 v4, v4, v8, vcc
	v_cndmask_b32_e32 v6, v6, v7, vcc
	v_add_u32_e32 v7, 1, v4
	v_cmp_le_u32_e32 vcc, s1, v6
	v_cndmask_b32_e32 v4, v4, v7, vcc
	v_xor_b32_e32 v4, v4, v5
	v_sub_u32_e32 v4, v4, v5
	v_mad_u64_u32 v[4:5], s[0:1], v4, s45, v[2:3]
	v_ashrrev_i32_e32 v5, 31, v4
.LBB767_2:
	s_load_dwordx4 s[0:3], s[4:5], 0x0
                                        ; implicit-def: $vgpr80 : SGPR spill to VGPR lane
	v_sub_u32_e32 v8, s44, v3
	v_lshlrev_b64 v[0:1], 1, v[0:1]
	v_cmp_lt_i32_e64 s[34:35], 0, v8
	v_mov_b32_e32 v71, 0xff800000
	s_waitcnt lgkmcnt(0)
	v_mov_b32_e32 v3, s3
	v_writelane_b32 v80, s0, 0
	v_writelane_b32 v80, s1, 1
	;; [unrolled: 1-line block ×4, first 2 shown]
	v_add_co_u32_e32 v6, vcc, s2, v0
	v_cmp_gt_i32_e64 s[0:1], s46, v2
	v_addc_co_u32_e32 v7, vcc, v3, v1, vcc
	v_writelane_b32 v80, s0, 4
	s_and_b64 s[74:75], s[34:35], s[0:1]
	v_mov_b32_e32 v72, 0xff800000
	v_writelane_b32 v80, s1, 5
	s_and_saveexec_b64 s[0:1], s[74:75]
	s_cbranch_execz .LBB767_4
; %bb.3:
	global_load_ushort v3, v[6:7], off
	s_waitcnt vmcnt(0)
	v_lshlrev_b32_e32 v72, 16, v3
.LBB767_4:
	s_or_b64 exec, exec, s[0:1]
	v_add_u32_e32 v3, 32, v2
	v_cmp_gt_i32_e64 s[0:1], s46, v3
	v_writelane_b32 v80, s0, 6
	s_and_b64 s[72:73], s[34:35], s[0:1]
	v_writelane_b32 v80, s1, 7
	s_and_saveexec_b64 s[0:1], s[72:73]
	s_cbranch_execz .LBB767_6
; %bb.5:
	global_load_ushort v3, v[6:7], off offset:64
	s_waitcnt vmcnt(0)
	v_lshlrev_b32_e32 v71, 16, v3
.LBB767_6:
	s_or_b64 exec, exec, s[0:1]
	v_add_u32_e32 v3, 64, v2
	v_cmp_gt_i32_e64 s[0:1], s46, v3
	v_writelane_b32 v80, s0, 8
	s_and_b64 s[70:71], s[34:35], s[0:1]
	v_mov_b32_e32 v69, 0xff800000
	v_mov_b32_e32 v70, 0xff800000
	v_writelane_b32 v80, s1, 9
	s_and_saveexec_b64 s[0:1], s[70:71]
	s_cbranch_execz .LBB767_8
; %bb.7:
	global_load_ushort v3, v[6:7], off offset:128
	s_waitcnt vmcnt(0)
	v_lshlrev_b32_e32 v70, 16, v3
.LBB767_8:
	s_or_b64 exec, exec, s[0:1]
	v_add_u32_e32 v3, 0x60, v2
	v_cmp_gt_i32_e64 s[0:1], s46, v3
	v_writelane_b32 v80, s0, 10
	s_and_b64 s[68:69], s[34:35], s[0:1]
	v_writelane_b32 v80, s1, 11
	s_and_saveexec_b64 s[0:1], s[68:69]
	s_cbranch_execz .LBB767_10
; %bb.9:
	global_load_ushort v3, v[6:7], off offset:192
	s_waitcnt vmcnt(0)
	v_lshlrev_b32_e32 v69, 16, v3
.LBB767_10:
	s_or_b64 exec, exec, s[0:1]
	v_add_u32_e32 v3, 0x80, v2
	v_cmp_gt_i32_e64 s[0:1], s46, v3
	v_writelane_b32 v80, s0, 12
	s_and_b64 s[66:67], s[34:35], s[0:1]
	v_mov_b32_e32 v67, 0xff800000
	v_mov_b32_e32 v68, 0xff800000
	v_writelane_b32 v80, s1, 13
	s_and_saveexec_b64 s[0:1], s[66:67]
	s_cbranch_execz .LBB767_12
; %bb.11:
	global_load_ushort v3, v[6:7], off offset:256
	s_waitcnt vmcnt(0)
	v_lshlrev_b32_e32 v68, 16, v3
.LBB767_12:
	;; [unrolled: 28-line block ×8, first 2 shown]
	s_or_b64 exec, exec, s[0:1]
	v_add_u32_e32 v3, 0x220, v2
	v_cmp_gt_i32_e64 s[0:1], s46, v3
	v_writelane_b32 v80, s0, 38
	s_and_b64 vcc, s[34:35], s[0:1]
	v_writelane_b32 v80, s1, 39
	s_and_saveexec_b64 s[0:1], vcc
	s_cbranch_execz .LBB767_38
; %bb.37:
	global_load_ushort v3, v[6:7], off offset:1088
	s_waitcnt vmcnt(0)
	v_lshlrev_b32_e32 v55, 16, v3
.LBB767_38:
	s_or_b64 exec, exec, s[0:1]
	v_add_u32_e32 v3, 0x240, v2
	v_cmp_gt_i32_e64 s[0:1], s46, v3
	v_writelane_b32 v80, s0, 40
	s_and_b64 s[38:39], s[34:35], s[0:1]
	v_mov_b32_e32 v53, 0xff800000
	v_mov_b32_e32 v54, 0xff800000
	v_writelane_b32 v80, s1, 41
	s_and_saveexec_b64 s[0:1], s[38:39]
	s_cbranch_execz .LBB767_40
; %bb.39:
	global_load_ushort v3, v[6:7], off offset:1152
	s_waitcnt vmcnt(0)
	v_lshlrev_b32_e32 v54, 16, v3
.LBB767_40:
	s_or_b64 exec, exec, s[0:1]
	v_add_u32_e32 v3, 0x260, v2
	v_cmp_gt_i32_e64 s[0:1], s46, v3
	v_writelane_b32 v80, s0, 42
	s_and_b64 s[30:31], s[34:35], s[0:1]
	v_writelane_b32 v80, s1, 43
	s_and_saveexec_b64 s[0:1], s[30:31]
	s_cbranch_execz .LBB767_42
; %bb.41:
	global_load_ushort v3, v[6:7], off offset:1216
	s_waitcnt vmcnt(0)
	v_lshlrev_b32_e32 v53, 16, v3
.LBB767_42:
	s_or_b64 exec, exec, s[0:1]
	v_add_u32_e32 v3, 0x280, v2
	v_cmp_gt_i32_e64 s[0:1], s46, v3
	v_writelane_b32 v80, s0, 44
	s_and_b64 s[28:29], s[34:35], s[0:1]
	v_mov_b32_e32 v51, 0xff800000
	v_mov_b32_e32 v52, 0xff800000
	v_writelane_b32 v80, s1, 45
	s_and_saveexec_b64 s[0:1], s[28:29]
	s_cbranch_execz .LBB767_44
; %bb.43:
	global_load_ushort v3, v[6:7], off offset:1280
	s_waitcnt vmcnt(0)
	v_lshlrev_b32_e32 v52, 16, v3
.LBB767_44:
	s_or_b64 exec, exec, s[0:1]
	v_add_u32_e32 v3, 0x2a0, v2
	v_cmp_gt_i32_e64 s[0:1], s46, v3
	v_writelane_b32 v80, s0, 46
	s_and_b64 s[26:27], s[34:35], s[0:1]
	v_writelane_b32 v80, s1, 47
	s_and_saveexec_b64 s[0:1], s[26:27]
	s_cbranch_execz .LBB767_46
; %bb.45:
	global_load_ushort v3, v[6:7], off offset:1344
	s_waitcnt vmcnt(0)
	v_lshlrev_b32_e32 v51, 16, v3
.LBB767_46:
	s_or_b64 exec, exec, s[0:1]
	v_add_u32_e32 v3, 0x2c0, v2
	v_cmp_gt_i32_e64 s[0:1], s46, v3
	v_writelane_b32 v80, s0, 48
	s_and_b64 s[24:25], s[34:35], s[0:1]
	v_mov_b32_e32 v49, 0xff800000
	v_mov_b32_e32 v50, 0xff800000
	v_writelane_b32 v80, s1, 49
	s_and_saveexec_b64 s[0:1], s[24:25]
	s_cbranch_execz .LBB767_48
; %bb.47:
	global_load_ushort v3, v[6:7], off offset:1408
	s_waitcnt vmcnt(0)
	v_lshlrev_b32_e32 v50, 16, v3
.LBB767_48:
	s_or_b64 exec, exec, s[0:1]
	v_add_u32_e32 v3, 0x2e0, v2
	v_cmp_gt_i32_e64 s[0:1], s46, v3
	v_writelane_b32 v80, s0, 50
	s_and_b64 s[22:23], s[34:35], s[0:1]
	v_writelane_b32 v80, s1, 51
	s_and_saveexec_b64 s[0:1], s[22:23]
	s_cbranch_execz .LBB767_50
; %bb.49:
	global_load_ushort v3, v[6:7], off offset:1472
	s_waitcnt vmcnt(0)
	v_lshlrev_b32_e32 v49, 16, v3
.LBB767_50:
	s_or_b64 exec, exec, s[0:1]
	v_add_u32_e32 v3, 0x300, v2
	v_cmp_gt_i32_e64 s[0:1], s46, v3
	v_writelane_b32 v80, s0, 52
	s_and_b64 s[20:21], s[34:35], s[0:1]
	v_mov_b32_e32 v47, 0xff800000
	v_mov_b32_e32 v48, 0xff800000
	v_writelane_b32 v80, s1, 53
	s_and_saveexec_b64 s[0:1], s[20:21]
	s_cbranch_execz .LBB767_52
; %bb.51:
	global_load_ushort v3, v[6:7], off offset:1536
	s_waitcnt vmcnt(0)
	v_lshlrev_b32_e32 v48, 16, v3
.LBB767_52:
	s_or_b64 exec, exec, s[0:1]
	v_add_u32_e32 v3, 0x320, v2
	v_cmp_gt_i32_e64 s[0:1], s46, v3
	v_writelane_b32 v80, s0, 54
	s_and_b64 s[18:19], s[34:35], s[0:1]
	v_writelane_b32 v80, s1, 55
	s_and_saveexec_b64 s[0:1], s[18:19]
	s_cbranch_execz .LBB767_54
; %bb.53:
	global_load_ushort v3, v[6:7], off offset:1600
	s_waitcnt vmcnt(0)
	v_lshlrev_b32_e32 v47, 16, v3
.LBB767_54:
	s_or_b64 exec, exec, s[0:1]
	v_add_u32_e32 v3, 0x340, v2
	v_cmp_gt_i32_e64 s[0:1], s46, v3
	v_writelane_b32 v80, s0, 56
	s_and_b64 s[16:17], s[34:35], s[0:1]
	v_mov_b32_e32 v45, 0xff800000
	v_mov_b32_e32 v46, 0xff800000
	v_writelane_b32 v80, s1, 57
	s_and_saveexec_b64 s[0:1], s[16:17]
	s_cbranch_execz .LBB767_56
; %bb.55:
	global_load_ushort v3, v[6:7], off offset:1664
	s_waitcnt vmcnt(0)
	v_lshlrev_b32_e32 v46, 16, v3
.LBB767_56:
	s_or_b64 exec, exec, s[0:1]
	v_add_u32_e32 v3, 0x360, v2
	v_cmp_gt_i32_e64 s[0:1], s46, v3
	v_writelane_b32 v80, s0, 58
	s_and_b64 s[14:15], s[34:35], s[0:1]
	v_writelane_b32 v80, s1, 59
	s_and_saveexec_b64 s[0:1], s[14:15]
	s_cbranch_execz .LBB767_58
; %bb.57:
	global_load_ushort v3, v[6:7], off offset:1728
	s_waitcnt vmcnt(0)
	v_lshlrev_b32_e32 v45, 16, v3
.LBB767_58:
	s_or_b64 exec, exec, s[0:1]
	v_add_u32_e32 v3, 0x380, v2
	v_cmp_gt_i32_e64 s[0:1], s46, v3
	v_writelane_b32 v80, s0, 60
	s_and_b64 s[12:13], s[34:35], s[0:1]
	v_mov_b32_e32 v43, 0xff800000
	v_mov_b32_e32 v44, 0xff800000
	v_writelane_b32 v80, s1, 61
	s_and_saveexec_b64 s[0:1], s[12:13]
	s_cbranch_execz .LBB767_60
; %bb.59:
	global_load_ushort v3, v[6:7], off offset:1792
	s_waitcnt vmcnt(0)
	v_lshlrev_b32_e32 v44, 16, v3
.LBB767_60:
	s_or_b64 exec, exec, s[0:1]
	v_add_u32_e32 v3, 0x3a0, v2
	v_cmp_gt_i32_e64 s[0:1], s46, v3
	v_writelane_b32 v80, s0, 62
	s_and_b64 s[10:11], s[34:35], s[0:1]
	v_writelane_b32 v80, s1, 63
	s_and_saveexec_b64 s[0:1], s[10:11]
	s_cbranch_execz .LBB767_62
; %bb.61:
	global_load_ushort v3, v[6:7], off offset:1856
	s_waitcnt vmcnt(0)
	v_lshlrev_b32_e32 v43, 16, v3
.LBB767_62:
	s_or_b64 exec, exec, s[0:1]
	v_add_u32_e32 v3, 0x3c0, v2
	v_cmp_gt_i32_e64 s[0:1], s46, v3
                                        ; implicit-def: $vgpr81 : SGPR spill to VGPR lane
	v_mov_b32_e32 v41, 0xff800000
	v_writelane_b32 v81, s0, 0
	s_and_b64 s[8:9], s[34:35], s[0:1]
	v_mov_b32_e32 v42, 0xff800000
	v_writelane_b32 v81, s1, 1
	s_and_saveexec_b64 s[0:1], s[8:9]
	s_cbranch_execz .LBB767_64
; %bb.63:
	global_load_ushort v3, v[6:7], off offset:1920
	s_waitcnt vmcnt(0)
	v_lshlrev_b32_e32 v42, 16, v3
.LBB767_64:
	s_or_b64 exec, exec, s[0:1]
	v_add_u32_e32 v3, 0x3e0, v2
	v_cmp_gt_i32_e64 s[0:1], s46, v3
	v_writelane_b32 v81, s0, 2
	s_and_b64 s[6:7], s[34:35], s[0:1]
	v_writelane_b32 v81, s1, 3
	s_and_saveexec_b64 s[0:1], s[6:7]
	s_cbranch_execz .LBB767_66
; %bb.65:
	global_load_ushort v3, v[6:7], off offset:1984
	s_waitcnt vmcnt(0)
	v_lshlrev_b32_e32 v41, 16, v3
.LBB767_66:
	s_or_b64 exec, exec, s[0:1]
	v_or_b32_e32 v3, 0x400, v2
	v_cmp_gt_i32_e64 s[0:1], s46, v3
	v_writelane_b32 v81, s0, 4
	s_and_b64 s[36:37], s[34:35], s[0:1]
	v_mov_b32_e32 v39, 0xff800000
	v_mov_b32_e32 v40, 0xff800000
	v_writelane_b32 v81, s1, 5
	s_and_saveexec_b64 s[0:1], s[36:37]
	s_cbranch_execz .LBB767_68
; %bb.67:
	global_load_ushort v3, v[6:7], off offset:2048
	s_waitcnt vmcnt(0)
	v_lshlrev_b32_e32 v40, 16, v3
.LBB767_68:
	s_or_b64 exec, exec, s[0:1]
	v_add_u32_e32 v3, 0x420, v2
	v_cmp_gt_i32_e64 s[0:1], s46, v3
	v_writelane_b32 v81, s0, 6
	s_and_b64 s[2:3], s[34:35], s[0:1]
	v_writelane_b32 v81, s1, 7
	s_and_saveexec_b64 s[0:1], s[2:3]
	s_cbranch_execz .LBB767_70
; %bb.69:
	global_load_ushort v3, v[6:7], off offset:2112
	s_waitcnt vmcnt(0)
	v_lshlrev_b32_e32 v39, 16, v3
.LBB767_70:
	s_or_b64 exec, exec, s[0:1]
	v_add_u32_e32 v3, 0x440, v2
	v_cmp_gt_i32_e64 s[0:1], s46, v3
	v_writelane_b32 v81, s0, 8
	v_writelane_b32 v81, s1, 9
	s_and_b64 s[0:1], s[34:35], s[0:1]
	v_mov_b32_e32 v37, 0xff800000
	v_mov_b32_e32 v38, 0xff800000
	s_and_saveexec_b64 s[76:77], s[0:1]
	s_cbranch_execz .LBB767_72
; %bb.71:
	global_load_ushort v3, v[6:7], off offset:2176
	s_waitcnt vmcnt(0)
	v_lshlrev_b32_e32 v38, 16, v3
.LBB767_72:
	s_or_b64 exec, exec, s[76:77]
	v_add_u32_e32 v3, 0x460, v2
	v_cmp_gt_i32_e64 s[76:77], s46, v3
	v_writelane_b32 v81, s76, 10
	s_and_b64 s[94:95], s[34:35], s[76:77]
	v_writelane_b32 v81, s77, 11
	s_and_saveexec_b64 s[76:77], s[94:95]
	s_cbranch_execz .LBB767_74
; %bb.73:
	global_load_ushort v3, v[6:7], off offset:2240
	s_waitcnt vmcnt(0)
	v_lshlrev_b32_e32 v37, 16, v3
.LBB767_74:
	s_or_b64 exec, exec, s[76:77]
	v_add_u32_e32 v3, 0x480, v2
	v_cmp_gt_i32_e64 s[76:77], s46, v3
	v_writelane_b32 v81, s76, 12
	s_and_b64 s[92:93], s[34:35], s[76:77]
	v_mov_b32_e32 v35, 0xff800000
	v_mov_b32_e32 v36, 0xff800000
	v_writelane_b32 v81, s77, 13
	s_and_saveexec_b64 s[76:77], s[92:93]
	s_cbranch_execz .LBB767_76
; %bb.75:
	global_load_ushort v3, v[6:7], off offset:2304
	s_waitcnt vmcnt(0)
	v_lshlrev_b32_e32 v36, 16, v3
.LBB767_76:
	s_or_b64 exec, exec, s[76:77]
	v_add_u32_e32 v3, 0x4a0, v2
	v_cmp_gt_i32_e64 s[76:77], s46, v3
	v_writelane_b32 v81, s76, 14
	s_and_b64 s[90:91], s[34:35], s[76:77]
	v_writelane_b32 v81, s77, 15
	s_and_saveexec_b64 s[76:77], s[90:91]
	s_cbranch_execz .LBB767_78
; %bb.77:
	global_load_ushort v3, v[6:7], off offset:2368
	s_waitcnt vmcnt(0)
	v_lshlrev_b32_e32 v35, 16, v3
.LBB767_78:
	s_or_b64 exec, exec, s[76:77]
	v_add_u32_e32 v3, 0x4c0, v2
	v_cmp_gt_i32_e64 s[76:77], s46, v3
	v_writelane_b32 v81, s76, 16
	s_and_b64 s[88:89], s[34:35], s[76:77]
	v_mov_b32_e32 v33, 0xff800000
	v_mov_b32_e32 v34, 0xff800000
	v_writelane_b32 v81, s77, 17
	s_and_saveexec_b64 s[76:77], s[88:89]
	s_cbranch_execz .LBB767_80
; %bb.79:
	global_load_ushort v3, v[6:7], off offset:2432
	s_waitcnt vmcnt(0)
	v_lshlrev_b32_e32 v34, 16, v3
.LBB767_80:
	s_or_b64 exec, exec, s[76:77]
	v_add_u32_e32 v3, 0x4e0, v2
	v_cmp_gt_i32_e64 s[76:77], s46, v3
	v_writelane_b32 v81, s76, 18
	s_and_b64 s[86:87], s[34:35], s[76:77]
	v_writelane_b32 v81, s77, 19
	s_and_saveexec_b64 s[76:77], s[86:87]
	s_cbranch_execz .LBB767_82
; %bb.81:
	global_load_ushort v3, v[6:7], off offset:2496
	s_waitcnt vmcnt(0)
	v_lshlrev_b32_e32 v33, 16, v3
.LBB767_82:
	s_or_b64 exec, exec, s[76:77]
	v_add_u32_e32 v3, 0x500, v2
	v_cmp_gt_i32_e64 s[76:77], s46, v3
	v_writelane_b32 v81, s76, 20
	s_and_b64 s[84:85], s[34:35], s[76:77]
	v_mov_b32_e32 v31, 0xff800000
	v_mov_b32_e32 v32, 0xff800000
	v_writelane_b32 v81, s77, 21
	s_and_saveexec_b64 s[76:77], s[84:85]
	s_cbranch_execz .LBB767_84
; %bb.83:
	global_load_ushort v3, v[6:7], off offset:2560
	s_waitcnt vmcnt(0)
	v_lshlrev_b32_e32 v32, 16, v3
.LBB767_84:
	s_or_b64 exec, exec, s[76:77]
	v_add_u32_e32 v3, 0x520, v2
	v_cmp_gt_i32_e64 s[76:77], s46, v3
	v_writelane_b32 v81, s76, 22
	s_and_b64 s[82:83], s[34:35], s[76:77]
	v_writelane_b32 v81, s77, 23
	s_and_saveexec_b64 s[76:77], s[82:83]
	s_cbranch_execz .LBB767_86
; %bb.85:
	global_load_ushort v3, v[6:7], off offset:2624
	s_waitcnt vmcnt(0)
	v_lshlrev_b32_e32 v31, 16, v3
.LBB767_86:
	s_or_b64 exec, exec, s[76:77]
	v_add_u32_e32 v3, 0x540, v2
	v_cmp_gt_i32_e64 s[76:77], s46, v3
	v_writelane_b32 v81, s76, 24
	s_and_b64 s[80:81], s[34:35], s[76:77]
	v_mov_b32_e32 v29, 0xff800000
	v_mov_b32_e32 v30, 0xff800000
	v_writelane_b32 v81, s77, 25
	s_and_saveexec_b64 s[76:77], s[80:81]
	s_cbranch_execz .LBB767_88
; %bb.87:
	global_load_ushort v3, v[6:7], off offset:2688
	s_waitcnt vmcnt(0)
	v_lshlrev_b32_e32 v30, 16, v3
.LBB767_88:
	s_or_b64 exec, exec, s[76:77]
	v_add_u32_e32 v3, 0x560, v2
	v_cmp_gt_i32_e64 s[76:77], s46, v3
	v_writelane_b32 v81, s76, 26
	v_writelane_b32 v81, s77, 27
	s_and_b64 s[78:79], s[34:35], s[76:77]
	s_mov_b64 s[76:77], exec
	v_writelane_b32 v81, s78, 28
	v_writelane_b32 v81, s79, 29
	s_and_b64 s[78:79], s[76:77], s[78:79]
	s_mov_b64 exec, s[78:79]
	s_cbranch_execz .LBB767_90
; %bb.89:
	global_load_ushort v3, v[6:7], off offset:2752
	s_waitcnt vmcnt(0)
	v_lshlrev_b32_e32 v29, 16, v3
.LBB767_90:
	s_or_b64 exec, exec, s[76:77]
	v_add_u32_e32 v3, 0x580, v2
	v_cmp_gt_i32_e64 s[76:77], s46, v3
	v_writelane_b32 v81, s76, 30
	v_mov_b32_e32 v27, 0xff800000
	v_mov_b32_e32 v28, 0xff800000
	v_writelane_b32 v81, s77, 31
	s_and_b64 s[78:79], s[34:35], s[76:77]
	s_mov_b64 s[76:77], exec
	v_writelane_b32 v81, s78, 32
	v_writelane_b32 v81, s79, 33
	s_and_b64 s[78:79], s[76:77], s[78:79]
	s_mov_b64 exec, s[78:79]
	s_cbranch_execz .LBB767_92
; %bb.91:
	global_load_ushort v3, v[6:7], off offset:2816
	s_waitcnt vmcnt(0)
	v_lshlrev_b32_e32 v28, 16, v3
.LBB767_92:
	s_or_b64 exec, exec, s[76:77]
	v_add_u32_e32 v3, 0x5a0, v2
	v_cmp_gt_i32_e64 s[76:77], s46, v3
	v_writelane_b32 v81, s76, 34
	v_writelane_b32 v81, s77, 35
	s_and_b64 s[78:79], s[34:35], s[76:77]
	s_mov_b64 s[76:77], exec
	v_writelane_b32 v81, s78, 36
	v_writelane_b32 v81, s79, 37
	s_and_b64 s[78:79], s[76:77], s[78:79]
	s_mov_b64 exec, s[78:79]
	s_cbranch_execz .LBB767_94
; %bb.93:
	global_load_ushort v3, v[6:7], off offset:2880
	s_waitcnt vmcnt(0)
	v_lshlrev_b32_e32 v27, 16, v3
.LBB767_94:
	s_or_b64 exec, exec, s[76:77]
	v_add_u32_e32 v3, 0x5c0, v2
	v_cmp_gt_i32_e64 s[76:77], s46, v3
	v_writelane_b32 v81, s76, 38
	v_mov_b32_e32 v25, 0xff800000
	v_mov_b32_e32 v26, 0xff800000
	v_writelane_b32 v81, s77, 39
	s_and_b64 s[78:79], s[34:35], s[76:77]
	s_mov_b64 s[76:77], exec
	v_writelane_b32 v81, s78, 40
	v_writelane_b32 v81, s79, 41
	s_and_b64 s[78:79], s[76:77], s[78:79]
	s_mov_b64 exec, s[78:79]
	s_cbranch_execz .LBB767_96
; %bb.95:
	global_load_ushort v3, v[6:7], off offset:2944
	s_waitcnt vmcnt(0)
	v_lshlrev_b32_e32 v26, 16, v3
.LBB767_96:
	s_or_b64 exec, exec, s[76:77]
	v_add_u32_e32 v3, 0x5e0, v2
	v_cmp_gt_i32_e64 s[76:77], s46, v3
	v_writelane_b32 v81, s76, 42
	v_writelane_b32 v81, s77, 43
	s_and_b64 s[78:79], s[34:35], s[76:77]
	s_mov_b64 s[76:77], exec
	v_writelane_b32 v81, s78, 44
	v_writelane_b32 v81, s79, 45
	s_and_b64 s[78:79], s[76:77], s[78:79]
	s_mov_b64 exec, s[78:79]
	s_cbranch_execz .LBB767_98
; %bb.97:
	global_load_ushort v3, v[6:7], off offset:3008
	s_waitcnt vmcnt(0)
	v_lshlrev_b32_e32 v25, 16, v3
.LBB767_98:
	s_or_b64 exec, exec, s[76:77]
	v_add_u32_e32 v3, 0x600, v2
	v_cmp_gt_i32_e64 s[76:77], s46, v3
	v_writelane_b32 v81, s76, 46
	v_mov_b32_e32 v23, 0xff800000
	v_mov_b32_e32 v24, 0xff800000
	v_writelane_b32 v81, s77, 47
	s_and_b64 s[78:79], s[34:35], s[76:77]
	s_mov_b64 s[76:77], exec
	v_writelane_b32 v81, s78, 48
	v_writelane_b32 v81, s79, 49
	s_and_b64 s[78:79], s[76:77], s[78:79]
	s_mov_b64 exec, s[78:79]
	s_cbranch_execz .LBB767_100
; %bb.99:
	global_load_ushort v3, v[6:7], off offset:3072
	s_waitcnt vmcnt(0)
	v_lshlrev_b32_e32 v24, 16, v3
.LBB767_100:
	s_or_b64 exec, exec, s[76:77]
	v_add_u32_e32 v3, 0x620, v2
	v_cmp_gt_i32_e64 s[76:77], s46, v3
	v_writelane_b32 v81, s76, 50
	v_writelane_b32 v81, s77, 51
	s_and_b64 s[78:79], s[34:35], s[76:77]
	s_mov_b64 s[76:77], exec
	v_writelane_b32 v81, s78, 52
	v_writelane_b32 v81, s79, 53
	s_and_b64 s[78:79], s[76:77], s[78:79]
	s_mov_b64 exec, s[78:79]
	s_cbranch_execz .LBB767_102
; %bb.101:
	global_load_ushort v3, v[6:7], off offset:3136
	s_waitcnt vmcnt(0)
	v_lshlrev_b32_e32 v23, 16, v3
.LBB767_102:
	s_or_b64 exec, exec, s[76:77]
	v_add_u32_e32 v3, 0x640, v2
	v_cmp_gt_i32_e64 s[76:77], s46, v3
	v_writelane_b32 v81, s76, 54
	v_mov_b32_e32 v21, 0xff800000
	v_mov_b32_e32 v22, 0xff800000
	v_writelane_b32 v81, s77, 55
	s_and_b64 s[78:79], s[34:35], s[76:77]
	s_mov_b64 s[76:77], exec
	v_writelane_b32 v81, s78, 56
	v_writelane_b32 v81, s79, 57
	s_and_b64 s[78:79], s[76:77], s[78:79]
	s_mov_b64 exec, s[78:79]
	s_cbranch_execz .LBB767_104
; %bb.103:
	global_load_ushort v3, v[6:7], off offset:3200
	s_waitcnt vmcnt(0)
	v_lshlrev_b32_e32 v22, 16, v3
.LBB767_104:
	s_or_b64 exec, exec, s[76:77]
	v_add_u32_e32 v3, 0x660, v2
	v_cmp_gt_i32_e64 s[76:77], s46, v3
	v_writelane_b32 v81, s76, 58
	v_writelane_b32 v81, s77, 59
	s_and_b64 s[78:79], s[34:35], s[76:77]
	s_mov_b64 s[76:77], exec
	v_writelane_b32 v81, s78, 60
	v_writelane_b32 v81, s79, 61
	s_and_b64 s[78:79], s[76:77], s[78:79]
	s_mov_b64 exec, s[78:79]
	s_cbranch_execz .LBB767_106
; %bb.105:
	global_load_ushort v3, v[6:7], off offset:3264
	s_waitcnt vmcnt(0)
	v_lshlrev_b32_e32 v21, 16, v3
.LBB767_106:
	s_or_b64 exec, exec, s[76:77]
	v_add_u32_e32 v3, 0x680, v2
	v_cmp_gt_i32_e64 s[76:77], s46, v3
	v_writelane_b32 v81, s76, 62
	v_mov_b32_e32 v19, 0xff800000
	v_mov_b32_e32 v20, 0xff800000
	v_writelane_b32 v81, s77, 63
	s_and_b64 s[78:79], s[34:35], s[76:77]
	s_mov_b64 s[76:77], exec
                                        ; implicit-def: $vgpr82 : SGPR spill to VGPR lane
	v_writelane_b32 v82, s78, 0
	v_writelane_b32 v82, s79, 1
	s_and_b64 s[78:79], s[76:77], s[78:79]
	s_mov_b64 exec, s[78:79]
	s_cbranch_execz .LBB767_108
; %bb.107:
	global_load_ushort v3, v[6:7], off offset:3328
	s_waitcnt vmcnt(0)
	v_lshlrev_b32_e32 v20, 16, v3
.LBB767_108:
	s_or_b64 exec, exec, s[76:77]
	v_add_u32_e32 v3, 0x6a0, v2
	v_cmp_gt_i32_e64 s[76:77], s46, v3
	v_writelane_b32 v82, s76, 2
	v_writelane_b32 v82, s77, 3
	s_and_b64 s[78:79], s[34:35], s[76:77]
	s_mov_b64 s[76:77], exec
	v_writelane_b32 v82, s78, 4
	v_writelane_b32 v82, s79, 5
	s_and_b64 s[78:79], s[76:77], s[78:79]
	s_mov_b64 exec, s[78:79]
	s_cbranch_execz .LBB767_110
; %bb.109:
	global_load_ushort v3, v[6:7], off offset:3392
	s_waitcnt vmcnt(0)
	v_lshlrev_b32_e32 v19, 16, v3
.LBB767_110:
	s_or_b64 exec, exec, s[76:77]
	v_add_u32_e32 v3, 0x6c0, v2
	v_cmp_gt_i32_e64 s[76:77], s46, v3
	v_writelane_b32 v82, s76, 6
	v_mov_b32_e32 v17, 0xff800000
	v_mov_b32_e32 v18, 0xff800000
	v_writelane_b32 v82, s77, 7
	s_and_b64 s[78:79], s[34:35], s[76:77]
	s_mov_b64 s[76:77], exec
	v_writelane_b32 v82, s78, 8
	v_writelane_b32 v82, s79, 9
	s_and_b64 s[78:79], s[76:77], s[78:79]
	s_mov_b64 exec, s[78:79]
	s_cbranch_execz .LBB767_112
; %bb.111:
	global_load_ushort v3, v[6:7], off offset:3456
	s_waitcnt vmcnt(0)
	v_lshlrev_b32_e32 v18, 16, v3
.LBB767_112:
	s_or_b64 exec, exec, s[76:77]
	v_add_u32_e32 v3, 0x6e0, v2
	v_cmp_gt_i32_e64 s[76:77], s46, v3
	v_writelane_b32 v82, s76, 10
	v_writelane_b32 v82, s77, 11
	s_and_b64 s[78:79], s[34:35], s[76:77]
	s_mov_b64 s[76:77], exec
	v_writelane_b32 v82, s78, 12
	v_writelane_b32 v82, s79, 13
	s_and_b64 s[78:79], s[76:77], s[78:79]
	s_mov_b64 exec, s[78:79]
	s_cbranch_execz .LBB767_114
; %bb.113:
	global_load_ushort v3, v[6:7], off offset:3520
	s_waitcnt vmcnt(0)
	v_lshlrev_b32_e32 v17, 16, v3
.LBB767_114:
	s_or_b64 exec, exec, s[76:77]
	v_add_u32_e32 v3, 0x700, v2
	v_cmp_gt_i32_e64 s[76:77], s46, v3
	v_writelane_b32 v82, s76, 14
	v_mov_b32_e32 v15, 0xff800000
	v_mov_b32_e32 v16, 0xff800000
	v_writelane_b32 v82, s77, 15
	s_and_b64 s[78:79], s[34:35], s[76:77]
	s_mov_b64 s[76:77], exec
	;; [unrolled: 36-line block ×5, first 2 shown]
	v_writelane_b32 v82, s78, 40
	v_writelane_b32 v82, s79, 41
	s_and_b64 s[78:79], s[76:77], s[78:79]
	s_mov_b64 exec, s[78:79]
	s_cbranch_execz .LBB767_128
; %bb.127:
	global_load_ushort v3, v[6:7], off offset:3968
	s_waitcnt vmcnt(0)
	v_lshlrev_b32_e32 v10, 16, v3
.LBB767_128:
	s_or_b64 exec, exec, s[76:77]
	v_add_u32_e32 v2, 0x7e0, v2
	v_cmp_gt_i32_e64 s[46:47], s46, v2
	v_writelane_b32 v82, s46, 42
	v_writelane_b32 v82, s47, 43
	s_and_b64 s[46:47], s[34:35], s[46:47]
	s_mov_b64 s[34:35], exec
	v_writelane_b32 v82, s46, 44
	v_writelane_b32 v82, s47, 45
	s_and_b64 s[46:47], s[34:35], s[46:47]
	s_mov_b64 exec, s[46:47]
	s_cbranch_execz .LBB767_130
; %bb.129:
	global_load_ushort v2, v[6:7], off offset:4032
	s_waitcnt vmcnt(0)
	v_lshlrev_b32_e32 v9, 16, v2
.LBB767_130:
	s_or_b64 exec, exec, s[34:35]
	s_load_dwordx2 s[4:5], s[4:5], 0x20
	s_mov_b64 s[46:47], 0
	s_waitcnt lgkmcnt(0)
	v_mov_b32_e32 v3, s5
	v_add_co_u32_e64 v2, s[4:5], s4, v4
	v_addc_co_u32_e64 v3, s[4:5], v3, v5, s[4:5]
	s_and_saveexec_b64 s[34:35], s[74:75]
	s_cbranch_execnz .LBB767_173
; %bb.131:
	s_or_b64 exec, exec, s[34:35]
	v_mov_b32_e32 v4, v72
	s_and_saveexec_b64 s[34:35], s[72:73]
	s_cbranch_execnz .LBB767_174
.LBB767_132:
	s_or_b64 exec, exec, s[34:35]
	s_and_saveexec_b64 s[34:35], s[70:71]
	s_cbranch_execnz .LBB767_177
.LBB767_133:
	s_or_b64 exec, exec, s[34:35]
	s_and_saveexec_b64 s[34:35], s[68:69]
	s_cbranch_execnz .LBB767_180
.LBB767_134:
	s_or_b64 exec, exec, s[34:35]
	s_and_saveexec_b64 s[34:35], s[66:67]
	s_cbranch_execnz .LBB767_183
.LBB767_135:
	s_or_b64 exec, exec, s[34:35]
	s_and_saveexec_b64 s[34:35], s[64:65]
	s_cbranch_execnz .LBB767_186
.LBB767_136:
	s_or_b64 exec, exec, s[34:35]
	s_and_saveexec_b64 s[34:35], s[62:63]
	s_cbranch_execnz .LBB767_189
.LBB767_137:
	s_or_b64 exec, exec, s[34:35]
	s_and_saveexec_b64 s[34:35], s[60:61]
	s_cbranch_execnz .LBB767_192
.LBB767_138:
	s_or_b64 exec, exec, s[34:35]
	s_and_saveexec_b64 s[34:35], s[58:59]
	s_cbranch_execnz .LBB767_195
.LBB767_139:
	s_or_b64 exec, exec, s[34:35]
	s_and_saveexec_b64 s[34:35], s[56:57]
	s_cbranch_execnz .LBB767_198
.LBB767_140:
	s_or_b64 exec, exec, s[34:35]
	s_and_saveexec_b64 s[34:35], s[54:55]
	s_cbranch_execnz .LBB767_201
.LBB767_141:
	s_or_b64 exec, exec, s[34:35]
	s_and_saveexec_b64 s[34:35], s[52:53]
	s_cbranch_execnz .LBB767_204
.LBB767_142:
	s_or_b64 exec, exec, s[34:35]
	s_and_saveexec_b64 s[34:35], s[50:51]
	s_cbranch_execnz .LBB767_207
.LBB767_143:
	s_or_b64 exec, exec, s[34:35]
	s_and_saveexec_b64 s[34:35], s[40:41]
	s_cbranch_execnz .LBB767_210
.LBB767_144:
	s_or_b64 exec, exec, s[34:35]
	s_and_saveexec_b64 s[34:35], s[48:49]
	s_cbranch_execnz .LBB767_213
.LBB767_145:
	s_or_b64 exec, exec, s[34:35]
	s_and_saveexec_b64 s[34:35], s[42:43]
	s_cbranch_execnz .LBB767_216
.LBB767_146:
	s_or_b64 exec, exec, s[34:35]
	s_and_saveexec_b64 s[34:35], s[44:45]
	s_cbranch_execnz .LBB767_219
.LBB767_147:
	s_or_b64 exec, exec, s[34:35]
	s_and_saveexec_b64 s[34:35], vcc
	s_cbranch_execnz .LBB767_222
.LBB767_148:
	s_or_b64 exec, exec, s[34:35]
	s_and_saveexec_b64 s[34:35], s[38:39]
	s_cbranch_execnz .LBB767_225
.LBB767_149:
	s_or_b64 exec, exec, s[34:35]
	s_and_saveexec_b64 s[34:35], s[30:31]
	s_cbranch_execnz .LBB767_228
.LBB767_150:
	s_or_b64 exec, exec, s[34:35]
	s_and_saveexec_b64 s[34:35], s[28:29]
	s_cbranch_execnz .LBB767_231
.LBB767_151:
	s_or_b64 exec, exec, s[34:35]
	s_and_saveexec_b64 s[34:35], s[26:27]
	s_cbranch_execnz .LBB767_234
.LBB767_152:
	s_or_b64 exec, exec, s[34:35]
	s_and_saveexec_b64 s[34:35], s[24:25]
	s_cbranch_execnz .LBB767_237
.LBB767_153:
	s_or_b64 exec, exec, s[34:35]
	s_and_saveexec_b64 s[34:35], s[22:23]
	s_cbranch_execnz .LBB767_240
.LBB767_154:
	s_or_b64 exec, exec, s[34:35]
	s_and_saveexec_b64 s[34:35], s[20:21]
	s_cbranch_execnz .LBB767_243
.LBB767_155:
	s_or_b64 exec, exec, s[34:35]
	s_and_saveexec_b64 s[34:35], s[18:19]
	s_cbranch_execnz .LBB767_246
.LBB767_156:
	s_or_b64 exec, exec, s[34:35]
	s_and_saveexec_b64 s[34:35], s[16:17]
	s_cbranch_execnz .LBB767_249
.LBB767_157:
	s_or_b64 exec, exec, s[34:35]
	s_and_saveexec_b64 s[34:35], s[14:15]
	s_cbranch_execnz .LBB767_252
.LBB767_158:
	s_or_b64 exec, exec, s[34:35]
	s_and_saveexec_b64 s[34:35], s[12:13]
	s_cbranch_execnz .LBB767_255
.LBB767_159:
	s_or_b64 exec, exec, s[34:35]
	s_and_saveexec_b64 s[34:35], s[10:11]
	s_cbranch_execnz .LBB767_258
.LBB767_160:
	s_or_b64 exec, exec, s[34:35]
	s_and_saveexec_b64 s[34:35], s[8:9]
	s_cbranch_execnz .LBB767_261
.LBB767_161:
	s_or_b64 exec, exec, s[34:35]
	s_and_saveexec_b64 s[34:35], s[6:7]
	s_cbranch_execnz .LBB767_264
.LBB767_162:
	s_or_b64 exec, exec, s[34:35]
	s_and_saveexec_b64 s[34:35], s[36:37]
	s_cbranch_execnz .LBB767_267
.LBB767_163:
	s_or_b64 exec, exec, s[34:35]
	s_and_saveexec_b64 s[34:35], s[2:3]
	s_cbranch_execnz .LBB767_270
.LBB767_164:
	s_or_b64 exec, exec, s[34:35]
	s_and_saveexec_b64 s[34:35], s[0:1]
	s_cbranch_execnz .LBB767_273
.LBB767_165:
	s_or_b64 exec, exec, s[34:35]
	s_and_saveexec_b64 s[34:35], s[94:95]
	s_cbranch_execnz .LBB767_276
.LBB767_166:
	s_or_b64 exec, exec, s[34:35]
	s_and_saveexec_b64 s[34:35], s[92:93]
	s_cbranch_execnz .LBB767_279
.LBB767_167:
	s_or_b64 exec, exec, s[34:35]
	s_and_saveexec_b64 s[34:35], s[90:91]
	s_cbranch_execnz .LBB767_282
.LBB767_168:
	s_or_b64 exec, exec, s[34:35]
	s_and_saveexec_b64 s[34:35], s[88:89]
	s_cbranch_execnz .LBB767_285
.LBB767_169:
	s_or_b64 exec, exec, s[34:35]
	s_and_saveexec_b64 s[34:35], s[86:87]
	s_cbranch_execnz .LBB767_288
.LBB767_170:
	s_or_b64 exec, exec, s[34:35]
	s_and_saveexec_b64 s[34:35], s[84:85]
	s_cbranch_execnz .LBB767_291
.LBB767_171:
	s_or_b64 exec, exec, s[34:35]
	s_and_saveexec_b64 s[34:35], s[82:83]
	s_cbranch_execnz .LBB767_294
.LBB767_172:
	s_or_b64 exec, exec, s[34:35]
	s_and_saveexec_b64 s[34:35], s[80:81]
	s_cbranch_execnz .LBB767_297
	s_branch .LBB767_300
.LBB767_173:
	global_load_ubyte v4, v[2:3], off
	s_waitcnt vmcnt(0)
	v_and_b32_e32 v4, 1, v4
	v_cmp_eq_u32_e64 s[4:5], 1, v4
	s_xor_b64 s[4:5], s[4:5], -1
	s_and_b64 s[46:47], s[4:5], exec
	s_or_b64 exec, exec, s[34:35]
	v_mov_b32_e32 v4, v72
	s_and_saveexec_b64 s[34:35], s[72:73]
	s_cbranch_execz .LBB767_132
.LBB767_174:
	global_load_ubyte v4, v[2:3], off offset:32
	s_mov_b64 s[76:77], s[46:47]
	s_waitcnt vmcnt(0)
	v_and_b32_e32 v4, 1, v4
	v_cmp_eq_u32_e64 s[4:5], 1, v4
	s_xor_b64 s[4:5], s[4:5], -1
	v_mov_b32_e32 v4, v72
	s_and_saveexec_b64 s[78:79], s[4:5]
; %bb.175:
	v_cmp_gt_f32_e64 s[4:5], v72, v71
	s_and_b64 s[4:5], s[46:47], s[4:5]
	v_cndmask_b32_e64 v4, v71, v72, s[4:5]
	s_or_b64 s[76:77], s[46:47], exec
; %bb.176:
	s_or_b64 exec, exec, s[78:79]
	s_andn2_b64 s[4:5], s[46:47], exec
	s_and_b64 s[46:47], s[76:77], exec
	s_or_b64 s[46:47], s[4:5], s[46:47]
	s_or_b64 exec, exec, s[34:35]
	s_and_saveexec_b64 s[34:35], s[70:71]
	s_cbranch_execz .LBB767_133
.LBB767_177:
	global_load_ubyte v5, v[2:3], off offset:64
	s_waitcnt vmcnt(0)
	v_and_b32_e32 v5, 1, v5
	v_cmp_eq_u32_e64 s[4:5], 1, v5
	s_xor_b64 s[78:79], s[4:5], -1
	s_mov_b64 s[4:5], s[46:47]
	s_and_saveexec_b64 s[76:77], s[78:79]
; %bb.178:
	v_cmp_gt_f32_e64 s[4:5], v4, v70
	s_and_b64 s[4:5], s[46:47], s[4:5]
	v_cndmask_b32_e64 v4, v70, v4, s[4:5]
	s_or_b64 s[4:5], s[46:47], exec
; %bb.179:
	s_or_b64 exec, exec, s[76:77]
	s_andn2_b64 s[46:47], s[46:47], exec
	s_and_b64 s[4:5], s[4:5], exec
	s_or_b64 s[46:47], s[46:47], s[4:5]
	s_or_b64 exec, exec, s[34:35]
	s_and_saveexec_b64 s[34:35], s[68:69]
	s_cbranch_execz .LBB767_134
.LBB767_180:
	global_load_ubyte v5, v[2:3], off offset:96
	s_waitcnt vmcnt(0)
	v_and_b32_e32 v5, 1, v5
	v_cmp_eq_u32_e64 s[4:5], 1, v5
	s_xor_b64 s[78:79], s[4:5], -1
	s_mov_b64 s[4:5], s[46:47]
	s_and_saveexec_b64 s[76:77], s[78:79]
; %bb.181:
	v_cmp_gt_f32_e64 s[4:5], v4, v69
	s_and_b64 s[4:5], s[46:47], s[4:5]
	v_cndmask_b32_e64 v4, v69, v4, s[4:5]
	s_or_b64 s[4:5], s[46:47], exec
; %bb.182:
	s_or_b64 exec, exec, s[76:77]
	s_andn2_b64 s[46:47], s[46:47], exec
	s_and_b64 s[4:5], s[4:5], exec
	s_or_b64 s[46:47], s[46:47], s[4:5]
	s_or_b64 exec, exec, s[34:35]
	s_and_saveexec_b64 s[34:35], s[66:67]
	s_cbranch_execz .LBB767_135
.LBB767_183:
	global_load_ubyte v5, v[2:3], off offset:128
	s_waitcnt vmcnt(0)
	v_and_b32_e32 v5, 1, v5
	v_cmp_eq_u32_e64 s[4:5], 1, v5
	s_xor_b64 s[78:79], s[4:5], -1
	s_mov_b64 s[4:5], s[46:47]
	s_and_saveexec_b64 s[76:77], s[78:79]
; %bb.184:
	v_cmp_gt_f32_e64 s[4:5], v4, v68
	s_and_b64 s[4:5], s[46:47], s[4:5]
	v_cndmask_b32_e64 v4, v68, v4, s[4:5]
	s_or_b64 s[4:5], s[46:47], exec
; %bb.185:
	s_or_b64 exec, exec, s[76:77]
	s_andn2_b64 s[46:47], s[46:47], exec
	s_and_b64 s[4:5], s[4:5], exec
	s_or_b64 s[46:47], s[46:47], s[4:5]
	s_or_b64 exec, exec, s[34:35]
	s_and_saveexec_b64 s[34:35], s[64:65]
	s_cbranch_execz .LBB767_136
.LBB767_186:
	global_load_ubyte v5, v[2:3], off offset:160
	s_waitcnt vmcnt(0)
	v_and_b32_e32 v5, 1, v5
	v_cmp_eq_u32_e64 s[4:5], 1, v5
	s_xor_b64 s[78:79], s[4:5], -1
	s_mov_b64 s[4:5], s[46:47]
	s_and_saveexec_b64 s[76:77], s[78:79]
; %bb.187:
	v_cmp_gt_f32_e64 s[4:5], v4, v67
	s_and_b64 s[4:5], s[46:47], s[4:5]
	v_cndmask_b32_e64 v4, v67, v4, s[4:5]
	s_or_b64 s[4:5], s[46:47], exec
; %bb.188:
	s_or_b64 exec, exec, s[76:77]
	s_andn2_b64 s[46:47], s[46:47], exec
	s_and_b64 s[4:5], s[4:5], exec
	s_or_b64 s[46:47], s[46:47], s[4:5]
	s_or_b64 exec, exec, s[34:35]
	s_and_saveexec_b64 s[34:35], s[62:63]
	s_cbranch_execz .LBB767_137
.LBB767_189:
	global_load_ubyte v5, v[2:3], off offset:192
	s_waitcnt vmcnt(0)
	v_and_b32_e32 v5, 1, v5
	v_cmp_eq_u32_e64 s[4:5], 1, v5
	s_xor_b64 s[78:79], s[4:5], -1
	s_mov_b64 s[4:5], s[46:47]
	s_and_saveexec_b64 s[76:77], s[78:79]
; %bb.190:
	v_cmp_gt_f32_e64 s[4:5], v4, v66
	s_and_b64 s[4:5], s[46:47], s[4:5]
	v_cndmask_b32_e64 v4, v66, v4, s[4:5]
	s_or_b64 s[4:5], s[46:47], exec
; %bb.191:
	s_or_b64 exec, exec, s[76:77]
	s_andn2_b64 s[46:47], s[46:47], exec
	s_and_b64 s[4:5], s[4:5], exec
	s_or_b64 s[46:47], s[46:47], s[4:5]
	s_or_b64 exec, exec, s[34:35]
	s_and_saveexec_b64 s[34:35], s[60:61]
	s_cbranch_execz .LBB767_138
.LBB767_192:
	global_load_ubyte v5, v[2:3], off offset:224
	s_waitcnt vmcnt(0)
	v_and_b32_e32 v5, 1, v5
	v_cmp_eq_u32_e64 s[4:5], 1, v5
	s_xor_b64 s[78:79], s[4:5], -1
	s_mov_b64 s[4:5], s[46:47]
	s_and_saveexec_b64 s[76:77], s[78:79]
; %bb.193:
	v_cmp_gt_f32_e64 s[4:5], v4, v65
	s_and_b64 s[4:5], s[46:47], s[4:5]
	v_cndmask_b32_e64 v4, v65, v4, s[4:5]
	s_or_b64 s[4:5], s[46:47], exec
; %bb.194:
	s_or_b64 exec, exec, s[76:77]
	s_andn2_b64 s[46:47], s[46:47], exec
	s_and_b64 s[4:5], s[4:5], exec
	s_or_b64 s[46:47], s[46:47], s[4:5]
	s_or_b64 exec, exec, s[34:35]
	s_and_saveexec_b64 s[34:35], s[58:59]
	s_cbranch_execz .LBB767_139
.LBB767_195:
	global_load_ubyte v5, v[2:3], off offset:256
	s_waitcnt vmcnt(0)
	v_and_b32_e32 v5, 1, v5
	v_cmp_eq_u32_e64 s[4:5], 1, v5
	s_xor_b64 s[78:79], s[4:5], -1
	s_mov_b64 s[4:5], s[46:47]
	s_and_saveexec_b64 s[76:77], s[78:79]
; %bb.196:
	v_cmp_gt_f32_e64 s[4:5], v4, v64
	s_and_b64 s[4:5], s[46:47], s[4:5]
	v_cndmask_b32_e64 v4, v64, v4, s[4:5]
	s_or_b64 s[4:5], s[46:47], exec
; %bb.197:
	s_or_b64 exec, exec, s[76:77]
	s_andn2_b64 s[46:47], s[46:47], exec
	s_and_b64 s[4:5], s[4:5], exec
	s_or_b64 s[46:47], s[46:47], s[4:5]
	s_or_b64 exec, exec, s[34:35]
	s_and_saveexec_b64 s[34:35], s[56:57]
	s_cbranch_execz .LBB767_140
.LBB767_198:
	global_load_ubyte v5, v[2:3], off offset:288
	s_waitcnt vmcnt(0)
	v_and_b32_e32 v5, 1, v5
	v_cmp_eq_u32_e64 s[4:5], 1, v5
	s_xor_b64 s[78:79], s[4:5], -1
	s_mov_b64 s[4:5], s[46:47]
	s_and_saveexec_b64 s[76:77], s[78:79]
; %bb.199:
	v_cmp_gt_f32_e64 s[4:5], v4, v63
	s_and_b64 s[4:5], s[46:47], s[4:5]
	v_cndmask_b32_e64 v4, v63, v4, s[4:5]
	s_or_b64 s[4:5], s[46:47], exec
; %bb.200:
	s_or_b64 exec, exec, s[76:77]
	s_andn2_b64 s[46:47], s[46:47], exec
	s_and_b64 s[4:5], s[4:5], exec
	s_or_b64 s[46:47], s[46:47], s[4:5]
	s_or_b64 exec, exec, s[34:35]
	s_and_saveexec_b64 s[34:35], s[54:55]
	s_cbranch_execz .LBB767_141
.LBB767_201:
	global_load_ubyte v5, v[2:3], off offset:320
	s_waitcnt vmcnt(0)
	v_and_b32_e32 v5, 1, v5
	v_cmp_eq_u32_e64 s[4:5], 1, v5
	s_xor_b64 s[78:79], s[4:5], -1
	s_mov_b64 s[4:5], s[46:47]
	s_and_saveexec_b64 s[76:77], s[78:79]
; %bb.202:
	v_cmp_gt_f32_e64 s[4:5], v4, v62
	s_and_b64 s[4:5], s[46:47], s[4:5]
	v_cndmask_b32_e64 v4, v62, v4, s[4:5]
	s_or_b64 s[4:5], s[46:47], exec
; %bb.203:
	s_or_b64 exec, exec, s[76:77]
	s_andn2_b64 s[46:47], s[46:47], exec
	s_and_b64 s[4:5], s[4:5], exec
	s_or_b64 s[46:47], s[46:47], s[4:5]
	s_or_b64 exec, exec, s[34:35]
	s_and_saveexec_b64 s[34:35], s[52:53]
	s_cbranch_execz .LBB767_142
.LBB767_204:
	global_load_ubyte v5, v[2:3], off offset:352
	s_waitcnt vmcnt(0)
	v_and_b32_e32 v5, 1, v5
	v_cmp_eq_u32_e64 s[4:5], 1, v5
	s_xor_b64 s[78:79], s[4:5], -1
	s_mov_b64 s[4:5], s[46:47]
	s_and_saveexec_b64 s[76:77], s[78:79]
; %bb.205:
	v_cmp_gt_f32_e64 s[4:5], v4, v61
	s_and_b64 s[4:5], s[46:47], s[4:5]
	v_cndmask_b32_e64 v4, v61, v4, s[4:5]
	s_or_b64 s[4:5], s[46:47], exec
; %bb.206:
	s_or_b64 exec, exec, s[76:77]
	s_andn2_b64 s[46:47], s[46:47], exec
	s_and_b64 s[4:5], s[4:5], exec
	s_or_b64 s[46:47], s[46:47], s[4:5]
	s_or_b64 exec, exec, s[34:35]
	s_and_saveexec_b64 s[34:35], s[50:51]
	s_cbranch_execz .LBB767_143
.LBB767_207:
	global_load_ubyte v5, v[2:3], off offset:384
	s_waitcnt vmcnt(0)
	v_and_b32_e32 v5, 1, v5
	v_cmp_eq_u32_e64 s[4:5], 1, v5
	s_xor_b64 s[78:79], s[4:5], -1
	s_mov_b64 s[4:5], s[46:47]
	s_and_saveexec_b64 s[76:77], s[78:79]
; %bb.208:
	v_cmp_gt_f32_e64 s[4:5], v4, v60
	s_and_b64 s[4:5], s[46:47], s[4:5]
	v_cndmask_b32_e64 v4, v60, v4, s[4:5]
	s_or_b64 s[4:5], s[46:47], exec
; %bb.209:
	s_or_b64 exec, exec, s[76:77]
	s_andn2_b64 s[46:47], s[46:47], exec
	s_and_b64 s[4:5], s[4:5], exec
	s_or_b64 s[46:47], s[46:47], s[4:5]
	s_or_b64 exec, exec, s[34:35]
	s_and_saveexec_b64 s[34:35], s[40:41]
	s_cbranch_execz .LBB767_144
.LBB767_210:
	global_load_ubyte v5, v[2:3], off offset:416
	s_waitcnt vmcnt(0)
	v_and_b32_e32 v5, 1, v5
	v_cmp_eq_u32_e64 s[4:5], 1, v5
	s_xor_b64 s[78:79], s[4:5], -1
	s_mov_b64 s[4:5], s[46:47]
	s_and_saveexec_b64 s[76:77], s[78:79]
; %bb.211:
	v_cmp_gt_f32_e64 s[4:5], v4, v59
	s_and_b64 s[4:5], s[46:47], s[4:5]
	v_cndmask_b32_e64 v4, v59, v4, s[4:5]
	s_or_b64 s[4:5], s[46:47], exec
; %bb.212:
	s_or_b64 exec, exec, s[76:77]
	s_andn2_b64 s[46:47], s[46:47], exec
	s_and_b64 s[4:5], s[4:5], exec
	s_or_b64 s[46:47], s[46:47], s[4:5]
	s_or_b64 exec, exec, s[34:35]
	s_and_saveexec_b64 s[34:35], s[48:49]
	s_cbranch_execz .LBB767_145
.LBB767_213:
	global_load_ubyte v5, v[2:3], off offset:448
	s_waitcnt vmcnt(0)
	v_and_b32_e32 v5, 1, v5
	v_cmp_eq_u32_e64 s[4:5], 1, v5
	s_xor_b64 s[78:79], s[4:5], -1
	s_mov_b64 s[4:5], s[46:47]
	s_and_saveexec_b64 s[76:77], s[78:79]
; %bb.214:
	v_cmp_gt_f32_e64 s[4:5], v4, v58
	s_and_b64 s[4:5], s[46:47], s[4:5]
	v_cndmask_b32_e64 v4, v58, v4, s[4:5]
	s_or_b64 s[4:5], s[46:47], exec
; %bb.215:
	s_or_b64 exec, exec, s[76:77]
	s_andn2_b64 s[46:47], s[46:47], exec
	s_and_b64 s[4:5], s[4:5], exec
	s_or_b64 s[46:47], s[46:47], s[4:5]
	s_or_b64 exec, exec, s[34:35]
	s_and_saveexec_b64 s[34:35], s[42:43]
	s_cbranch_execz .LBB767_146
.LBB767_216:
	global_load_ubyte v5, v[2:3], off offset:480
	s_waitcnt vmcnt(0)
	v_and_b32_e32 v5, 1, v5
	v_cmp_eq_u32_e64 s[4:5], 1, v5
	s_xor_b64 s[78:79], s[4:5], -1
	s_mov_b64 s[4:5], s[46:47]
	s_and_saveexec_b64 s[76:77], s[78:79]
; %bb.217:
	v_cmp_gt_f32_e64 s[4:5], v4, v57
	s_and_b64 s[4:5], s[46:47], s[4:5]
	v_cndmask_b32_e64 v4, v57, v4, s[4:5]
	s_or_b64 s[4:5], s[46:47], exec
; %bb.218:
	s_or_b64 exec, exec, s[76:77]
	s_andn2_b64 s[46:47], s[46:47], exec
	s_and_b64 s[4:5], s[4:5], exec
	s_or_b64 s[46:47], s[46:47], s[4:5]
	s_or_b64 exec, exec, s[34:35]
	s_and_saveexec_b64 s[34:35], s[44:45]
	s_cbranch_execz .LBB767_147
.LBB767_219:
	global_load_ubyte v5, v[2:3], off offset:512
	s_waitcnt vmcnt(0)
	v_and_b32_e32 v5, 1, v5
	v_cmp_eq_u32_e64 s[4:5], 1, v5
	s_xor_b64 s[78:79], s[4:5], -1
	s_mov_b64 s[4:5], s[46:47]
	s_and_saveexec_b64 s[76:77], s[78:79]
; %bb.220:
	v_cmp_gt_f32_e64 s[4:5], v4, v56
	s_and_b64 s[4:5], s[46:47], s[4:5]
	v_cndmask_b32_e64 v4, v56, v4, s[4:5]
	s_or_b64 s[4:5], s[46:47], exec
; %bb.221:
	s_or_b64 exec, exec, s[76:77]
	s_andn2_b64 s[46:47], s[46:47], exec
	s_and_b64 s[4:5], s[4:5], exec
	s_or_b64 s[46:47], s[46:47], s[4:5]
	s_or_b64 exec, exec, s[34:35]
	s_and_saveexec_b64 s[34:35], vcc
	s_cbranch_execz .LBB767_148
.LBB767_222:
	global_load_ubyte v5, v[2:3], off offset:544
	s_waitcnt vmcnt(0)
	v_and_b32_e32 v5, 1, v5
	v_cmp_eq_u32_e64 s[4:5], 1, v5
	s_xor_b64 s[78:79], s[4:5], -1
	s_mov_b64 s[4:5], s[46:47]
	s_and_saveexec_b64 s[76:77], s[78:79]
; %bb.223:
	v_cmp_gt_f32_e64 s[4:5], v4, v55
	s_and_b64 s[4:5], s[46:47], s[4:5]
	v_cndmask_b32_e64 v4, v55, v4, s[4:5]
	s_or_b64 s[4:5], s[46:47], exec
; %bb.224:
	s_or_b64 exec, exec, s[76:77]
	s_andn2_b64 s[46:47], s[46:47], exec
	s_and_b64 s[4:5], s[4:5], exec
	s_or_b64 s[46:47], s[46:47], s[4:5]
	s_or_b64 exec, exec, s[34:35]
	s_and_saveexec_b64 s[34:35], s[38:39]
	s_cbranch_execz .LBB767_149
.LBB767_225:
	global_load_ubyte v5, v[2:3], off offset:576
	s_waitcnt vmcnt(0)
	v_and_b32_e32 v5, 1, v5
	v_cmp_eq_u32_e64 s[4:5], 1, v5
	s_xor_b64 s[78:79], s[4:5], -1
	s_mov_b64 s[4:5], s[46:47]
	s_and_saveexec_b64 s[76:77], s[78:79]
; %bb.226:
	v_cmp_gt_f32_e64 s[4:5], v4, v54
	s_and_b64 s[4:5], s[46:47], s[4:5]
	v_cndmask_b32_e64 v4, v54, v4, s[4:5]
	s_or_b64 s[4:5], s[46:47], exec
; %bb.227:
	s_or_b64 exec, exec, s[76:77]
	s_andn2_b64 s[46:47], s[46:47], exec
	s_and_b64 s[4:5], s[4:5], exec
	s_or_b64 s[46:47], s[46:47], s[4:5]
	s_or_b64 exec, exec, s[34:35]
	s_and_saveexec_b64 s[34:35], s[30:31]
	s_cbranch_execz .LBB767_150
.LBB767_228:
	global_load_ubyte v5, v[2:3], off offset:608
	s_waitcnt vmcnt(0)
	v_and_b32_e32 v5, 1, v5
	v_cmp_eq_u32_e64 s[4:5], 1, v5
	s_xor_b64 s[78:79], s[4:5], -1
	s_mov_b64 s[4:5], s[46:47]
	s_and_saveexec_b64 s[76:77], s[78:79]
; %bb.229:
	v_cmp_gt_f32_e64 s[4:5], v4, v53
	s_and_b64 s[4:5], s[46:47], s[4:5]
	v_cndmask_b32_e64 v4, v53, v4, s[4:5]
	s_or_b64 s[4:5], s[46:47], exec
; %bb.230:
	s_or_b64 exec, exec, s[76:77]
	s_andn2_b64 s[46:47], s[46:47], exec
	s_and_b64 s[4:5], s[4:5], exec
	s_or_b64 s[46:47], s[46:47], s[4:5]
	s_or_b64 exec, exec, s[34:35]
	s_and_saveexec_b64 s[34:35], s[28:29]
	s_cbranch_execz .LBB767_151
.LBB767_231:
	global_load_ubyte v5, v[2:3], off offset:640
	s_waitcnt vmcnt(0)
	v_and_b32_e32 v5, 1, v5
	v_cmp_eq_u32_e64 s[4:5], 1, v5
	s_xor_b64 s[78:79], s[4:5], -1
	s_mov_b64 s[4:5], s[46:47]
	s_and_saveexec_b64 s[76:77], s[78:79]
; %bb.232:
	v_cmp_gt_f32_e64 s[4:5], v4, v52
	s_and_b64 s[4:5], s[46:47], s[4:5]
	v_cndmask_b32_e64 v4, v52, v4, s[4:5]
	s_or_b64 s[4:5], s[46:47], exec
; %bb.233:
	s_or_b64 exec, exec, s[76:77]
	s_andn2_b64 s[46:47], s[46:47], exec
	s_and_b64 s[4:5], s[4:5], exec
	s_or_b64 s[46:47], s[46:47], s[4:5]
	s_or_b64 exec, exec, s[34:35]
	s_and_saveexec_b64 s[34:35], s[26:27]
	s_cbranch_execz .LBB767_152
.LBB767_234:
	global_load_ubyte v5, v[2:3], off offset:672
	s_waitcnt vmcnt(0)
	v_and_b32_e32 v5, 1, v5
	v_cmp_eq_u32_e64 s[4:5], 1, v5
	s_xor_b64 s[78:79], s[4:5], -1
	s_mov_b64 s[4:5], s[46:47]
	s_and_saveexec_b64 s[76:77], s[78:79]
; %bb.235:
	v_cmp_gt_f32_e64 s[4:5], v4, v51
	s_and_b64 s[4:5], s[46:47], s[4:5]
	v_cndmask_b32_e64 v4, v51, v4, s[4:5]
	s_or_b64 s[4:5], s[46:47], exec
; %bb.236:
	s_or_b64 exec, exec, s[76:77]
	s_andn2_b64 s[46:47], s[46:47], exec
	s_and_b64 s[4:5], s[4:5], exec
	s_or_b64 s[46:47], s[46:47], s[4:5]
	s_or_b64 exec, exec, s[34:35]
	s_and_saveexec_b64 s[34:35], s[24:25]
	s_cbranch_execz .LBB767_153
.LBB767_237:
	global_load_ubyte v5, v[2:3], off offset:704
	s_waitcnt vmcnt(0)
	v_and_b32_e32 v5, 1, v5
	v_cmp_eq_u32_e64 s[4:5], 1, v5
	s_xor_b64 s[78:79], s[4:5], -1
	s_mov_b64 s[4:5], s[46:47]
	s_and_saveexec_b64 s[76:77], s[78:79]
; %bb.238:
	v_cmp_gt_f32_e64 s[4:5], v4, v50
	s_and_b64 s[4:5], s[46:47], s[4:5]
	v_cndmask_b32_e64 v4, v50, v4, s[4:5]
	s_or_b64 s[4:5], s[46:47], exec
; %bb.239:
	s_or_b64 exec, exec, s[76:77]
	s_andn2_b64 s[46:47], s[46:47], exec
	s_and_b64 s[4:5], s[4:5], exec
	s_or_b64 s[46:47], s[46:47], s[4:5]
	s_or_b64 exec, exec, s[34:35]
	s_and_saveexec_b64 s[34:35], s[22:23]
	s_cbranch_execz .LBB767_154
.LBB767_240:
	global_load_ubyte v5, v[2:3], off offset:736
	s_waitcnt vmcnt(0)
	v_and_b32_e32 v5, 1, v5
	v_cmp_eq_u32_e64 s[4:5], 1, v5
	s_xor_b64 s[78:79], s[4:5], -1
	s_mov_b64 s[4:5], s[46:47]
	s_and_saveexec_b64 s[76:77], s[78:79]
; %bb.241:
	v_cmp_gt_f32_e64 s[4:5], v4, v49
	s_and_b64 s[4:5], s[46:47], s[4:5]
	v_cndmask_b32_e64 v4, v49, v4, s[4:5]
	s_or_b64 s[4:5], s[46:47], exec
; %bb.242:
	s_or_b64 exec, exec, s[76:77]
	s_andn2_b64 s[46:47], s[46:47], exec
	s_and_b64 s[4:5], s[4:5], exec
	s_or_b64 s[46:47], s[46:47], s[4:5]
	s_or_b64 exec, exec, s[34:35]
	s_and_saveexec_b64 s[34:35], s[20:21]
	s_cbranch_execz .LBB767_155
.LBB767_243:
	global_load_ubyte v5, v[2:3], off offset:768
	s_waitcnt vmcnt(0)
	v_and_b32_e32 v5, 1, v5
	v_cmp_eq_u32_e64 s[4:5], 1, v5
	s_xor_b64 s[78:79], s[4:5], -1
	s_mov_b64 s[4:5], s[46:47]
	s_and_saveexec_b64 s[76:77], s[78:79]
; %bb.244:
	v_cmp_gt_f32_e64 s[4:5], v4, v48
	s_and_b64 s[4:5], s[46:47], s[4:5]
	v_cndmask_b32_e64 v4, v48, v4, s[4:5]
	s_or_b64 s[4:5], s[46:47], exec
; %bb.245:
	s_or_b64 exec, exec, s[76:77]
	s_andn2_b64 s[46:47], s[46:47], exec
	s_and_b64 s[4:5], s[4:5], exec
	s_or_b64 s[46:47], s[46:47], s[4:5]
	s_or_b64 exec, exec, s[34:35]
	s_and_saveexec_b64 s[34:35], s[18:19]
	s_cbranch_execz .LBB767_156
.LBB767_246:
	global_load_ubyte v5, v[2:3], off offset:800
	s_waitcnt vmcnt(0)
	v_and_b32_e32 v5, 1, v5
	v_cmp_eq_u32_e64 s[4:5], 1, v5
	s_xor_b64 s[78:79], s[4:5], -1
	s_mov_b64 s[4:5], s[46:47]
	s_and_saveexec_b64 s[76:77], s[78:79]
; %bb.247:
	v_cmp_gt_f32_e64 s[4:5], v4, v47
	s_and_b64 s[4:5], s[46:47], s[4:5]
	v_cndmask_b32_e64 v4, v47, v4, s[4:5]
	s_or_b64 s[4:5], s[46:47], exec
; %bb.248:
	s_or_b64 exec, exec, s[76:77]
	s_andn2_b64 s[46:47], s[46:47], exec
	s_and_b64 s[4:5], s[4:5], exec
	s_or_b64 s[46:47], s[46:47], s[4:5]
	s_or_b64 exec, exec, s[34:35]
	s_and_saveexec_b64 s[34:35], s[16:17]
	s_cbranch_execz .LBB767_157
.LBB767_249:
	global_load_ubyte v5, v[2:3], off offset:832
	s_waitcnt vmcnt(0)
	v_and_b32_e32 v5, 1, v5
	v_cmp_eq_u32_e64 s[4:5], 1, v5
	s_xor_b64 s[78:79], s[4:5], -1
	s_mov_b64 s[4:5], s[46:47]
	s_and_saveexec_b64 s[76:77], s[78:79]
; %bb.250:
	v_cmp_gt_f32_e64 s[4:5], v4, v46
	s_and_b64 s[4:5], s[46:47], s[4:5]
	v_cndmask_b32_e64 v4, v46, v4, s[4:5]
	s_or_b64 s[4:5], s[46:47], exec
; %bb.251:
	s_or_b64 exec, exec, s[76:77]
	s_andn2_b64 s[46:47], s[46:47], exec
	s_and_b64 s[4:5], s[4:5], exec
	s_or_b64 s[46:47], s[46:47], s[4:5]
	s_or_b64 exec, exec, s[34:35]
	s_and_saveexec_b64 s[34:35], s[14:15]
	s_cbranch_execz .LBB767_158
.LBB767_252:
	global_load_ubyte v5, v[2:3], off offset:864
	s_waitcnt vmcnt(0)
	v_and_b32_e32 v5, 1, v5
	v_cmp_eq_u32_e64 s[4:5], 1, v5
	s_xor_b64 s[78:79], s[4:5], -1
	s_mov_b64 s[4:5], s[46:47]
	s_and_saveexec_b64 s[76:77], s[78:79]
; %bb.253:
	v_cmp_gt_f32_e64 s[4:5], v4, v45
	s_and_b64 s[4:5], s[46:47], s[4:5]
	v_cndmask_b32_e64 v4, v45, v4, s[4:5]
	s_or_b64 s[4:5], s[46:47], exec
; %bb.254:
	s_or_b64 exec, exec, s[76:77]
	s_andn2_b64 s[46:47], s[46:47], exec
	s_and_b64 s[4:5], s[4:5], exec
	s_or_b64 s[46:47], s[46:47], s[4:5]
	s_or_b64 exec, exec, s[34:35]
	s_and_saveexec_b64 s[34:35], s[12:13]
	s_cbranch_execz .LBB767_159
.LBB767_255:
	global_load_ubyte v5, v[2:3], off offset:896
	s_waitcnt vmcnt(0)
	v_and_b32_e32 v5, 1, v5
	v_cmp_eq_u32_e64 s[4:5], 1, v5
	s_xor_b64 s[78:79], s[4:5], -1
	s_mov_b64 s[4:5], s[46:47]
	s_and_saveexec_b64 s[76:77], s[78:79]
; %bb.256:
	v_cmp_gt_f32_e64 s[4:5], v4, v44
	s_and_b64 s[4:5], s[46:47], s[4:5]
	v_cndmask_b32_e64 v4, v44, v4, s[4:5]
	s_or_b64 s[4:5], s[46:47], exec
; %bb.257:
	s_or_b64 exec, exec, s[76:77]
	s_andn2_b64 s[46:47], s[46:47], exec
	s_and_b64 s[4:5], s[4:5], exec
	s_or_b64 s[46:47], s[46:47], s[4:5]
	s_or_b64 exec, exec, s[34:35]
	s_and_saveexec_b64 s[34:35], s[10:11]
	s_cbranch_execz .LBB767_160
.LBB767_258:
	global_load_ubyte v5, v[2:3], off offset:928
	s_waitcnt vmcnt(0)
	v_and_b32_e32 v5, 1, v5
	v_cmp_eq_u32_e64 s[4:5], 1, v5
	s_xor_b64 s[78:79], s[4:5], -1
	s_mov_b64 s[4:5], s[46:47]
	s_and_saveexec_b64 s[76:77], s[78:79]
; %bb.259:
	v_cmp_gt_f32_e64 s[4:5], v4, v43
	s_and_b64 s[4:5], s[46:47], s[4:5]
	v_cndmask_b32_e64 v4, v43, v4, s[4:5]
	s_or_b64 s[4:5], s[46:47], exec
; %bb.260:
	s_or_b64 exec, exec, s[76:77]
	s_andn2_b64 s[46:47], s[46:47], exec
	s_and_b64 s[4:5], s[4:5], exec
	s_or_b64 s[46:47], s[46:47], s[4:5]
	s_or_b64 exec, exec, s[34:35]
	s_and_saveexec_b64 s[34:35], s[8:9]
	s_cbranch_execz .LBB767_161
.LBB767_261:
	global_load_ubyte v5, v[2:3], off offset:960
	s_waitcnt vmcnt(0)
	v_and_b32_e32 v5, 1, v5
	v_cmp_eq_u32_e64 s[4:5], 1, v5
	s_xor_b64 s[78:79], s[4:5], -1
	s_mov_b64 s[4:5], s[46:47]
	s_and_saveexec_b64 s[76:77], s[78:79]
; %bb.262:
	v_cmp_gt_f32_e64 s[4:5], v4, v42
	s_and_b64 s[4:5], s[46:47], s[4:5]
	v_cndmask_b32_e64 v4, v42, v4, s[4:5]
	s_or_b64 s[4:5], s[46:47], exec
; %bb.263:
	s_or_b64 exec, exec, s[76:77]
	s_andn2_b64 s[46:47], s[46:47], exec
	s_and_b64 s[4:5], s[4:5], exec
	s_or_b64 s[46:47], s[46:47], s[4:5]
	s_or_b64 exec, exec, s[34:35]
	s_and_saveexec_b64 s[34:35], s[6:7]
	s_cbranch_execz .LBB767_162
.LBB767_264:
	global_load_ubyte v5, v[2:3], off offset:992
	s_waitcnt vmcnt(0)
	v_and_b32_e32 v5, 1, v5
	v_cmp_eq_u32_e64 s[4:5], 1, v5
	s_xor_b64 s[78:79], s[4:5], -1
	s_mov_b64 s[4:5], s[46:47]
	s_and_saveexec_b64 s[76:77], s[78:79]
; %bb.265:
	v_cmp_gt_f32_e64 s[4:5], v4, v41
	s_and_b64 s[4:5], s[46:47], s[4:5]
	v_cndmask_b32_e64 v4, v41, v4, s[4:5]
	s_or_b64 s[4:5], s[46:47], exec
; %bb.266:
	s_or_b64 exec, exec, s[76:77]
	s_andn2_b64 s[46:47], s[46:47], exec
	s_and_b64 s[4:5], s[4:5], exec
	s_or_b64 s[46:47], s[46:47], s[4:5]
	s_or_b64 exec, exec, s[34:35]
	s_and_saveexec_b64 s[34:35], s[36:37]
	s_cbranch_execz .LBB767_163
.LBB767_267:
	global_load_ubyte v5, v[2:3], off offset:1024
	s_waitcnt vmcnt(0)
	v_and_b32_e32 v5, 1, v5
	v_cmp_eq_u32_e64 s[4:5], 1, v5
	s_xor_b64 s[78:79], s[4:5], -1
	s_mov_b64 s[4:5], s[46:47]
	s_and_saveexec_b64 s[76:77], s[78:79]
; %bb.268:
	v_cmp_gt_f32_e64 s[4:5], v4, v40
	s_and_b64 s[4:5], s[46:47], s[4:5]
	v_cndmask_b32_e64 v4, v40, v4, s[4:5]
	s_or_b64 s[4:5], s[46:47], exec
; %bb.269:
	s_or_b64 exec, exec, s[76:77]
	s_andn2_b64 s[46:47], s[46:47], exec
	s_and_b64 s[4:5], s[4:5], exec
	s_or_b64 s[46:47], s[46:47], s[4:5]
	s_or_b64 exec, exec, s[34:35]
	s_and_saveexec_b64 s[34:35], s[2:3]
	s_cbranch_execz .LBB767_164
.LBB767_270:
	global_load_ubyte v5, v[2:3], off offset:1056
	s_waitcnt vmcnt(0)
	v_and_b32_e32 v5, 1, v5
	v_cmp_eq_u32_e64 s[4:5], 1, v5
	s_xor_b64 s[78:79], s[4:5], -1
	s_mov_b64 s[4:5], s[46:47]
	s_and_saveexec_b64 s[76:77], s[78:79]
; %bb.271:
	v_cmp_gt_f32_e64 s[4:5], v4, v39
	s_and_b64 s[4:5], s[46:47], s[4:5]
	v_cndmask_b32_e64 v4, v39, v4, s[4:5]
	s_or_b64 s[4:5], s[46:47], exec
; %bb.272:
	s_or_b64 exec, exec, s[76:77]
	s_andn2_b64 s[46:47], s[46:47], exec
	s_and_b64 s[4:5], s[4:5], exec
	s_or_b64 s[46:47], s[46:47], s[4:5]
	s_or_b64 exec, exec, s[34:35]
	s_and_saveexec_b64 s[34:35], s[0:1]
	s_cbranch_execz .LBB767_165
.LBB767_273:
	global_load_ubyte v5, v[2:3], off offset:1088
	s_waitcnt vmcnt(0)
	v_and_b32_e32 v5, 1, v5
	v_cmp_eq_u32_e64 s[4:5], 1, v5
	s_xor_b64 s[78:79], s[4:5], -1
	s_mov_b64 s[4:5], s[46:47]
	s_and_saveexec_b64 s[76:77], s[78:79]
; %bb.274:
	v_cmp_gt_f32_e64 s[4:5], v4, v38
	s_and_b64 s[4:5], s[46:47], s[4:5]
	v_cndmask_b32_e64 v4, v38, v4, s[4:5]
	s_or_b64 s[4:5], s[46:47], exec
; %bb.275:
	s_or_b64 exec, exec, s[76:77]
	s_andn2_b64 s[46:47], s[46:47], exec
	s_and_b64 s[4:5], s[4:5], exec
	s_or_b64 s[46:47], s[46:47], s[4:5]
	s_or_b64 exec, exec, s[34:35]
	s_and_saveexec_b64 s[34:35], s[94:95]
	s_cbranch_execz .LBB767_166
.LBB767_276:
	global_load_ubyte v5, v[2:3], off offset:1120
	s_waitcnt vmcnt(0)
	v_and_b32_e32 v5, 1, v5
	v_cmp_eq_u32_e64 s[4:5], 1, v5
	s_xor_b64 s[78:79], s[4:5], -1
	s_mov_b64 s[4:5], s[46:47]
	s_and_saveexec_b64 s[76:77], s[78:79]
; %bb.277:
	v_cmp_gt_f32_e64 s[4:5], v4, v37
	s_and_b64 s[4:5], s[46:47], s[4:5]
	v_cndmask_b32_e64 v4, v37, v4, s[4:5]
	s_or_b64 s[4:5], s[46:47], exec
; %bb.278:
	s_or_b64 exec, exec, s[76:77]
	s_andn2_b64 s[46:47], s[46:47], exec
	s_and_b64 s[4:5], s[4:5], exec
	s_or_b64 s[46:47], s[46:47], s[4:5]
	s_or_b64 exec, exec, s[34:35]
	s_and_saveexec_b64 s[34:35], s[92:93]
	s_cbranch_execz .LBB767_167
.LBB767_279:
	global_load_ubyte v5, v[2:3], off offset:1152
	s_waitcnt vmcnt(0)
	v_and_b32_e32 v5, 1, v5
	v_cmp_eq_u32_e64 s[4:5], 1, v5
	s_xor_b64 s[78:79], s[4:5], -1
	s_mov_b64 s[4:5], s[46:47]
	s_and_saveexec_b64 s[76:77], s[78:79]
; %bb.280:
	v_cmp_gt_f32_e64 s[4:5], v4, v36
	s_and_b64 s[4:5], s[46:47], s[4:5]
	v_cndmask_b32_e64 v4, v36, v4, s[4:5]
	s_or_b64 s[4:5], s[46:47], exec
; %bb.281:
	s_or_b64 exec, exec, s[76:77]
	s_andn2_b64 s[46:47], s[46:47], exec
	s_and_b64 s[4:5], s[4:5], exec
	s_or_b64 s[46:47], s[46:47], s[4:5]
	s_or_b64 exec, exec, s[34:35]
	s_and_saveexec_b64 s[34:35], s[90:91]
	s_cbranch_execz .LBB767_168
.LBB767_282:
	global_load_ubyte v5, v[2:3], off offset:1184
	s_waitcnt vmcnt(0)
	v_and_b32_e32 v5, 1, v5
	v_cmp_eq_u32_e64 s[4:5], 1, v5
	s_xor_b64 s[78:79], s[4:5], -1
	s_mov_b64 s[4:5], s[46:47]
	s_and_saveexec_b64 s[76:77], s[78:79]
; %bb.283:
	v_cmp_gt_f32_e64 s[4:5], v4, v35
	s_and_b64 s[4:5], s[46:47], s[4:5]
	v_cndmask_b32_e64 v4, v35, v4, s[4:5]
	s_or_b64 s[4:5], s[46:47], exec
; %bb.284:
	s_or_b64 exec, exec, s[76:77]
	s_andn2_b64 s[46:47], s[46:47], exec
	s_and_b64 s[4:5], s[4:5], exec
	s_or_b64 s[46:47], s[46:47], s[4:5]
	s_or_b64 exec, exec, s[34:35]
	s_and_saveexec_b64 s[34:35], s[88:89]
	s_cbranch_execz .LBB767_169
.LBB767_285:
	global_load_ubyte v5, v[2:3], off offset:1216
	s_waitcnt vmcnt(0)
	v_and_b32_e32 v5, 1, v5
	v_cmp_eq_u32_e64 s[4:5], 1, v5
	s_xor_b64 s[78:79], s[4:5], -1
	s_mov_b64 s[4:5], s[46:47]
	s_and_saveexec_b64 s[76:77], s[78:79]
; %bb.286:
	v_cmp_gt_f32_e64 s[4:5], v4, v34
	s_and_b64 s[4:5], s[46:47], s[4:5]
	v_cndmask_b32_e64 v4, v34, v4, s[4:5]
	s_or_b64 s[4:5], s[46:47], exec
; %bb.287:
	s_or_b64 exec, exec, s[76:77]
	s_andn2_b64 s[46:47], s[46:47], exec
	s_and_b64 s[4:5], s[4:5], exec
	s_or_b64 s[46:47], s[46:47], s[4:5]
	s_or_b64 exec, exec, s[34:35]
	s_and_saveexec_b64 s[34:35], s[86:87]
	s_cbranch_execz .LBB767_170
.LBB767_288:
	global_load_ubyte v5, v[2:3], off offset:1248
	s_waitcnt vmcnt(0)
	v_and_b32_e32 v5, 1, v5
	v_cmp_eq_u32_e64 s[4:5], 1, v5
	s_xor_b64 s[78:79], s[4:5], -1
	s_mov_b64 s[4:5], s[46:47]
	s_and_saveexec_b64 s[76:77], s[78:79]
; %bb.289:
	v_cmp_gt_f32_e64 s[4:5], v4, v33
	s_and_b64 s[4:5], s[46:47], s[4:5]
	v_cndmask_b32_e64 v4, v33, v4, s[4:5]
	s_or_b64 s[4:5], s[46:47], exec
; %bb.290:
	s_or_b64 exec, exec, s[76:77]
	s_andn2_b64 s[46:47], s[46:47], exec
	s_and_b64 s[4:5], s[4:5], exec
	s_or_b64 s[46:47], s[46:47], s[4:5]
	s_or_b64 exec, exec, s[34:35]
	s_and_saveexec_b64 s[34:35], s[84:85]
	s_cbranch_execz .LBB767_171
.LBB767_291:
	global_load_ubyte v5, v[2:3], off offset:1280
	s_waitcnt vmcnt(0)
	v_and_b32_e32 v5, 1, v5
	v_cmp_eq_u32_e64 s[4:5], 1, v5
	s_xor_b64 s[78:79], s[4:5], -1
	s_mov_b64 s[4:5], s[46:47]
	s_and_saveexec_b64 s[76:77], s[78:79]
; %bb.292:
	v_cmp_gt_f32_e64 s[4:5], v4, v32
	s_and_b64 s[4:5], s[46:47], s[4:5]
	v_cndmask_b32_e64 v4, v32, v4, s[4:5]
	s_or_b64 s[4:5], s[46:47], exec
; %bb.293:
	s_or_b64 exec, exec, s[76:77]
	s_andn2_b64 s[46:47], s[46:47], exec
	s_and_b64 s[4:5], s[4:5], exec
	s_or_b64 s[46:47], s[46:47], s[4:5]
	s_or_b64 exec, exec, s[34:35]
	s_and_saveexec_b64 s[34:35], s[82:83]
	s_cbranch_execz .LBB767_172
.LBB767_294:
	global_load_ubyte v5, v[2:3], off offset:1312
	s_waitcnt vmcnt(0)
	v_and_b32_e32 v5, 1, v5
	v_cmp_eq_u32_e64 s[4:5], 1, v5
	s_xor_b64 s[78:79], s[4:5], -1
	s_mov_b64 s[4:5], s[46:47]
	s_and_saveexec_b64 s[76:77], s[78:79]
; %bb.295:
	v_cmp_gt_f32_e64 s[4:5], v4, v31
	s_and_b64 s[4:5], s[46:47], s[4:5]
	v_cndmask_b32_e64 v4, v31, v4, s[4:5]
	s_or_b64 s[4:5], s[46:47], exec
; %bb.296:
	s_or_b64 exec, exec, s[76:77]
	s_andn2_b64 s[46:47], s[46:47], exec
	s_and_b64 s[4:5], s[4:5], exec
	s_or_b64 s[46:47], s[46:47], s[4:5]
	s_or_b64 exec, exec, s[34:35]
	s_and_saveexec_b64 s[34:35], s[80:81]
	s_cbranch_execz .LBB767_300
.LBB767_297:
	global_load_ubyte v5, v[2:3], off offset:1344
	s_waitcnt vmcnt(0)
	v_and_b32_e32 v5, 1, v5
	v_cmp_eq_u32_e64 s[4:5], 1, v5
	s_xor_b64 s[78:79], s[4:5], -1
	s_mov_b64 s[4:5], s[46:47]
	s_and_saveexec_b64 s[76:77], s[78:79]
; %bb.298:
	v_cmp_gt_f32_e64 s[4:5], v4, v30
	s_and_b64 s[4:5], s[46:47], s[4:5]
	v_cndmask_b32_e64 v4, v30, v4, s[4:5]
	s_or_b64 s[4:5], s[46:47], exec
; %bb.299:
	s_or_b64 exec, exec, s[76:77]
	s_andn2_b64 s[46:47], s[46:47], exec
	s_and_b64 s[4:5], s[4:5], exec
	s_or_b64 s[46:47], s[46:47], s[4:5]
.LBB767_300:
	s_or_b64 exec, exec, s[34:35]
	s_mov_b64 s[34:35], exec
	v_readlane_b32 s4, v81, 28
	v_readlane_b32 s5, v81, 29
	s_and_b64 s[4:5], s[34:35], s[4:5]
	s_mov_b64 exec, s[4:5]
	s_cbranch_execz .LBB767_304
; %bb.301:
	global_load_ubyte v5, v[2:3], off offset:1376
	s_waitcnt vmcnt(0)
	v_and_b32_e32 v5, 1, v5
	v_cmp_eq_u32_e64 s[4:5], 1, v5
	s_xor_b64 s[78:79], s[4:5], -1
	s_mov_b64 s[4:5], s[46:47]
	s_and_saveexec_b64 s[76:77], s[78:79]
; %bb.302:
	v_cmp_gt_f32_e64 s[4:5], v4, v29
	s_and_b64 s[4:5], s[46:47], s[4:5]
	v_cndmask_b32_e64 v4, v29, v4, s[4:5]
	s_or_b64 s[4:5], s[46:47], exec
; %bb.303:
	s_or_b64 exec, exec, s[76:77]
	s_andn2_b64 s[46:47], s[46:47], exec
	s_and_b64 s[4:5], s[4:5], exec
	s_or_b64 s[46:47], s[46:47], s[4:5]
.LBB767_304:
	s_or_b64 exec, exec, s[34:35]
	s_mov_b64 s[34:35], exec
	v_readlane_b32 s4, v81, 32
	v_readlane_b32 s5, v81, 33
	s_and_b64 s[4:5], s[34:35], s[4:5]
	s_mov_b64 exec, s[4:5]
	s_cbranch_execz .LBB767_308
; %bb.305:
	global_load_ubyte v5, v[2:3], off offset:1408
	s_waitcnt vmcnt(0)
	v_and_b32_e32 v5, 1, v5
	v_cmp_eq_u32_e64 s[4:5], 1, v5
	s_xor_b64 s[78:79], s[4:5], -1
	s_mov_b64 s[4:5], s[46:47]
	s_and_saveexec_b64 s[76:77], s[78:79]
; %bb.306:
	v_cmp_gt_f32_e64 s[4:5], v4, v28
	s_and_b64 s[4:5], s[46:47], s[4:5]
	v_cndmask_b32_e64 v4, v28, v4, s[4:5]
	s_or_b64 s[4:5], s[46:47], exec
; %bb.307:
	s_or_b64 exec, exec, s[76:77]
	s_andn2_b64 s[46:47], s[46:47], exec
	s_and_b64 s[4:5], s[4:5], exec
	s_or_b64 s[46:47], s[46:47], s[4:5]
.LBB767_308:
	;; [unrolled: 26-line block ×21, first 2 shown]
	s_or_b64 exec, exec, s[34:35]
	v_mov_b32_e32 v5, 0xff800000
	v_cndmask_b32_e64 v4, v5, v4, s[46:47]
	v_mbcnt_lo_u32_b32 v5, -1, 0
	v_mbcnt_hi_u32_b32 v5, -1, v5
	v_and_b32_e32 v6, 0x60, v5
	v_add_u32_e32 v6, 32, v6
	v_xor_b32_e32 v7, 16, v5
	v_cmp_lt_i32_e64 s[4:5], v7, v6
	v_cndmask_b32_e64 v7, v5, v7, s[4:5]
	v_lshlrev_b32_e32 v7, 2, v7
	ds_bpermute_b32 v73, v7, v4
	v_xor_b32_e32 v74, 8, v5
	v_xor_b32_e32 v75, 4, v5
	;; [unrolled: 1-line block ×4, first 2 shown]
	s_waitcnt lgkmcnt(0)
	v_cmp_lt_f32_e64 s[4:5], v4, v73
	v_cndmask_b32_e64 v4, v4, v73, s[4:5]
	v_cmp_lt_i32_e64 s[4:5], v74, v6
	v_cndmask_b32_e64 v73, v5, v74, s[4:5]
	v_lshlrev_b32_e32 v73, 2, v73
	ds_bpermute_b32 v74, v73, v4
	s_waitcnt lgkmcnt(0)
	v_cmp_lt_f32_e64 s[4:5], v4, v74
	v_cndmask_b32_e64 v4, v4, v74, s[4:5]
	v_cmp_lt_i32_e64 s[4:5], v75, v6
	v_cndmask_b32_e64 v74, v5, v75, s[4:5]
	v_lshlrev_b32_e32 v74, 2, v74
	ds_bpermute_b32 v75, v74, v4
	;; [unrolled: 7-line block ×4, first 2 shown]
	v_mov_b32_e32 v4, 0
	s_waitcnt lgkmcnt(0)
	v_cmp_lt_f32_e64 s[4:5], v75, v5
	v_cndmask_b32_e64 v78, v75, v5, s[4:5]
	v_mov_b32_e32 v75, 0
	s_and_saveexec_b64 s[46:47], s[74:75]
	s_cbranch_execz .LBB767_388
; %bb.385:
	global_load_ubyte v5, v[2:3], off
	v_mov_b32_e32 v75, 0
	s_waitcnt vmcnt(0)
	v_and_b32_e32 v5, 1, v5
	v_cmp_eq_u32_e64 s[4:5], 1, v5
	s_xor_b64 s[4:5], s[4:5], -1
	s_and_saveexec_b64 s[34:35], s[4:5]
	s_cbranch_execz .LBB767_387
; %bb.386:
	v_sub_f32_e32 v5, v72, v78
	s_mov_b32 s4, 0x3fb8aa3b
	v_mul_f32_e32 v6, 0x3fb8aa3b, v5
	v_fma_f32 v72, v5, s4, -v6
	v_rndne_f32_e32 v75, v6
	v_fmac_f32_e32 v72, 0x32a5705f, v5
	v_sub_f32_e32 v6, v6, v75
	v_add_f32_e32 v6, v6, v72
	v_exp_f32_e32 v6, v6
	v_cvt_i32_f32_e32 v72, v75
	s_mov_b32 s4, 0xc2ce8ed0
	v_cmp_ngt_f32_e64 s[4:5], s4, v5
	v_ldexp_f32 v6, v6, v72
	v_cndmask_b32_e64 v6, 0, v6, s[4:5]
	s_mov_b32 s4, 0x42b17218
	v_mov_b32_e32 v72, 0x7f800000
	v_cmp_nlt_f32_e64 s[4:5], s4, v5
	v_cndmask_b32_e64 v75, v72, v6, s[4:5]
.LBB767_387:
	s_or_b64 exec, exec, s[34:35]
.LBB767_388:
	s_or_b64 exec, exec, s[46:47]
	v_mov_b32_e32 v72, v75
	s_and_saveexec_b64 s[46:47], s[72:73]
	s_cbranch_execz .LBB767_392
; %bb.389:
	global_load_ubyte v5, v[2:3], off offset:32
	v_mov_b32_e32 v4, 0
	v_mov_b32_e32 v72, v75
	s_waitcnt vmcnt(0)
	v_and_b32_e32 v5, 1, v5
	v_cmp_eq_u32_e64 s[4:5], 1, v5
	s_xor_b64 s[4:5], s[4:5], -1
	s_and_saveexec_b64 s[34:35], s[4:5]
	s_cbranch_execz .LBB767_391
; %bb.390:
	v_sub_f32_e32 v4, v71, v78
	s_mov_b32 s4, 0x3fb8aa3b
	v_mul_f32_e32 v5, 0x3fb8aa3b, v4
	v_fma_f32 v6, v4, s4, -v5
	v_rndne_f32_e32 v71, v5
	v_fmac_f32_e32 v6, 0x32a5705f, v4
	v_sub_f32_e32 v5, v5, v71
	v_add_f32_e32 v5, v5, v6
	v_exp_f32_e32 v5, v5
	v_cvt_i32_f32_e32 v6, v71
	s_mov_b32 s4, 0xc2ce8ed0
	v_cmp_ngt_f32_e64 s[4:5], s4, v4
	v_ldexp_f32 v5, v5, v6
	v_cndmask_b32_e64 v5, 0, v5, s[4:5]
	s_mov_b32 s4, 0x42b17218
	v_mov_b32_e32 v6, 0x7f800000
	v_cmp_nlt_f32_e64 s[4:5], s4, v4
	v_cndmask_b32_e64 v4, v6, v5, s[4:5]
	v_add_f32_e32 v72, v75, v4
.LBB767_391:
	s_or_b64 exec, exec, s[34:35]
.LBB767_392:
	s_or_b64 exec, exec, s[46:47]
	v_mov_b32_e32 v5, 0
	v_mov_b32_e32 v71, 0
	s_and_saveexec_b64 s[46:47], s[70:71]
	s_cbranch_execz .LBB767_396
; %bb.393:
	global_load_ubyte v6, v[2:3], off offset:64
	v_mov_b32_e32 v71, 0
	s_waitcnt vmcnt(0)
	v_and_b32_e32 v6, 1, v6
	v_cmp_eq_u32_e64 s[4:5], 1, v6
	s_xor_b64 s[4:5], s[4:5], -1
	s_and_saveexec_b64 s[34:35], s[4:5]
	s_cbranch_execz .LBB767_395
; %bb.394:
	v_sub_f32_e32 v6, v70, v78
	s_mov_b32 s4, 0x3fb8aa3b
	v_mul_f32_e32 v70, 0x3fb8aa3b, v6
	v_fma_f32 v71, v6, s4, -v70
	v_rndne_f32_e32 v79, v70
	v_fmac_f32_e32 v71, 0x32a5705f, v6
	v_sub_f32_e32 v70, v70, v79
	v_add_f32_e32 v70, v70, v71
	v_exp_f32_e32 v70, v70
	v_cvt_i32_f32_e32 v71, v79
	s_mov_b32 s4, 0xc2ce8ed0
	v_cmp_ngt_f32_e64 s[4:5], s4, v6
	v_ldexp_f32 v70, v70, v71
	v_cndmask_b32_e64 v70, 0, v70, s[4:5]
	s_mov_b32 s4, 0x42b17218
	v_mov_b32_e32 v71, 0x7f800000
	v_cmp_nlt_f32_e64 s[4:5], s4, v6
	v_cndmask_b32_e64 v71, v71, v70, s[4:5]
	v_add_f32_e32 v72, v72, v71
.LBB767_395:
	s_or_b64 exec, exec, s[34:35]
.LBB767_396:
	s_or_b64 exec, exec, s[46:47]
	s_and_saveexec_b64 s[46:47], s[68:69]
	s_cbranch_execz .LBB767_400
; %bb.397:
	global_load_ubyte v5, v[2:3], off offset:96
	s_waitcnt vmcnt(0)
	v_and_b32_e32 v5, 1, v5
	v_cmp_eq_u32_e64 s[4:5], 1, v5
	s_xor_b64 s[4:5], s[4:5], -1
	v_mov_b32_e32 v5, 0
	s_and_saveexec_b64 s[34:35], s[4:5]
	s_cbranch_execz .LBB767_399
; %bb.398:
	v_sub_f32_e32 v5, v69, v78
	s_mov_b32 s4, 0x3fb8aa3b
	v_mul_f32_e32 v6, 0x3fb8aa3b, v5
	v_fma_f32 v69, v5, s4, -v6
	v_rndne_f32_e32 v70, v6
	v_fmac_f32_e32 v69, 0x32a5705f, v5
	v_sub_f32_e32 v6, v6, v70
	v_add_f32_e32 v6, v6, v69
	v_exp_f32_e32 v6, v6
	v_cvt_i32_f32_e32 v69, v70
	s_mov_b32 s4, 0xc2ce8ed0
	v_cmp_ngt_f32_e64 s[4:5], s4, v5
	v_ldexp_f32 v6, v6, v69
	v_cndmask_b32_e64 v6, 0, v6, s[4:5]
	s_mov_b32 s4, 0x42b17218
	v_mov_b32_e32 v69, 0x7f800000
	v_cmp_nlt_f32_e64 s[4:5], s4, v5
	v_cndmask_b32_e64 v5, v69, v6, s[4:5]
	v_add_f32_e32 v72, v72, v5
.LBB767_399:
	s_or_b64 exec, exec, s[34:35]
.LBB767_400:
	s_or_b64 exec, exec, s[46:47]
	v_mov_b32_e32 v6, 0
	v_mov_b32_e32 v69, 0
	s_and_saveexec_b64 s[46:47], s[66:67]
	s_cbranch_execz .LBB767_404
; %bb.401:
	global_load_ubyte v69, v[2:3], off offset:128
	s_waitcnt vmcnt(0)
	v_and_b32_e32 v69, 1, v69
	v_cmp_eq_u32_e64 s[4:5], 1, v69
	s_xor_b64 s[4:5], s[4:5], -1
	v_mov_b32_e32 v69, 0
	s_and_saveexec_b64 s[34:35], s[4:5]
	s_cbranch_execz .LBB767_403
; %bb.402:
	v_sub_f32_e32 v68, v68, v78
	s_mov_b32 s4, 0x3fb8aa3b
	v_mul_f32_e32 v69, 0x3fb8aa3b, v68
	v_fma_f32 v70, v68, s4, -v69
	v_rndne_f32_e32 v79, v69
	v_fmac_f32_e32 v70, 0x32a5705f, v68
	v_sub_f32_e32 v69, v69, v79
	v_add_f32_e32 v69, v69, v70
	v_exp_f32_e32 v69, v69
	v_cvt_i32_f32_e32 v70, v79
	s_mov_b32 s4, 0xc2ce8ed0
	v_cmp_ngt_f32_e64 s[4:5], s4, v68
	v_ldexp_f32 v69, v69, v70
	v_cndmask_b32_e64 v69, 0, v69, s[4:5]
	s_mov_b32 s4, 0x42b17218
	v_mov_b32_e32 v70, 0x7f800000
	v_cmp_nlt_f32_e64 s[4:5], s4, v68
	v_cndmask_b32_e64 v69, v70, v69, s[4:5]
	v_add_f32_e32 v72, v72, v69
.LBB767_403:
	s_or_b64 exec, exec, s[34:35]
.LBB767_404:
	s_or_b64 exec, exec, s[46:47]
	s_and_saveexec_b64 s[46:47], s[64:65]
	s_cbranch_execz .LBB767_408
; %bb.405:
	global_load_ubyte v6, v[2:3], off offset:160
	s_waitcnt vmcnt(0)
	v_and_b32_e32 v6, 1, v6
	v_cmp_eq_u32_e64 s[4:5], 1, v6
	s_xor_b64 s[4:5], s[4:5], -1
	v_mov_b32_e32 v6, 0
	s_and_saveexec_b64 s[34:35], s[4:5]
	s_cbranch_execz .LBB767_407
; %bb.406:
	v_sub_f32_e32 v6, v67, v78
	s_mov_b32 s4, 0x3fb8aa3b
	v_mul_f32_e32 v67, 0x3fb8aa3b, v6
	v_fma_f32 v68, v6, s4, -v67
	v_rndne_f32_e32 v70, v67
	v_fmac_f32_e32 v68, 0x32a5705f, v6
	v_sub_f32_e32 v67, v67, v70
	v_add_f32_e32 v67, v67, v68
	v_exp_f32_e32 v67, v67
	v_cvt_i32_f32_e32 v68, v70
	s_mov_b32 s4, 0xc2ce8ed0
	v_cmp_ngt_f32_e64 s[4:5], s4, v6
	v_ldexp_f32 v67, v67, v68
	v_cndmask_b32_e64 v67, 0, v67, s[4:5]
	s_mov_b32 s4, 0x42b17218
	v_mov_b32_e32 v68, 0x7f800000
	v_cmp_nlt_f32_e64 s[4:5], s4, v6
	v_cndmask_b32_e64 v6, v68, v67, s[4:5]
	v_add_f32_e32 v72, v72, v6
.LBB767_407:
	s_or_b64 exec, exec, s[34:35]
.LBB767_408:
	s_or_b64 exec, exec, s[46:47]
	v_mov_b32_e32 v67, 0
	v_mov_b32_e32 v68, 0
	s_and_saveexec_b64 s[46:47], s[62:63]
	s_cbranch_execz .LBB767_412
; %bb.409:
	global_load_ubyte v68, v[2:3], off offset:192
	s_waitcnt vmcnt(0)
	v_and_b32_e32 v68, 1, v68
	v_cmp_eq_u32_e64 s[4:5], 1, v68
	s_xor_b64 s[4:5], s[4:5], -1
	v_mov_b32_e32 v68, 0
	s_and_saveexec_b64 s[34:35], s[4:5]
	s_cbranch_execz .LBB767_411
; %bb.410:
	v_sub_f32_e32 v66, v66, v78
	s_mov_b32 s4, 0x3fb8aa3b
	v_mul_f32_e32 v68, 0x3fb8aa3b, v66
	v_fma_f32 v70, v66, s4, -v68
	v_rndne_f32_e32 v79, v68
	v_fmac_f32_e32 v70, 0x32a5705f, v66
	v_sub_f32_e32 v68, v68, v79
	v_add_f32_e32 v68, v68, v70
	v_exp_f32_e32 v68, v68
	v_cvt_i32_f32_e32 v70, v79
	s_mov_b32 s4, 0xc2ce8ed0
	v_cmp_ngt_f32_e64 s[4:5], s4, v66
	v_ldexp_f32 v68, v68, v70
	v_cndmask_b32_e64 v68, 0, v68, s[4:5]
	s_mov_b32 s4, 0x42b17218
	v_mov_b32_e32 v70, 0x7f800000
	v_cmp_nlt_f32_e64 s[4:5], s4, v66
	v_cndmask_b32_e64 v68, v70, v68, s[4:5]
	v_add_f32_e32 v72, v72, v68
.LBB767_411:
	s_or_b64 exec, exec, s[34:35]
.LBB767_412:
	s_or_b64 exec, exec, s[46:47]
	s_and_saveexec_b64 s[46:47], s[60:61]
	s_cbranch_execz .LBB767_416
; %bb.413:
	global_load_ubyte v66, v[2:3], off offset:224
	v_mov_b32_e32 v67, 0
	s_waitcnt vmcnt(0)
	v_and_b32_e32 v66, 1, v66
	v_cmp_eq_u32_e64 s[4:5], 1, v66
	s_xor_b64 s[4:5], s[4:5], -1
	s_and_saveexec_b64 s[34:35], s[4:5]
	s_cbranch_execz .LBB767_415
; %bb.414:
	v_sub_f32_e32 v65, v65, v78
	s_mov_b32 s4, 0x3fb8aa3b
	v_mul_f32_e32 v66, 0x3fb8aa3b, v65
	v_fma_f32 v67, v65, s4, -v66
	v_rndne_f32_e32 v70, v66
	v_fmac_f32_e32 v67, 0x32a5705f, v65
	v_sub_f32_e32 v66, v66, v70
	v_add_f32_e32 v66, v66, v67
	v_exp_f32_e32 v66, v66
	v_cvt_i32_f32_e32 v67, v70
	s_mov_b32 s4, 0xc2ce8ed0
	v_cmp_ngt_f32_e64 s[4:5], s4, v65
	v_ldexp_f32 v66, v66, v67
	v_cndmask_b32_e64 v66, 0, v66, s[4:5]
	s_mov_b32 s4, 0x42b17218
	v_mov_b32_e32 v67, 0x7f800000
	v_cmp_nlt_f32_e64 s[4:5], s4, v65
	v_cndmask_b32_e64 v67, v67, v66, s[4:5]
	v_add_f32_e32 v72, v72, v67
.LBB767_415:
	s_or_b64 exec, exec, s[34:35]
.LBB767_416:
	s_or_b64 exec, exec, s[46:47]
	v_mov_b32_e32 v65, 0
	v_mov_b32_e32 v66, 0
	s_and_saveexec_b64 s[46:47], s[58:59]
	s_cbranch_execz .LBB767_420
; %bb.417:
	global_load_ubyte v66, v[2:3], off offset:256
	s_waitcnt vmcnt(0)
	v_and_b32_e32 v66, 1, v66
	v_cmp_eq_u32_e64 s[4:5], 1, v66
	s_xor_b64 s[4:5], s[4:5], -1
	v_mov_b32_e32 v66, 0
	s_and_saveexec_b64 s[34:35], s[4:5]
	s_cbranch_execz .LBB767_419
; %bb.418:
	v_sub_f32_e32 v64, v64, v78
	s_mov_b32 s4, 0x3fb8aa3b
	v_mul_f32_e32 v66, 0x3fb8aa3b, v64
	v_fma_f32 v70, v64, s4, -v66
	v_rndne_f32_e32 v79, v66
	v_fmac_f32_e32 v70, 0x32a5705f, v64
	v_sub_f32_e32 v66, v66, v79
	v_add_f32_e32 v66, v66, v70
	v_exp_f32_e32 v66, v66
	v_cvt_i32_f32_e32 v70, v79
	s_mov_b32 s4, 0xc2ce8ed0
	v_cmp_ngt_f32_e64 s[4:5], s4, v64
	v_ldexp_f32 v66, v66, v70
	v_cndmask_b32_e64 v66, 0, v66, s[4:5]
	s_mov_b32 s4, 0x42b17218
	v_mov_b32_e32 v70, 0x7f800000
	v_cmp_nlt_f32_e64 s[4:5], s4, v64
	v_cndmask_b32_e64 v66, v70, v66, s[4:5]
	v_add_f32_e32 v72, v72, v66
.LBB767_419:
	s_or_b64 exec, exec, s[34:35]
.LBB767_420:
	s_or_b64 exec, exec, s[46:47]
	s_and_saveexec_b64 s[46:47], s[56:57]
	s_cbranch_execz .LBB767_424
; %bb.421:
	global_load_ubyte v64, v[2:3], off offset:288
	v_mov_b32_e32 v65, 0
	s_waitcnt vmcnt(0)
	v_and_b32_e32 v64, 1, v64
	v_cmp_eq_u32_e64 s[4:5], 1, v64
	s_xor_b64 s[4:5], s[4:5], -1
	s_and_saveexec_b64 s[34:35], s[4:5]
	s_cbranch_execz .LBB767_423
; %bb.422:
	v_sub_f32_e32 v63, v63, v78
	s_mov_b32 s4, 0x3fb8aa3b
	v_mul_f32_e32 v64, 0x3fb8aa3b, v63
	v_fma_f32 v65, v63, s4, -v64
	v_rndne_f32_e32 v70, v64
	v_fmac_f32_e32 v65, 0x32a5705f, v63
	v_sub_f32_e32 v64, v64, v70
	v_add_f32_e32 v64, v64, v65
	v_exp_f32_e32 v64, v64
	v_cvt_i32_f32_e32 v65, v70
	s_mov_b32 s4, 0xc2ce8ed0
	v_cmp_ngt_f32_e64 s[4:5], s4, v63
	v_ldexp_f32 v64, v64, v65
	v_cndmask_b32_e64 v64, 0, v64, s[4:5]
	s_mov_b32 s4, 0x42b17218
	v_mov_b32_e32 v65, 0x7f800000
	v_cmp_nlt_f32_e64 s[4:5], s4, v63
	v_cndmask_b32_e64 v65, v65, v64, s[4:5]
	v_add_f32_e32 v72, v72, v65
.LBB767_423:
	s_or_b64 exec, exec, s[34:35]
.LBB767_424:
	s_or_b64 exec, exec, s[46:47]
	v_mov_b32_e32 v63, 0
	v_mov_b32_e32 v64, 0
	s_and_saveexec_b64 s[46:47], s[54:55]
	s_cbranch_execz .LBB767_428
; %bb.425:
	global_load_ubyte v64, v[2:3], off offset:320
	s_waitcnt vmcnt(0)
	v_and_b32_e32 v64, 1, v64
	v_cmp_eq_u32_e64 s[4:5], 1, v64
	s_xor_b64 s[4:5], s[4:5], -1
	v_mov_b32_e32 v64, 0
	s_and_saveexec_b64 s[34:35], s[4:5]
	s_cbranch_execz .LBB767_427
; %bb.426:
	v_sub_f32_e32 v62, v62, v78
	s_mov_b32 s4, 0x3fb8aa3b
	v_mul_f32_e32 v64, 0x3fb8aa3b, v62
	v_fma_f32 v70, v62, s4, -v64
	v_rndne_f32_e32 v79, v64
	v_fmac_f32_e32 v70, 0x32a5705f, v62
	v_sub_f32_e32 v64, v64, v79
	v_add_f32_e32 v64, v64, v70
	v_exp_f32_e32 v64, v64
	v_cvt_i32_f32_e32 v70, v79
	s_mov_b32 s4, 0xc2ce8ed0
	v_cmp_ngt_f32_e64 s[4:5], s4, v62
	v_ldexp_f32 v64, v64, v70
	v_cndmask_b32_e64 v64, 0, v64, s[4:5]
	s_mov_b32 s4, 0x42b17218
	v_mov_b32_e32 v70, 0x7f800000
	v_cmp_nlt_f32_e64 s[4:5], s4, v62
	v_cndmask_b32_e64 v64, v70, v64, s[4:5]
	v_add_f32_e32 v72, v72, v64
.LBB767_427:
	s_or_b64 exec, exec, s[34:35]
.LBB767_428:
	s_or_b64 exec, exec, s[46:47]
	s_and_saveexec_b64 s[46:47], s[52:53]
	s_cbranch_execz .LBB767_432
; %bb.429:
	global_load_ubyte v62, v[2:3], off offset:352
	v_mov_b32_e32 v63, 0
	s_waitcnt vmcnt(0)
	v_and_b32_e32 v62, 1, v62
	v_cmp_eq_u32_e64 s[4:5], 1, v62
	s_xor_b64 s[4:5], s[4:5], -1
	s_and_saveexec_b64 s[34:35], s[4:5]
	s_cbranch_execz .LBB767_431
; %bb.430:
	v_sub_f32_e32 v61, v61, v78
	s_mov_b32 s4, 0x3fb8aa3b
	v_mul_f32_e32 v62, 0x3fb8aa3b, v61
	v_fma_f32 v63, v61, s4, -v62
	v_rndne_f32_e32 v70, v62
	v_fmac_f32_e32 v63, 0x32a5705f, v61
	v_sub_f32_e32 v62, v62, v70
	v_add_f32_e32 v62, v62, v63
	v_exp_f32_e32 v62, v62
	v_cvt_i32_f32_e32 v63, v70
	s_mov_b32 s4, 0xc2ce8ed0
	v_cmp_ngt_f32_e64 s[4:5], s4, v61
	v_ldexp_f32 v62, v62, v63
	v_cndmask_b32_e64 v62, 0, v62, s[4:5]
	s_mov_b32 s4, 0x42b17218
	v_mov_b32_e32 v63, 0x7f800000
	v_cmp_nlt_f32_e64 s[4:5], s4, v61
	v_cndmask_b32_e64 v63, v63, v62, s[4:5]
	v_add_f32_e32 v72, v72, v63
.LBB767_431:
	s_or_b64 exec, exec, s[34:35]
.LBB767_432:
	s_or_b64 exec, exec, s[46:47]
	v_mov_b32_e32 v61, 0
	v_mov_b32_e32 v62, 0
	s_and_saveexec_b64 s[46:47], s[50:51]
	s_cbranch_execz .LBB767_436
; %bb.433:
	global_load_ubyte v62, v[2:3], off offset:384
	s_waitcnt vmcnt(0)
	v_and_b32_e32 v62, 1, v62
	v_cmp_eq_u32_e64 s[4:5], 1, v62
	s_xor_b64 s[4:5], s[4:5], -1
	v_mov_b32_e32 v62, 0
	s_and_saveexec_b64 s[34:35], s[4:5]
	s_cbranch_execz .LBB767_435
; %bb.434:
	v_sub_f32_e32 v60, v60, v78
	s_mov_b32 s4, 0x3fb8aa3b
	v_mul_f32_e32 v62, 0x3fb8aa3b, v60
	v_fma_f32 v70, v60, s4, -v62
	v_rndne_f32_e32 v79, v62
	v_fmac_f32_e32 v70, 0x32a5705f, v60
	v_sub_f32_e32 v62, v62, v79
	v_add_f32_e32 v62, v62, v70
	v_exp_f32_e32 v62, v62
	v_cvt_i32_f32_e32 v70, v79
	s_mov_b32 s4, 0xc2ce8ed0
	v_cmp_ngt_f32_e64 s[4:5], s4, v60
	v_ldexp_f32 v62, v62, v70
	v_cndmask_b32_e64 v62, 0, v62, s[4:5]
	s_mov_b32 s4, 0x42b17218
	v_mov_b32_e32 v70, 0x7f800000
	v_cmp_nlt_f32_e64 s[4:5], s4, v60
	v_cndmask_b32_e64 v62, v70, v62, s[4:5]
	v_add_f32_e32 v72, v72, v62
.LBB767_435:
	s_or_b64 exec, exec, s[34:35]
.LBB767_436:
	s_or_b64 exec, exec, s[46:47]
	s_and_saveexec_b64 s[46:47], s[40:41]
	s_cbranch_execz .LBB767_440
; %bb.437:
	global_load_ubyte v60, v[2:3], off offset:416
	v_mov_b32_e32 v61, 0
	s_waitcnt vmcnt(0)
	v_and_b32_e32 v60, 1, v60
	v_cmp_eq_u32_e64 s[4:5], 1, v60
	s_xor_b64 s[4:5], s[4:5], -1
	s_and_saveexec_b64 s[34:35], s[4:5]
	s_cbranch_execz .LBB767_439
; %bb.438:
	v_sub_f32_e32 v59, v59, v78
	s_mov_b32 s4, 0x3fb8aa3b
	v_mul_f32_e32 v60, 0x3fb8aa3b, v59
	v_fma_f32 v61, v59, s4, -v60
	v_rndne_f32_e32 v70, v60
	v_fmac_f32_e32 v61, 0x32a5705f, v59
	v_sub_f32_e32 v60, v60, v70
	v_add_f32_e32 v60, v60, v61
	v_exp_f32_e32 v60, v60
	v_cvt_i32_f32_e32 v61, v70
	s_mov_b32 s4, 0xc2ce8ed0
	v_cmp_ngt_f32_e64 s[4:5], s4, v59
	v_ldexp_f32 v60, v60, v61
	v_cndmask_b32_e64 v60, 0, v60, s[4:5]
	s_mov_b32 s4, 0x42b17218
	v_mov_b32_e32 v61, 0x7f800000
	v_cmp_nlt_f32_e64 s[4:5], s4, v59
	v_cndmask_b32_e64 v61, v61, v60, s[4:5]
	v_add_f32_e32 v72, v72, v61
.LBB767_439:
	s_or_b64 exec, exec, s[34:35]
.LBB767_440:
	s_or_b64 exec, exec, s[46:47]
	v_mov_b32_e32 v59, 0
	v_mov_b32_e32 v60, 0
	s_and_saveexec_b64 s[40:41], s[48:49]
	s_cbranch_execz .LBB767_444
; %bb.441:
	global_load_ubyte v60, v[2:3], off offset:448
	s_waitcnt vmcnt(0)
	v_and_b32_e32 v60, 1, v60
	v_cmp_eq_u32_e64 s[4:5], 1, v60
	s_xor_b64 s[4:5], s[4:5], -1
	v_mov_b32_e32 v60, 0
	s_and_saveexec_b64 s[34:35], s[4:5]
	s_cbranch_execz .LBB767_443
; %bb.442:
	v_sub_f32_e32 v58, v58, v78
	s_mov_b32 s4, 0x3fb8aa3b
	v_mul_f32_e32 v60, 0x3fb8aa3b, v58
	v_fma_f32 v70, v58, s4, -v60
	v_rndne_f32_e32 v79, v60
	v_fmac_f32_e32 v70, 0x32a5705f, v58
	v_sub_f32_e32 v60, v60, v79
	v_add_f32_e32 v60, v60, v70
	v_exp_f32_e32 v60, v60
	v_cvt_i32_f32_e32 v70, v79
	s_mov_b32 s4, 0xc2ce8ed0
	v_cmp_ngt_f32_e64 s[4:5], s4, v58
	v_ldexp_f32 v60, v60, v70
	v_cndmask_b32_e64 v60, 0, v60, s[4:5]
	s_mov_b32 s4, 0x42b17218
	v_mov_b32_e32 v70, 0x7f800000
	v_cmp_nlt_f32_e64 s[4:5], s4, v58
	v_cndmask_b32_e64 v60, v70, v60, s[4:5]
	v_add_f32_e32 v72, v72, v60
.LBB767_443:
	s_or_b64 exec, exec, s[34:35]
.LBB767_444:
	s_or_b64 exec, exec, s[40:41]
	s_and_saveexec_b64 s[40:41], s[42:43]
	s_cbranch_execz .LBB767_448
; %bb.445:
	global_load_ubyte v58, v[2:3], off offset:480
	v_mov_b32_e32 v59, 0
	s_waitcnt vmcnt(0)
	v_and_b32_e32 v58, 1, v58
	v_cmp_eq_u32_e64 s[4:5], 1, v58
	s_xor_b64 s[4:5], s[4:5], -1
	s_and_saveexec_b64 s[34:35], s[4:5]
	s_cbranch_execz .LBB767_447
; %bb.446:
	v_sub_f32_e32 v57, v57, v78
	s_mov_b32 s4, 0x3fb8aa3b
	v_mul_f32_e32 v58, 0x3fb8aa3b, v57
	v_fma_f32 v59, v57, s4, -v58
	v_rndne_f32_e32 v70, v58
	v_fmac_f32_e32 v59, 0x32a5705f, v57
	v_sub_f32_e32 v58, v58, v70
	v_add_f32_e32 v58, v58, v59
	v_exp_f32_e32 v58, v58
	v_cvt_i32_f32_e32 v59, v70
	s_mov_b32 s4, 0xc2ce8ed0
	v_cmp_ngt_f32_e64 s[4:5], s4, v57
	v_ldexp_f32 v58, v58, v59
	v_cndmask_b32_e64 v58, 0, v58, s[4:5]
	s_mov_b32 s4, 0x42b17218
	v_mov_b32_e32 v59, 0x7f800000
	v_cmp_nlt_f32_e64 s[4:5], s4, v57
	v_cndmask_b32_e64 v59, v59, v58, s[4:5]
	v_add_f32_e32 v72, v72, v59
.LBB767_447:
	s_or_b64 exec, exec, s[34:35]
.LBB767_448:
	s_or_b64 exec, exec, s[40:41]
	v_mov_b32_e32 v57, 0
	v_mov_b32_e32 v58, 0
	s_and_saveexec_b64 s[40:41], s[44:45]
	s_cbranch_execz .LBB767_452
; %bb.449:
	global_load_ubyte v58, v[2:3], off offset:512
	s_waitcnt vmcnt(0)
	v_and_b32_e32 v58, 1, v58
	v_cmp_eq_u32_e64 s[4:5], 1, v58
	s_xor_b64 s[4:5], s[4:5], -1
	v_mov_b32_e32 v58, 0
	s_and_saveexec_b64 s[34:35], s[4:5]
	s_cbranch_execz .LBB767_451
; %bb.450:
	v_sub_f32_e32 v56, v56, v78
	s_mov_b32 s4, 0x3fb8aa3b
	v_mul_f32_e32 v58, 0x3fb8aa3b, v56
	v_fma_f32 v70, v56, s4, -v58
	v_rndne_f32_e32 v79, v58
	v_fmac_f32_e32 v70, 0x32a5705f, v56
	v_sub_f32_e32 v58, v58, v79
	v_add_f32_e32 v58, v58, v70
	v_exp_f32_e32 v58, v58
	v_cvt_i32_f32_e32 v70, v79
	s_mov_b32 s4, 0xc2ce8ed0
	v_cmp_ngt_f32_e64 s[4:5], s4, v56
	v_ldexp_f32 v58, v58, v70
	v_cndmask_b32_e64 v58, 0, v58, s[4:5]
	s_mov_b32 s4, 0x42b17218
	v_mov_b32_e32 v70, 0x7f800000
	v_cmp_nlt_f32_e64 s[4:5], s4, v56
	v_cndmask_b32_e64 v58, v70, v58, s[4:5]
	v_add_f32_e32 v72, v72, v58
.LBB767_451:
	s_or_b64 exec, exec, s[34:35]
.LBB767_452:
	s_or_b64 exec, exec, s[40:41]
	s_and_saveexec_b64 s[40:41], vcc
	s_cbranch_execz .LBB767_456
; %bb.453:
	global_load_ubyte v56, v[2:3], off offset:544
	v_mov_b32_e32 v57, 0
	s_waitcnt vmcnt(0)
	v_and_b32_e32 v56, 1, v56
	v_cmp_eq_u32_e64 s[4:5], 1, v56
	s_xor_b64 s[4:5], s[4:5], -1
	s_and_saveexec_b64 s[34:35], s[4:5]
	s_cbranch_execz .LBB767_455
; %bb.454:
	v_sub_f32_e32 v55, v55, v78
	s_mov_b32 s4, 0x3fb8aa3b
	v_mul_f32_e32 v56, 0x3fb8aa3b, v55
	v_fma_f32 v57, v55, s4, -v56
	v_rndne_f32_e32 v70, v56
	v_fmac_f32_e32 v57, 0x32a5705f, v55
	v_sub_f32_e32 v56, v56, v70
	v_add_f32_e32 v56, v56, v57
	v_exp_f32_e32 v56, v56
	v_cvt_i32_f32_e32 v57, v70
	s_mov_b32 s4, 0xc2ce8ed0
	v_cmp_ngt_f32_e64 s[4:5], s4, v55
	v_ldexp_f32 v56, v56, v57
	v_cndmask_b32_e64 v56, 0, v56, s[4:5]
	s_mov_b32 s4, 0x42b17218
	v_mov_b32_e32 v57, 0x7f800000
	v_cmp_nlt_f32_e64 s[4:5], s4, v55
	v_cndmask_b32_e64 v57, v57, v56, s[4:5]
	v_add_f32_e32 v72, v72, v57
.LBB767_455:
	s_or_b64 exec, exec, s[34:35]
.LBB767_456:
	s_or_b64 exec, exec, s[40:41]
	v_mov_b32_e32 v55, 0
	v_mov_b32_e32 v56, 0
	s_and_saveexec_b64 s[40:41], s[38:39]
	s_cbranch_execz .LBB767_460
; %bb.457:
	global_load_ubyte v56, v[2:3], off offset:576
	s_waitcnt vmcnt(0)
	v_and_b32_e32 v56, 1, v56
	v_cmp_eq_u32_e64 s[4:5], 1, v56
	s_xor_b64 s[4:5], s[4:5], -1
	v_mov_b32_e32 v56, 0
	s_and_saveexec_b64 s[34:35], s[4:5]
	s_cbranch_execz .LBB767_459
; %bb.458:
	v_sub_f32_e32 v54, v54, v78
	s_mov_b32 s4, 0x3fb8aa3b
	v_mul_f32_e32 v56, 0x3fb8aa3b, v54
	v_fma_f32 v70, v54, s4, -v56
	v_rndne_f32_e32 v79, v56
	v_fmac_f32_e32 v70, 0x32a5705f, v54
	v_sub_f32_e32 v56, v56, v79
	v_add_f32_e32 v56, v56, v70
	v_exp_f32_e32 v56, v56
	v_cvt_i32_f32_e32 v70, v79
	s_mov_b32 s4, 0xc2ce8ed0
	v_cmp_ngt_f32_e64 s[4:5], s4, v54
	v_ldexp_f32 v56, v56, v70
	v_cndmask_b32_e64 v56, 0, v56, s[4:5]
	s_mov_b32 s4, 0x42b17218
	v_mov_b32_e32 v70, 0x7f800000
	v_cmp_nlt_f32_e64 s[4:5], s4, v54
	v_cndmask_b32_e64 v56, v70, v56, s[4:5]
	v_add_f32_e32 v72, v72, v56
.LBB767_459:
	s_or_b64 exec, exec, s[34:35]
.LBB767_460:
	s_or_b64 exec, exec, s[40:41]
	s_and_saveexec_b64 s[38:39], s[30:31]
	s_cbranch_execz .LBB767_464
; %bb.461:
	global_load_ubyte v54, v[2:3], off offset:608
	v_mov_b32_e32 v55, 0
	s_waitcnt vmcnt(0)
	v_and_b32_e32 v54, 1, v54
	v_cmp_eq_u32_e64 s[4:5], 1, v54
	s_xor_b64 s[4:5], s[4:5], -1
	s_and_saveexec_b64 s[30:31], s[4:5]
	s_cbranch_execz .LBB767_463
; %bb.462:
	v_sub_f32_e32 v53, v53, v78
	s_mov_b32 s4, 0x3fb8aa3b
	v_mul_f32_e32 v54, 0x3fb8aa3b, v53
	v_fma_f32 v55, v53, s4, -v54
	v_rndne_f32_e32 v70, v54
	v_fmac_f32_e32 v55, 0x32a5705f, v53
	v_sub_f32_e32 v54, v54, v70
	v_add_f32_e32 v54, v54, v55
	v_exp_f32_e32 v54, v54
	v_cvt_i32_f32_e32 v55, v70
	s_mov_b32 s4, 0xc2ce8ed0
	v_cmp_ngt_f32_e64 s[4:5], s4, v53
	v_ldexp_f32 v54, v54, v55
	v_cndmask_b32_e64 v54, 0, v54, s[4:5]
	s_mov_b32 s4, 0x42b17218
	v_mov_b32_e32 v55, 0x7f800000
	v_cmp_nlt_f32_e64 s[4:5], s4, v53
	v_cndmask_b32_e64 v55, v55, v54, s[4:5]
	v_add_f32_e32 v72, v72, v55
.LBB767_463:
	s_or_b64 exec, exec, s[30:31]
.LBB767_464:
	s_or_b64 exec, exec, s[38:39]
	v_mov_b32_e32 v53, 0
	v_mov_b32_e32 v54, 0
	s_and_saveexec_b64 s[30:31], s[28:29]
	s_cbranch_execz .LBB767_468
; %bb.465:
	global_load_ubyte v54, v[2:3], off offset:640
	s_waitcnt vmcnt(0)
	v_and_b32_e32 v54, 1, v54
	v_cmp_eq_u32_e64 s[4:5], 1, v54
	s_xor_b64 s[4:5], s[4:5], -1
	v_mov_b32_e32 v54, 0
	s_and_saveexec_b64 s[28:29], s[4:5]
	s_cbranch_execz .LBB767_467
; %bb.466:
	v_sub_f32_e32 v52, v52, v78
	s_mov_b32 s4, 0x3fb8aa3b
	v_mul_f32_e32 v54, 0x3fb8aa3b, v52
	v_fma_f32 v70, v52, s4, -v54
	v_rndne_f32_e32 v79, v54
	v_fmac_f32_e32 v70, 0x32a5705f, v52
	v_sub_f32_e32 v54, v54, v79
	v_add_f32_e32 v54, v54, v70
	v_exp_f32_e32 v54, v54
	v_cvt_i32_f32_e32 v70, v79
	s_mov_b32 s4, 0xc2ce8ed0
	v_cmp_ngt_f32_e64 s[4:5], s4, v52
	v_ldexp_f32 v54, v54, v70
	v_cndmask_b32_e64 v54, 0, v54, s[4:5]
	s_mov_b32 s4, 0x42b17218
	v_mov_b32_e32 v70, 0x7f800000
	v_cmp_nlt_f32_e64 s[4:5], s4, v52
	v_cndmask_b32_e64 v54, v70, v54, s[4:5]
	v_add_f32_e32 v72, v72, v54
.LBB767_467:
	s_or_b64 exec, exec, s[28:29]
.LBB767_468:
	s_or_b64 exec, exec, s[30:31]
	s_and_saveexec_b64 s[28:29], s[26:27]
	s_cbranch_execz .LBB767_472
; %bb.469:
	global_load_ubyte v52, v[2:3], off offset:672
	v_mov_b32_e32 v53, 0
	s_waitcnt vmcnt(0)
	v_and_b32_e32 v52, 1, v52
	v_cmp_eq_u32_e64 s[4:5], 1, v52
	s_xor_b64 s[4:5], s[4:5], -1
	s_and_saveexec_b64 s[26:27], s[4:5]
	s_cbranch_execz .LBB767_471
; %bb.470:
	v_sub_f32_e32 v51, v51, v78
	s_mov_b32 s4, 0x3fb8aa3b
	v_mul_f32_e32 v52, 0x3fb8aa3b, v51
	v_fma_f32 v53, v51, s4, -v52
	v_rndne_f32_e32 v70, v52
	v_fmac_f32_e32 v53, 0x32a5705f, v51
	v_sub_f32_e32 v52, v52, v70
	v_add_f32_e32 v52, v52, v53
	v_exp_f32_e32 v52, v52
	v_cvt_i32_f32_e32 v53, v70
	s_mov_b32 s4, 0xc2ce8ed0
	v_cmp_ngt_f32_e64 s[4:5], s4, v51
	v_ldexp_f32 v52, v52, v53
	v_cndmask_b32_e64 v52, 0, v52, s[4:5]
	s_mov_b32 s4, 0x42b17218
	v_mov_b32_e32 v53, 0x7f800000
	v_cmp_nlt_f32_e64 s[4:5], s4, v51
	v_cndmask_b32_e64 v53, v53, v52, s[4:5]
	v_add_f32_e32 v72, v72, v53
.LBB767_471:
	s_or_b64 exec, exec, s[26:27]
.LBB767_472:
	s_or_b64 exec, exec, s[28:29]
	v_mov_b32_e32 v51, 0
	v_mov_b32_e32 v52, 0
	s_and_saveexec_b64 s[26:27], s[24:25]
	s_cbranch_execz .LBB767_476
; %bb.473:
	global_load_ubyte v52, v[2:3], off offset:704
	s_waitcnt vmcnt(0)
	v_and_b32_e32 v52, 1, v52
	v_cmp_eq_u32_e64 s[4:5], 1, v52
	s_xor_b64 s[4:5], s[4:5], -1
	v_mov_b32_e32 v52, 0
	s_and_saveexec_b64 s[24:25], s[4:5]
	s_cbranch_execz .LBB767_475
; %bb.474:
	v_sub_f32_e32 v50, v50, v78
	s_mov_b32 s4, 0x3fb8aa3b
	v_mul_f32_e32 v52, 0x3fb8aa3b, v50
	v_fma_f32 v70, v50, s4, -v52
	v_rndne_f32_e32 v79, v52
	v_fmac_f32_e32 v70, 0x32a5705f, v50
	v_sub_f32_e32 v52, v52, v79
	v_add_f32_e32 v52, v52, v70
	v_exp_f32_e32 v52, v52
	v_cvt_i32_f32_e32 v70, v79
	s_mov_b32 s4, 0xc2ce8ed0
	v_cmp_ngt_f32_e64 s[4:5], s4, v50
	v_ldexp_f32 v52, v52, v70
	v_cndmask_b32_e64 v52, 0, v52, s[4:5]
	s_mov_b32 s4, 0x42b17218
	v_mov_b32_e32 v70, 0x7f800000
	v_cmp_nlt_f32_e64 s[4:5], s4, v50
	v_cndmask_b32_e64 v52, v70, v52, s[4:5]
	v_add_f32_e32 v72, v72, v52
.LBB767_475:
	s_or_b64 exec, exec, s[24:25]
.LBB767_476:
	s_or_b64 exec, exec, s[26:27]
	s_and_saveexec_b64 s[24:25], s[22:23]
	s_cbranch_execz .LBB767_480
; %bb.477:
	global_load_ubyte v50, v[2:3], off offset:736
	v_mov_b32_e32 v51, 0
	s_waitcnt vmcnt(0)
	v_and_b32_e32 v50, 1, v50
	v_cmp_eq_u32_e64 s[4:5], 1, v50
	s_xor_b64 s[4:5], s[4:5], -1
	s_and_saveexec_b64 s[22:23], s[4:5]
	s_cbranch_execz .LBB767_479
; %bb.478:
	v_sub_f32_e32 v49, v49, v78
	s_mov_b32 s4, 0x3fb8aa3b
	v_mul_f32_e32 v50, 0x3fb8aa3b, v49
	v_fma_f32 v51, v49, s4, -v50
	v_rndne_f32_e32 v70, v50
	v_fmac_f32_e32 v51, 0x32a5705f, v49
	v_sub_f32_e32 v50, v50, v70
	v_add_f32_e32 v50, v50, v51
	v_exp_f32_e32 v50, v50
	v_cvt_i32_f32_e32 v51, v70
	s_mov_b32 s4, 0xc2ce8ed0
	v_cmp_ngt_f32_e64 s[4:5], s4, v49
	v_ldexp_f32 v50, v50, v51
	v_cndmask_b32_e64 v50, 0, v50, s[4:5]
	s_mov_b32 s4, 0x42b17218
	v_mov_b32_e32 v51, 0x7f800000
	v_cmp_nlt_f32_e64 s[4:5], s4, v49
	v_cndmask_b32_e64 v51, v51, v50, s[4:5]
	v_add_f32_e32 v72, v72, v51
.LBB767_479:
	s_or_b64 exec, exec, s[22:23]
.LBB767_480:
	s_or_b64 exec, exec, s[24:25]
	v_mov_b32_e32 v49, 0
	v_mov_b32_e32 v50, 0
	s_and_saveexec_b64 s[22:23], s[20:21]
	s_cbranch_execz .LBB767_484
; %bb.481:
	global_load_ubyte v50, v[2:3], off offset:768
	s_waitcnt vmcnt(0)
	v_and_b32_e32 v50, 1, v50
	v_cmp_eq_u32_e64 s[4:5], 1, v50
	s_xor_b64 s[4:5], s[4:5], -1
	v_mov_b32_e32 v50, 0
	s_and_saveexec_b64 s[20:21], s[4:5]
	s_cbranch_execz .LBB767_483
; %bb.482:
	v_sub_f32_e32 v48, v48, v78
	s_mov_b32 s4, 0x3fb8aa3b
	v_mul_f32_e32 v50, 0x3fb8aa3b, v48
	v_fma_f32 v70, v48, s4, -v50
	v_rndne_f32_e32 v79, v50
	v_fmac_f32_e32 v70, 0x32a5705f, v48
	v_sub_f32_e32 v50, v50, v79
	v_add_f32_e32 v50, v50, v70
	v_exp_f32_e32 v50, v50
	v_cvt_i32_f32_e32 v70, v79
	s_mov_b32 s4, 0xc2ce8ed0
	v_cmp_ngt_f32_e64 s[4:5], s4, v48
	v_ldexp_f32 v50, v50, v70
	v_cndmask_b32_e64 v50, 0, v50, s[4:5]
	s_mov_b32 s4, 0x42b17218
	v_mov_b32_e32 v70, 0x7f800000
	v_cmp_nlt_f32_e64 s[4:5], s4, v48
	v_cndmask_b32_e64 v50, v70, v50, s[4:5]
	v_add_f32_e32 v72, v72, v50
.LBB767_483:
	s_or_b64 exec, exec, s[20:21]
.LBB767_484:
	s_or_b64 exec, exec, s[22:23]
	s_and_saveexec_b64 s[20:21], s[18:19]
	s_cbranch_execz .LBB767_488
; %bb.485:
	global_load_ubyte v48, v[2:3], off offset:800
	v_mov_b32_e32 v49, 0
	s_waitcnt vmcnt(0)
	v_and_b32_e32 v48, 1, v48
	v_cmp_eq_u32_e64 s[4:5], 1, v48
	s_xor_b64 s[4:5], s[4:5], -1
	s_and_saveexec_b64 s[18:19], s[4:5]
	s_cbranch_execz .LBB767_487
; %bb.486:
	v_sub_f32_e32 v47, v47, v78
	s_mov_b32 s4, 0x3fb8aa3b
	v_mul_f32_e32 v48, 0x3fb8aa3b, v47
	v_fma_f32 v49, v47, s4, -v48
	v_rndne_f32_e32 v70, v48
	v_fmac_f32_e32 v49, 0x32a5705f, v47
	v_sub_f32_e32 v48, v48, v70
	v_add_f32_e32 v48, v48, v49
	v_exp_f32_e32 v48, v48
	v_cvt_i32_f32_e32 v49, v70
	s_mov_b32 s4, 0xc2ce8ed0
	v_cmp_ngt_f32_e64 s[4:5], s4, v47
	v_ldexp_f32 v48, v48, v49
	v_cndmask_b32_e64 v48, 0, v48, s[4:5]
	s_mov_b32 s4, 0x42b17218
	v_mov_b32_e32 v49, 0x7f800000
	v_cmp_nlt_f32_e64 s[4:5], s4, v47
	v_cndmask_b32_e64 v49, v49, v48, s[4:5]
	v_add_f32_e32 v72, v72, v49
.LBB767_487:
	s_or_b64 exec, exec, s[18:19]
.LBB767_488:
	s_or_b64 exec, exec, s[20:21]
	v_mov_b32_e32 v47, 0
	v_mov_b32_e32 v48, 0
	s_and_saveexec_b64 s[18:19], s[16:17]
	s_cbranch_execz .LBB767_492
; %bb.489:
	global_load_ubyte v48, v[2:3], off offset:832
	s_waitcnt vmcnt(0)
	v_and_b32_e32 v48, 1, v48
	v_cmp_eq_u32_e64 s[4:5], 1, v48
	s_xor_b64 s[4:5], s[4:5], -1
	v_mov_b32_e32 v48, 0
	s_and_saveexec_b64 s[16:17], s[4:5]
	s_cbranch_execz .LBB767_491
; %bb.490:
	v_sub_f32_e32 v46, v46, v78
	s_mov_b32 s4, 0x3fb8aa3b
	v_mul_f32_e32 v48, 0x3fb8aa3b, v46
	v_fma_f32 v70, v46, s4, -v48
	v_rndne_f32_e32 v79, v48
	v_fmac_f32_e32 v70, 0x32a5705f, v46
	v_sub_f32_e32 v48, v48, v79
	v_add_f32_e32 v48, v48, v70
	v_exp_f32_e32 v48, v48
	v_cvt_i32_f32_e32 v70, v79
	s_mov_b32 s4, 0xc2ce8ed0
	v_cmp_ngt_f32_e64 s[4:5], s4, v46
	v_ldexp_f32 v48, v48, v70
	v_cndmask_b32_e64 v48, 0, v48, s[4:5]
	s_mov_b32 s4, 0x42b17218
	v_mov_b32_e32 v70, 0x7f800000
	v_cmp_nlt_f32_e64 s[4:5], s4, v46
	v_cndmask_b32_e64 v48, v70, v48, s[4:5]
	v_add_f32_e32 v72, v72, v48
.LBB767_491:
	s_or_b64 exec, exec, s[16:17]
.LBB767_492:
	s_or_b64 exec, exec, s[18:19]
	s_and_saveexec_b64 s[16:17], s[14:15]
	s_cbranch_execz .LBB767_496
; %bb.493:
	global_load_ubyte v46, v[2:3], off offset:864
	v_mov_b32_e32 v47, 0
	s_waitcnt vmcnt(0)
	v_and_b32_e32 v46, 1, v46
	v_cmp_eq_u32_e64 s[4:5], 1, v46
	s_xor_b64 s[4:5], s[4:5], -1
	s_and_saveexec_b64 s[14:15], s[4:5]
	s_cbranch_execz .LBB767_495
; %bb.494:
	v_sub_f32_e32 v45, v45, v78
	s_mov_b32 s4, 0x3fb8aa3b
	v_mul_f32_e32 v46, 0x3fb8aa3b, v45
	v_fma_f32 v47, v45, s4, -v46
	v_rndne_f32_e32 v70, v46
	v_fmac_f32_e32 v47, 0x32a5705f, v45
	v_sub_f32_e32 v46, v46, v70
	v_add_f32_e32 v46, v46, v47
	v_exp_f32_e32 v46, v46
	v_cvt_i32_f32_e32 v47, v70
	s_mov_b32 s4, 0xc2ce8ed0
	v_cmp_ngt_f32_e64 s[4:5], s4, v45
	v_ldexp_f32 v46, v46, v47
	v_cndmask_b32_e64 v46, 0, v46, s[4:5]
	s_mov_b32 s4, 0x42b17218
	v_mov_b32_e32 v47, 0x7f800000
	v_cmp_nlt_f32_e64 s[4:5], s4, v45
	v_cndmask_b32_e64 v47, v47, v46, s[4:5]
	v_add_f32_e32 v72, v72, v47
.LBB767_495:
	s_or_b64 exec, exec, s[14:15]
.LBB767_496:
	s_or_b64 exec, exec, s[16:17]
	v_mov_b32_e32 v45, 0
	v_mov_b32_e32 v46, 0
	s_and_saveexec_b64 s[14:15], s[12:13]
	s_cbranch_execz .LBB767_500
; %bb.497:
	global_load_ubyte v46, v[2:3], off offset:896
	s_waitcnt vmcnt(0)
	v_and_b32_e32 v46, 1, v46
	v_cmp_eq_u32_e64 s[4:5], 1, v46
	s_xor_b64 s[4:5], s[4:5], -1
	v_mov_b32_e32 v46, 0
	s_and_saveexec_b64 s[12:13], s[4:5]
	s_cbranch_execz .LBB767_499
; %bb.498:
	v_sub_f32_e32 v44, v44, v78
	s_mov_b32 s4, 0x3fb8aa3b
	v_mul_f32_e32 v46, 0x3fb8aa3b, v44
	v_fma_f32 v70, v44, s4, -v46
	v_rndne_f32_e32 v79, v46
	v_fmac_f32_e32 v70, 0x32a5705f, v44
	v_sub_f32_e32 v46, v46, v79
	v_add_f32_e32 v46, v46, v70
	v_exp_f32_e32 v46, v46
	v_cvt_i32_f32_e32 v70, v79
	s_mov_b32 s4, 0xc2ce8ed0
	v_cmp_ngt_f32_e64 s[4:5], s4, v44
	v_ldexp_f32 v46, v46, v70
	v_cndmask_b32_e64 v46, 0, v46, s[4:5]
	s_mov_b32 s4, 0x42b17218
	v_mov_b32_e32 v70, 0x7f800000
	v_cmp_nlt_f32_e64 s[4:5], s4, v44
	v_cndmask_b32_e64 v46, v70, v46, s[4:5]
	v_add_f32_e32 v72, v72, v46
.LBB767_499:
	s_or_b64 exec, exec, s[12:13]
.LBB767_500:
	s_or_b64 exec, exec, s[14:15]
	s_and_saveexec_b64 s[12:13], s[10:11]
	s_cbranch_execz .LBB767_504
; %bb.501:
	global_load_ubyte v44, v[2:3], off offset:928
	v_mov_b32_e32 v45, 0
	s_waitcnt vmcnt(0)
	v_and_b32_e32 v44, 1, v44
	v_cmp_eq_u32_e64 s[4:5], 1, v44
	s_xor_b64 s[4:5], s[4:5], -1
	s_and_saveexec_b64 s[10:11], s[4:5]
	s_cbranch_execz .LBB767_503
; %bb.502:
	v_sub_f32_e32 v43, v43, v78
	s_mov_b32 s4, 0x3fb8aa3b
	v_mul_f32_e32 v44, 0x3fb8aa3b, v43
	v_fma_f32 v45, v43, s4, -v44
	v_rndne_f32_e32 v70, v44
	v_fmac_f32_e32 v45, 0x32a5705f, v43
	v_sub_f32_e32 v44, v44, v70
	v_add_f32_e32 v44, v44, v45
	v_exp_f32_e32 v44, v44
	v_cvt_i32_f32_e32 v45, v70
	s_mov_b32 s4, 0xc2ce8ed0
	v_cmp_ngt_f32_e64 s[4:5], s4, v43
	v_ldexp_f32 v44, v44, v45
	v_cndmask_b32_e64 v44, 0, v44, s[4:5]
	s_mov_b32 s4, 0x42b17218
	v_mov_b32_e32 v45, 0x7f800000
	v_cmp_nlt_f32_e64 s[4:5], s4, v43
	v_cndmask_b32_e64 v45, v45, v44, s[4:5]
	v_add_f32_e32 v72, v72, v45
.LBB767_503:
	s_or_b64 exec, exec, s[10:11]
.LBB767_504:
	s_or_b64 exec, exec, s[12:13]
	v_mov_b32_e32 v43, 0
	v_mov_b32_e32 v44, 0
	s_and_saveexec_b64 s[10:11], s[8:9]
	s_cbranch_execz .LBB767_508
; %bb.505:
	global_load_ubyte v44, v[2:3], off offset:960
	s_waitcnt vmcnt(0)
	v_and_b32_e32 v44, 1, v44
	v_cmp_eq_u32_e64 s[4:5], 1, v44
	s_xor_b64 s[4:5], s[4:5], -1
	v_mov_b32_e32 v44, 0
	s_and_saveexec_b64 s[8:9], s[4:5]
	s_cbranch_execz .LBB767_507
; %bb.506:
	v_sub_f32_e32 v42, v42, v78
	s_mov_b32 s4, 0x3fb8aa3b
	v_mul_f32_e32 v44, 0x3fb8aa3b, v42
	v_fma_f32 v70, v42, s4, -v44
	v_rndne_f32_e32 v79, v44
	v_fmac_f32_e32 v70, 0x32a5705f, v42
	v_sub_f32_e32 v44, v44, v79
	v_add_f32_e32 v44, v44, v70
	v_exp_f32_e32 v44, v44
	v_cvt_i32_f32_e32 v70, v79
	s_mov_b32 s4, 0xc2ce8ed0
	v_cmp_ngt_f32_e64 s[4:5], s4, v42
	v_ldexp_f32 v44, v44, v70
	v_cndmask_b32_e64 v44, 0, v44, s[4:5]
	s_mov_b32 s4, 0x42b17218
	v_mov_b32_e32 v70, 0x7f800000
	v_cmp_nlt_f32_e64 s[4:5], s4, v42
	v_cndmask_b32_e64 v44, v70, v44, s[4:5]
	v_add_f32_e32 v72, v72, v44
.LBB767_507:
	s_or_b64 exec, exec, s[8:9]
.LBB767_508:
	s_or_b64 exec, exec, s[10:11]
	s_and_saveexec_b64 s[8:9], s[6:7]
	s_cbranch_execz .LBB767_512
; %bb.509:
	global_load_ubyte v42, v[2:3], off offset:992
	v_mov_b32_e32 v43, 0
	s_waitcnt vmcnt(0)
	v_and_b32_e32 v42, 1, v42
	v_cmp_eq_u32_e64 s[4:5], 1, v42
	s_xor_b64 s[4:5], s[4:5], -1
	s_and_saveexec_b64 s[6:7], s[4:5]
	s_cbranch_execz .LBB767_511
; %bb.510:
	v_sub_f32_e32 v41, v41, v78
	s_mov_b32 s4, 0x3fb8aa3b
	v_mul_f32_e32 v42, 0x3fb8aa3b, v41
	v_fma_f32 v43, v41, s4, -v42
	v_rndne_f32_e32 v70, v42
	v_fmac_f32_e32 v43, 0x32a5705f, v41
	v_sub_f32_e32 v42, v42, v70
	v_add_f32_e32 v42, v42, v43
	v_exp_f32_e32 v42, v42
	v_cvt_i32_f32_e32 v43, v70
	s_mov_b32 s4, 0xc2ce8ed0
	v_cmp_ngt_f32_e64 s[4:5], s4, v41
	v_ldexp_f32 v42, v42, v43
	v_cndmask_b32_e64 v42, 0, v42, s[4:5]
	s_mov_b32 s4, 0x42b17218
	v_mov_b32_e32 v43, 0x7f800000
	v_cmp_nlt_f32_e64 s[4:5], s4, v41
	v_cndmask_b32_e64 v43, v43, v42, s[4:5]
	v_add_f32_e32 v72, v72, v43
.LBB767_511:
	s_or_b64 exec, exec, s[6:7]
.LBB767_512:
	s_or_b64 exec, exec, s[8:9]
	v_mov_b32_e32 v41, 0
	v_mov_b32_e32 v42, 0
	s_and_saveexec_b64 s[6:7], s[36:37]
	s_cbranch_execz .LBB767_516
; %bb.513:
	global_load_ubyte v42, v[2:3], off offset:1024
	s_waitcnt vmcnt(0)
	v_and_b32_e32 v42, 1, v42
	v_cmp_eq_u32_e64 s[4:5], 1, v42
	s_xor_b64 s[4:5], s[4:5], -1
	v_mov_b32_e32 v42, 0
	s_and_saveexec_b64 s[8:9], s[4:5]
	s_cbranch_execz .LBB767_515
; %bb.514:
	v_sub_f32_e32 v40, v40, v78
	s_mov_b32 s4, 0x3fb8aa3b
	v_mul_f32_e32 v42, 0x3fb8aa3b, v40
	v_fma_f32 v70, v40, s4, -v42
	v_rndne_f32_e32 v79, v42
	v_fmac_f32_e32 v70, 0x32a5705f, v40
	v_sub_f32_e32 v42, v42, v79
	v_add_f32_e32 v42, v42, v70
	v_exp_f32_e32 v42, v42
	v_cvt_i32_f32_e32 v70, v79
	s_mov_b32 s4, 0xc2ce8ed0
	v_cmp_ngt_f32_e64 s[4:5], s4, v40
	v_ldexp_f32 v42, v42, v70
	v_cndmask_b32_e64 v42, 0, v42, s[4:5]
	s_mov_b32 s4, 0x42b17218
	v_mov_b32_e32 v70, 0x7f800000
	v_cmp_nlt_f32_e64 s[4:5], s4, v40
	v_cndmask_b32_e64 v42, v70, v42, s[4:5]
	v_add_f32_e32 v72, v72, v42
.LBB767_515:
	s_or_b64 exec, exec, s[8:9]
.LBB767_516:
	s_or_b64 exec, exec, s[6:7]
	s_and_saveexec_b64 s[6:7], s[2:3]
	s_cbranch_execz .LBB767_520
; %bb.517:
	global_load_ubyte v40, v[2:3], off offset:1056
	v_mov_b32_e32 v41, 0
	s_waitcnt vmcnt(0)
	v_and_b32_e32 v40, 1, v40
	v_cmp_eq_u32_e64 s[4:5], 1, v40
	s_xor_b64 s[4:5], s[4:5], -1
	s_and_saveexec_b64 s[2:3], s[4:5]
	s_cbranch_execz .LBB767_519
; %bb.518:
	v_sub_f32_e32 v39, v39, v78
	s_mov_b32 s4, 0x3fb8aa3b
	v_mul_f32_e32 v40, 0x3fb8aa3b, v39
	v_fma_f32 v41, v39, s4, -v40
	v_rndne_f32_e32 v70, v40
	v_fmac_f32_e32 v41, 0x32a5705f, v39
	v_sub_f32_e32 v40, v40, v70
	v_add_f32_e32 v40, v40, v41
	v_exp_f32_e32 v40, v40
	v_cvt_i32_f32_e32 v41, v70
	s_mov_b32 s4, 0xc2ce8ed0
	v_cmp_ngt_f32_e64 s[4:5], s4, v39
	v_ldexp_f32 v40, v40, v41
	v_cndmask_b32_e64 v40, 0, v40, s[4:5]
	s_mov_b32 s4, 0x42b17218
	v_mov_b32_e32 v41, 0x7f800000
	v_cmp_nlt_f32_e64 s[4:5], s4, v39
	v_cndmask_b32_e64 v41, v41, v40, s[4:5]
	v_add_f32_e32 v72, v72, v41
.LBB767_519:
	s_or_b64 exec, exec, s[2:3]
.LBB767_520:
	s_or_b64 exec, exec, s[6:7]
	v_mov_b32_e32 v39, 0
	v_mov_b32_e32 v40, 0
	s_and_saveexec_b64 s[2:3], s[0:1]
	s_cbranch_execz .LBB767_524
; %bb.521:
	global_load_ubyte v40, v[2:3], off offset:1088
	s_waitcnt vmcnt(0)
	v_and_b32_e32 v40, 1, v40
	v_cmp_eq_u32_e64 s[4:5], 1, v40
	s_xor_b64 s[4:5], s[4:5], -1
	v_mov_b32_e32 v40, 0
	s_and_saveexec_b64 s[0:1], s[4:5]
	s_cbranch_execz .LBB767_523
; %bb.522:
	v_sub_f32_e32 v38, v38, v78
	s_mov_b32 s4, 0x3fb8aa3b
	v_mul_f32_e32 v40, 0x3fb8aa3b, v38
	v_fma_f32 v70, v38, s4, -v40
	v_rndne_f32_e32 v79, v40
	v_fmac_f32_e32 v70, 0x32a5705f, v38
	v_sub_f32_e32 v40, v40, v79
	v_add_f32_e32 v40, v40, v70
	v_exp_f32_e32 v40, v40
	v_cvt_i32_f32_e32 v70, v79
	s_mov_b32 s4, 0xc2ce8ed0
	v_cmp_ngt_f32_e64 s[4:5], s4, v38
	v_ldexp_f32 v40, v40, v70
	v_cndmask_b32_e64 v40, 0, v40, s[4:5]
	s_mov_b32 s4, 0x42b17218
	v_mov_b32_e32 v70, 0x7f800000
	v_cmp_nlt_f32_e64 s[4:5], s4, v38
	v_cndmask_b32_e64 v40, v70, v40, s[4:5]
	v_add_f32_e32 v72, v72, v40
.LBB767_523:
	s_or_b64 exec, exec, s[0:1]
.LBB767_524:
	s_or_b64 exec, exec, s[2:3]
	s_and_saveexec_b64 s[0:1], s[94:95]
	s_cbranch_execz .LBB767_528
; %bb.525:
	global_load_ubyte v38, v[2:3], off offset:1120
	v_mov_b32_e32 v39, 0
	s_waitcnt vmcnt(0)
	v_and_b32_e32 v38, 1, v38
	v_cmp_eq_u32_e64 s[4:5], 1, v38
	s_xor_b64 s[4:5], s[4:5], -1
	s_and_saveexec_b64 s[2:3], s[4:5]
	s_cbranch_execz .LBB767_527
; %bb.526:
	v_sub_f32_e32 v37, v37, v78
	s_mov_b32 s4, 0x3fb8aa3b
	v_mul_f32_e32 v38, 0x3fb8aa3b, v37
	v_fma_f32 v39, v37, s4, -v38
	v_rndne_f32_e32 v70, v38
	v_fmac_f32_e32 v39, 0x32a5705f, v37
	v_sub_f32_e32 v38, v38, v70
	v_add_f32_e32 v38, v38, v39
	v_exp_f32_e32 v38, v38
	v_cvt_i32_f32_e32 v39, v70
	s_mov_b32 s4, 0xc2ce8ed0
	v_cmp_ngt_f32_e64 s[4:5], s4, v37
	v_ldexp_f32 v38, v38, v39
	v_cndmask_b32_e64 v38, 0, v38, s[4:5]
	s_mov_b32 s4, 0x42b17218
	v_mov_b32_e32 v39, 0x7f800000
	v_cmp_nlt_f32_e64 s[4:5], s4, v37
	v_cndmask_b32_e64 v39, v39, v38, s[4:5]
	v_add_f32_e32 v72, v72, v39
.LBB767_527:
	s_or_b64 exec, exec, s[2:3]
.LBB767_528:
	s_or_b64 exec, exec, s[0:1]
	v_mov_b32_e32 v37, 0
	v_mov_b32_e32 v38, 0
	s_and_saveexec_b64 s[0:1], s[92:93]
	s_cbranch_execz .LBB767_532
; %bb.529:
	global_load_ubyte v38, v[2:3], off offset:1152
	s_waitcnt vmcnt(0)
	v_and_b32_e32 v38, 1, v38
	v_cmp_eq_u32_e64 s[4:5], 1, v38
	s_xor_b64 s[4:5], s[4:5], -1
	v_mov_b32_e32 v38, 0
	s_and_saveexec_b64 s[2:3], s[4:5]
	s_cbranch_execz .LBB767_531
; %bb.530:
	v_sub_f32_e32 v36, v36, v78
	s_mov_b32 s4, 0x3fb8aa3b
	v_mul_f32_e32 v38, 0x3fb8aa3b, v36
	v_fma_f32 v70, v36, s4, -v38
	v_rndne_f32_e32 v79, v38
	v_fmac_f32_e32 v70, 0x32a5705f, v36
	v_sub_f32_e32 v38, v38, v79
	v_add_f32_e32 v38, v38, v70
	v_exp_f32_e32 v38, v38
	v_cvt_i32_f32_e32 v70, v79
	s_mov_b32 s4, 0xc2ce8ed0
	v_cmp_ngt_f32_e64 s[4:5], s4, v36
	v_ldexp_f32 v38, v38, v70
	v_cndmask_b32_e64 v38, 0, v38, s[4:5]
	s_mov_b32 s4, 0x42b17218
	v_mov_b32_e32 v70, 0x7f800000
	v_cmp_nlt_f32_e64 s[4:5], s4, v36
	v_cndmask_b32_e64 v38, v70, v38, s[4:5]
	v_add_f32_e32 v72, v72, v38
.LBB767_531:
	s_or_b64 exec, exec, s[2:3]
.LBB767_532:
	s_or_b64 exec, exec, s[0:1]
	s_and_saveexec_b64 s[0:1], s[90:91]
	s_cbranch_execz .LBB767_536
; %bb.533:
	global_load_ubyte v36, v[2:3], off offset:1184
	v_mov_b32_e32 v37, 0
	s_waitcnt vmcnt(0)
	v_and_b32_e32 v36, 1, v36
	v_cmp_eq_u32_e64 s[4:5], 1, v36
	s_xor_b64 s[4:5], s[4:5], -1
	s_and_saveexec_b64 s[2:3], s[4:5]
	s_cbranch_execz .LBB767_535
; %bb.534:
	v_sub_f32_e32 v35, v35, v78
	s_mov_b32 s4, 0x3fb8aa3b
	v_mul_f32_e32 v36, 0x3fb8aa3b, v35
	v_fma_f32 v37, v35, s4, -v36
	v_rndne_f32_e32 v70, v36
	v_fmac_f32_e32 v37, 0x32a5705f, v35
	v_sub_f32_e32 v36, v36, v70
	v_add_f32_e32 v36, v36, v37
	v_exp_f32_e32 v36, v36
	v_cvt_i32_f32_e32 v37, v70
	s_mov_b32 s4, 0xc2ce8ed0
	v_cmp_ngt_f32_e64 s[4:5], s4, v35
	v_ldexp_f32 v36, v36, v37
	v_cndmask_b32_e64 v36, 0, v36, s[4:5]
	s_mov_b32 s4, 0x42b17218
	v_mov_b32_e32 v37, 0x7f800000
	v_cmp_nlt_f32_e64 s[4:5], s4, v35
	v_cndmask_b32_e64 v37, v37, v36, s[4:5]
	v_add_f32_e32 v72, v72, v37
.LBB767_535:
	s_or_b64 exec, exec, s[2:3]
.LBB767_536:
	s_or_b64 exec, exec, s[0:1]
	v_mov_b32_e32 v35, 0
	v_mov_b32_e32 v36, 0
	s_and_saveexec_b64 s[0:1], s[88:89]
	s_cbranch_execz .LBB767_540
; %bb.537:
	global_load_ubyte v36, v[2:3], off offset:1216
	s_waitcnt vmcnt(0)
	v_and_b32_e32 v36, 1, v36
	v_cmp_eq_u32_e64 s[4:5], 1, v36
	s_xor_b64 s[4:5], s[4:5], -1
	v_mov_b32_e32 v36, 0
	s_and_saveexec_b64 s[2:3], s[4:5]
	s_cbranch_execz .LBB767_539
; %bb.538:
	v_sub_f32_e32 v34, v34, v78
	s_mov_b32 s4, 0x3fb8aa3b
	v_mul_f32_e32 v36, 0x3fb8aa3b, v34
	v_fma_f32 v70, v34, s4, -v36
	v_rndne_f32_e32 v79, v36
	v_fmac_f32_e32 v70, 0x32a5705f, v34
	v_sub_f32_e32 v36, v36, v79
	v_add_f32_e32 v36, v36, v70
	v_exp_f32_e32 v36, v36
	v_cvt_i32_f32_e32 v70, v79
	s_mov_b32 s4, 0xc2ce8ed0
	v_cmp_ngt_f32_e64 s[4:5], s4, v34
	v_ldexp_f32 v36, v36, v70
	v_cndmask_b32_e64 v36, 0, v36, s[4:5]
	s_mov_b32 s4, 0x42b17218
	v_mov_b32_e32 v70, 0x7f800000
	v_cmp_nlt_f32_e64 s[4:5], s4, v34
	v_cndmask_b32_e64 v36, v70, v36, s[4:5]
	v_add_f32_e32 v72, v72, v36
.LBB767_539:
	s_or_b64 exec, exec, s[2:3]
.LBB767_540:
	s_or_b64 exec, exec, s[0:1]
	s_and_saveexec_b64 s[0:1], s[86:87]
	s_cbranch_execz .LBB767_544
; %bb.541:
	global_load_ubyte v34, v[2:3], off offset:1248
	v_mov_b32_e32 v35, 0
	s_waitcnt vmcnt(0)
	v_and_b32_e32 v34, 1, v34
	v_cmp_eq_u32_e64 s[4:5], 1, v34
	s_xor_b64 s[4:5], s[4:5], -1
	s_and_saveexec_b64 s[2:3], s[4:5]
	s_cbranch_execz .LBB767_543
; %bb.542:
	v_sub_f32_e32 v33, v33, v78
	s_mov_b32 s4, 0x3fb8aa3b
	v_mul_f32_e32 v34, 0x3fb8aa3b, v33
	v_fma_f32 v35, v33, s4, -v34
	v_rndne_f32_e32 v70, v34
	v_fmac_f32_e32 v35, 0x32a5705f, v33
	v_sub_f32_e32 v34, v34, v70
	v_add_f32_e32 v34, v34, v35
	v_exp_f32_e32 v34, v34
	v_cvt_i32_f32_e32 v35, v70
	s_mov_b32 s4, 0xc2ce8ed0
	v_cmp_ngt_f32_e64 s[4:5], s4, v33
	v_ldexp_f32 v34, v34, v35
	v_cndmask_b32_e64 v34, 0, v34, s[4:5]
	s_mov_b32 s4, 0x42b17218
	v_mov_b32_e32 v35, 0x7f800000
	v_cmp_nlt_f32_e64 s[4:5], s4, v33
	v_cndmask_b32_e64 v35, v35, v34, s[4:5]
	v_add_f32_e32 v72, v72, v35
.LBB767_543:
	s_or_b64 exec, exec, s[2:3]
.LBB767_544:
	s_or_b64 exec, exec, s[0:1]
	v_mov_b32_e32 v33, 0
	v_mov_b32_e32 v34, 0
	s_and_saveexec_b64 s[0:1], s[84:85]
	s_cbranch_execz .LBB767_548
; %bb.545:
	global_load_ubyte v34, v[2:3], off offset:1280
	s_waitcnt vmcnt(0)
	v_and_b32_e32 v34, 1, v34
	v_cmp_eq_u32_e64 s[4:5], 1, v34
	s_xor_b64 s[4:5], s[4:5], -1
	v_mov_b32_e32 v34, 0
	s_and_saveexec_b64 s[2:3], s[4:5]
	s_cbranch_execz .LBB767_547
; %bb.546:
	v_sub_f32_e32 v32, v32, v78
	s_mov_b32 s4, 0x3fb8aa3b
	v_mul_f32_e32 v34, 0x3fb8aa3b, v32
	v_fma_f32 v70, v32, s4, -v34
	v_rndne_f32_e32 v79, v34
	v_fmac_f32_e32 v70, 0x32a5705f, v32
	v_sub_f32_e32 v34, v34, v79
	v_add_f32_e32 v34, v34, v70
	v_exp_f32_e32 v34, v34
	v_cvt_i32_f32_e32 v70, v79
	s_mov_b32 s4, 0xc2ce8ed0
	v_cmp_ngt_f32_e64 s[4:5], s4, v32
	v_ldexp_f32 v34, v34, v70
	v_cndmask_b32_e64 v34, 0, v34, s[4:5]
	s_mov_b32 s4, 0x42b17218
	v_mov_b32_e32 v70, 0x7f800000
	v_cmp_nlt_f32_e64 s[4:5], s4, v32
	v_cndmask_b32_e64 v34, v70, v34, s[4:5]
	v_add_f32_e32 v72, v72, v34
.LBB767_547:
	s_or_b64 exec, exec, s[2:3]
.LBB767_548:
	s_or_b64 exec, exec, s[0:1]
	s_and_saveexec_b64 s[0:1], s[82:83]
	s_cbranch_execz .LBB767_552
; %bb.549:
	global_load_ubyte v32, v[2:3], off offset:1312
	v_mov_b32_e32 v33, 0
	s_waitcnt vmcnt(0)
	v_and_b32_e32 v32, 1, v32
	v_cmp_eq_u32_e64 s[4:5], 1, v32
	s_xor_b64 s[4:5], s[4:5], -1
	s_and_saveexec_b64 s[2:3], s[4:5]
	s_cbranch_execz .LBB767_551
; %bb.550:
	v_sub_f32_e32 v31, v31, v78
	s_mov_b32 s4, 0x3fb8aa3b
	v_mul_f32_e32 v32, 0x3fb8aa3b, v31
	v_fma_f32 v33, v31, s4, -v32
	v_rndne_f32_e32 v70, v32
	v_fmac_f32_e32 v33, 0x32a5705f, v31
	v_sub_f32_e32 v32, v32, v70
	v_add_f32_e32 v32, v32, v33
	v_exp_f32_e32 v32, v32
	v_cvt_i32_f32_e32 v33, v70
	s_mov_b32 s4, 0xc2ce8ed0
	v_cmp_ngt_f32_e64 s[4:5], s4, v31
	v_ldexp_f32 v32, v32, v33
	v_cndmask_b32_e64 v32, 0, v32, s[4:5]
	s_mov_b32 s4, 0x42b17218
	v_mov_b32_e32 v33, 0x7f800000
	v_cmp_nlt_f32_e64 s[4:5], s4, v31
	v_cndmask_b32_e64 v33, v33, v32, s[4:5]
	v_add_f32_e32 v72, v72, v33
.LBB767_551:
	s_or_b64 exec, exec, s[2:3]
.LBB767_552:
	s_or_b64 exec, exec, s[0:1]
	v_mov_b32_e32 v31, 0
	v_mov_b32_e32 v32, 0
	s_and_saveexec_b64 s[0:1], s[80:81]
	s_cbranch_execz .LBB767_556
; %bb.553:
	global_load_ubyte v32, v[2:3], off offset:1344
	s_waitcnt vmcnt(0)
	v_and_b32_e32 v32, 1, v32
	v_cmp_eq_u32_e64 s[4:5], 1, v32
	s_xor_b64 s[4:5], s[4:5], -1
	v_mov_b32_e32 v32, 0
	s_and_saveexec_b64 s[2:3], s[4:5]
	s_cbranch_execz .LBB767_555
; %bb.554:
	v_sub_f32_e32 v30, v30, v78
	s_mov_b32 s4, 0x3fb8aa3b
	v_mul_f32_e32 v32, 0x3fb8aa3b, v30
	v_fma_f32 v70, v30, s4, -v32
	v_rndne_f32_e32 v79, v32
	v_fmac_f32_e32 v70, 0x32a5705f, v30
	v_sub_f32_e32 v32, v32, v79
	v_add_f32_e32 v32, v32, v70
	v_exp_f32_e32 v32, v32
	v_cvt_i32_f32_e32 v70, v79
	s_mov_b32 s4, 0xc2ce8ed0
	v_cmp_ngt_f32_e64 s[4:5], s4, v30
	v_ldexp_f32 v32, v32, v70
	v_cndmask_b32_e64 v32, 0, v32, s[4:5]
	s_mov_b32 s4, 0x42b17218
	v_mov_b32_e32 v70, 0x7f800000
	v_cmp_nlt_f32_e64 s[4:5], s4, v30
	v_cndmask_b32_e64 v32, v70, v32, s[4:5]
	v_add_f32_e32 v72, v72, v32
.LBB767_555:
	s_or_b64 exec, exec, s[2:3]
.LBB767_556:
	s_or_b64 exec, exec, s[0:1]
	s_mov_b64 s[0:1], exec
	v_readlane_b32 s2, v81, 28
	v_readlane_b32 s3, v81, 29
	s_and_b64 s[2:3], s[0:1], s[2:3]
	s_mov_b64 exec, s[2:3]
	s_cbranch_execz .LBB767_560
; %bb.557:
	global_load_ubyte v30, v[2:3], off offset:1376
	v_mov_b32_e32 v31, 0
	s_waitcnt vmcnt(0)
	v_and_b32_e32 v30, 1, v30
	v_cmp_eq_u32_e64 s[4:5], 1, v30
	s_xor_b64 s[4:5], s[4:5], -1
	s_and_saveexec_b64 s[2:3], s[4:5]
	s_cbranch_execz .LBB767_559
; %bb.558:
	v_sub_f32_e32 v29, v29, v78
	s_mov_b32 s4, 0x3fb8aa3b
	v_mul_f32_e32 v30, 0x3fb8aa3b, v29
	v_fma_f32 v31, v29, s4, -v30
	v_rndne_f32_e32 v70, v30
	v_fmac_f32_e32 v31, 0x32a5705f, v29
	v_sub_f32_e32 v30, v30, v70
	v_add_f32_e32 v30, v30, v31
	v_exp_f32_e32 v30, v30
	v_cvt_i32_f32_e32 v31, v70
	s_mov_b32 s4, 0xc2ce8ed0
	v_cmp_ngt_f32_e64 s[4:5], s4, v29
	v_ldexp_f32 v30, v30, v31
	v_cndmask_b32_e64 v30, 0, v30, s[4:5]
	s_mov_b32 s4, 0x42b17218
	v_mov_b32_e32 v31, 0x7f800000
	v_cmp_nlt_f32_e64 s[4:5], s4, v29
	v_cndmask_b32_e64 v31, v31, v30, s[4:5]
	v_add_f32_e32 v72, v72, v31
.LBB767_559:
	s_or_b64 exec, exec, s[2:3]
.LBB767_560:
	s_or_b64 exec, exec, s[0:1]
	v_mov_b32_e32 v29, 0
	v_mov_b32_e32 v30, 0
	s_mov_b64 s[0:1], exec
	v_readlane_b32 s2, v81, 32
	v_readlane_b32 s3, v81, 33
	s_and_b64 s[2:3], s[0:1], s[2:3]
	s_mov_b64 exec, s[2:3]
	s_cbranch_execz .LBB767_564
; %bb.561:
	global_load_ubyte v30, v[2:3], off offset:1408
	s_waitcnt vmcnt(0)
	v_and_b32_e32 v30, 1, v30
	v_cmp_eq_u32_e64 s[4:5], 1, v30
	s_xor_b64 s[4:5], s[4:5], -1
	v_mov_b32_e32 v30, 0
	s_and_saveexec_b64 s[2:3], s[4:5]
	s_cbranch_execz .LBB767_563
; %bb.562:
	v_sub_f32_e32 v28, v28, v78
	s_mov_b32 s4, 0x3fb8aa3b
	v_mul_f32_e32 v30, 0x3fb8aa3b, v28
	v_fma_f32 v70, v28, s4, -v30
	v_rndne_f32_e32 v79, v30
	v_fmac_f32_e32 v70, 0x32a5705f, v28
	v_sub_f32_e32 v30, v30, v79
	v_add_f32_e32 v30, v30, v70
	v_exp_f32_e32 v30, v30
	v_cvt_i32_f32_e32 v70, v79
	s_mov_b32 s4, 0xc2ce8ed0
	v_cmp_ngt_f32_e64 s[4:5], s4, v28
	v_ldexp_f32 v30, v30, v70
	v_cndmask_b32_e64 v30, 0, v30, s[4:5]
	s_mov_b32 s4, 0x42b17218
	v_mov_b32_e32 v70, 0x7f800000
	v_cmp_nlt_f32_e64 s[4:5], s4, v28
	v_cndmask_b32_e64 v30, v70, v30, s[4:5]
	v_add_f32_e32 v72, v72, v30
.LBB767_563:
	s_or_b64 exec, exec, s[2:3]
.LBB767_564:
	s_or_b64 exec, exec, s[0:1]
	s_mov_b64 s[0:1], exec
	v_readlane_b32 s2, v81, 36
	v_readlane_b32 s3, v81, 37
	s_and_b64 s[2:3], s[0:1], s[2:3]
	s_mov_b64 exec, s[2:3]
	s_cbranch_execz .LBB767_568
; %bb.565:
	global_load_ubyte v28, v[2:3], off offset:1440
	v_mov_b32_e32 v29, 0
	s_waitcnt vmcnt(0)
	v_and_b32_e32 v28, 1, v28
	v_cmp_eq_u32_e64 s[4:5], 1, v28
	s_xor_b64 s[4:5], s[4:5], -1
	s_and_saveexec_b64 s[2:3], s[4:5]
	s_cbranch_execz .LBB767_567
; %bb.566:
	v_sub_f32_e32 v27, v27, v78
	s_mov_b32 s4, 0x3fb8aa3b
	v_mul_f32_e32 v28, 0x3fb8aa3b, v27
	v_fma_f32 v29, v27, s4, -v28
	v_rndne_f32_e32 v70, v28
	v_fmac_f32_e32 v29, 0x32a5705f, v27
	v_sub_f32_e32 v28, v28, v70
	v_add_f32_e32 v28, v28, v29
	v_exp_f32_e32 v28, v28
	v_cvt_i32_f32_e32 v29, v70
	s_mov_b32 s4, 0xc2ce8ed0
	v_cmp_ngt_f32_e64 s[4:5], s4, v27
	v_ldexp_f32 v28, v28, v29
	v_cndmask_b32_e64 v28, 0, v28, s[4:5]
	s_mov_b32 s4, 0x42b17218
	v_mov_b32_e32 v29, 0x7f800000
	v_cmp_nlt_f32_e64 s[4:5], s4, v27
	v_cndmask_b32_e64 v29, v29, v28, s[4:5]
	v_add_f32_e32 v72, v72, v29
.LBB767_567:
	s_or_b64 exec, exec, s[2:3]
.LBB767_568:
	s_or_b64 exec, exec, s[0:1]
	v_mov_b32_e32 v27, 0
	v_mov_b32_e32 v28, 0
	s_mov_b64 s[0:1], exec
	v_readlane_b32 s2, v81, 40
	v_readlane_b32 s3, v81, 41
	s_and_b64 s[2:3], s[0:1], s[2:3]
	s_mov_b64 exec, s[2:3]
	s_cbranch_execz .LBB767_572
; %bb.569:
	global_load_ubyte v28, v[2:3], off offset:1472
	s_waitcnt vmcnt(0)
	v_and_b32_e32 v28, 1, v28
	v_cmp_eq_u32_e64 s[4:5], 1, v28
	s_xor_b64 s[4:5], s[4:5], -1
	v_mov_b32_e32 v28, 0
	s_and_saveexec_b64 s[2:3], s[4:5]
	s_cbranch_execz .LBB767_571
; %bb.570:
	v_sub_f32_e32 v26, v26, v78
	s_mov_b32 s4, 0x3fb8aa3b
	v_mul_f32_e32 v28, 0x3fb8aa3b, v26
	v_fma_f32 v70, v26, s4, -v28
	v_rndne_f32_e32 v79, v28
	v_fmac_f32_e32 v70, 0x32a5705f, v26
	v_sub_f32_e32 v28, v28, v79
	v_add_f32_e32 v28, v28, v70
	v_exp_f32_e32 v28, v28
	v_cvt_i32_f32_e32 v70, v79
	s_mov_b32 s4, 0xc2ce8ed0
	v_cmp_ngt_f32_e64 s[4:5], s4, v26
	v_ldexp_f32 v28, v28, v70
	v_cndmask_b32_e64 v28, 0, v28, s[4:5]
	s_mov_b32 s4, 0x42b17218
	v_mov_b32_e32 v70, 0x7f800000
	v_cmp_nlt_f32_e64 s[4:5], s4, v26
	v_cndmask_b32_e64 v28, v70, v28, s[4:5]
	v_add_f32_e32 v72, v72, v28
.LBB767_571:
	s_or_b64 exec, exec, s[2:3]
.LBB767_572:
	s_or_b64 exec, exec, s[0:1]
	s_mov_b64 s[0:1], exec
	v_readlane_b32 s2, v81, 44
	v_readlane_b32 s3, v81, 45
	s_and_b64 s[2:3], s[0:1], s[2:3]
	s_mov_b64 exec, s[2:3]
	s_cbranch_execz .LBB767_576
; %bb.573:
	global_load_ubyte v26, v[2:3], off offset:1504
	v_mov_b32_e32 v27, 0
	s_waitcnt vmcnt(0)
	v_and_b32_e32 v26, 1, v26
	v_cmp_eq_u32_e64 s[4:5], 1, v26
	s_xor_b64 s[4:5], s[4:5], -1
	s_and_saveexec_b64 s[2:3], s[4:5]
	s_cbranch_execz .LBB767_575
; %bb.574:
	v_sub_f32_e32 v25, v25, v78
	s_mov_b32 s4, 0x3fb8aa3b
	v_mul_f32_e32 v26, 0x3fb8aa3b, v25
	v_fma_f32 v27, v25, s4, -v26
	v_rndne_f32_e32 v70, v26
	v_fmac_f32_e32 v27, 0x32a5705f, v25
	v_sub_f32_e32 v26, v26, v70
	v_add_f32_e32 v26, v26, v27
	v_exp_f32_e32 v26, v26
	v_cvt_i32_f32_e32 v27, v70
	s_mov_b32 s4, 0xc2ce8ed0
	v_cmp_ngt_f32_e64 s[4:5], s4, v25
	v_ldexp_f32 v26, v26, v27
	v_cndmask_b32_e64 v26, 0, v26, s[4:5]
	s_mov_b32 s4, 0x42b17218
	v_mov_b32_e32 v27, 0x7f800000
	v_cmp_nlt_f32_e64 s[4:5], s4, v25
	v_cndmask_b32_e64 v27, v27, v26, s[4:5]
	v_add_f32_e32 v72, v72, v27
.LBB767_575:
	s_or_b64 exec, exec, s[2:3]
.LBB767_576:
	s_or_b64 exec, exec, s[0:1]
	v_mov_b32_e32 v25, 0
	v_mov_b32_e32 v26, 0
	s_mov_b64 s[0:1], exec
	v_readlane_b32 s2, v81, 48
	v_readlane_b32 s3, v81, 49
	s_and_b64 s[2:3], s[0:1], s[2:3]
	s_mov_b64 exec, s[2:3]
	s_cbranch_execz .LBB767_580
; %bb.577:
	global_load_ubyte v26, v[2:3], off offset:1536
	s_waitcnt vmcnt(0)
	v_and_b32_e32 v26, 1, v26
	v_cmp_eq_u32_e64 s[4:5], 1, v26
	s_xor_b64 s[4:5], s[4:5], -1
	v_mov_b32_e32 v26, 0
	s_and_saveexec_b64 s[2:3], s[4:5]
	s_cbranch_execz .LBB767_579
; %bb.578:
	v_sub_f32_e32 v24, v24, v78
	s_mov_b32 s4, 0x3fb8aa3b
	v_mul_f32_e32 v26, 0x3fb8aa3b, v24
	v_fma_f32 v70, v24, s4, -v26
	v_rndne_f32_e32 v79, v26
	v_fmac_f32_e32 v70, 0x32a5705f, v24
	v_sub_f32_e32 v26, v26, v79
	v_add_f32_e32 v26, v26, v70
	v_exp_f32_e32 v26, v26
	v_cvt_i32_f32_e32 v70, v79
	s_mov_b32 s4, 0xc2ce8ed0
	v_cmp_ngt_f32_e64 s[4:5], s4, v24
	v_ldexp_f32 v26, v26, v70
	v_cndmask_b32_e64 v26, 0, v26, s[4:5]
	s_mov_b32 s4, 0x42b17218
	v_mov_b32_e32 v70, 0x7f800000
	v_cmp_nlt_f32_e64 s[4:5], s4, v24
	v_cndmask_b32_e64 v26, v70, v26, s[4:5]
	v_add_f32_e32 v72, v72, v26
.LBB767_579:
	s_or_b64 exec, exec, s[2:3]
.LBB767_580:
	s_or_b64 exec, exec, s[0:1]
	s_mov_b64 s[0:1], exec
	v_readlane_b32 s2, v81, 52
	v_readlane_b32 s3, v81, 53
	s_and_b64 s[2:3], s[0:1], s[2:3]
	s_mov_b64 exec, s[2:3]
	s_cbranch_execz .LBB767_584
; %bb.581:
	global_load_ubyte v24, v[2:3], off offset:1568
	v_mov_b32_e32 v25, 0
	s_waitcnt vmcnt(0)
	v_and_b32_e32 v24, 1, v24
	v_cmp_eq_u32_e64 s[4:5], 1, v24
	s_xor_b64 s[4:5], s[4:5], -1
	s_and_saveexec_b64 s[2:3], s[4:5]
	s_cbranch_execz .LBB767_583
; %bb.582:
	v_sub_f32_e32 v23, v23, v78
	s_mov_b32 s4, 0x3fb8aa3b
	v_mul_f32_e32 v24, 0x3fb8aa3b, v23
	v_fma_f32 v25, v23, s4, -v24
	v_rndne_f32_e32 v70, v24
	v_fmac_f32_e32 v25, 0x32a5705f, v23
	v_sub_f32_e32 v24, v24, v70
	v_add_f32_e32 v24, v24, v25
	v_exp_f32_e32 v24, v24
	v_cvt_i32_f32_e32 v25, v70
	s_mov_b32 s4, 0xc2ce8ed0
	v_cmp_ngt_f32_e64 s[4:5], s4, v23
	v_ldexp_f32 v24, v24, v25
	v_cndmask_b32_e64 v24, 0, v24, s[4:5]
	s_mov_b32 s4, 0x42b17218
	v_mov_b32_e32 v25, 0x7f800000
	v_cmp_nlt_f32_e64 s[4:5], s4, v23
	v_cndmask_b32_e64 v25, v25, v24, s[4:5]
	v_add_f32_e32 v72, v72, v25
.LBB767_583:
	s_or_b64 exec, exec, s[2:3]
.LBB767_584:
	s_or_b64 exec, exec, s[0:1]
	v_mov_b32_e32 v23, 0
	v_mov_b32_e32 v24, 0
	s_mov_b64 s[0:1], exec
	v_readlane_b32 s2, v81, 56
	v_readlane_b32 s3, v81, 57
	s_and_b64 s[2:3], s[0:1], s[2:3]
	s_mov_b64 exec, s[2:3]
	s_cbranch_execz .LBB767_588
; %bb.585:
	global_load_ubyte v24, v[2:3], off offset:1600
	s_waitcnt vmcnt(0)
	v_and_b32_e32 v24, 1, v24
	v_cmp_eq_u32_e64 s[4:5], 1, v24
	s_xor_b64 s[4:5], s[4:5], -1
	v_mov_b32_e32 v24, 0
	s_and_saveexec_b64 s[2:3], s[4:5]
	s_cbranch_execz .LBB767_587
; %bb.586:
	v_sub_f32_e32 v22, v22, v78
	s_mov_b32 s4, 0x3fb8aa3b
	v_mul_f32_e32 v24, 0x3fb8aa3b, v22
	v_fma_f32 v70, v22, s4, -v24
	v_rndne_f32_e32 v79, v24
	v_fmac_f32_e32 v70, 0x32a5705f, v22
	v_sub_f32_e32 v24, v24, v79
	v_add_f32_e32 v24, v24, v70
	v_exp_f32_e32 v24, v24
	v_cvt_i32_f32_e32 v70, v79
	s_mov_b32 s4, 0xc2ce8ed0
	v_cmp_ngt_f32_e64 s[4:5], s4, v22
	v_ldexp_f32 v24, v24, v70
	v_cndmask_b32_e64 v24, 0, v24, s[4:5]
	s_mov_b32 s4, 0x42b17218
	v_mov_b32_e32 v70, 0x7f800000
	v_cmp_nlt_f32_e64 s[4:5], s4, v22
	v_cndmask_b32_e64 v24, v70, v24, s[4:5]
	v_add_f32_e32 v72, v72, v24
.LBB767_587:
	s_or_b64 exec, exec, s[2:3]
.LBB767_588:
	s_or_b64 exec, exec, s[0:1]
	s_mov_b64 s[0:1], exec
	v_readlane_b32 s2, v81, 60
	v_readlane_b32 s3, v81, 61
	s_and_b64 s[2:3], s[0:1], s[2:3]
	s_mov_b64 exec, s[2:3]
	s_cbranch_execz .LBB767_592
; %bb.589:
	global_load_ubyte v22, v[2:3], off offset:1632
	v_mov_b32_e32 v23, 0
	s_waitcnt vmcnt(0)
	v_and_b32_e32 v22, 1, v22
	v_cmp_eq_u32_e64 s[4:5], 1, v22
	s_xor_b64 s[4:5], s[4:5], -1
	s_and_saveexec_b64 s[2:3], s[4:5]
	s_cbranch_execz .LBB767_591
; %bb.590:
	v_sub_f32_e32 v21, v21, v78
	s_mov_b32 s4, 0x3fb8aa3b
	v_mul_f32_e32 v22, 0x3fb8aa3b, v21
	v_fma_f32 v23, v21, s4, -v22
	v_rndne_f32_e32 v70, v22
	v_fmac_f32_e32 v23, 0x32a5705f, v21
	v_sub_f32_e32 v22, v22, v70
	v_add_f32_e32 v22, v22, v23
	v_exp_f32_e32 v22, v22
	v_cvt_i32_f32_e32 v23, v70
	s_mov_b32 s4, 0xc2ce8ed0
	v_cmp_ngt_f32_e64 s[4:5], s4, v21
	v_ldexp_f32 v22, v22, v23
	v_cndmask_b32_e64 v22, 0, v22, s[4:5]
	s_mov_b32 s4, 0x42b17218
	v_mov_b32_e32 v23, 0x7f800000
	v_cmp_nlt_f32_e64 s[4:5], s4, v21
	v_cndmask_b32_e64 v23, v23, v22, s[4:5]
	v_add_f32_e32 v72, v72, v23
.LBB767_591:
	s_or_b64 exec, exec, s[2:3]
.LBB767_592:
	s_or_b64 exec, exec, s[0:1]
	v_mov_b32_e32 v21, 0
	v_mov_b32_e32 v22, 0
	s_mov_b64 s[0:1], exec
	v_readlane_b32 s2, v82, 0
	v_readlane_b32 s3, v82, 1
	s_and_b64 s[2:3], s[0:1], s[2:3]
	s_mov_b64 exec, s[2:3]
	s_cbranch_execz .LBB767_596
; %bb.593:
	global_load_ubyte v22, v[2:3], off offset:1664
	s_waitcnt vmcnt(0)
	v_and_b32_e32 v22, 1, v22
	v_cmp_eq_u32_e64 s[4:5], 1, v22
	s_xor_b64 s[4:5], s[4:5], -1
	v_mov_b32_e32 v22, 0
	s_and_saveexec_b64 s[2:3], s[4:5]
	s_cbranch_execz .LBB767_595
; %bb.594:
	v_sub_f32_e32 v20, v20, v78
	s_mov_b32 s4, 0x3fb8aa3b
	v_mul_f32_e32 v22, 0x3fb8aa3b, v20
	v_fma_f32 v70, v20, s4, -v22
	v_rndne_f32_e32 v79, v22
	v_fmac_f32_e32 v70, 0x32a5705f, v20
	v_sub_f32_e32 v22, v22, v79
	v_add_f32_e32 v22, v22, v70
	v_exp_f32_e32 v22, v22
	v_cvt_i32_f32_e32 v70, v79
	s_mov_b32 s4, 0xc2ce8ed0
	v_cmp_ngt_f32_e64 s[4:5], s4, v20
	v_ldexp_f32 v22, v22, v70
	v_cndmask_b32_e64 v22, 0, v22, s[4:5]
	s_mov_b32 s4, 0x42b17218
	v_mov_b32_e32 v70, 0x7f800000
	v_cmp_nlt_f32_e64 s[4:5], s4, v20
	v_cndmask_b32_e64 v22, v70, v22, s[4:5]
	v_add_f32_e32 v72, v72, v22
.LBB767_595:
	s_or_b64 exec, exec, s[2:3]
.LBB767_596:
	s_or_b64 exec, exec, s[0:1]
	s_mov_b64 s[0:1], exec
	v_readlane_b32 s2, v82, 4
	v_readlane_b32 s3, v82, 5
	s_and_b64 s[2:3], s[0:1], s[2:3]
	s_mov_b64 exec, s[2:3]
	s_cbranch_execz .LBB767_600
; %bb.597:
	global_load_ubyte v20, v[2:3], off offset:1696
	v_mov_b32_e32 v21, 0
	s_waitcnt vmcnt(0)
	v_and_b32_e32 v20, 1, v20
	v_cmp_eq_u32_e64 s[4:5], 1, v20
	s_xor_b64 s[4:5], s[4:5], -1
	s_and_saveexec_b64 s[2:3], s[4:5]
	s_cbranch_execz .LBB767_599
; %bb.598:
	v_sub_f32_e32 v19, v19, v78
	s_mov_b32 s4, 0x3fb8aa3b
	v_mul_f32_e32 v20, 0x3fb8aa3b, v19
	v_fma_f32 v21, v19, s4, -v20
	v_rndne_f32_e32 v70, v20
	v_fmac_f32_e32 v21, 0x32a5705f, v19
	v_sub_f32_e32 v20, v20, v70
	v_add_f32_e32 v20, v20, v21
	v_exp_f32_e32 v20, v20
	v_cvt_i32_f32_e32 v21, v70
	s_mov_b32 s4, 0xc2ce8ed0
	v_cmp_ngt_f32_e64 s[4:5], s4, v19
	v_ldexp_f32 v20, v20, v21
	v_cndmask_b32_e64 v20, 0, v20, s[4:5]
	s_mov_b32 s4, 0x42b17218
	v_mov_b32_e32 v21, 0x7f800000
	v_cmp_nlt_f32_e64 s[4:5], s4, v19
	v_cndmask_b32_e64 v21, v21, v20, s[4:5]
	v_add_f32_e32 v72, v72, v21
.LBB767_599:
	s_or_b64 exec, exec, s[2:3]
.LBB767_600:
	s_or_b64 exec, exec, s[0:1]
	v_mov_b32_e32 v19, 0
	v_mov_b32_e32 v20, 0
	s_mov_b64 s[0:1], exec
	v_readlane_b32 s2, v82, 8
	v_readlane_b32 s3, v82, 9
	s_and_b64 s[2:3], s[0:1], s[2:3]
	s_mov_b64 exec, s[2:3]
	s_cbranch_execz .LBB767_604
; %bb.601:
	global_load_ubyte v20, v[2:3], off offset:1728
	s_waitcnt vmcnt(0)
	v_and_b32_e32 v20, 1, v20
	v_cmp_eq_u32_e64 s[4:5], 1, v20
	s_xor_b64 s[4:5], s[4:5], -1
	v_mov_b32_e32 v20, 0
	s_and_saveexec_b64 s[2:3], s[4:5]
	s_cbranch_execz .LBB767_603
; %bb.602:
	v_sub_f32_e32 v18, v18, v78
	s_mov_b32 s4, 0x3fb8aa3b
	v_mul_f32_e32 v20, 0x3fb8aa3b, v18
	v_fma_f32 v70, v18, s4, -v20
	v_rndne_f32_e32 v79, v20
	v_fmac_f32_e32 v70, 0x32a5705f, v18
	v_sub_f32_e32 v20, v20, v79
	v_add_f32_e32 v20, v20, v70
	v_exp_f32_e32 v20, v20
	v_cvt_i32_f32_e32 v70, v79
	s_mov_b32 s4, 0xc2ce8ed0
	v_cmp_ngt_f32_e64 s[4:5], s4, v18
	v_ldexp_f32 v20, v20, v70
	v_cndmask_b32_e64 v20, 0, v20, s[4:5]
	s_mov_b32 s4, 0x42b17218
	v_mov_b32_e32 v70, 0x7f800000
	v_cmp_nlt_f32_e64 s[4:5], s4, v18
	v_cndmask_b32_e64 v20, v70, v20, s[4:5]
	v_add_f32_e32 v72, v72, v20
.LBB767_603:
	s_or_b64 exec, exec, s[2:3]
.LBB767_604:
	s_or_b64 exec, exec, s[0:1]
	s_mov_b64 s[0:1], exec
	v_readlane_b32 s2, v82, 12
	v_readlane_b32 s3, v82, 13
	s_and_b64 s[2:3], s[0:1], s[2:3]
	s_mov_b64 exec, s[2:3]
	s_cbranch_execz .LBB767_608
; %bb.605:
	global_load_ubyte v18, v[2:3], off offset:1760
	v_mov_b32_e32 v19, 0
	s_waitcnt vmcnt(0)
	v_and_b32_e32 v18, 1, v18
	v_cmp_eq_u32_e64 s[4:5], 1, v18
	s_xor_b64 s[4:5], s[4:5], -1
	s_and_saveexec_b64 s[2:3], s[4:5]
	s_cbranch_execz .LBB767_607
; %bb.606:
	v_sub_f32_e32 v17, v17, v78
	s_mov_b32 s4, 0x3fb8aa3b
	v_mul_f32_e32 v18, 0x3fb8aa3b, v17
	v_fma_f32 v19, v17, s4, -v18
	v_rndne_f32_e32 v70, v18
	v_fmac_f32_e32 v19, 0x32a5705f, v17
	v_sub_f32_e32 v18, v18, v70
	v_add_f32_e32 v18, v18, v19
	v_exp_f32_e32 v18, v18
	v_cvt_i32_f32_e32 v19, v70
	s_mov_b32 s4, 0xc2ce8ed0
	v_cmp_ngt_f32_e64 s[4:5], s4, v17
	v_ldexp_f32 v18, v18, v19
	v_cndmask_b32_e64 v18, 0, v18, s[4:5]
	s_mov_b32 s4, 0x42b17218
	v_mov_b32_e32 v19, 0x7f800000
	v_cmp_nlt_f32_e64 s[4:5], s4, v17
	v_cndmask_b32_e64 v19, v19, v18, s[4:5]
	v_add_f32_e32 v72, v72, v19
.LBB767_607:
	s_or_b64 exec, exec, s[2:3]
.LBB767_608:
	s_or_b64 exec, exec, s[0:1]
	v_mov_b32_e32 v17, 0
	v_mov_b32_e32 v18, 0
	s_mov_b64 s[0:1], exec
	v_readlane_b32 s2, v82, 16
	v_readlane_b32 s3, v82, 17
	s_and_b64 s[2:3], s[0:1], s[2:3]
	s_mov_b64 exec, s[2:3]
	s_cbranch_execz .LBB767_612
; %bb.609:
	global_load_ubyte v18, v[2:3], off offset:1792
	s_waitcnt vmcnt(0)
	v_and_b32_e32 v18, 1, v18
	v_cmp_eq_u32_e64 s[4:5], 1, v18
	s_xor_b64 s[4:5], s[4:5], -1
	v_mov_b32_e32 v18, 0
	s_and_saveexec_b64 s[2:3], s[4:5]
	s_cbranch_execz .LBB767_611
; %bb.610:
	v_sub_f32_e32 v16, v16, v78
	s_mov_b32 s4, 0x3fb8aa3b
	v_mul_f32_e32 v18, 0x3fb8aa3b, v16
	v_fma_f32 v70, v16, s4, -v18
	v_rndne_f32_e32 v79, v18
	v_fmac_f32_e32 v70, 0x32a5705f, v16
	v_sub_f32_e32 v18, v18, v79
	v_add_f32_e32 v18, v18, v70
	v_exp_f32_e32 v18, v18
	v_cvt_i32_f32_e32 v70, v79
	s_mov_b32 s4, 0xc2ce8ed0
	v_cmp_ngt_f32_e64 s[4:5], s4, v16
	v_ldexp_f32 v18, v18, v70
	v_cndmask_b32_e64 v18, 0, v18, s[4:5]
	s_mov_b32 s4, 0x42b17218
	v_mov_b32_e32 v70, 0x7f800000
	v_cmp_nlt_f32_e64 s[4:5], s4, v16
	v_cndmask_b32_e64 v18, v70, v18, s[4:5]
	v_add_f32_e32 v72, v72, v18
.LBB767_611:
	s_or_b64 exec, exec, s[2:3]
.LBB767_612:
	s_or_b64 exec, exec, s[0:1]
	s_mov_b64 s[0:1], exec
	v_readlane_b32 s2, v82, 20
	v_readlane_b32 s3, v82, 21
	s_and_b64 s[2:3], s[0:1], s[2:3]
	s_mov_b64 exec, s[2:3]
	s_cbranch_execz .LBB767_616
; %bb.613:
	global_load_ubyte v16, v[2:3], off offset:1824
	v_mov_b32_e32 v17, 0
	s_waitcnt vmcnt(0)
	v_and_b32_e32 v16, 1, v16
	v_cmp_eq_u32_e64 s[4:5], 1, v16
	s_xor_b64 s[4:5], s[4:5], -1
	s_and_saveexec_b64 s[2:3], s[4:5]
	s_cbranch_execz .LBB767_615
; %bb.614:
	v_sub_f32_e32 v15, v15, v78
	s_mov_b32 s4, 0x3fb8aa3b
	v_mul_f32_e32 v16, 0x3fb8aa3b, v15
	v_fma_f32 v17, v15, s4, -v16
	v_rndne_f32_e32 v70, v16
	v_fmac_f32_e32 v17, 0x32a5705f, v15
	v_sub_f32_e32 v16, v16, v70
	v_add_f32_e32 v16, v16, v17
	v_exp_f32_e32 v16, v16
	v_cvt_i32_f32_e32 v17, v70
	s_mov_b32 s4, 0xc2ce8ed0
	v_cmp_ngt_f32_e64 s[4:5], s4, v15
	v_ldexp_f32 v16, v16, v17
	v_cndmask_b32_e64 v16, 0, v16, s[4:5]
	s_mov_b32 s4, 0x42b17218
	v_mov_b32_e32 v17, 0x7f800000
	v_cmp_nlt_f32_e64 s[4:5], s4, v15
	v_cndmask_b32_e64 v17, v17, v16, s[4:5]
	v_add_f32_e32 v72, v72, v17
.LBB767_615:
	s_or_b64 exec, exec, s[2:3]
.LBB767_616:
	s_or_b64 exec, exec, s[0:1]
	v_mov_b32_e32 v15, 0
	v_mov_b32_e32 v16, 0
	s_mov_b64 s[0:1], exec
	v_readlane_b32 s2, v82, 24
	v_readlane_b32 s3, v82, 25
	s_and_b64 s[2:3], s[0:1], s[2:3]
	s_mov_b64 exec, s[2:3]
	s_cbranch_execz .LBB767_620
; %bb.617:
	global_load_ubyte v16, v[2:3], off offset:1856
	s_waitcnt vmcnt(0)
	v_and_b32_e32 v16, 1, v16
	v_cmp_eq_u32_e64 s[4:5], 1, v16
	s_xor_b64 s[4:5], s[4:5], -1
	v_mov_b32_e32 v16, 0
	s_and_saveexec_b64 s[2:3], s[4:5]
	s_cbranch_execz .LBB767_619
; %bb.618:
	v_sub_f32_e32 v14, v14, v78
	s_mov_b32 s4, 0x3fb8aa3b
	v_mul_f32_e32 v16, 0x3fb8aa3b, v14
	v_fma_f32 v70, v14, s4, -v16
	v_rndne_f32_e32 v79, v16
	v_fmac_f32_e32 v70, 0x32a5705f, v14
	v_sub_f32_e32 v16, v16, v79
	v_add_f32_e32 v16, v16, v70
	v_exp_f32_e32 v16, v16
	v_cvt_i32_f32_e32 v70, v79
	s_mov_b32 s4, 0xc2ce8ed0
	v_cmp_ngt_f32_e64 s[4:5], s4, v14
	v_ldexp_f32 v16, v16, v70
	v_cndmask_b32_e64 v16, 0, v16, s[4:5]
	s_mov_b32 s4, 0x42b17218
	v_mov_b32_e32 v70, 0x7f800000
	v_cmp_nlt_f32_e64 s[4:5], s4, v14
	v_cndmask_b32_e64 v16, v70, v16, s[4:5]
	v_add_f32_e32 v72, v72, v16
.LBB767_619:
	s_or_b64 exec, exec, s[2:3]
.LBB767_620:
	s_or_b64 exec, exec, s[0:1]
	s_mov_b64 s[0:1], exec
	v_readlane_b32 s2, v82, 28
	v_readlane_b32 s3, v82, 29
	s_and_b64 s[2:3], s[0:1], s[2:3]
	s_mov_b64 exec, s[2:3]
	s_cbranch_execz .LBB767_624
; %bb.621:
	global_load_ubyte v14, v[2:3], off offset:1888
	v_mov_b32_e32 v15, 0
	s_waitcnt vmcnt(0)
	v_and_b32_e32 v14, 1, v14
	v_cmp_eq_u32_e64 s[4:5], 1, v14
	s_xor_b64 s[4:5], s[4:5], -1
	s_and_saveexec_b64 s[2:3], s[4:5]
	s_cbranch_execz .LBB767_623
; %bb.622:
	v_sub_f32_e32 v13, v13, v78
	s_mov_b32 s4, 0x3fb8aa3b
	v_mul_f32_e32 v14, 0x3fb8aa3b, v13
	v_fma_f32 v15, v13, s4, -v14
	v_rndne_f32_e32 v70, v14
	v_fmac_f32_e32 v15, 0x32a5705f, v13
	v_sub_f32_e32 v14, v14, v70
	v_add_f32_e32 v14, v14, v15
	v_exp_f32_e32 v14, v14
	v_cvt_i32_f32_e32 v15, v70
	s_mov_b32 s4, 0xc2ce8ed0
	v_cmp_ngt_f32_e64 s[4:5], s4, v13
	v_ldexp_f32 v14, v14, v15
	v_cndmask_b32_e64 v14, 0, v14, s[4:5]
	s_mov_b32 s4, 0x42b17218
	v_mov_b32_e32 v15, 0x7f800000
	v_cmp_nlt_f32_e64 s[4:5], s4, v13
	v_cndmask_b32_e64 v15, v15, v14, s[4:5]
	v_add_f32_e32 v72, v72, v15
.LBB767_623:
	s_or_b64 exec, exec, s[2:3]
.LBB767_624:
	s_or_b64 exec, exec, s[0:1]
	v_mov_b32_e32 v13, 0
	v_mov_b32_e32 v14, 0
	s_mov_b64 s[0:1], exec
	v_readlane_b32 s2, v82, 32
	v_readlane_b32 s3, v82, 33
	s_and_b64 s[2:3], s[0:1], s[2:3]
	s_mov_b64 exec, s[2:3]
	s_cbranch_execz .LBB767_628
; %bb.625:
	global_load_ubyte v14, v[2:3], off offset:1920
	s_waitcnt vmcnt(0)
	v_and_b32_e32 v14, 1, v14
	v_cmp_eq_u32_e64 s[4:5], 1, v14
	s_xor_b64 s[4:5], s[4:5], -1
	v_mov_b32_e32 v14, 0
	s_and_saveexec_b64 s[2:3], s[4:5]
	s_cbranch_execz .LBB767_627
; %bb.626:
	v_sub_f32_e32 v12, v12, v78
	s_mov_b32 s4, 0x3fb8aa3b
	v_mul_f32_e32 v14, 0x3fb8aa3b, v12
	v_fma_f32 v70, v12, s4, -v14
	v_rndne_f32_e32 v79, v14
	v_fmac_f32_e32 v70, 0x32a5705f, v12
	v_sub_f32_e32 v14, v14, v79
	v_add_f32_e32 v14, v14, v70
	v_exp_f32_e32 v14, v14
	v_cvt_i32_f32_e32 v70, v79
	s_mov_b32 s4, 0xc2ce8ed0
	v_cmp_ngt_f32_e64 s[4:5], s4, v12
	v_ldexp_f32 v14, v14, v70
	v_cndmask_b32_e64 v14, 0, v14, s[4:5]
	s_mov_b32 s4, 0x42b17218
	v_mov_b32_e32 v70, 0x7f800000
	v_cmp_nlt_f32_e64 s[4:5], s4, v12
	v_cndmask_b32_e64 v14, v70, v14, s[4:5]
	v_add_f32_e32 v72, v72, v14
.LBB767_627:
	s_or_b64 exec, exec, s[2:3]
.LBB767_628:
	s_or_b64 exec, exec, s[0:1]
	s_mov_b64 s[0:1], exec
	v_readlane_b32 s2, v82, 36
	v_readlane_b32 s3, v82, 37
	s_and_b64 s[2:3], s[0:1], s[2:3]
	s_mov_b64 exec, s[2:3]
	s_cbranch_execz .LBB767_632
; %bb.629:
	global_load_ubyte v12, v[2:3], off offset:1952
	v_mov_b32_e32 v13, 0
	s_waitcnt vmcnt(0)
	v_and_b32_e32 v12, 1, v12
	v_cmp_eq_u32_e64 s[4:5], 1, v12
	s_xor_b64 s[4:5], s[4:5], -1
	s_and_saveexec_b64 s[2:3], s[4:5]
	s_cbranch_execz .LBB767_631
; %bb.630:
	v_sub_f32_e32 v11, v11, v78
	s_mov_b32 s4, 0x3fb8aa3b
	v_mul_f32_e32 v12, 0x3fb8aa3b, v11
	v_fma_f32 v13, v11, s4, -v12
	v_rndne_f32_e32 v70, v12
	v_fmac_f32_e32 v13, 0x32a5705f, v11
	v_sub_f32_e32 v12, v12, v70
	v_add_f32_e32 v12, v12, v13
	v_exp_f32_e32 v12, v12
	v_cvt_i32_f32_e32 v13, v70
	s_mov_b32 s4, 0xc2ce8ed0
	v_cmp_ngt_f32_e64 s[4:5], s4, v11
	v_ldexp_f32 v12, v12, v13
	v_cndmask_b32_e64 v12, 0, v12, s[4:5]
	s_mov_b32 s4, 0x42b17218
	v_mov_b32_e32 v13, 0x7f800000
	v_cmp_nlt_f32_e64 s[4:5], s4, v11
	v_cndmask_b32_e64 v13, v13, v12, s[4:5]
	v_add_f32_e32 v72, v72, v13
.LBB767_631:
	s_or_b64 exec, exec, s[2:3]
.LBB767_632:
	s_or_b64 exec, exec, s[0:1]
	v_mov_b32_e32 v11, 0
	v_mov_b32_e32 v12, 0
	s_mov_b64 s[0:1], exec
	v_readlane_b32 s2, v82, 40
	v_readlane_b32 s3, v82, 41
	s_and_b64 s[2:3], s[0:1], s[2:3]
	s_mov_b64 exec, s[2:3]
	s_cbranch_execz .LBB767_636
; %bb.633:
	global_load_ubyte v12, v[2:3], off offset:1984
	s_waitcnt vmcnt(0)
	v_and_b32_e32 v12, 1, v12
	v_cmp_eq_u32_e64 s[4:5], 1, v12
	s_xor_b64 s[4:5], s[4:5], -1
	v_mov_b32_e32 v12, 0
	s_and_saveexec_b64 s[2:3], s[4:5]
	s_cbranch_execz .LBB767_635
; %bb.634:
	v_sub_f32_e32 v10, v10, v78
	s_mov_b32 s4, 0x3fb8aa3b
	v_mul_f32_e32 v12, 0x3fb8aa3b, v10
	v_fma_f32 v70, v10, s4, -v12
	v_rndne_f32_e32 v79, v12
	v_fmac_f32_e32 v70, 0x32a5705f, v10
	v_sub_f32_e32 v12, v12, v79
	v_add_f32_e32 v12, v12, v70
	v_exp_f32_e32 v12, v12
	v_cvt_i32_f32_e32 v70, v79
	s_mov_b32 s4, 0xc2ce8ed0
	v_cmp_ngt_f32_e64 s[4:5], s4, v10
	v_ldexp_f32 v12, v12, v70
	v_cndmask_b32_e64 v12, 0, v12, s[4:5]
	s_mov_b32 s4, 0x42b17218
	v_mov_b32_e32 v70, 0x7f800000
	v_cmp_nlt_f32_e64 s[4:5], s4, v10
	v_cndmask_b32_e64 v12, v70, v12, s[4:5]
	v_add_f32_e32 v72, v72, v12
.LBB767_635:
	s_or_b64 exec, exec, s[2:3]
.LBB767_636:
	s_or_b64 exec, exec, s[0:1]
	s_mov_b64 s[0:1], exec
	v_readlane_b32 s2, v82, 44
	v_readlane_b32 s3, v82, 45
	s_and_b64 s[2:3], s[0:1], s[2:3]
	s_mov_b64 exec, s[2:3]
	s_cbranch_execz .LBB767_640
; %bb.637:
	global_load_ubyte v2, v[2:3], off offset:2016
	v_mov_b32_e32 v11, 0
	s_waitcnt vmcnt(0)
	v_and_b32_e32 v2, 1, v2
	v_cmp_eq_u32_e64 s[4:5], 1, v2
	s_xor_b64 s[4:5], s[4:5], -1
	s_and_saveexec_b64 s[2:3], s[4:5]
	s_cbranch_execz .LBB767_639
; %bb.638:
	v_sub_f32_e32 v2, v9, v78
	s_mov_b32 s4, 0x3fb8aa3b
	v_mul_f32_e32 v3, 0x3fb8aa3b, v2
	v_fma_f32 v9, v2, s4, -v3
	v_rndne_f32_e32 v10, v3
	v_fmac_f32_e32 v9, 0x32a5705f, v2
	v_sub_f32_e32 v3, v3, v10
	v_add_f32_e32 v3, v3, v9
	v_exp_f32_e32 v3, v3
	v_cvt_i32_f32_e32 v9, v10
	s_mov_b32 s4, 0xc2ce8ed0
	v_cmp_ngt_f32_e64 s[4:5], s4, v2
	v_ldexp_f32 v3, v3, v9
	v_cndmask_b32_e64 v3, 0, v3, s[4:5]
	s_mov_b32 s4, 0x42b17218
	v_mov_b32_e32 v9, 0x7f800000
	v_cmp_nlt_f32_e64 s[4:5], s4, v2
	v_cndmask_b32_e64 v11, v9, v3, s[4:5]
	v_add_f32_e32 v72, v72, v11
.LBB767_639:
	s_or_b64 exec, exec, s[2:3]
.LBB767_640:
	s_or_b64 exec, exec, s[0:1]
	ds_bpermute_b32 v2, v7, v72
	v_cmp_lt_i32_e64 s[4:5], 0, v8
	s_waitcnt lgkmcnt(0)
	v_add_f32_e32 v2, v72, v2
	ds_bpermute_b32 v3, v73, v2
	s_waitcnt lgkmcnt(0)
	v_add_f32_e32 v2, v2, v3
	ds_bpermute_b32 v3, v74, v2
	;; [unrolled: 3-line block ×4, first 2 shown]
	s_and_saveexec_b64 s[0:1], s[4:5]
	s_cbranch_execz .LBB767_834
; %bb.641:
	v_readlane_b32 s0, v80, 4
	v_readlane_b32 s1, v80, 5
	s_and_b64 exec, exec, s[0:1]
	s_cbranch_execz .LBB767_834
; %bb.642:
	s_waitcnt lgkmcnt(0)
	v_add_f32_e32 v2, v2, v3
	v_cmp_neq_f32_e64 s[34:35], 0, v2
	v_mov_b32_e32 v3, 0x7fc0
	s_and_saveexec_b64 s[0:1], s[34:35]
	s_cbranch_execz .LBB767_644
; %bb.643:
	v_div_scale_f32 v3, s[2:3], v2, v2, v75
	v_rcp_f32_e32 v7, v3
	v_div_scale_f32 v8, vcc, v75, v2, v75
	s_movk_i32 s2, 0x7fff
	v_fma_f32 v9, -v3, v7, 1.0
	v_fmac_f32_e32 v7, v9, v7
	v_mul_f32_e32 v9, v8, v7
	v_fma_f32 v10, -v3, v9, v8
	v_fmac_f32_e32 v9, v10, v7
	v_fma_f32 v3, -v3, v9, v8
	v_div_fmas_f32 v3, v3, v7, v9
	v_div_fixup_f32 v3, v3, v2, v75
	v_bfe_u32 v7, v3, 16, 1
	v_add3_u32 v7, v3, v7, s2
	v_lshrrev_b32_e32 v7, 16, v7
	v_mov_b32_e32 v8, 0x7fc0
	v_cmp_o_f32_e32 vcc, v3, v3
	v_cndmask_b32_e32 v3, v8, v7, vcc
.LBB767_644:
	s_or_b64 exec, exec, s[0:1]
	v_readlane_b32 s0, v80, 0
	v_readlane_b32 s1, v80, 1
	v_mov_b32_e32 v7, s1
	v_add_co_u32_e32 v0, vcc, s0, v0
	v_readlane_b32 s0, v80, 6
	v_addc_co_u32_e32 v1, vcc, v7, v1, vcc
	v_readlane_b32 s1, v80, 7
	v_readlane_b32 s2, v80, 2
	;; [unrolled: 1-line block ×3, first 2 shown]
	global_store_short v[0:1], v3, off
	s_and_b64 exec, exec, s[0:1]
	s_cbranch_execz .LBB767_834
; %bb.645:
	v_mov_b32_e32 v3, 0x7fc0
	s_and_saveexec_b64 s[0:1], s[34:35]
	s_cbranch_execz .LBB767_647
; %bb.646:
	v_div_scale_f32 v3, s[2:3], v2, v2, v4
	v_rcp_f32_e32 v7, v3
	v_div_scale_f32 v8, vcc, v4, v2, v4
	s_movk_i32 s2, 0x7fff
	v_fma_f32 v9, -v3, v7, 1.0
	v_fmac_f32_e32 v7, v9, v7
	v_mul_f32_e32 v9, v8, v7
	v_fma_f32 v10, -v3, v9, v8
	v_fmac_f32_e32 v9, v10, v7
	v_fma_f32 v3, -v3, v9, v8
	v_div_fmas_f32 v3, v3, v7, v9
	v_div_fixup_f32 v3, v3, v2, v4
	v_bfe_u32 v4, v3, 16, 1
	v_add3_u32 v4, v3, v4, s2
	v_lshrrev_b32_e32 v4, 16, v4
	v_mov_b32_e32 v7, 0x7fc0
	v_cmp_o_f32_e32 vcc, v3, v3
	v_cndmask_b32_e32 v3, v7, v4, vcc
.LBB767_647:
	s_or_b64 exec, exec, s[0:1]
	v_readlane_b32 s0, v80, 8
	v_readlane_b32 s1, v80, 9
	global_store_short v[0:1], v3, off offset:64
	s_and_b64 exec, exec, s[0:1]
	s_cbranch_execz .LBB767_834
; %bb.648:
	v_mov_b32_e32 v3, 0x7fc0
	s_and_saveexec_b64 s[0:1], s[34:35]
	s_cbranch_execz .LBB767_650
; %bb.649:
	v_div_scale_f32 v3, s[2:3], v2, v2, v71
	v_rcp_f32_e32 v4, v3
	v_div_scale_f32 v7, vcc, v71, v2, v71
	s_movk_i32 s2, 0x7fff
	v_fma_f32 v8, -v3, v4, 1.0
	v_fmac_f32_e32 v4, v8, v4
	v_mul_f32_e32 v8, v7, v4
	v_fma_f32 v9, -v3, v8, v7
	v_fmac_f32_e32 v8, v9, v4
	v_fma_f32 v3, -v3, v8, v7
	v_div_fmas_f32 v3, v3, v4, v8
	v_div_fixup_f32 v3, v3, v2, v71
	v_bfe_u32 v4, v3, 16, 1
	v_add3_u32 v4, v3, v4, s2
	v_lshrrev_b32_e32 v4, 16, v4
	v_mov_b32_e32 v7, 0x7fc0
	v_cmp_o_f32_e32 vcc, v3, v3
	v_cndmask_b32_e32 v3, v7, v4, vcc
.LBB767_650:
	s_or_b64 exec, exec, s[0:1]
	v_readlane_b32 s0, v80, 10
	v_readlane_b32 s1, v80, 11
	global_store_short v[0:1], v3, off offset:128
	;; [unrolled: 30-line block ×62, first 2 shown]
	s_and_b64 exec, exec, s[0:1]
	s_cbranch_execz .LBB767_834
; %bb.831:
	v_mov_b32_e32 v3, 0x7fc0
	s_and_saveexec_b64 s[0:1], s[34:35]
	s_cbranch_execz .LBB767_833
; %bb.832:
	v_div_scale_f32 v3, s[2:3], v2, v2, v11
	v_rcp_f32_e32 v4, v3
	v_div_scale_f32 v5, vcc, v11, v2, v11
	s_movk_i32 s2, 0x7fff
	v_fma_f32 v6, -v3, v4, 1.0
	v_fmac_f32_e32 v4, v6, v4
	v_mul_f32_e32 v6, v5, v4
	v_fma_f32 v7, -v3, v6, v5
	v_fmac_f32_e32 v6, v7, v4
	v_fma_f32 v3, -v3, v6, v5
	v_div_fmas_f32 v3, v3, v4, v6
	v_div_fixup_f32 v2, v3, v2, v11
	v_bfe_u32 v3, v2, 16, 1
	v_add3_u32 v3, v2, v3, s2
	v_lshrrev_b32_e32 v3, 16, v3
	v_mov_b32_e32 v4, 0x7fc0
	v_cmp_o_f32_e32 vcc, v2, v2
	v_cndmask_b32_e32 v3, v4, v3, vcc
.LBB767_833:
	s_or_b64 exec, exec, s[0:1]
	global_store_short v[0:1], v3, off offset:4032
.LBB767_834:
	s_endpgm
	.section	.rodata,"a",@progbits
	.p2align	6, 0x0
	.amdhsa_kernel _ZN12_GLOBAL__N_120softmax_warp_forwardIN3c108BFloat16ES2_fLi11ELb0ELb1ELi32EEEvPT0_PKT_iiiPKbib
		.amdhsa_group_segment_fixed_size 0
		.amdhsa_private_segment_fixed_size 0
		.amdhsa_kernarg_size 304
		.amdhsa_user_sgpr_count 6
		.amdhsa_user_sgpr_private_segment_buffer 1
		.amdhsa_user_sgpr_dispatch_ptr 0
		.amdhsa_user_sgpr_queue_ptr 0
		.amdhsa_user_sgpr_kernarg_segment_ptr 1
		.amdhsa_user_sgpr_dispatch_id 0
		.amdhsa_user_sgpr_flat_scratch_init 0
		.amdhsa_user_sgpr_kernarg_preload_length 0
		.amdhsa_user_sgpr_kernarg_preload_offset 0
		.amdhsa_user_sgpr_private_segment_size 0
		.amdhsa_uses_dynamic_stack 0
		.amdhsa_system_sgpr_private_segment_wavefront_offset 0
		.amdhsa_system_sgpr_workgroup_id_x 1
		.amdhsa_system_sgpr_workgroup_id_y 0
		.amdhsa_system_sgpr_workgroup_id_z 0
		.amdhsa_system_sgpr_workgroup_info 0
		.amdhsa_system_vgpr_workitem_id 1
		.amdhsa_next_free_vgpr 83
		.amdhsa_next_free_sgpr 96
		.amdhsa_accum_offset 84
		.amdhsa_reserve_vcc 1
		.amdhsa_reserve_flat_scratch 0
		.amdhsa_float_round_mode_32 0
		.amdhsa_float_round_mode_16_64 0
		.amdhsa_float_denorm_mode_32 3
		.amdhsa_float_denorm_mode_16_64 3
		.amdhsa_dx10_clamp 1
		.amdhsa_ieee_mode 1
		.amdhsa_fp16_overflow 0
		.amdhsa_tg_split 0
		.amdhsa_exception_fp_ieee_invalid_op 0
		.amdhsa_exception_fp_denorm_src 0
		.amdhsa_exception_fp_ieee_div_zero 0
		.amdhsa_exception_fp_ieee_overflow 0
		.amdhsa_exception_fp_ieee_underflow 0
		.amdhsa_exception_fp_ieee_inexact 0
		.amdhsa_exception_int_div_zero 0
	.end_amdhsa_kernel
	.section	.text._ZN12_GLOBAL__N_120softmax_warp_forwardIN3c108BFloat16ES2_fLi11ELb0ELb1ELi32EEEvPT0_PKT_iiiPKbib,"axG",@progbits,_ZN12_GLOBAL__N_120softmax_warp_forwardIN3c108BFloat16ES2_fLi11ELb0ELb1ELi32EEEvPT0_PKT_iiiPKbib,comdat
.Lfunc_end767:
	.size	_ZN12_GLOBAL__N_120softmax_warp_forwardIN3c108BFloat16ES2_fLi11ELb0ELb1ELi32EEEvPT0_PKT_iiiPKbib, .Lfunc_end767-_ZN12_GLOBAL__N_120softmax_warp_forwardIN3c108BFloat16ES2_fLi11ELb0ELb1ELi32EEEvPT0_PKT_iiiPKbib
                                        ; -- End function
	.section	.AMDGPU.csdata,"",@progbits
; Kernel info:
; codeLenInByte = 35280
; NumSgprs: 100
; NumVgprs: 83
; NumAgprs: 0
; TotalNumVgprs: 83
; ScratchSize: 0
; MemoryBound: 0
; FloatMode: 240
; IeeeMode: 1
; LDSByteSize: 0 bytes/workgroup (compile time only)
; SGPRBlocks: 12
; VGPRBlocks: 10
; NumSGPRsForWavesPerEU: 100
; NumVGPRsForWavesPerEU: 83
; AccumOffset: 84
; Occupancy: 5
; WaveLimiterHint : 0
; COMPUTE_PGM_RSRC2:SCRATCH_EN: 0
; COMPUTE_PGM_RSRC2:USER_SGPR: 6
; COMPUTE_PGM_RSRC2:TRAP_HANDLER: 0
; COMPUTE_PGM_RSRC2:TGID_X_EN: 1
; COMPUTE_PGM_RSRC2:TGID_Y_EN: 0
; COMPUTE_PGM_RSRC2:TGID_Z_EN: 0
; COMPUTE_PGM_RSRC2:TIDIG_COMP_CNT: 1
; COMPUTE_PGM_RSRC3_GFX90A:ACCUM_OFFSET: 20
; COMPUTE_PGM_RSRC3_GFX90A:TG_SPLIT: 0
	.section	.text._ZN12_GLOBAL__N_121softmax_warp_backwardIdddLi0ELb0ELb1ELi64EEEvPT0_PKT_S5_iiiPKb,"axG",@progbits,_ZN12_GLOBAL__N_121softmax_warp_backwardIdddLi0ELb0ELb1ELi64EEEvPT0_PKT_S5_iiiPKb,comdat
	.globl	_ZN12_GLOBAL__N_121softmax_warp_backwardIdddLi0ELb0ELb1ELi64EEEvPT0_PKT_S5_iiiPKb ; -- Begin function _ZN12_GLOBAL__N_121softmax_warp_backwardIdddLi0ELb0ELb1ELi64EEEvPT0_PKT_S5_iiiPKb
	.p2align	8
	.type	_ZN12_GLOBAL__N_121softmax_warp_backwardIdddLi0ELb0ELb1ELi64EEEvPT0_PKT_S5_iiiPKb,@function
_ZN12_GLOBAL__N_121softmax_warp_backwardIdddLi0ELb0ELb1ELi64EEEvPT0_PKT_S5_iiiPKb: ; @_ZN12_GLOBAL__N_121softmax_warp_backwardIdddLi0ELb0ELb1ELi64EEEvPT0_PKT_S5_iiiPKb
; %bb.0:
	s_load_dword s2, s[4:5], 0x3c
	s_load_dwordx4 s[8:11], s[4:5], 0x18
	s_load_dwordx4 s[12:15], s[4:5], 0x0
	s_load_dwordx2 s[0:1], s[4:5], 0x10
	v_bfe_u32 v0, v0, 10, 10
	s_waitcnt lgkmcnt(0)
	s_lshr_b32 s2, s2, 16
	s_mul_i32 s6, s6, s2
	v_add_lshl_u32 v0, s6, v0, 1
	v_mul_lo_u32 v10, v0, s9
	v_ashrrev_i32_e32 v11, 31, v10
	v_lshlrev_b64 v[2:3], 3, v[10:11]
	v_sub_u32_e32 v16, s8, v0
	v_mov_b32_e32 v0, s15
	v_add_co_u32_e32 v12, vcc, s14, v2
	v_addc_co_u32_e32 v13, vcc, v0, v3, vcc
	v_mov_b32_e32 v0, s1
	v_add_co_u32_e32 v14, vcc, s0, v2
	v_addc_co_u32_e32 v15, vcc, v0, v3, vcc
	s_cmp_gt_i32 s10, 0
	s_cselect_b64 s[6:7], -1, 0
	v_cmp_lt_i32_e32 vcc, 0, v16
	v_pk_mov_b32 v[0:1], 0, 0
	s_and_b64 s[2:3], s[6:7], vcc
	v_pk_mov_b32 v[4:5], v[0:1], v[0:1] op_sel:[0,1]
	v_pk_mov_b32 v[6:7], v[0:1], v[0:1] op_sel:[0,1]
	s_and_saveexec_b64 s[0:1], s[2:3]
	s_cbranch_execz .LBB768_2
; %bb.1:
	global_load_dwordx2 v[4:5], v[12:13], off
	global_load_dwordx2 v[6:7], v[14:15], off
.LBB768_2:
	s_or_b64 exec, exec, s[0:1]
	v_cmp_lt_i32_e64 s[0:1], 1, v16
	s_and_b64 s[0:1], s[6:7], s[0:1]
	v_pk_mov_b32 v[8:9], v[0:1], v[0:1] op_sel:[0,1]
	s_and_saveexec_b64 s[2:3], s[0:1]
	s_cbranch_execz .LBB768_4
; %bb.3:
	s_mov_b32 s11, 0
	s_lshl_b64 s[8:9], s[10:11], 3
	v_mov_b32_e32 v9, s9
	v_add_co_u32_e64 v0, s[0:1], s8, v12
	v_addc_co_u32_e64 v1, s[0:1], v13, v9, s[0:1]
	v_add_co_u32_e64 v8, s[0:1], s8, v14
	v_addc_co_u32_e64 v9, s[0:1], v15, v9, s[0:1]
	global_load_dwordx2 v[0:1], v[0:1], off
	s_nop 0
	global_load_dwordx2 v[8:9], v[8:9], off
.LBB768_4:
	s_or_b64 exec, exec, s[2:3]
	s_and_saveexec_b64 s[0:1], vcc
	s_cbranch_execz .LBB768_10
; %bb.5:
	s_load_dwordx2 s[0:1], s[4:5], 0x28
	s_ashr_i32 s2, s10, 31
	v_mov_b32_e32 v13, s2
	s_waitcnt vmcnt(1)
	v_add_f64 v[14:15], v[0:1], 0
	v_mov_b32_e32 v18, s13
	s_waitcnt lgkmcnt(0)
	v_mov_b32_e32 v12, s1
	v_add_co_u32_e32 v10, vcc, s0, v10
	v_addc_co_u32_e32 v11, vcc, v12, v11, vcc
	global_load_ubyte v12, v[10:11], off
	v_add_co_u32_e32 v10, vcc, s10, v10
	v_addc_co_u32_e32 v11, vcc, v11, v13, vcc
	global_load_ubyte v17, v[10:11], off
	v_add_f64 v[10:11], v[4:5], 0
	v_cndmask_b32_e64 v13, 0, 1, s[6:7]
	v_cmp_ne_u32_e64 s[2:3], 1, v13
	s_andn2_b64 vcc, exec, s[6:7]
	v_add_co_u32_e64 v2, s[6:7], s12, v2
	v_addc_co_u32_e64 v3, s[6:7], v18, v3, s[6:7]
	s_waitcnt vmcnt(1)
	v_and_b32_e32 v12, 1, v12
	v_cmp_eq_u32_e64 s[4:5], 1, v12
	v_cndmask_b32_e64 v13, v11, 0, s[4:5]
	v_cndmask_b32_e64 v12, v10, 0, s[4:5]
	s_waitcnt vmcnt(0)
	v_and_b32_e32 v11, 1, v17
	v_cmp_eq_u32_e64 s[0:1], 1, v11
	v_cndmask_b32_e64 v11, v15, 0, s[0:1]
	v_cndmask_b32_e64 v10, v14, 0, s[0:1]
	s_cbranch_vccnz .LBB768_7
; %bb.6:
	v_fma_f64 v[4:5], -v[12:13], v[6:7], v[4:5]
	v_cndmask_b32_e64 v5, v5, 0, s[4:5]
	v_cndmask_b32_e64 v4, v4, 0, s[4:5]
	global_store_dwordx2 v[2:3], v[4:5], off
.LBB768_7:
	v_cmp_ne_u32_e32 vcc, 1, v16
	s_and_b64 exec, exec, vcc
	s_cbranch_execz .LBB768_10
; %bb.8:
	s_and_b64 vcc, exec, s[2:3]
	s_cbranch_vccnz .LBB768_10
; %bb.9:
	s_mov_b32 s11, 0
	s_lshl_b64 s[2:3], s[10:11], 3
	v_fma_f64 v[0:1], -v[10:11], v[8:9], v[0:1]
	v_mov_b32_e32 v4, s3
	v_add_co_u32_e32 v2, vcc, s2, v2
	v_addc_co_u32_e32 v3, vcc, v3, v4, vcc
	v_cndmask_b32_e64 v1, v1, 0, s[0:1]
	v_cndmask_b32_e64 v0, v0, 0, s[0:1]
	global_store_dwordx2 v[2:3], v[0:1], off
.LBB768_10:
	s_endpgm
	.section	.rodata,"a",@progbits
	.p2align	6, 0x0
	.amdhsa_kernel _ZN12_GLOBAL__N_121softmax_warp_backwardIdddLi0ELb0ELb1ELi64EEEvPT0_PKT_S5_iiiPKb
		.amdhsa_group_segment_fixed_size 0
		.amdhsa_private_segment_fixed_size 0
		.amdhsa_kernarg_size 304
		.amdhsa_user_sgpr_count 6
		.amdhsa_user_sgpr_private_segment_buffer 1
		.amdhsa_user_sgpr_dispatch_ptr 0
		.amdhsa_user_sgpr_queue_ptr 0
		.amdhsa_user_sgpr_kernarg_segment_ptr 1
		.amdhsa_user_sgpr_dispatch_id 0
		.amdhsa_user_sgpr_flat_scratch_init 0
		.amdhsa_user_sgpr_kernarg_preload_length 0
		.amdhsa_user_sgpr_kernarg_preload_offset 0
		.amdhsa_user_sgpr_private_segment_size 0
		.amdhsa_uses_dynamic_stack 0
		.amdhsa_system_sgpr_private_segment_wavefront_offset 0
		.amdhsa_system_sgpr_workgroup_id_x 1
		.amdhsa_system_sgpr_workgroup_id_y 0
		.amdhsa_system_sgpr_workgroup_id_z 0
		.amdhsa_system_sgpr_workgroup_info 0
		.amdhsa_system_vgpr_workitem_id 1
		.amdhsa_next_free_vgpr 19
		.amdhsa_next_free_sgpr 16
		.amdhsa_accum_offset 20
		.amdhsa_reserve_vcc 1
		.amdhsa_reserve_flat_scratch 0
		.amdhsa_float_round_mode_32 0
		.amdhsa_float_round_mode_16_64 0
		.amdhsa_float_denorm_mode_32 3
		.amdhsa_float_denorm_mode_16_64 3
		.amdhsa_dx10_clamp 1
		.amdhsa_ieee_mode 1
		.amdhsa_fp16_overflow 0
		.amdhsa_tg_split 0
		.amdhsa_exception_fp_ieee_invalid_op 0
		.amdhsa_exception_fp_denorm_src 0
		.amdhsa_exception_fp_ieee_div_zero 0
		.amdhsa_exception_fp_ieee_overflow 0
		.amdhsa_exception_fp_ieee_underflow 0
		.amdhsa_exception_fp_ieee_inexact 0
		.amdhsa_exception_int_div_zero 0
	.end_amdhsa_kernel
	.section	.text._ZN12_GLOBAL__N_121softmax_warp_backwardIdddLi0ELb0ELb1ELi64EEEvPT0_PKT_S5_iiiPKb,"axG",@progbits,_ZN12_GLOBAL__N_121softmax_warp_backwardIdddLi0ELb0ELb1ELi64EEEvPT0_PKT_S5_iiiPKb,comdat
.Lfunc_end768:
	.size	_ZN12_GLOBAL__N_121softmax_warp_backwardIdddLi0ELb0ELb1ELi64EEEvPT0_PKT_S5_iiiPKb, .Lfunc_end768-_ZN12_GLOBAL__N_121softmax_warp_backwardIdddLi0ELb0ELb1ELi64EEEvPT0_PKT_S5_iiiPKb
                                        ; -- End function
	.section	.AMDGPU.csdata,"",@progbits
; Kernel info:
; codeLenInByte = 572
; NumSgprs: 20
; NumVgprs: 19
; NumAgprs: 0
; TotalNumVgprs: 19
; ScratchSize: 0
; MemoryBound: 0
; FloatMode: 240
; IeeeMode: 1
; LDSByteSize: 0 bytes/workgroup (compile time only)
; SGPRBlocks: 2
; VGPRBlocks: 2
; NumSGPRsForWavesPerEU: 20
; NumVGPRsForWavesPerEU: 19
; AccumOffset: 20
; Occupancy: 8
; WaveLimiterHint : 0
; COMPUTE_PGM_RSRC2:SCRATCH_EN: 0
; COMPUTE_PGM_RSRC2:USER_SGPR: 6
; COMPUTE_PGM_RSRC2:TRAP_HANDLER: 0
; COMPUTE_PGM_RSRC2:TGID_X_EN: 1
; COMPUTE_PGM_RSRC2:TGID_Y_EN: 0
; COMPUTE_PGM_RSRC2:TGID_Z_EN: 0
; COMPUTE_PGM_RSRC2:TIDIG_COMP_CNT: 1
; COMPUTE_PGM_RSRC3_GFX90A:ACCUM_OFFSET: 4
; COMPUTE_PGM_RSRC3_GFX90A:TG_SPLIT: 0
	.section	.text._ZN12_GLOBAL__N_121softmax_warp_backwardIdddLi0ELb0ELb1ELi32EEEvPT0_PKT_S5_iiiPKb,"axG",@progbits,_ZN12_GLOBAL__N_121softmax_warp_backwardIdddLi0ELb0ELb1ELi32EEEvPT0_PKT_S5_iiiPKb,comdat
	.globl	_ZN12_GLOBAL__N_121softmax_warp_backwardIdddLi0ELb0ELb1ELi32EEEvPT0_PKT_S5_iiiPKb ; -- Begin function _ZN12_GLOBAL__N_121softmax_warp_backwardIdddLi0ELb0ELb1ELi32EEEvPT0_PKT_S5_iiiPKb
	.p2align	8
	.type	_ZN12_GLOBAL__N_121softmax_warp_backwardIdddLi0ELb0ELb1ELi32EEEvPT0_PKT_S5_iiiPKb,@function
_ZN12_GLOBAL__N_121softmax_warp_backwardIdddLi0ELb0ELb1ELi32EEEvPT0_PKT_S5_iiiPKb: ; @_ZN12_GLOBAL__N_121softmax_warp_backwardIdddLi0ELb0ELb1ELi32EEEvPT0_PKT_S5_iiiPKb
; %bb.0:
	s_load_dword s2, s[4:5], 0x3c
	s_load_dwordx4 s[8:11], s[4:5], 0x18
	s_load_dwordx4 s[12:15], s[4:5], 0x0
	s_load_dwordx2 s[0:1], s[4:5], 0x10
	v_bfe_u32 v0, v0, 10, 10
	s_waitcnt lgkmcnt(0)
	s_lshr_b32 s2, s2, 16
	s_mul_i32 s6, s6, s2
	v_add_lshl_u32 v0, s6, v0, 1
	v_mul_lo_u32 v10, v0, s9
	v_ashrrev_i32_e32 v11, 31, v10
	v_lshlrev_b64 v[2:3], 3, v[10:11]
	v_sub_u32_e32 v16, s8, v0
	v_mov_b32_e32 v0, s15
	v_add_co_u32_e32 v12, vcc, s14, v2
	v_addc_co_u32_e32 v13, vcc, v0, v3, vcc
	v_mov_b32_e32 v0, s1
	v_add_co_u32_e32 v14, vcc, s0, v2
	v_addc_co_u32_e32 v15, vcc, v0, v3, vcc
	s_cmp_gt_i32 s10, 0
	s_cselect_b64 s[6:7], -1, 0
	v_cmp_lt_i32_e32 vcc, 0, v16
	v_pk_mov_b32 v[0:1], 0, 0
	s_and_b64 s[2:3], s[6:7], vcc
	v_pk_mov_b32 v[4:5], v[0:1], v[0:1] op_sel:[0,1]
	v_pk_mov_b32 v[6:7], v[0:1], v[0:1] op_sel:[0,1]
	s_and_saveexec_b64 s[0:1], s[2:3]
	s_cbranch_execz .LBB769_2
; %bb.1:
	global_load_dwordx2 v[4:5], v[12:13], off
	global_load_dwordx2 v[6:7], v[14:15], off
.LBB769_2:
	s_or_b64 exec, exec, s[0:1]
	v_cmp_lt_i32_e64 s[0:1], 1, v16
	s_and_b64 s[0:1], s[6:7], s[0:1]
	v_pk_mov_b32 v[8:9], v[0:1], v[0:1] op_sel:[0,1]
	s_and_saveexec_b64 s[2:3], s[0:1]
	s_cbranch_execz .LBB769_4
; %bb.3:
	s_mov_b32 s11, 0
	s_lshl_b64 s[8:9], s[10:11], 3
	v_mov_b32_e32 v9, s9
	v_add_co_u32_e64 v0, s[0:1], s8, v12
	v_addc_co_u32_e64 v1, s[0:1], v13, v9, s[0:1]
	v_add_co_u32_e64 v8, s[0:1], s8, v14
	v_addc_co_u32_e64 v9, s[0:1], v15, v9, s[0:1]
	global_load_dwordx2 v[0:1], v[0:1], off
	s_nop 0
	global_load_dwordx2 v[8:9], v[8:9], off
.LBB769_4:
	s_or_b64 exec, exec, s[2:3]
	s_and_saveexec_b64 s[0:1], vcc
	s_cbranch_execz .LBB769_10
; %bb.5:
	s_load_dwordx2 s[0:1], s[4:5], 0x28
	s_ashr_i32 s2, s10, 31
	v_mov_b32_e32 v13, s2
	s_waitcnt vmcnt(1)
	v_add_f64 v[14:15], v[0:1], 0
	v_mov_b32_e32 v18, s13
	s_waitcnt lgkmcnt(0)
	v_mov_b32_e32 v12, s1
	v_add_co_u32_e32 v10, vcc, s0, v10
	v_addc_co_u32_e32 v11, vcc, v12, v11, vcc
	global_load_ubyte v12, v[10:11], off
	v_add_co_u32_e32 v10, vcc, s10, v10
	v_addc_co_u32_e32 v11, vcc, v11, v13, vcc
	global_load_ubyte v17, v[10:11], off
	v_add_f64 v[10:11], v[4:5], 0
	v_cndmask_b32_e64 v13, 0, 1, s[6:7]
	v_cmp_ne_u32_e64 s[2:3], 1, v13
	s_andn2_b64 vcc, exec, s[6:7]
	v_add_co_u32_e64 v2, s[6:7], s12, v2
	v_addc_co_u32_e64 v3, s[6:7], v18, v3, s[6:7]
	s_waitcnt vmcnt(1)
	v_and_b32_e32 v12, 1, v12
	v_cmp_eq_u32_e64 s[4:5], 1, v12
	v_cndmask_b32_e64 v13, v11, 0, s[4:5]
	v_cndmask_b32_e64 v12, v10, 0, s[4:5]
	s_waitcnt vmcnt(0)
	v_and_b32_e32 v11, 1, v17
	v_cmp_eq_u32_e64 s[0:1], 1, v11
	v_cndmask_b32_e64 v11, v15, 0, s[0:1]
	v_cndmask_b32_e64 v10, v14, 0, s[0:1]
	s_cbranch_vccnz .LBB769_7
; %bb.6:
	v_fma_f64 v[4:5], -v[12:13], v[6:7], v[4:5]
	v_cndmask_b32_e64 v5, v5, 0, s[4:5]
	v_cndmask_b32_e64 v4, v4, 0, s[4:5]
	global_store_dwordx2 v[2:3], v[4:5], off
.LBB769_7:
	v_cmp_ne_u32_e32 vcc, 1, v16
	s_and_b64 exec, exec, vcc
	s_cbranch_execz .LBB769_10
; %bb.8:
	s_and_b64 vcc, exec, s[2:3]
	s_cbranch_vccnz .LBB769_10
; %bb.9:
	s_mov_b32 s11, 0
	s_lshl_b64 s[2:3], s[10:11], 3
	v_fma_f64 v[0:1], -v[10:11], v[8:9], v[0:1]
	v_mov_b32_e32 v4, s3
	v_add_co_u32_e32 v2, vcc, s2, v2
	v_addc_co_u32_e32 v3, vcc, v3, v4, vcc
	v_cndmask_b32_e64 v1, v1, 0, s[0:1]
	v_cndmask_b32_e64 v0, v0, 0, s[0:1]
	global_store_dwordx2 v[2:3], v[0:1], off
.LBB769_10:
	s_endpgm
	.section	.rodata,"a",@progbits
	.p2align	6, 0x0
	.amdhsa_kernel _ZN12_GLOBAL__N_121softmax_warp_backwardIdddLi0ELb0ELb1ELi32EEEvPT0_PKT_S5_iiiPKb
		.amdhsa_group_segment_fixed_size 0
		.amdhsa_private_segment_fixed_size 0
		.amdhsa_kernarg_size 304
		.amdhsa_user_sgpr_count 6
		.amdhsa_user_sgpr_private_segment_buffer 1
		.amdhsa_user_sgpr_dispatch_ptr 0
		.amdhsa_user_sgpr_queue_ptr 0
		.amdhsa_user_sgpr_kernarg_segment_ptr 1
		.amdhsa_user_sgpr_dispatch_id 0
		.amdhsa_user_sgpr_flat_scratch_init 0
		.amdhsa_user_sgpr_kernarg_preload_length 0
		.amdhsa_user_sgpr_kernarg_preload_offset 0
		.amdhsa_user_sgpr_private_segment_size 0
		.amdhsa_uses_dynamic_stack 0
		.amdhsa_system_sgpr_private_segment_wavefront_offset 0
		.amdhsa_system_sgpr_workgroup_id_x 1
		.amdhsa_system_sgpr_workgroup_id_y 0
		.amdhsa_system_sgpr_workgroup_id_z 0
		.amdhsa_system_sgpr_workgroup_info 0
		.amdhsa_system_vgpr_workitem_id 1
		.amdhsa_next_free_vgpr 19
		.amdhsa_next_free_sgpr 16
		.amdhsa_accum_offset 20
		.amdhsa_reserve_vcc 1
		.amdhsa_reserve_flat_scratch 0
		.amdhsa_float_round_mode_32 0
		.amdhsa_float_round_mode_16_64 0
		.amdhsa_float_denorm_mode_32 3
		.amdhsa_float_denorm_mode_16_64 3
		.amdhsa_dx10_clamp 1
		.amdhsa_ieee_mode 1
		.amdhsa_fp16_overflow 0
		.amdhsa_tg_split 0
		.amdhsa_exception_fp_ieee_invalid_op 0
		.amdhsa_exception_fp_denorm_src 0
		.amdhsa_exception_fp_ieee_div_zero 0
		.amdhsa_exception_fp_ieee_overflow 0
		.amdhsa_exception_fp_ieee_underflow 0
		.amdhsa_exception_fp_ieee_inexact 0
		.amdhsa_exception_int_div_zero 0
	.end_amdhsa_kernel
	.section	.text._ZN12_GLOBAL__N_121softmax_warp_backwardIdddLi0ELb0ELb1ELi32EEEvPT0_PKT_S5_iiiPKb,"axG",@progbits,_ZN12_GLOBAL__N_121softmax_warp_backwardIdddLi0ELb0ELb1ELi32EEEvPT0_PKT_S5_iiiPKb,comdat
.Lfunc_end769:
	.size	_ZN12_GLOBAL__N_121softmax_warp_backwardIdddLi0ELb0ELb1ELi32EEEvPT0_PKT_S5_iiiPKb, .Lfunc_end769-_ZN12_GLOBAL__N_121softmax_warp_backwardIdddLi0ELb0ELb1ELi32EEEvPT0_PKT_S5_iiiPKb
                                        ; -- End function
	.section	.AMDGPU.csdata,"",@progbits
; Kernel info:
; codeLenInByte = 572
; NumSgprs: 20
; NumVgprs: 19
; NumAgprs: 0
; TotalNumVgprs: 19
; ScratchSize: 0
; MemoryBound: 0
; FloatMode: 240
; IeeeMode: 1
; LDSByteSize: 0 bytes/workgroup (compile time only)
; SGPRBlocks: 2
; VGPRBlocks: 2
; NumSGPRsForWavesPerEU: 20
; NumVGPRsForWavesPerEU: 19
; AccumOffset: 20
; Occupancy: 8
; WaveLimiterHint : 0
; COMPUTE_PGM_RSRC2:SCRATCH_EN: 0
; COMPUTE_PGM_RSRC2:USER_SGPR: 6
; COMPUTE_PGM_RSRC2:TRAP_HANDLER: 0
; COMPUTE_PGM_RSRC2:TGID_X_EN: 1
; COMPUTE_PGM_RSRC2:TGID_Y_EN: 0
; COMPUTE_PGM_RSRC2:TGID_Z_EN: 0
; COMPUTE_PGM_RSRC2:TIDIG_COMP_CNT: 1
; COMPUTE_PGM_RSRC3_GFX90A:ACCUM_OFFSET: 4
; COMPUTE_PGM_RSRC3_GFX90A:TG_SPLIT: 0
	.section	.text._ZN12_GLOBAL__N_121softmax_warp_backwardIdddLi1ELb0ELb1ELi64EEEvPT0_PKT_S5_iiiPKb,"axG",@progbits,_ZN12_GLOBAL__N_121softmax_warp_backwardIdddLi1ELb0ELb1ELi64EEEvPT0_PKT_S5_iiiPKb,comdat
	.globl	_ZN12_GLOBAL__N_121softmax_warp_backwardIdddLi1ELb0ELb1ELi64EEEvPT0_PKT_S5_iiiPKb ; -- Begin function _ZN12_GLOBAL__N_121softmax_warp_backwardIdddLi1ELb0ELb1ELi64EEEvPT0_PKT_S5_iiiPKb
	.p2align	8
	.type	_ZN12_GLOBAL__N_121softmax_warp_backwardIdddLi1ELb0ELb1ELi64EEEvPT0_PKT_S5_iiiPKb,@function
_ZN12_GLOBAL__N_121softmax_warp_backwardIdddLi1ELb0ELb1ELi64EEEvPT0_PKT_S5_iiiPKb: ; @_ZN12_GLOBAL__N_121softmax_warp_backwardIdddLi1ELb0ELb1ELi64EEEvPT0_PKT_S5_iiiPKb
; %bb.0:
	s_load_dword s2, s[4:5], 0x3c
	s_load_dwordx4 s[8:11], s[4:5], 0x18
	s_load_dwordx4 s[12:15], s[4:5], 0x0
	s_load_dwordx2 s[0:1], s[4:5], 0x10
	v_bfe_u32 v1, v0, 10, 10
	s_waitcnt lgkmcnt(0)
	s_lshr_b32 s2, s2, 16
	s_mul_i32 s6, s6, s2
	v_add_lshl_u32 v1, s6, v1, 1
	v_sub_u32_e32 v18, s8, v1
	v_mul_lo_u32 v1, v1, s9
	v_and_b32_e32 v0, 1, v0
	v_or_b32_e32 v10, v1, v0
	v_ashrrev_i32_e32 v11, 31, v10
	v_lshlrev_b64 v[2:3], 3, v[10:11]
	v_mov_b32_e32 v1, s15
	v_add_co_u32_e32 v12, vcc, s14, v2
	v_addc_co_u32_e32 v13, vcc, v1, v3, vcc
	v_mov_b32_e32 v1, s1
	v_add_co_u32_e32 v14, vcc, s0, v2
	v_addc_co_u32_e32 v15, vcc, v1, v3, vcc
	v_cmp_gt_i32_e32 vcc, s10, v0
	v_cmp_lt_i32_e64 s[0:1], 0, v18
	v_pk_mov_b32 v[0:1], 0, 0
	s_and_b64 s[6:7], vcc, s[0:1]
	v_pk_mov_b32 v[4:5], v[0:1], v[0:1] op_sel:[0,1]
	v_pk_mov_b32 v[6:7], v[0:1], v[0:1] op_sel:[0,1]
	s_and_saveexec_b64 s[2:3], s[6:7]
	s_cbranch_execz .LBB770_2
; %bb.1:
	global_load_dwordx2 v[4:5], v[12:13], off
	global_load_dwordx2 v[6:7], v[14:15], off
.LBB770_2:
	s_or_b64 exec, exec, s[2:3]
	v_cmp_lt_i32_e64 s[2:3], 1, v18
	s_and_b64 s[2:3], vcc, s[2:3]
	v_pk_mov_b32 v[8:9], v[0:1], v[0:1] op_sel:[0,1]
	s_and_saveexec_b64 s[6:7], s[2:3]
	s_cbranch_execz .LBB770_4
; %bb.3:
	s_mov_b32 s11, 0
	s_lshl_b64 s[8:9], s[10:11], 3
	v_mov_b32_e32 v9, s9
	v_add_co_u32_e64 v0, s[2:3], s8, v12
	v_addc_co_u32_e64 v1, s[2:3], v13, v9, s[2:3]
	v_add_co_u32_e64 v8, s[2:3], s8, v14
	v_addc_co_u32_e64 v9, s[2:3], v15, v9, s[2:3]
	global_load_dwordx2 v[0:1], v[0:1], off
	s_nop 0
	global_load_dwordx2 v[8:9], v[8:9], off
.LBB770_4:
	s_or_b64 exec, exec, s[6:7]
	s_load_dwordx2 s[2:3], s[4:5], 0x28
	s_ashr_i32 s4, s10, 31
	v_mbcnt_lo_u32_b32 v15, -1, 0
	v_mbcnt_hi_u32_b32 v15, -1, v15
	v_and_b32_e32 v19, 0x7e, v15
	s_waitcnt lgkmcnt(0)
	v_mov_b32_e32 v12, s3
	v_add_co_u32_e64 v10, s[2:3], s2, v10
	v_addc_co_u32_e64 v11, s[2:3], v12, v11, s[2:3]
	global_load_ubyte v14, v[10:11], off
	v_mov_b32_e32 v12, s4
	v_add_co_u32_e64 v10, s[2:3], s10, v10
	v_addc_co_u32_e64 v11, s[2:3], v11, v12, s[2:3]
	global_load_ubyte v16, v[10:11], off
	v_xor_b32_e32 v17, 1, v15
	v_add_u32_e32 v19, 2, v19
	v_cmp_lt_i32_e64 s[2:3], v17, v19
	s_waitcnt vmcnt(3)
	v_add_f64 v[10:11], v[4:5], 0
	v_cndmask_b32_e64 v15, v15, v17, s[2:3]
	v_lshlrev_b32_e32 v19, 2, v15
	v_add_f64 v[12:13], v[0:1], 0
	s_waitcnt vmcnt(1)
	v_and_b32_e32 v14, 1, v14
	v_cmp_eq_u32_e64 s[4:5], 1, v14
	v_cndmask_b32_e64 v15, v11, 0, s[4:5]
	v_cndmask_b32_e64 v14, v10, 0, s[4:5]
	ds_bpermute_b32 v17, v19, v15
	s_waitcnt vmcnt(0)
	v_and_b32_e32 v11, 1, v16
	v_cmp_eq_u32_e64 s[2:3], 1, v11
	v_cndmask_b32_e64 v11, v13, 0, s[2:3]
	v_cndmask_b32_e64 v10, v12, 0, s[2:3]
	ds_bpermute_b32 v16, v19, v14
	ds_bpermute_b32 v12, v19, v10
	ds_bpermute_b32 v13, v19, v11
	s_and_saveexec_b64 s[6:7], s[0:1]
	s_cbranch_execz .LBB770_10
; %bb.5:
	v_mov_b32_e32 v19, s13
	v_add_co_u32_e64 v2, s[0:1], s12, v2
	v_addc_co_u32_e64 v3, s[0:1], v19, v3, s[0:1]
	s_and_saveexec_b64 s[0:1], vcc
	s_cbranch_execz .LBB770_7
; %bb.6:
	s_waitcnt lgkmcnt(2)
	v_add_f64 v[14:15], v[14:15], v[16:17]
	v_fma_f64 v[4:5], -v[14:15], v[6:7], v[4:5]
	v_cndmask_b32_e64 v5, v5, 0, s[4:5]
	v_cndmask_b32_e64 v4, v4, 0, s[4:5]
	global_store_dwordx2 v[2:3], v[4:5], off
.LBB770_7:
	s_or_b64 exec, exec, s[0:1]
	v_cmp_ne_u32_e64 s[0:1], 1, v18
	s_and_b64 exec, exec, s[0:1]
	s_cbranch_execz .LBB770_10
; %bb.8:
	s_and_b64 exec, exec, vcc
	s_cbranch_execz .LBB770_10
; %bb.9:
	s_mov_b32 s11, 0
	s_waitcnt lgkmcnt(0)
	v_add_f64 v[4:5], v[10:11], v[12:13]
	s_lshl_b64 s[0:1], s[10:11], 3
	v_fma_f64 v[0:1], -v[4:5], v[8:9], v[0:1]
	v_mov_b32_e32 v4, s1
	v_add_co_u32_e32 v2, vcc, s0, v2
	v_addc_co_u32_e32 v3, vcc, v3, v4, vcc
	v_cndmask_b32_e64 v1, v1, 0, s[2:3]
	v_cndmask_b32_e64 v0, v0, 0, s[2:3]
	global_store_dwordx2 v[2:3], v[0:1], off
.LBB770_10:
	s_endpgm
	.section	.rodata,"a",@progbits
	.p2align	6, 0x0
	.amdhsa_kernel _ZN12_GLOBAL__N_121softmax_warp_backwardIdddLi1ELb0ELb1ELi64EEEvPT0_PKT_S5_iiiPKb
		.amdhsa_group_segment_fixed_size 0
		.amdhsa_private_segment_fixed_size 0
		.amdhsa_kernarg_size 304
		.amdhsa_user_sgpr_count 6
		.amdhsa_user_sgpr_private_segment_buffer 1
		.amdhsa_user_sgpr_dispatch_ptr 0
		.amdhsa_user_sgpr_queue_ptr 0
		.amdhsa_user_sgpr_kernarg_segment_ptr 1
		.amdhsa_user_sgpr_dispatch_id 0
		.amdhsa_user_sgpr_flat_scratch_init 0
		.amdhsa_user_sgpr_kernarg_preload_length 0
		.amdhsa_user_sgpr_kernarg_preload_offset 0
		.amdhsa_user_sgpr_private_segment_size 0
		.amdhsa_uses_dynamic_stack 0
		.amdhsa_system_sgpr_private_segment_wavefront_offset 0
		.amdhsa_system_sgpr_workgroup_id_x 1
		.amdhsa_system_sgpr_workgroup_id_y 0
		.amdhsa_system_sgpr_workgroup_id_z 0
		.amdhsa_system_sgpr_workgroup_info 0
		.amdhsa_system_vgpr_workitem_id 1
		.amdhsa_next_free_vgpr 20
		.amdhsa_next_free_sgpr 16
		.amdhsa_accum_offset 20
		.amdhsa_reserve_vcc 1
		.amdhsa_reserve_flat_scratch 0
		.amdhsa_float_round_mode_32 0
		.amdhsa_float_round_mode_16_64 0
		.amdhsa_float_denorm_mode_32 3
		.amdhsa_float_denorm_mode_16_64 3
		.amdhsa_dx10_clamp 1
		.amdhsa_ieee_mode 1
		.amdhsa_fp16_overflow 0
		.amdhsa_tg_split 0
		.amdhsa_exception_fp_ieee_invalid_op 0
		.amdhsa_exception_fp_denorm_src 0
		.amdhsa_exception_fp_ieee_div_zero 0
		.amdhsa_exception_fp_ieee_overflow 0
		.amdhsa_exception_fp_ieee_underflow 0
		.amdhsa_exception_fp_ieee_inexact 0
		.amdhsa_exception_int_div_zero 0
	.end_amdhsa_kernel
	.section	.text._ZN12_GLOBAL__N_121softmax_warp_backwardIdddLi1ELb0ELb1ELi64EEEvPT0_PKT_S5_iiiPKb,"axG",@progbits,_ZN12_GLOBAL__N_121softmax_warp_backwardIdddLi1ELb0ELb1ELi64EEEvPT0_PKT_S5_iiiPKb,comdat
.Lfunc_end770:
	.size	_ZN12_GLOBAL__N_121softmax_warp_backwardIdddLi1ELb0ELb1ELi64EEEvPT0_PKT_S5_iiiPKb, .Lfunc_end770-_ZN12_GLOBAL__N_121softmax_warp_backwardIdddLi1ELb0ELb1ELi64EEEvPT0_PKT_S5_iiiPKb
                                        ; -- End function
	.section	.AMDGPU.csdata,"",@progbits
; Kernel info:
; codeLenInByte = 696
; NumSgprs: 20
; NumVgprs: 20
; NumAgprs: 0
; TotalNumVgprs: 20
; ScratchSize: 0
; MemoryBound: 0
; FloatMode: 240
; IeeeMode: 1
; LDSByteSize: 0 bytes/workgroup (compile time only)
; SGPRBlocks: 2
; VGPRBlocks: 2
; NumSGPRsForWavesPerEU: 20
; NumVGPRsForWavesPerEU: 20
; AccumOffset: 20
; Occupancy: 8
; WaveLimiterHint : 0
; COMPUTE_PGM_RSRC2:SCRATCH_EN: 0
; COMPUTE_PGM_RSRC2:USER_SGPR: 6
; COMPUTE_PGM_RSRC2:TRAP_HANDLER: 0
; COMPUTE_PGM_RSRC2:TGID_X_EN: 1
; COMPUTE_PGM_RSRC2:TGID_Y_EN: 0
; COMPUTE_PGM_RSRC2:TGID_Z_EN: 0
; COMPUTE_PGM_RSRC2:TIDIG_COMP_CNT: 1
; COMPUTE_PGM_RSRC3_GFX90A:ACCUM_OFFSET: 4
; COMPUTE_PGM_RSRC3_GFX90A:TG_SPLIT: 0
	.section	.text._ZN12_GLOBAL__N_121softmax_warp_backwardIdddLi1ELb0ELb1ELi32EEEvPT0_PKT_S5_iiiPKb,"axG",@progbits,_ZN12_GLOBAL__N_121softmax_warp_backwardIdddLi1ELb0ELb1ELi32EEEvPT0_PKT_S5_iiiPKb,comdat
	.globl	_ZN12_GLOBAL__N_121softmax_warp_backwardIdddLi1ELb0ELb1ELi32EEEvPT0_PKT_S5_iiiPKb ; -- Begin function _ZN12_GLOBAL__N_121softmax_warp_backwardIdddLi1ELb0ELb1ELi32EEEvPT0_PKT_S5_iiiPKb
	.p2align	8
	.type	_ZN12_GLOBAL__N_121softmax_warp_backwardIdddLi1ELb0ELb1ELi32EEEvPT0_PKT_S5_iiiPKb,@function
_ZN12_GLOBAL__N_121softmax_warp_backwardIdddLi1ELb0ELb1ELi32EEEvPT0_PKT_S5_iiiPKb: ; @_ZN12_GLOBAL__N_121softmax_warp_backwardIdddLi1ELb0ELb1ELi32EEEvPT0_PKT_S5_iiiPKb
; %bb.0:
	s_load_dword s2, s[4:5], 0x3c
	s_load_dwordx4 s[8:11], s[4:5], 0x18
	s_load_dwordx4 s[12:15], s[4:5], 0x0
	s_load_dwordx2 s[0:1], s[4:5], 0x10
	v_bfe_u32 v1, v0, 10, 10
	s_waitcnt lgkmcnt(0)
	s_lshr_b32 s2, s2, 16
	s_mul_i32 s6, s6, s2
	v_add_lshl_u32 v1, s6, v1, 1
	v_sub_u32_e32 v18, s8, v1
	v_mul_lo_u32 v1, v1, s9
	v_and_b32_e32 v0, 1, v0
	v_or_b32_e32 v10, v1, v0
	v_ashrrev_i32_e32 v11, 31, v10
	v_lshlrev_b64 v[2:3], 3, v[10:11]
	v_mov_b32_e32 v1, s15
	v_add_co_u32_e32 v12, vcc, s14, v2
	v_addc_co_u32_e32 v13, vcc, v1, v3, vcc
	v_mov_b32_e32 v1, s1
	v_add_co_u32_e32 v14, vcc, s0, v2
	v_addc_co_u32_e32 v15, vcc, v1, v3, vcc
	v_cmp_gt_i32_e32 vcc, s10, v0
	v_cmp_lt_i32_e64 s[0:1], 0, v18
	v_pk_mov_b32 v[0:1], 0, 0
	s_and_b64 s[6:7], vcc, s[0:1]
	v_pk_mov_b32 v[4:5], v[0:1], v[0:1] op_sel:[0,1]
	v_pk_mov_b32 v[6:7], v[0:1], v[0:1] op_sel:[0,1]
	s_and_saveexec_b64 s[2:3], s[6:7]
	s_cbranch_execz .LBB771_2
; %bb.1:
	global_load_dwordx2 v[4:5], v[12:13], off
	global_load_dwordx2 v[6:7], v[14:15], off
.LBB771_2:
	s_or_b64 exec, exec, s[2:3]
	v_cmp_lt_i32_e64 s[2:3], 1, v18
	s_and_b64 s[2:3], vcc, s[2:3]
	v_pk_mov_b32 v[8:9], v[0:1], v[0:1] op_sel:[0,1]
	s_and_saveexec_b64 s[6:7], s[2:3]
	s_cbranch_execz .LBB771_4
; %bb.3:
	s_mov_b32 s11, 0
	s_lshl_b64 s[8:9], s[10:11], 3
	v_mov_b32_e32 v9, s9
	v_add_co_u32_e64 v0, s[2:3], s8, v12
	v_addc_co_u32_e64 v1, s[2:3], v13, v9, s[2:3]
	v_add_co_u32_e64 v8, s[2:3], s8, v14
	v_addc_co_u32_e64 v9, s[2:3], v15, v9, s[2:3]
	global_load_dwordx2 v[0:1], v[0:1], off
	s_nop 0
	global_load_dwordx2 v[8:9], v[8:9], off
.LBB771_4:
	s_or_b64 exec, exec, s[6:7]
	s_load_dwordx2 s[2:3], s[4:5], 0x28
	s_ashr_i32 s4, s10, 31
	v_mbcnt_lo_u32_b32 v15, -1, 0
	v_mbcnt_hi_u32_b32 v15, -1, v15
	v_and_b32_e32 v19, 0x7e, v15
	s_waitcnt lgkmcnt(0)
	v_mov_b32_e32 v12, s3
	v_add_co_u32_e64 v10, s[2:3], s2, v10
	v_addc_co_u32_e64 v11, s[2:3], v12, v11, s[2:3]
	global_load_ubyte v14, v[10:11], off
	v_mov_b32_e32 v12, s4
	v_add_co_u32_e64 v10, s[2:3], s10, v10
	v_addc_co_u32_e64 v11, s[2:3], v11, v12, s[2:3]
	global_load_ubyte v16, v[10:11], off
	v_xor_b32_e32 v17, 1, v15
	v_add_u32_e32 v19, 2, v19
	v_cmp_lt_i32_e64 s[2:3], v17, v19
	s_waitcnt vmcnt(3)
	v_add_f64 v[10:11], v[4:5], 0
	v_cndmask_b32_e64 v15, v15, v17, s[2:3]
	v_lshlrev_b32_e32 v19, 2, v15
	v_add_f64 v[12:13], v[0:1], 0
	s_waitcnt vmcnt(1)
	v_and_b32_e32 v14, 1, v14
	v_cmp_eq_u32_e64 s[4:5], 1, v14
	v_cndmask_b32_e64 v15, v11, 0, s[4:5]
	v_cndmask_b32_e64 v14, v10, 0, s[4:5]
	ds_bpermute_b32 v17, v19, v15
	s_waitcnt vmcnt(0)
	v_and_b32_e32 v11, 1, v16
	v_cmp_eq_u32_e64 s[2:3], 1, v11
	v_cndmask_b32_e64 v11, v13, 0, s[2:3]
	v_cndmask_b32_e64 v10, v12, 0, s[2:3]
	ds_bpermute_b32 v16, v19, v14
	ds_bpermute_b32 v12, v19, v10
	;; [unrolled: 1-line block ×3, first 2 shown]
	s_and_saveexec_b64 s[6:7], s[0:1]
	s_cbranch_execz .LBB771_10
; %bb.5:
	v_mov_b32_e32 v19, s13
	v_add_co_u32_e64 v2, s[0:1], s12, v2
	v_addc_co_u32_e64 v3, s[0:1], v19, v3, s[0:1]
	s_and_saveexec_b64 s[0:1], vcc
	s_cbranch_execz .LBB771_7
; %bb.6:
	s_waitcnt lgkmcnt(2)
	v_add_f64 v[14:15], v[14:15], v[16:17]
	v_fma_f64 v[4:5], -v[14:15], v[6:7], v[4:5]
	v_cndmask_b32_e64 v5, v5, 0, s[4:5]
	v_cndmask_b32_e64 v4, v4, 0, s[4:5]
	global_store_dwordx2 v[2:3], v[4:5], off
.LBB771_7:
	s_or_b64 exec, exec, s[0:1]
	v_cmp_ne_u32_e64 s[0:1], 1, v18
	s_and_b64 exec, exec, s[0:1]
	s_cbranch_execz .LBB771_10
; %bb.8:
	s_and_b64 exec, exec, vcc
	s_cbranch_execz .LBB771_10
; %bb.9:
	s_mov_b32 s11, 0
	s_waitcnt lgkmcnt(0)
	v_add_f64 v[4:5], v[10:11], v[12:13]
	s_lshl_b64 s[0:1], s[10:11], 3
	v_fma_f64 v[0:1], -v[4:5], v[8:9], v[0:1]
	v_mov_b32_e32 v4, s1
	v_add_co_u32_e32 v2, vcc, s0, v2
	v_addc_co_u32_e32 v3, vcc, v3, v4, vcc
	v_cndmask_b32_e64 v1, v1, 0, s[2:3]
	v_cndmask_b32_e64 v0, v0, 0, s[2:3]
	global_store_dwordx2 v[2:3], v[0:1], off
.LBB771_10:
	s_endpgm
	.section	.rodata,"a",@progbits
	.p2align	6, 0x0
	.amdhsa_kernel _ZN12_GLOBAL__N_121softmax_warp_backwardIdddLi1ELb0ELb1ELi32EEEvPT0_PKT_S5_iiiPKb
		.amdhsa_group_segment_fixed_size 0
		.amdhsa_private_segment_fixed_size 0
		.amdhsa_kernarg_size 304
		.amdhsa_user_sgpr_count 6
		.amdhsa_user_sgpr_private_segment_buffer 1
		.amdhsa_user_sgpr_dispatch_ptr 0
		.amdhsa_user_sgpr_queue_ptr 0
		.amdhsa_user_sgpr_kernarg_segment_ptr 1
		.amdhsa_user_sgpr_dispatch_id 0
		.amdhsa_user_sgpr_flat_scratch_init 0
		.amdhsa_user_sgpr_kernarg_preload_length 0
		.amdhsa_user_sgpr_kernarg_preload_offset 0
		.amdhsa_user_sgpr_private_segment_size 0
		.amdhsa_uses_dynamic_stack 0
		.amdhsa_system_sgpr_private_segment_wavefront_offset 0
		.amdhsa_system_sgpr_workgroup_id_x 1
		.amdhsa_system_sgpr_workgroup_id_y 0
		.amdhsa_system_sgpr_workgroup_id_z 0
		.amdhsa_system_sgpr_workgroup_info 0
		.amdhsa_system_vgpr_workitem_id 1
		.amdhsa_next_free_vgpr 20
		.amdhsa_next_free_sgpr 16
		.amdhsa_accum_offset 20
		.amdhsa_reserve_vcc 1
		.amdhsa_reserve_flat_scratch 0
		.amdhsa_float_round_mode_32 0
		.amdhsa_float_round_mode_16_64 0
		.amdhsa_float_denorm_mode_32 3
		.amdhsa_float_denorm_mode_16_64 3
		.amdhsa_dx10_clamp 1
		.amdhsa_ieee_mode 1
		.amdhsa_fp16_overflow 0
		.amdhsa_tg_split 0
		.amdhsa_exception_fp_ieee_invalid_op 0
		.amdhsa_exception_fp_denorm_src 0
		.amdhsa_exception_fp_ieee_div_zero 0
		.amdhsa_exception_fp_ieee_overflow 0
		.amdhsa_exception_fp_ieee_underflow 0
		.amdhsa_exception_fp_ieee_inexact 0
		.amdhsa_exception_int_div_zero 0
	.end_amdhsa_kernel
	.section	.text._ZN12_GLOBAL__N_121softmax_warp_backwardIdddLi1ELb0ELb1ELi32EEEvPT0_PKT_S5_iiiPKb,"axG",@progbits,_ZN12_GLOBAL__N_121softmax_warp_backwardIdddLi1ELb0ELb1ELi32EEEvPT0_PKT_S5_iiiPKb,comdat
.Lfunc_end771:
	.size	_ZN12_GLOBAL__N_121softmax_warp_backwardIdddLi1ELb0ELb1ELi32EEEvPT0_PKT_S5_iiiPKb, .Lfunc_end771-_ZN12_GLOBAL__N_121softmax_warp_backwardIdddLi1ELb0ELb1ELi32EEEvPT0_PKT_S5_iiiPKb
                                        ; -- End function
	.section	.AMDGPU.csdata,"",@progbits
; Kernel info:
; codeLenInByte = 696
; NumSgprs: 20
; NumVgprs: 20
; NumAgprs: 0
; TotalNumVgprs: 20
; ScratchSize: 0
; MemoryBound: 0
; FloatMode: 240
; IeeeMode: 1
; LDSByteSize: 0 bytes/workgroup (compile time only)
; SGPRBlocks: 2
; VGPRBlocks: 2
; NumSGPRsForWavesPerEU: 20
; NumVGPRsForWavesPerEU: 20
; AccumOffset: 20
; Occupancy: 8
; WaveLimiterHint : 0
; COMPUTE_PGM_RSRC2:SCRATCH_EN: 0
; COMPUTE_PGM_RSRC2:USER_SGPR: 6
; COMPUTE_PGM_RSRC2:TRAP_HANDLER: 0
; COMPUTE_PGM_RSRC2:TGID_X_EN: 1
; COMPUTE_PGM_RSRC2:TGID_Y_EN: 0
; COMPUTE_PGM_RSRC2:TGID_Z_EN: 0
; COMPUTE_PGM_RSRC2:TIDIG_COMP_CNT: 1
; COMPUTE_PGM_RSRC3_GFX90A:ACCUM_OFFSET: 4
; COMPUTE_PGM_RSRC3_GFX90A:TG_SPLIT: 0
	.section	.text._ZN12_GLOBAL__N_121softmax_warp_backwardIdddLi2ELb0ELb1ELi64EEEvPT0_PKT_S5_iiiPKb,"axG",@progbits,_ZN12_GLOBAL__N_121softmax_warp_backwardIdddLi2ELb0ELb1ELi64EEEvPT0_PKT_S5_iiiPKb,comdat
	.globl	_ZN12_GLOBAL__N_121softmax_warp_backwardIdddLi2ELb0ELb1ELi64EEEvPT0_PKT_S5_iiiPKb ; -- Begin function _ZN12_GLOBAL__N_121softmax_warp_backwardIdddLi2ELb0ELb1ELi64EEEvPT0_PKT_S5_iiiPKb
	.p2align	8
	.type	_ZN12_GLOBAL__N_121softmax_warp_backwardIdddLi2ELb0ELb1ELi64EEEvPT0_PKT_S5_iiiPKb,@function
_ZN12_GLOBAL__N_121softmax_warp_backwardIdddLi2ELb0ELb1ELi64EEEvPT0_PKT_S5_iiiPKb: ; @_ZN12_GLOBAL__N_121softmax_warp_backwardIdddLi2ELb0ELb1ELi64EEEvPT0_PKT_S5_iiiPKb
; %bb.0:
	s_load_dword s2, s[4:5], 0x3c
	s_load_dwordx4 s[8:11], s[4:5], 0x18
	s_load_dwordx4 s[12:15], s[4:5], 0x0
	s_load_dwordx2 s[0:1], s[4:5], 0x10
	v_bfe_u32 v1, v0, 10, 10
	s_waitcnt lgkmcnt(0)
	s_lshr_b32 s2, s2, 16
	s_mul_i32 s6, s6, s2
	v_add_lshl_u32 v1, s6, v1, 1
	v_and_b32_e32 v0, 3, v0
	v_mad_u64_u32 v[10:11], s[2:3], v1, s9, v[0:1]
	v_ashrrev_i32_e32 v11, 31, v10
	v_lshlrev_b64 v[2:3], 3, v[10:11]
	v_sub_u32_e32 v18, s8, v1
	v_mov_b32_e32 v1, s15
	v_add_co_u32_e32 v12, vcc, s14, v2
	v_addc_co_u32_e32 v13, vcc, v1, v3, vcc
	v_mov_b32_e32 v1, s1
	v_add_co_u32_e32 v14, vcc, s0, v2
	v_addc_co_u32_e32 v15, vcc, v1, v3, vcc
	v_cmp_gt_i32_e32 vcc, s10, v0
	v_cmp_lt_i32_e64 s[0:1], 0, v18
	v_pk_mov_b32 v[0:1], 0, 0
	s_and_b64 s[6:7], vcc, s[0:1]
	v_pk_mov_b32 v[4:5], v[0:1], v[0:1] op_sel:[0,1]
	v_pk_mov_b32 v[6:7], v[0:1], v[0:1] op_sel:[0,1]
	s_and_saveexec_b64 s[2:3], s[6:7]
	s_cbranch_execz .LBB772_2
; %bb.1:
	global_load_dwordx2 v[4:5], v[12:13], off
	global_load_dwordx2 v[6:7], v[14:15], off
.LBB772_2:
	s_or_b64 exec, exec, s[2:3]
	v_cmp_lt_i32_e64 s[2:3], 1, v18
	s_and_b64 s[2:3], vcc, s[2:3]
	v_pk_mov_b32 v[8:9], v[0:1], v[0:1] op_sel:[0,1]
	s_and_saveexec_b64 s[6:7], s[2:3]
	s_cbranch_execz .LBB772_4
; %bb.3:
	s_mov_b32 s11, 0
	s_lshl_b64 s[8:9], s[10:11], 3
	v_mov_b32_e32 v9, s9
	v_add_co_u32_e64 v0, s[2:3], s8, v12
	v_addc_co_u32_e64 v1, s[2:3], v13, v9, s[2:3]
	v_add_co_u32_e64 v8, s[2:3], s8, v14
	v_addc_co_u32_e64 v9, s[2:3], v15, v9, s[2:3]
	global_load_dwordx2 v[0:1], v[0:1], off
	s_nop 0
	global_load_dwordx2 v[8:9], v[8:9], off
.LBB772_4:
	s_or_b64 exec, exec, s[6:7]
	s_load_dwordx2 s[2:3], s[4:5], 0x28
	s_ashr_i32 s4, s10, 31
	v_mbcnt_lo_u32_b32 v16, -1, 0
	v_mbcnt_hi_u32_b32 v19, -1, v16
	v_and_b32_e32 v16, 0x7c, v19
	s_waitcnt lgkmcnt(0)
	v_mov_b32_e32 v12, s3
	v_add_co_u32_e64 v10, s[2:3], s2, v10
	v_addc_co_u32_e64 v11, s[2:3], v12, v11, s[2:3]
	global_load_ubyte v14, v[10:11], off
	v_mov_b32_e32 v12, s4
	v_add_co_u32_e64 v10, s[2:3], s10, v10
	v_addc_co_u32_e64 v11, s[2:3], v11, v12, s[2:3]
	global_load_ubyte v15, v[10:11], off
	v_xor_b32_e32 v17, 2, v19
	v_add_u32_e32 v21, 4, v16
	v_cmp_lt_i32_e64 s[2:3], v17, v21
	s_waitcnt vmcnt(3)
	v_add_f64 v[10:11], v[4:5], 0
	v_add_f64 v[12:13], v[0:1], 0
	v_cndmask_b32_e64 v16, v19, v17, s[2:3]
	v_lshlrev_b32_e32 v16, 2, v16
	v_xor_b32_e32 v20, 1, v19
	v_cmp_lt_i32_e64 s[6:7], v20, v21
	v_cndmask_b32_e64 v19, v19, v20, s[6:7]
	v_lshlrev_b32_e32 v19, 2, v19
	s_waitcnt vmcnt(1)
	v_and_b32_e32 v14, 1, v14
	v_cmp_eq_u32_e64 s[4:5], 1, v14
	v_cndmask_b32_e64 v11, v11, 0, s[4:5]
	v_cndmask_b32_e64 v10, v10, 0, s[4:5]
	s_waitcnt vmcnt(0)
	v_and_b32_e32 v14, 1, v15
	v_cmp_eq_u32_e64 s[2:3], 1, v14
	v_cndmask_b32_e64 v13, v13, 0, s[2:3]
	v_cndmask_b32_e64 v12, v12, 0, s[2:3]
	ds_bpermute_b32 v15, v16, v11
	ds_bpermute_b32 v14, v16, v10
	;; [unrolled: 1-line block ×4, first 2 shown]
	s_waitcnt lgkmcnt(2)
	v_add_f64 v[14:15], v[10:11], v[14:15]
	s_waitcnt lgkmcnt(0)
	v_add_f64 v[10:11], v[12:13], v[16:17]
	ds_bpermute_b32 v16, v19, v14
	ds_bpermute_b32 v17, v19, v15
	;; [unrolled: 1-line block ×4, first 2 shown]
	s_and_saveexec_b64 s[6:7], s[0:1]
	s_cbranch_execz .LBB772_10
; %bb.5:
	v_mov_b32_e32 v19, s13
	v_add_co_u32_e64 v2, s[0:1], s12, v2
	v_addc_co_u32_e64 v3, s[0:1], v19, v3, s[0:1]
	s_and_saveexec_b64 s[0:1], vcc
	s_cbranch_execz .LBB772_7
; %bb.6:
	s_waitcnt lgkmcnt(2)
	v_add_f64 v[14:15], v[14:15], v[16:17]
	v_fma_f64 v[4:5], -v[14:15], v[6:7], v[4:5]
	v_cndmask_b32_e64 v5, v5, 0, s[4:5]
	v_cndmask_b32_e64 v4, v4, 0, s[4:5]
	global_store_dwordx2 v[2:3], v[4:5], off
.LBB772_7:
	s_or_b64 exec, exec, s[0:1]
	v_cmp_ne_u32_e64 s[0:1], 1, v18
	s_and_b64 exec, exec, s[0:1]
	s_cbranch_execz .LBB772_10
; %bb.8:
	s_and_b64 exec, exec, vcc
	s_cbranch_execz .LBB772_10
; %bb.9:
	s_mov_b32 s11, 0
	s_waitcnt lgkmcnt(0)
	v_add_f64 v[4:5], v[10:11], v[12:13]
	s_lshl_b64 s[0:1], s[10:11], 3
	v_fma_f64 v[0:1], -v[4:5], v[8:9], v[0:1]
	v_mov_b32_e32 v4, s1
	v_add_co_u32_e32 v2, vcc, s0, v2
	v_addc_co_u32_e32 v3, vcc, v3, v4, vcc
	v_cndmask_b32_e64 v1, v1, 0, s[2:3]
	v_cndmask_b32_e64 v0, v0, 0, s[2:3]
	global_store_dwordx2 v[2:3], v[0:1], off
.LBB772_10:
	s_endpgm
	.section	.rodata,"a",@progbits
	.p2align	6, 0x0
	.amdhsa_kernel _ZN12_GLOBAL__N_121softmax_warp_backwardIdddLi2ELb0ELb1ELi64EEEvPT0_PKT_S5_iiiPKb
		.amdhsa_group_segment_fixed_size 0
		.amdhsa_private_segment_fixed_size 0
		.amdhsa_kernarg_size 304
		.amdhsa_user_sgpr_count 6
		.amdhsa_user_sgpr_private_segment_buffer 1
		.amdhsa_user_sgpr_dispatch_ptr 0
		.amdhsa_user_sgpr_queue_ptr 0
		.amdhsa_user_sgpr_kernarg_segment_ptr 1
		.amdhsa_user_sgpr_dispatch_id 0
		.amdhsa_user_sgpr_flat_scratch_init 0
		.amdhsa_user_sgpr_kernarg_preload_length 0
		.amdhsa_user_sgpr_kernarg_preload_offset 0
		.amdhsa_user_sgpr_private_segment_size 0
		.amdhsa_uses_dynamic_stack 0
		.amdhsa_system_sgpr_private_segment_wavefront_offset 0
		.amdhsa_system_sgpr_workgroup_id_x 1
		.amdhsa_system_sgpr_workgroup_id_y 0
		.amdhsa_system_sgpr_workgroup_id_z 0
		.amdhsa_system_sgpr_workgroup_info 0
		.amdhsa_system_vgpr_workitem_id 1
		.amdhsa_next_free_vgpr 22
		.amdhsa_next_free_sgpr 16
		.amdhsa_accum_offset 24
		.amdhsa_reserve_vcc 1
		.amdhsa_reserve_flat_scratch 0
		.amdhsa_float_round_mode_32 0
		.amdhsa_float_round_mode_16_64 0
		.amdhsa_float_denorm_mode_32 3
		.amdhsa_float_denorm_mode_16_64 3
		.amdhsa_dx10_clamp 1
		.amdhsa_ieee_mode 1
		.amdhsa_fp16_overflow 0
		.amdhsa_tg_split 0
		.amdhsa_exception_fp_ieee_invalid_op 0
		.amdhsa_exception_fp_denorm_src 0
		.amdhsa_exception_fp_ieee_div_zero 0
		.amdhsa_exception_fp_ieee_overflow 0
		.amdhsa_exception_fp_ieee_underflow 0
		.amdhsa_exception_fp_ieee_inexact 0
		.amdhsa_exception_int_div_zero 0
	.end_amdhsa_kernel
	.section	.text._ZN12_GLOBAL__N_121softmax_warp_backwardIdddLi2ELb0ELb1ELi64EEEvPT0_PKT_S5_iiiPKb,"axG",@progbits,_ZN12_GLOBAL__N_121softmax_warp_backwardIdddLi2ELb0ELb1ELi64EEEvPT0_PKT_S5_iiiPKb,comdat
.Lfunc_end772:
	.size	_ZN12_GLOBAL__N_121softmax_warp_backwardIdddLi2ELb0ELb1ELi64EEEvPT0_PKT_S5_iiiPKb, .Lfunc_end772-_ZN12_GLOBAL__N_121softmax_warp_backwardIdddLi2ELb0ELb1ELi64EEEvPT0_PKT_S5_iiiPKb
                                        ; -- End function
	.section	.AMDGPU.csdata,"",@progbits
; Kernel info:
; codeLenInByte = 772
; NumSgprs: 20
; NumVgprs: 22
; NumAgprs: 0
; TotalNumVgprs: 22
; ScratchSize: 0
; MemoryBound: 0
; FloatMode: 240
; IeeeMode: 1
; LDSByteSize: 0 bytes/workgroup (compile time only)
; SGPRBlocks: 2
; VGPRBlocks: 2
; NumSGPRsForWavesPerEU: 20
; NumVGPRsForWavesPerEU: 22
; AccumOffset: 24
; Occupancy: 8
; WaveLimiterHint : 0
; COMPUTE_PGM_RSRC2:SCRATCH_EN: 0
; COMPUTE_PGM_RSRC2:USER_SGPR: 6
; COMPUTE_PGM_RSRC2:TRAP_HANDLER: 0
; COMPUTE_PGM_RSRC2:TGID_X_EN: 1
; COMPUTE_PGM_RSRC2:TGID_Y_EN: 0
; COMPUTE_PGM_RSRC2:TGID_Z_EN: 0
; COMPUTE_PGM_RSRC2:TIDIG_COMP_CNT: 1
; COMPUTE_PGM_RSRC3_GFX90A:ACCUM_OFFSET: 5
; COMPUTE_PGM_RSRC3_GFX90A:TG_SPLIT: 0
	.section	.text._ZN12_GLOBAL__N_121softmax_warp_backwardIdddLi2ELb0ELb1ELi32EEEvPT0_PKT_S5_iiiPKb,"axG",@progbits,_ZN12_GLOBAL__N_121softmax_warp_backwardIdddLi2ELb0ELb1ELi32EEEvPT0_PKT_S5_iiiPKb,comdat
	.globl	_ZN12_GLOBAL__N_121softmax_warp_backwardIdddLi2ELb0ELb1ELi32EEEvPT0_PKT_S5_iiiPKb ; -- Begin function _ZN12_GLOBAL__N_121softmax_warp_backwardIdddLi2ELb0ELb1ELi32EEEvPT0_PKT_S5_iiiPKb
	.p2align	8
	.type	_ZN12_GLOBAL__N_121softmax_warp_backwardIdddLi2ELb0ELb1ELi32EEEvPT0_PKT_S5_iiiPKb,@function
_ZN12_GLOBAL__N_121softmax_warp_backwardIdddLi2ELb0ELb1ELi32EEEvPT0_PKT_S5_iiiPKb: ; @_ZN12_GLOBAL__N_121softmax_warp_backwardIdddLi2ELb0ELb1ELi32EEEvPT0_PKT_S5_iiiPKb
; %bb.0:
	s_load_dword s2, s[4:5], 0x3c
	s_load_dwordx4 s[8:11], s[4:5], 0x18
	s_load_dwordx4 s[12:15], s[4:5], 0x0
	s_load_dwordx2 s[0:1], s[4:5], 0x10
	v_bfe_u32 v1, v0, 10, 10
	s_waitcnt lgkmcnt(0)
	s_lshr_b32 s2, s2, 16
	s_mul_i32 s6, s6, s2
	v_add_lshl_u32 v1, s6, v1, 1
	v_and_b32_e32 v0, 3, v0
	v_mad_u64_u32 v[10:11], s[2:3], v1, s9, v[0:1]
	v_ashrrev_i32_e32 v11, 31, v10
	v_lshlrev_b64 v[2:3], 3, v[10:11]
	v_sub_u32_e32 v18, s8, v1
	v_mov_b32_e32 v1, s15
	v_add_co_u32_e32 v12, vcc, s14, v2
	v_addc_co_u32_e32 v13, vcc, v1, v3, vcc
	v_mov_b32_e32 v1, s1
	v_add_co_u32_e32 v14, vcc, s0, v2
	v_addc_co_u32_e32 v15, vcc, v1, v3, vcc
	v_cmp_gt_i32_e32 vcc, s10, v0
	v_cmp_lt_i32_e64 s[0:1], 0, v18
	v_pk_mov_b32 v[0:1], 0, 0
	s_and_b64 s[6:7], vcc, s[0:1]
	v_pk_mov_b32 v[4:5], v[0:1], v[0:1] op_sel:[0,1]
	v_pk_mov_b32 v[6:7], v[0:1], v[0:1] op_sel:[0,1]
	s_and_saveexec_b64 s[2:3], s[6:7]
	s_cbranch_execz .LBB773_2
; %bb.1:
	global_load_dwordx2 v[4:5], v[12:13], off
	global_load_dwordx2 v[6:7], v[14:15], off
.LBB773_2:
	s_or_b64 exec, exec, s[2:3]
	v_cmp_lt_i32_e64 s[2:3], 1, v18
	s_and_b64 s[2:3], vcc, s[2:3]
	v_pk_mov_b32 v[8:9], v[0:1], v[0:1] op_sel:[0,1]
	s_and_saveexec_b64 s[6:7], s[2:3]
	s_cbranch_execz .LBB773_4
; %bb.3:
	s_mov_b32 s11, 0
	s_lshl_b64 s[8:9], s[10:11], 3
	v_mov_b32_e32 v9, s9
	v_add_co_u32_e64 v0, s[2:3], s8, v12
	v_addc_co_u32_e64 v1, s[2:3], v13, v9, s[2:3]
	v_add_co_u32_e64 v8, s[2:3], s8, v14
	v_addc_co_u32_e64 v9, s[2:3], v15, v9, s[2:3]
	global_load_dwordx2 v[0:1], v[0:1], off
	s_nop 0
	global_load_dwordx2 v[8:9], v[8:9], off
.LBB773_4:
	s_or_b64 exec, exec, s[6:7]
	s_load_dwordx2 s[2:3], s[4:5], 0x28
	s_ashr_i32 s4, s10, 31
	v_mbcnt_lo_u32_b32 v16, -1, 0
	v_mbcnt_hi_u32_b32 v19, -1, v16
	v_and_b32_e32 v16, 0x7c, v19
	s_waitcnt lgkmcnt(0)
	v_mov_b32_e32 v12, s3
	v_add_co_u32_e64 v10, s[2:3], s2, v10
	v_addc_co_u32_e64 v11, s[2:3], v12, v11, s[2:3]
	global_load_ubyte v14, v[10:11], off
	v_mov_b32_e32 v12, s4
	v_add_co_u32_e64 v10, s[2:3], s10, v10
	v_addc_co_u32_e64 v11, s[2:3], v11, v12, s[2:3]
	global_load_ubyte v15, v[10:11], off
	v_xor_b32_e32 v17, 2, v19
	v_add_u32_e32 v21, 4, v16
	v_cmp_lt_i32_e64 s[2:3], v17, v21
	s_waitcnt vmcnt(3)
	v_add_f64 v[10:11], v[4:5], 0
	v_add_f64 v[12:13], v[0:1], 0
	v_cndmask_b32_e64 v16, v19, v17, s[2:3]
	v_lshlrev_b32_e32 v16, 2, v16
	v_xor_b32_e32 v20, 1, v19
	v_cmp_lt_i32_e64 s[6:7], v20, v21
	v_cndmask_b32_e64 v19, v19, v20, s[6:7]
	v_lshlrev_b32_e32 v19, 2, v19
	s_waitcnt vmcnt(1)
	v_and_b32_e32 v14, 1, v14
	v_cmp_eq_u32_e64 s[4:5], 1, v14
	v_cndmask_b32_e64 v11, v11, 0, s[4:5]
	v_cndmask_b32_e64 v10, v10, 0, s[4:5]
	s_waitcnt vmcnt(0)
	v_and_b32_e32 v14, 1, v15
	v_cmp_eq_u32_e64 s[2:3], 1, v14
	v_cndmask_b32_e64 v13, v13, 0, s[2:3]
	v_cndmask_b32_e64 v12, v12, 0, s[2:3]
	ds_bpermute_b32 v15, v16, v11
	ds_bpermute_b32 v14, v16, v10
	;; [unrolled: 1-line block ×4, first 2 shown]
	s_waitcnt lgkmcnt(2)
	v_add_f64 v[14:15], v[10:11], v[14:15]
	s_waitcnt lgkmcnt(0)
	v_add_f64 v[10:11], v[12:13], v[16:17]
	ds_bpermute_b32 v16, v19, v14
	ds_bpermute_b32 v17, v19, v15
	ds_bpermute_b32 v12, v19, v10
	ds_bpermute_b32 v13, v19, v11
	s_and_saveexec_b64 s[6:7], s[0:1]
	s_cbranch_execz .LBB773_10
; %bb.5:
	v_mov_b32_e32 v19, s13
	v_add_co_u32_e64 v2, s[0:1], s12, v2
	v_addc_co_u32_e64 v3, s[0:1], v19, v3, s[0:1]
	s_and_saveexec_b64 s[0:1], vcc
	s_cbranch_execz .LBB773_7
; %bb.6:
	s_waitcnt lgkmcnt(2)
	v_add_f64 v[14:15], v[14:15], v[16:17]
	v_fma_f64 v[4:5], -v[14:15], v[6:7], v[4:5]
	v_cndmask_b32_e64 v5, v5, 0, s[4:5]
	v_cndmask_b32_e64 v4, v4, 0, s[4:5]
	global_store_dwordx2 v[2:3], v[4:5], off
.LBB773_7:
	s_or_b64 exec, exec, s[0:1]
	v_cmp_ne_u32_e64 s[0:1], 1, v18
	s_and_b64 exec, exec, s[0:1]
	s_cbranch_execz .LBB773_10
; %bb.8:
	s_and_b64 exec, exec, vcc
	s_cbranch_execz .LBB773_10
; %bb.9:
	s_mov_b32 s11, 0
	s_waitcnt lgkmcnt(0)
	v_add_f64 v[4:5], v[10:11], v[12:13]
	s_lshl_b64 s[0:1], s[10:11], 3
	v_fma_f64 v[0:1], -v[4:5], v[8:9], v[0:1]
	v_mov_b32_e32 v4, s1
	v_add_co_u32_e32 v2, vcc, s0, v2
	v_addc_co_u32_e32 v3, vcc, v3, v4, vcc
	v_cndmask_b32_e64 v1, v1, 0, s[2:3]
	v_cndmask_b32_e64 v0, v0, 0, s[2:3]
	global_store_dwordx2 v[2:3], v[0:1], off
.LBB773_10:
	s_endpgm
	.section	.rodata,"a",@progbits
	.p2align	6, 0x0
	.amdhsa_kernel _ZN12_GLOBAL__N_121softmax_warp_backwardIdddLi2ELb0ELb1ELi32EEEvPT0_PKT_S5_iiiPKb
		.amdhsa_group_segment_fixed_size 0
		.amdhsa_private_segment_fixed_size 0
		.amdhsa_kernarg_size 304
		.amdhsa_user_sgpr_count 6
		.amdhsa_user_sgpr_private_segment_buffer 1
		.amdhsa_user_sgpr_dispatch_ptr 0
		.amdhsa_user_sgpr_queue_ptr 0
		.amdhsa_user_sgpr_kernarg_segment_ptr 1
		.amdhsa_user_sgpr_dispatch_id 0
		.amdhsa_user_sgpr_flat_scratch_init 0
		.amdhsa_user_sgpr_kernarg_preload_length 0
		.amdhsa_user_sgpr_kernarg_preload_offset 0
		.amdhsa_user_sgpr_private_segment_size 0
		.amdhsa_uses_dynamic_stack 0
		.amdhsa_system_sgpr_private_segment_wavefront_offset 0
		.amdhsa_system_sgpr_workgroup_id_x 1
		.amdhsa_system_sgpr_workgroup_id_y 0
		.amdhsa_system_sgpr_workgroup_id_z 0
		.amdhsa_system_sgpr_workgroup_info 0
		.amdhsa_system_vgpr_workitem_id 1
		.amdhsa_next_free_vgpr 22
		.amdhsa_next_free_sgpr 16
		.amdhsa_accum_offset 24
		.amdhsa_reserve_vcc 1
		.amdhsa_reserve_flat_scratch 0
		.amdhsa_float_round_mode_32 0
		.amdhsa_float_round_mode_16_64 0
		.amdhsa_float_denorm_mode_32 3
		.amdhsa_float_denorm_mode_16_64 3
		.amdhsa_dx10_clamp 1
		.amdhsa_ieee_mode 1
		.amdhsa_fp16_overflow 0
		.amdhsa_tg_split 0
		.amdhsa_exception_fp_ieee_invalid_op 0
		.amdhsa_exception_fp_denorm_src 0
		.amdhsa_exception_fp_ieee_div_zero 0
		.amdhsa_exception_fp_ieee_overflow 0
		.amdhsa_exception_fp_ieee_underflow 0
		.amdhsa_exception_fp_ieee_inexact 0
		.amdhsa_exception_int_div_zero 0
	.end_amdhsa_kernel
	.section	.text._ZN12_GLOBAL__N_121softmax_warp_backwardIdddLi2ELb0ELb1ELi32EEEvPT0_PKT_S5_iiiPKb,"axG",@progbits,_ZN12_GLOBAL__N_121softmax_warp_backwardIdddLi2ELb0ELb1ELi32EEEvPT0_PKT_S5_iiiPKb,comdat
.Lfunc_end773:
	.size	_ZN12_GLOBAL__N_121softmax_warp_backwardIdddLi2ELb0ELb1ELi32EEEvPT0_PKT_S5_iiiPKb, .Lfunc_end773-_ZN12_GLOBAL__N_121softmax_warp_backwardIdddLi2ELb0ELb1ELi32EEEvPT0_PKT_S5_iiiPKb
                                        ; -- End function
	.section	.AMDGPU.csdata,"",@progbits
; Kernel info:
; codeLenInByte = 772
; NumSgprs: 20
; NumVgprs: 22
; NumAgprs: 0
; TotalNumVgprs: 22
; ScratchSize: 0
; MemoryBound: 0
; FloatMode: 240
; IeeeMode: 1
; LDSByteSize: 0 bytes/workgroup (compile time only)
; SGPRBlocks: 2
; VGPRBlocks: 2
; NumSGPRsForWavesPerEU: 20
; NumVGPRsForWavesPerEU: 22
; AccumOffset: 24
; Occupancy: 8
; WaveLimiterHint : 0
; COMPUTE_PGM_RSRC2:SCRATCH_EN: 0
; COMPUTE_PGM_RSRC2:USER_SGPR: 6
; COMPUTE_PGM_RSRC2:TRAP_HANDLER: 0
; COMPUTE_PGM_RSRC2:TGID_X_EN: 1
; COMPUTE_PGM_RSRC2:TGID_Y_EN: 0
; COMPUTE_PGM_RSRC2:TGID_Z_EN: 0
; COMPUTE_PGM_RSRC2:TIDIG_COMP_CNT: 1
; COMPUTE_PGM_RSRC3_GFX90A:ACCUM_OFFSET: 5
; COMPUTE_PGM_RSRC3_GFX90A:TG_SPLIT: 0
	.section	.text._ZN12_GLOBAL__N_121softmax_warp_backwardIdddLi3ELb0ELb1ELi64EEEvPT0_PKT_S5_iiiPKb,"axG",@progbits,_ZN12_GLOBAL__N_121softmax_warp_backwardIdddLi3ELb0ELb1ELi64EEEvPT0_PKT_S5_iiiPKb,comdat
	.globl	_ZN12_GLOBAL__N_121softmax_warp_backwardIdddLi3ELb0ELb1ELi64EEEvPT0_PKT_S5_iiiPKb ; -- Begin function _ZN12_GLOBAL__N_121softmax_warp_backwardIdddLi3ELb0ELb1ELi64EEEvPT0_PKT_S5_iiiPKb
	.p2align	8
	.type	_ZN12_GLOBAL__N_121softmax_warp_backwardIdddLi3ELb0ELb1ELi64EEEvPT0_PKT_S5_iiiPKb,@function
_ZN12_GLOBAL__N_121softmax_warp_backwardIdddLi3ELb0ELb1ELi64EEEvPT0_PKT_S5_iiiPKb: ; @_ZN12_GLOBAL__N_121softmax_warp_backwardIdddLi3ELb0ELb1ELi64EEEvPT0_PKT_S5_iiiPKb
; %bb.0:
	s_load_dword s2, s[4:5], 0x3c
	s_load_dwordx4 s[8:11], s[4:5], 0x18
	s_load_dwordx4 s[12:15], s[4:5], 0x0
	s_load_dwordx2 s[0:1], s[4:5], 0x10
	v_bfe_u32 v1, v0, 10, 10
	s_waitcnt lgkmcnt(0)
	s_lshr_b32 s2, s2, 16
	s_mul_i32 s6, s6, s2
	v_add_lshl_u32 v1, s6, v1, 1
	v_and_b32_e32 v0, 7, v0
	v_mad_u64_u32 v[10:11], s[2:3], v1, s9, v[0:1]
	v_ashrrev_i32_e32 v11, 31, v10
	v_lshlrev_b64 v[2:3], 3, v[10:11]
	v_sub_u32_e32 v18, s8, v1
	v_mov_b32_e32 v1, s15
	v_add_co_u32_e32 v12, vcc, s14, v2
	v_addc_co_u32_e32 v13, vcc, v1, v3, vcc
	v_mov_b32_e32 v1, s1
	v_add_co_u32_e32 v14, vcc, s0, v2
	v_addc_co_u32_e32 v15, vcc, v1, v3, vcc
	v_cmp_gt_i32_e32 vcc, s10, v0
	v_cmp_lt_i32_e64 s[0:1], 0, v18
	v_pk_mov_b32 v[0:1], 0, 0
	s_and_b64 s[6:7], vcc, s[0:1]
	v_pk_mov_b32 v[4:5], v[0:1], v[0:1] op_sel:[0,1]
	v_pk_mov_b32 v[6:7], v[0:1], v[0:1] op_sel:[0,1]
	s_and_saveexec_b64 s[2:3], s[6:7]
	s_cbranch_execz .LBB774_2
; %bb.1:
	global_load_dwordx2 v[4:5], v[12:13], off
	global_load_dwordx2 v[6:7], v[14:15], off
.LBB774_2:
	s_or_b64 exec, exec, s[2:3]
	v_cmp_lt_i32_e64 s[2:3], 1, v18
	s_and_b64 s[2:3], vcc, s[2:3]
	v_pk_mov_b32 v[8:9], v[0:1], v[0:1] op_sel:[0,1]
	s_and_saveexec_b64 s[6:7], s[2:3]
	s_cbranch_execz .LBB774_4
; %bb.3:
	s_mov_b32 s11, 0
	s_lshl_b64 s[8:9], s[10:11], 3
	v_mov_b32_e32 v9, s9
	v_add_co_u32_e64 v0, s[2:3], s8, v12
	v_addc_co_u32_e64 v1, s[2:3], v13, v9, s[2:3]
	v_add_co_u32_e64 v8, s[2:3], s8, v14
	v_addc_co_u32_e64 v9, s[2:3], v15, v9, s[2:3]
	global_load_dwordx2 v[0:1], v[0:1], off
	s_nop 0
	global_load_dwordx2 v[8:9], v[8:9], off
.LBB774_4:
	s_or_b64 exec, exec, s[6:7]
	s_load_dwordx2 s[2:3], s[4:5], 0x28
	s_ashr_i32 s4, s10, 31
	v_mbcnt_lo_u32_b32 v16, -1, 0
	v_mbcnt_hi_u32_b32 v19, -1, v16
	v_and_b32_e32 v16, 0x78, v19
	s_waitcnt lgkmcnt(0)
	v_mov_b32_e32 v12, s3
	v_add_co_u32_e64 v10, s[2:3], s2, v10
	v_addc_co_u32_e64 v11, s[2:3], v12, v11, s[2:3]
	global_load_ubyte v14, v[10:11], off
	v_mov_b32_e32 v12, s4
	v_add_co_u32_e64 v10, s[2:3], s10, v10
	v_addc_co_u32_e64 v11, s[2:3], v11, v12, s[2:3]
	global_load_ubyte v15, v[10:11], off
	v_xor_b32_e32 v17, 4, v19
	v_add_u32_e32 v22, 8, v16
	v_cmp_lt_i32_e64 s[2:3], v17, v22
	s_waitcnt vmcnt(3)
	v_add_f64 v[10:11], v[4:5], 0
	v_add_f64 v[12:13], v[0:1], 0
	v_cndmask_b32_e64 v16, v19, v17, s[2:3]
	v_lshlrev_b32_e32 v16, 2, v16
	v_xor_b32_e32 v20, 2, v19
	v_cmp_lt_i32_e64 s[6:7], v20, v22
	v_cndmask_b32_e64 v20, v19, v20, s[6:7]
	v_lshlrev_b32_e32 v20, 2, v20
	v_xor_b32_e32 v21, 1, v19
	v_cmp_lt_i32_e64 s[6:7], v21, v22
	v_cndmask_b32_e64 v19, v19, v21, s[6:7]
	v_lshlrev_b32_e32 v19, 2, v19
	s_waitcnt vmcnt(1)
	v_and_b32_e32 v14, 1, v14
	v_cmp_eq_u32_e64 s[4:5], 1, v14
	v_cndmask_b32_e64 v11, v11, 0, s[4:5]
	v_cndmask_b32_e64 v10, v10, 0, s[4:5]
	s_waitcnt vmcnt(0)
	v_and_b32_e32 v14, 1, v15
	v_cmp_eq_u32_e64 s[2:3], 1, v14
	v_cndmask_b32_e64 v13, v13, 0, s[2:3]
	v_cndmask_b32_e64 v12, v12, 0, s[2:3]
	ds_bpermute_b32 v15, v16, v11
	ds_bpermute_b32 v14, v16, v10
	;; [unrolled: 1-line block ×4, first 2 shown]
	s_waitcnt lgkmcnt(2)
	v_add_f64 v[10:11], v[10:11], v[14:15]
	ds_bpermute_b32 v14, v20, v10
	s_waitcnt lgkmcnt(1)
	v_add_f64 v[12:13], v[12:13], v[16:17]
	ds_bpermute_b32 v15, v20, v11
	ds_bpermute_b32 v16, v20, v12
	;; [unrolled: 1-line block ×3, first 2 shown]
	s_waitcnt lgkmcnt(2)
	v_add_f64 v[14:15], v[10:11], v[14:15]
	s_waitcnt lgkmcnt(0)
	v_add_f64 v[10:11], v[12:13], v[16:17]
	ds_bpermute_b32 v16, v19, v14
	ds_bpermute_b32 v17, v19, v15
	;; [unrolled: 1-line block ×4, first 2 shown]
	s_and_saveexec_b64 s[6:7], s[0:1]
	s_cbranch_execz .LBB774_10
; %bb.5:
	v_mov_b32_e32 v19, s13
	v_add_co_u32_e64 v2, s[0:1], s12, v2
	v_addc_co_u32_e64 v3, s[0:1], v19, v3, s[0:1]
	s_and_saveexec_b64 s[0:1], vcc
	s_cbranch_execz .LBB774_7
; %bb.6:
	s_waitcnt lgkmcnt(2)
	v_add_f64 v[14:15], v[14:15], v[16:17]
	v_fma_f64 v[4:5], -v[14:15], v[6:7], v[4:5]
	v_cndmask_b32_e64 v5, v5, 0, s[4:5]
	v_cndmask_b32_e64 v4, v4, 0, s[4:5]
	global_store_dwordx2 v[2:3], v[4:5], off
.LBB774_7:
	s_or_b64 exec, exec, s[0:1]
	v_cmp_ne_u32_e64 s[0:1], 1, v18
	s_and_b64 exec, exec, s[0:1]
	s_cbranch_execz .LBB774_10
; %bb.8:
	s_and_b64 exec, exec, vcc
	s_cbranch_execz .LBB774_10
; %bb.9:
	s_mov_b32 s11, 0
	s_waitcnt lgkmcnt(0)
	v_add_f64 v[4:5], v[10:11], v[12:13]
	s_lshl_b64 s[0:1], s[10:11], 3
	v_fma_f64 v[0:1], -v[4:5], v[8:9], v[0:1]
	v_mov_b32_e32 v4, s1
	v_add_co_u32_e32 v2, vcc, s0, v2
	v_addc_co_u32_e32 v3, vcc, v3, v4, vcc
	v_cndmask_b32_e64 v1, v1, 0, s[2:3]
	v_cndmask_b32_e64 v0, v0, 0, s[2:3]
	global_store_dwordx2 v[2:3], v[0:1], off
.LBB774_10:
	s_endpgm
	.section	.rodata,"a",@progbits
	.p2align	6, 0x0
	.amdhsa_kernel _ZN12_GLOBAL__N_121softmax_warp_backwardIdddLi3ELb0ELb1ELi64EEEvPT0_PKT_S5_iiiPKb
		.amdhsa_group_segment_fixed_size 0
		.amdhsa_private_segment_fixed_size 0
		.amdhsa_kernarg_size 304
		.amdhsa_user_sgpr_count 6
		.amdhsa_user_sgpr_private_segment_buffer 1
		.amdhsa_user_sgpr_dispatch_ptr 0
		.amdhsa_user_sgpr_queue_ptr 0
		.amdhsa_user_sgpr_kernarg_segment_ptr 1
		.amdhsa_user_sgpr_dispatch_id 0
		.amdhsa_user_sgpr_flat_scratch_init 0
		.amdhsa_user_sgpr_kernarg_preload_length 0
		.amdhsa_user_sgpr_kernarg_preload_offset 0
		.amdhsa_user_sgpr_private_segment_size 0
		.amdhsa_uses_dynamic_stack 0
		.amdhsa_system_sgpr_private_segment_wavefront_offset 0
		.amdhsa_system_sgpr_workgroup_id_x 1
		.amdhsa_system_sgpr_workgroup_id_y 0
		.amdhsa_system_sgpr_workgroup_id_z 0
		.amdhsa_system_sgpr_workgroup_info 0
		.amdhsa_system_vgpr_workitem_id 1
		.amdhsa_next_free_vgpr 23
		.amdhsa_next_free_sgpr 16
		.amdhsa_accum_offset 24
		.amdhsa_reserve_vcc 1
		.amdhsa_reserve_flat_scratch 0
		.amdhsa_float_round_mode_32 0
		.amdhsa_float_round_mode_16_64 0
		.amdhsa_float_denorm_mode_32 3
		.amdhsa_float_denorm_mode_16_64 3
		.amdhsa_dx10_clamp 1
		.amdhsa_ieee_mode 1
		.amdhsa_fp16_overflow 0
		.amdhsa_tg_split 0
		.amdhsa_exception_fp_ieee_invalid_op 0
		.amdhsa_exception_fp_denorm_src 0
		.amdhsa_exception_fp_ieee_div_zero 0
		.amdhsa_exception_fp_ieee_overflow 0
		.amdhsa_exception_fp_ieee_underflow 0
		.amdhsa_exception_fp_ieee_inexact 0
		.amdhsa_exception_int_div_zero 0
	.end_amdhsa_kernel
	.section	.text._ZN12_GLOBAL__N_121softmax_warp_backwardIdddLi3ELb0ELb1ELi64EEEvPT0_PKT_S5_iiiPKb,"axG",@progbits,_ZN12_GLOBAL__N_121softmax_warp_backwardIdddLi3ELb0ELb1ELi64EEEvPT0_PKT_S5_iiiPKb,comdat
.Lfunc_end774:
	.size	_ZN12_GLOBAL__N_121softmax_warp_backwardIdddLi3ELb0ELb1ELi64EEEvPT0_PKT_S5_iiiPKb, .Lfunc_end774-_ZN12_GLOBAL__N_121softmax_warp_backwardIdddLi3ELb0ELb1ELi64EEEvPT0_PKT_S5_iiiPKb
                                        ; -- End function
	.section	.AMDGPU.csdata,"",@progbits
; Kernel info:
; codeLenInByte = 852
; NumSgprs: 20
; NumVgprs: 23
; NumAgprs: 0
; TotalNumVgprs: 23
; ScratchSize: 0
; MemoryBound: 0
; FloatMode: 240
; IeeeMode: 1
; LDSByteSize: 0 bytes/workgroup (compile time only)
; SGPRBlocks: 2
; VGPRBlocks: 2
; NumSGPRsForWavesPerEU: 20
; NumVGPRsForWavesPerEU: 23
; AccumOffset: 24
; Occupancy: 8
; WaveLimiterHint : 0
; COMPUTE_PGM_RSRC2:SCRATCH_EN: 0
; COMPUTE_PGM_RSRC2:USER_SGPR: 6
; COMPUTE_PGM_RSRC2:TRAP_HANDLER: 0
; COMPUTE_PGM_RSRC2:TGID_X_EN: 1
; COMPUTE_PGM_RSRC2:TGID_Y_EN: 0
; COMPUTE_PGM_RSRC2:TGID_Z_EN: 0
; COMPUTE_PGM_RSRC2:TIDIG_COMP_CNT: 1
; COMPUTE_PGM_RSRC3_GFX90A:ACCUM_OFFSET: 5
; COMPUTE_PGM_RSRC3_GFX90A:TG_SPLIT: 0
	.section	.text._ZN12_GLOBAL__N_121softmax_warp_backwardIdddLi3ELb0ELb1ELi32EEEvPT0_PKT_S5_iiiPKb,"axG",@progbits,_ZN12_GLOBAL__N_121softmax_warp_backwardIdddLi3ELb0ELb1ELi32EEEvPT0_PKT_S5_iiiPKb,comdat
	.globl	_ZN12_GLOBAL__N_121softmax_warp_backwardIdddLi3ELb0ELb1ELi32EEEvPT0_PKT_S5_iiiPKb ; -- Begin function _ZN12_GLOBAL__N_121softmax_warp_backwardIdddLi3ELb0ELb1ELi32EEEvPT0_PKT_S5_iiiPKb
	.p2align	8
	.type	_ZN12_GLOBAL__N_121softmax_warp_backwardIdddLi3ELb0ELb1ELi32EEEvPT0_PKT_S5_iiiPKb,@function
_ZN12_GLOBAL__N_121softmax_warp_backwardIdddLi3ELb0ELb1ELi32EEEvPT0_PKT_S5_iiiPKb: ; @_ZN12_GLOBAL__N_121softmax_warp_backwardIdddLi3ELb0ELb1ELi32EEEvPT0_PKT_S5_iiiPKb
; %bb.0:
	s_load_dword s2, s[4:5], 0x3c
	s_load_dwordx4 s[8:11], s[4:5], 0x18
	s_load_dwordx4 s[12:15], s[4:5], 0x0
	s_load_dwordx2 s[0:1], s[4:5], 0x10
	v_bfe_u32 v1, v0, 10, 10
	s_waitcnt lgkmcnt(0)
	s_lshr_b32 s2, s2, 16
	s_mul_i32 s6, s6, s2
	v_add_lshl_u32 v1, s6, v1, 1
	v_and_b32_e32 v0, 7, v0
	v_mad_u64_u32 v[10:11], s[2:3], v1, s9, v[0:1]
	v_ashrrev_i32_e32 v11, 31, v10
	v_lshlrev_b64 v[2:3], 3, v[10:11]
	v_sub_u32_e32 v18, s8, v1
	v_mov_b32_e32 v1, s15
	v_add_co_u32_e32 v12, vcc, s14, v2
	v_addc_co_u32_e32 v13, vcc, v1, v3, vcc
	v_mov_b32_e32 v1, s1
	v_add_co_u32_e32 v14, vcc, s0, v2
	v_addc_co_u32_e32 v15, vcc, v1, v3, vcc
	v_cmp_gt_i32_e32 vcc, s10, v0
	v_cmp_lt_i32_e64 s[0:1], 0, v18
	v_pk_mov_b32 v[0:1], 0, 0
	s_and_b64 s[6:7], vcc, s[0:1]
	v_pk_mov_b32 v[4:5], v[0:1], v[0:1] op_sel:[0,1]
	v_pk_mov_b32 v[6:7], v[0:1], v[0:1] op_sel:[0,1]
	s_and_saveexec_b64 s[2:3], s[6:7]
	s_cbranch_execz .LBB775_2
; %bb.1:
	global_load_dwordx2 v[4:5], v[12:13], off
	global_load_dwordx2 v[6:7], v[14:15], off
.LBB775_2:
	s_or_b64 exec, exec, s[2:3]
	v_cmp_lt_i32_e64 s[2:3], 1, v18
	s_and_b64 s[2:3], vcc, s[2:3]
	v_pk_mov_b32 v[8:9], v[0:1], v[0:1] op_sel:[0,1]
	s_and_saveexec_b64 s[6:7], s[2:3]
	s_cbranch_execz .LBB775_4
; %bb.3:
	s_mov_b32 s11, 0
	s_lshl_b64 s[8:9], s[10:11], 3
	v_mov_b32_e32 v9, s9
	v_add_co_u32_e64 v0, s[2:3], s8, v12
	v_addc_co_u32_e64 v1, s[2:3], v13, v9, s[2:3]
	v_add_co_u32_e64 v8, s[2:3], s8, v14
	v_addc_co_u32_e64 v9, s[2:3], v15, v9, s[2:3]
	global_load_dwordx2 v[0:1], v[0:1], off
	s_nop 0
	global_load_dwordx2 v[8:9], v[8:9], off
.LBB775_4:
	s_or_b64 exec, exec, s[6:7]
	s_load_dwordx2 s[2:3], s[4:5], 0x28
	s_ashr_i32 s4, s10, 31
	v_mbcnt_lo_u32_b32 v16, -1, 0
	v_mbcnt_hi_u32_b32 v19, -1, v16
	v_and_b32_e32 v16, 0x78, v19
	s_waitcnt lgkmcnt(0)
	v_mov_b32_e32 v12, s3
	v_add_co_u32_e64 v10, s[2:3], s2, v10
	v_addc_co_u32_e64 v11, s[2:3], v12, v11, s[2:3]
	global_load_ubyte v14, v[10:11], off
	v_mov_b32_e32 v12, s4
	v_add_co_u32_e64 v10, s[2:3], s10, v10
	v_addc_co_u32_e64 v11, s[2:3], v11, v12, s[2:3]
	global_load_ubyte v15, v[10:11], off
	v_xor_b32_e32 v17, 4, v19
	v_add_u32_e32 v22, 8, v16
	v_cmp_lt_i32_e64 s[2:3], v17, v22
	s_waitcnt vmcnt(3)
	v_add_f64 v[10:11], v[4:5], 0
	v_add_f64 v[12:13], v[0:1], 0
	v_cndmask_b32_e64 v16, v19, v17, s[2:3]
	v_lshlrev_b32_e32 v16, 2, v16
	v_xor_b32_e32 v20, 2, v19
	v_cmp_lt_i32_e64 s[6:7], v20, v22
	v_cndmask_b32_e64 v20, v19, v20, s[6:7]
	v_lshlrev_b32_e32 v20, 2, v20
	v_xor_b32_e32 v21, 1, v19
	v_cmp_lt_i32_e64 s[6:7], v21, v22
	v_cndmask_b32_e64 v19, v19, v21, s[6:7]
	v_lshlrev_b32_e32 v19, 2, v19
	s_waitcnt vmcnt(1)
	v_and_b32_e32 v14, 1, v14
	v_cmp_eq_u32_e64 s[4:5], 1, v14
	v_cndmask_b32_e64 v11, v11, 0, s[4:5]
	v_cndmask_b32_e64 v10, v10, 0, s[4:5]
	s_waitcnt vmcnt(0)
	v_and_b32_e32 v14, 1, v15
	v_cmp_eq_u32_e64 s[2:3], 1, v14
	v_cndmask_b32_e64 v13, v13, 0, s[2:3]
	v_cndmask_b32_e64 v12, v12, 0, s[2:3]
	ds_bpermute_b32 v15, v16, v11
	ds_bpermute_b32 v14, v16, v10
	;; [unrolled: 1-line block ×4, first 2 shown]
	s_waitcnt lgkmcnt(2)
	v_add_f64 v[10:11], v[10:11], v[14:15]
	ds_bpermute_b32 v14, v20, v10
	s_waitcnt lgkmcnt(1)
	v_add_f64 v[12:13], v[12:13], v[16:17]
	ds_bpermute_b32 v15, v20, v11
	ds_bpermute_b32 v16, v20, v12
	;; [unrolled: 1-line block ×3, first 2 shown]
	s_waitcnt lgkmcnt(2)
	v_add_f64 v[14:15], v[10:11], v[14:15]
	s_waitcnt lgkmcnt(0)
	v_add_f64 v[10:11], v[12:13], v[16:17]
	ds_bpermute_b32 v16, v19, v14
	ds_bpermute_b32 v17, v19, v15
	;; [unrolled: 1-line block ×4, first 2 shown]
	s_and_saveexec_b64 s[6:7], s[0:1]
	s_cbranch_execz .LBB775_10
; %bb.5:
	v_mov_b32_e32 v19, s13
	v_add_co_u32_e64 v2, s[0:1], s12, v2
	v_addc_co_u32_e64 v3, s[0:1], v19, v3, s[0:1]
	s_and_saveexec_b64 s[0:1], vcc
	s_cbranch_execz .LBB775_7
; %bb.6:
	s_waitcnt lgkmcnt(2)
	v_add_f64 v[14:15], v[14:15], v[16:17]
	v_fma_f64 v[4:5], -v[14:15], v[6:7], v[4:5]
	v_cndmask_b32_e64 v5, v5, 0, s[4:5]
	v_cndmask_b32_e64 v4, v4, 0, s[4:5]
	global_store_dwordx2 v[2:3], v[4:5], off
.LBB775_7:
	s_or_b64 exec, exec, s[0:1]
	v_cmp_ne_u32_e64 s[0:1], 1, v18
	s_and_b64 exec, exec, s[0:1]
	s_cbranch_execz .LBB775_10
; %bb.8:
	s_and_b64 exec, exec, vcc
	s_cbranch_execz .LBB775_10
; %bb.9:
	s_mov_b32 s11, 0
	s_waitcnt lgkmcnt(0)
	v_add_f64 v[4:5], v[10:11], v[12:13]
	s_lshl_b64 s[0:1], s[10:11], 3
	v_fma_f64 v[0:1], -v[4:5], v[8:9], v[0:1]
	v_mov_b32_e32 v4, s1
	v_add_co_u32_e32 v2, vcc, s0, v2
	v_addc_co_u32_e32 v3, vcc, v3, v4, vcc
	v_cndmask_b32_e64 v1, v1, 0, s[2:3]
	v_cndmask_b32_e64 v0, v0, 0, s[2:3]
	global_store_dwordx2 v[2:3], v[0:1], off
.LBB775_10:
	s_endpgm
	.section	.rodata,"a",@progbits
	.p2align	6, 0x0
	.amdhsa_kernel _ZN12_GLOBAL__N_121softmax_warp_backwardIdddLi3ELb0ELb1ELi32EEEvPT0_PKT_S5_iiiPKb
		.amdhsa_group_segment_fixed_size 0
		.amdhsa_private_segment_fixed_size 0
		.amdhsa_kernarg_size 304
		.amdhsa_user_sgpr_count 6
		.amdhsa_user_sgpr_private_segment_buffer 1
		.amdhsa_user_sgpr_dispatch_ptr 0
		.amdhsa_user_sgpr_queue_ptr 0
		.amdhsa_user_sgpr_kernarg_segment_ptr 1
		.amdhsa_user_sgpr_dispatch_id 0
		.amdhsa_user_sgpr_flat_scratch_init 0
		.amdhsa_user_sgpr_kernarg_preload_length 0
		.amdhsa_user_sgpr_kernarg_preload_offset 0
		.amdhsa_user_sgpr_private_segment_size 0
		.amdhsa_uses_dynamic_stack 0
		.amdhsa_system_sgpr_private_segment_wavefront_offset 0
		.amdhsa_system_sgpr_workgroup_id_x 1
		.amdhsa_system_sgpr_workgroup_id_y 0
		.amdhsa_system_sgpr_workgroup_id_z 0
		.amdhsa_system_sgpr_workgroup_info 0
		.amdhsa_system_vgpr_workitem_id 1
		.amdhsa_next_free_vgpr 23
		.amdhsa_next_free_sgpr 16
		.amdhsa_accum_offset 24
		.amdhsa_reserve_vcc 1
		.amdhsa_reserve_flat_scratch 0
		.amdhsa_float_round_mode_32 0
		.amdhsa_float_round_mode_16_64 0
		.amdhsa_float_denorm_mode_32 3
		.amdhsa_float_denorm_mode_16_64 3
		.amdhsa_dx10_clamp 1
		.amdhsa_ieee_mode 1
		.amdhsa_fp16_overflow 0
		.amdhsa_tg_split 0
		.amdhsa_exception_fp_ieee_invalid_op 0
		.amdhsa_exception_fp_denorm_src 0
		.amdhsa_exception_fp_ieee_div_zero 0
		.amdhsa_exception_fp_ieee_overflow 0
		.amdhsa_exception_fp_ieee_underflow 0
		.amdhsa_exception_fp_ieee_inexact 0
		.amdhsa_exception_int_div_zero 0
	.end_amdhsa_kernel
	.section	.text._ZN12_GLOBAL__N_121softmax_warp_backwardIdddLi3ELb0ELb1ELi32EEEvPT0_PKT_S5_iiiPKb,"axG",@progbits,_ZN12_GLOBAL__N_121softmax_warp_backwardIdddLi3ELb0ELb1ELi32EEEvPT0_PKT_S5_iiiPKb,comdat
.Lfunc_end775:
	.size	_ZN12_GLOBAL__N_121softmax_warp_backwardIdddLi3ELb0ELb1ELi32EEEvPT0_PKT_S5_iiiPKb, .Lfunc_end775-_ZN12_GLOBAL__N_121softmax_warp_backwardIdddLi3ELb0ELb1ELi32EEEvPT0_PKT_S5_iiiPKb
                                        ; -- End function
	.section	.AMDGPU.csdata,"",@progbits
; Kernel info:
; codeLenInByte = 852
; NumSgprs: 20
; NumVgprs: 23
; NumAgprs: 0
; TotalNumVgprs: 23
; ScratchSize: 0
; MemoryBound: 0
; FloatMode: 240
; IeeeMode: 1
; LDSByteSize: 0 bytes/workgroup (compile time only)
; SGPRBlocks: 2
; VGPRBlocks: 2
; NumSGPRsForWavesPerEU: 20
; NumVGPRsForWavesPerEU: 23
; AccumOffset: 24
; Occupancy: 8
; WaveLimiterHint : 0
; COMPUTE_PGM_RSRC2:SCRATCH_EN: 0
; COMPUTE_PGM_RSRC2:USER_SGPR: 6
; COMPUTE_PGM_RSRC2:TRAP_HANDLER: 0
; COMPUTE_PGM_RSRC2:TGID_X_EN: 1
; COMPUTE_PGM_RSRC2:TGID_Y_EN: 0
; COMPUTE_PGM_RSRC2:TGID_Z_EN: 0
; COMPUTE_PGM_RSRC2:TIDIG_COMP_CNT: 1
; COMPUTE_PGM_RSRC3_GFX90A:ACCUM_OFFSET: 5
; COMPUTE_PGM_RSRC3_GFX90A:TG_SPLIT: 0
	.section	.text._ZN12_GLOBAL__N_121softmax_warp_backwardIdddLi4ELb0ELb1ELi64EEEvPT0_PKT_S5_iiiPKb,"axG",@progbits,_ZN12_GLOBAL__N_121softmax_warp_backwardIdddLi4ELb0ELb1ELi64EEEvPT0_PKT_S5_iiiPKb,comdat
	.globl	_ZN12_GLOBAL__N_121softmax_warp_backwardIdddLi4ELb0ELb1ELi64EEEvPT0_PKT_S5_iiiPKb ; -- Begin function _ZN12_GLOBAL__N_121softmax_warp_backwardIdddLi4ELb0ELb1ELi64EEEvPT0_PKT_S5_iiiPKb
	.p2align	8
	.type	_ZN12_GLOBAL__N_121softmax_warp_backwardIdddLi4ELb0ELb1ELi64EEEvPT0_PKT_S5_iiiPKb,@function
_ZN12_GLOBAL__N_121softmax_warp_backwardIdddLi4ELb0ELb1ELi64EEEvPT0_PKT_S5_iiiPKb: ; @_ZN12_GLOBAL__N_121softmax_warp_backwardIdddLi4ELb0ELb1ELi64EEEvPT0_PKT_S5_iiiPKb
; %bb.0:
	s_load_dword s2, s[4:5], 0x3c
	s_load_dwordx4 s[8:11], s[4:5], 0x18
	s_load_dwordx4 s[12:15], s[4:5], 0x0
	s_load_dwordx2 s[0:1], s[4:5], 0x10
	v_bfe_u32 v1, v0, 10, 10
	s_waitcnt lgkmcnt(0)
	s_lshr_b32 s2, s2, 16
	s_mul_i32 s6, s6, s2
	v_add_lshl_u32 v1, s6, v1, 1
	v_and_b32_e32 v0, 15, v0
	v_mad_u64_u32 v[10:11], s[2:3], v1, s9, v[0:1]
	v_ashrrev_i32_e32 v11, 31, v10
	v_lshlrev_b64 v[4:5], 3, v[10:11]
	v_sub_u32_e32 v22, s8, v1
	v_mov_b32_e32 v1, s15
	v_add_co_u32_e32 v12, vcc, s14, v4
	v_addc_co_u32_e32 v13, vcc, v1, v5, vcc
	v_mov_b32_e32 v1, s1
	v_add_co_u32_e32 v14, vcc, s0, v4
	v_addc_co_u32_e32 v15, vcc, v1, v5, vcc
	v_cmp_gt_i32_e32 vcc, s10, v0
	v_cmp_lt_i32_e64 s[0:1], 0, v22
	v_pk_mov_b32 v[0:1], 0, 0
	s_and_b64 s[6:7], vcc, s[0:1]
	v_pk_mov_b32 v[6:7], v[0:1], v[0:1] op_sel:[0,1]
	v_pk_mov_b32 v[8:9], v[0:1], v[0:1] op_sel:[0,1]
	s_and_saveexec_b64 s[2:3], s[6:7]
	s_cbranch_execz .LBB776_2
; %bb.1:
	global_load_dwordx2 v[6:7], v[12:13], off
	global_load_dwordx2 v[8:9], v[14:15], off
.LBB776_2:
	s_or_b64 exec, exec, s[2:3]
	v_cmp_lt_i32_e64 s[2:3], 1, v22
	s_and_b64 s[2:3], vcc, s[2:3]
	v_pk_mov_b32 v[2:3], v[0:1], v[0:1] op_sel:[0,1]
	s_and_saveexec_b64 s[6:7], s[2:3]
	s_cbranch_execz .LBB776_4
; %bb.3:
	s_mov_b32 s11, 0
	s_lshl_b64 s[8:9], s[10:11], 3
	v_mov_b32_e32 v3, s9
	v_add_co_u32_e64 v0, s[2:3], s8, v12
	v_addc_co_u32_e64 v1, s[2:3], v13, v3, s[2:3]
	v_add_co_u32_e64 v2, s[2:3], s8, v14
	v_addc_co_u32_e64 v3, s[2:3], v15, v3, s[2:3]
	global_load_dwordx2 v[0:1], v[0:1], off
	s_nop 0
	global_load_dwordx2 v[2:3], v[2:3], off
.LBB776_4:
	s_or_b64 exec, exec, s[6:7]
	s_load_dwordx2 s[2:3], s[4:5], 0x28
	s_ashr_i32 s4, s10, 31
	s_waitcnt vmcnt(1)
	v_add_f64 v[14:15], v[6:7], 0
	v_add_f64 v[16:17], v[0:1], 0
	s_waitcnt lgkmcnt(0)
	v_mov_b32_e32 v13, s3
	v_add_co_u32_e64 v12, s[2:3], s2, v10
	v_addc_co_u32_e64 v13, s[2:3], v13, v11, s[2:3]
	v_mov_b32_e32 v11, s4
	v_add_co_u32_e64 v10, s[2:3], s10, v12
	v_addc_co_u32_e64 v11, s[4:5], v13, v11, s[2:3]
	global_load_ubyte v18, v[12:13], off
	s_nop 0
	global_load_ubyte v11, v[10:11], off
	v_mbcnt_lo_u32_b32 v12, -1, 0
	v_mbcnt_hi_u32_b32 v12, -1, v12
	v_and_b32_e32 v19, 0x70, v12
	v_xor_b32_e32 v20, 8, v12
	v_add_u32_e32 v26, 16, v19
	v_cmp_lt_i32_e64 s[4:5], v20, v26
	v_cndmask_b32_e64 v19, v12, v20, s[4:5]
	v_lshlrev_b32_e32 v20, 2, v19
	v_xor_b32_e32 v23, 4, v12
	v_xor_b32_e32 v24, 2, v12
	;; [unrolled: 1-line block ×3, first 2 shown]
	s_waitcnt vmcnt(1)
	v_and_b32_e32 v18, 1, v18
	v_cmp_eq_u32_e64 s[4:5], 1, v18
	s_waitcnt vmcnt(0)
	v_and_b32_e32 v11, 1, v11
	v_cmp_eq_u32_e64 s[6:7], 1, v11
	v_cndmask_b32_e64 v15, v15, 0, s[4:5]
	v_cndmask_b32_e64 v14, v14, 0, s[4:5]
	;; [unrolled: 1-line block ×4, first 2 shown]
	ds_bpermute_b32 v19, v20, v15
	ds_bpermute_b32 v18, v20, v14
	ds_bpermute_b32 v21, v20, v17
	ds_bpermute_b32 v20, v20, v16
	v_cmp_lt_i32_e64 s[6:7], v23, v26
	v_cndmask_b32_e64 v11, v12, v23, s[6:7]
	v_lshlrev_b32_e32 v11, 2, v11
	s_waitcnt lgkmcnt(2)
	v_add_f64 v[14:15], v[14:15], v[18:19]
	s_waitcnt lgkmcnt(0)
	v_add_f64 v[16:17], v[16:17], v[20:21]
	ds_bpermute_b32 v18, v11, v14
	ds_bpermute_b32 v19, v11, v15
	ds_bpermute_b32 v20, v11, v16
	ds_bpermute_b32 v21, v11, v17
	v_cmp_lt_i32_e64 s[6:7], v24, v26
	v_cndmask_b32_e64 v11, v12, v24, s[6:7]
	v_lshlrev_b32_e32 v11, 2, v11
	s_waitcnt lgkmcnt(2)
	v_add_f64 v[14:15], v[14:15], v[18:19]
	s_waitcnt lgkmcnt(0)
	v_add_f64 v[16:17], v[16:17], v[20:21]
	;; [unrolled: 11-line block ×3, first 2 shown]
	ds_bpermute_b32 v20, v11, v18
	ds_bpermute_b32 v21, v11, v19
	;; [unrolled: 1-line block ×4, first 2 shown]
	s_and_saveexec_b64 s[6:7], s[0:1]
	s_cbranch_execz .LBB776_10
; %bb.5:
	v_mov_b32_e32 v11, s13
	v_add_co_u32_e64 v4, s[0:1], s12, v4
	v_addc_co_u32_e64 v5, s[0:1], v11, v5, s[0:1]
	s_and_saveexec_b64 s[0:1], vcc
	s_cbranch_execz .LBB776_7
; %bb.6:
	s_waitcnt lgkmcnt(2)
	v_add_f64 v[18:19], v[18:19], v[20:21]
	v_fma_f64 v[6:7], -v[18:19], v[8:9], v[6:7]
	v_cndmask_b32_e64 v7, v7, 0, s[4:5]
	v_cndmask_b32_e64 v6, v6, 0, s[4:5]
	global_store_dwordx2 v[4:5], v[6:7], off
.LBB776_7:
	s_or_b64 exec, exec, s[0:1]
	v_cmp_ne_u32_e64 s[0:1], 1, v22
	s_and_b64 exec, exec, s[0:1]
	s_cbranch_execz .LBB776_10
; %bb.8:
	s_and_b64 exec, exec, vcc
	s_cbranch_execz .LBB776_10
; %bb.9:
	v_addc_co_u32_e64 v11, vcc, 0, v13, s[2:3]
	global_load_ubyte v8, v[10:11], off
	s_mov_b32 s11, 0
	s_waitcnt lgkmcnt(0)
	v_add_f64 v[6:7], v[14:15], v[16:17]
	s_lshl_b64 s[0:1], s[10:11], 3
	v_fma_f64 v[0:1], -v[6:7], v[2:3], v[0:1]
	v_mov_b32_e32 v3, s1
	v_add_co_u32_e32 v2, vcc, s0, v4
	v_addc_co_u32_e32 v3, vcc, v5, v3, vcc
	s_waitcnt vmcnt(0)
	v_and_b32_e32 v4, 1, v8
	v_cmp_eq_u32_e32 vcc, 1, v4
	v_cndmask_b32_e64 v1, v1, 0, vcc
	v_cndmask_b32_e64 v0, v0, 0, vcc
	global_store_dwordx2 v[2:3], v[0:1], off
.LBB776_10:
	s_endpgm
	.section	.rodata,"a",@progbits
	.p2align	6, 0x0
	.amdhsa_kernel _ZN12_GLOBAL__N_121softmax_warp_backwardIdddLi4ELb0ELb1ELi64EEEvPT0_PKT_S5_iiiPKb
		.amdhsa_group_segment_fixed_size 0
		.amdhsa_private_segment_fixed_size 0
		.amdhsa_kernarg_size 304
		.amdhsa_user_sgpr_count 6
		.amdhsa_user_sgpr_private_segment_buffer 1
		.amdhsa_user_sgpr_dispatch_ptr 0
		.amdhsa_user_sgpr_queue_ptr 0
		.amdhsa_user_sgpr_kernarg_segment_ptr 1
		.amdhsa_user_sgpr_dispatch_id 0
		.amdhsa_user_sgpr_flat_scratch_init 0
		.amdhsa_user_sgpr_kernarg_preload_length 0
		.amdhsa_user_sgpr_kernarg_preload_offset 0
		.amdhsa_user_sgpr_private_segment_size 0
		.amdhsa_uses_dynamic_stack 0
		.amdhsa_system_sgpr_private_segment_wavefront_offset 0
		.amdhsa_system_sgpr_workgroup_id_x 1
		.amdhsa_system_sgpr_workgroup_id_y 0
		.amdhsa_system_sgpr_workgroup_id_z 0
		.amdhsa_system_sgpr_workgroup_info 0
		.amdhsa_system_vgpr_workitem_id 1
		.amdhsa_next_free_vgpr 27
		.amdhsa_next_free_sgpr 16
		.amdhsa_accum_offset 28
		.amdhsa_reserve_vcc 1
		.amdhsa_reserve_flat_scratch 0
		.amdhsa_float_round_mode_32 0
		.amdhsa_float_round_mode_16_64 0
		.amdhsa_float_denorm_mode_32 3
		.amdhsa_float_denorm_mode_16_64 3
		.amdhsa_dx10_clamp 1
		.amdhsa_ieee_mode 1
		.amdhsa_fp16_overflow 0
		.amdhsa_tg_split 0
		.amdhsa_exception_fp_ieee_invalid_op 0
		.amdhsa_exception_fp_denorm_src 0
		.amdhsa_exception_fp_ieee_div_zero 0
		.amdhsa_exception_fp_ieee_overflow 0
		.amdhsa_exception_fp_ieee_underflow 0
		.amdhsa_exception_fp_ieee_inexact 0
		.amdhsa_exception_int_div_zero 0
	.end_amdhsa_kernel
	.section	.text._ZN12_GLOBAL__N_121softmax_warp_backwardIdddLi4ELb0ELb1ELi64EEEvPT0_PKT_S5_iiiPKb,"axG",@progbits,_ZN12_GLOBAL__N_121softmax_warp_backwardIdddLi4ELb0ELb1ELi64EEEvPT0_PKT_S5_iiiPKb,comdat
.Lfunc_end776:
	.size	_ZN12_GLOBAL__N_121softmax_warp_backwardIdddLi4ELb0ELb1ELi64EEEvPT0_PKT_S5_iiiPKb, .Lfunc_end776-_ZN12_GLOBAL__N_121softmax_warp_backwardIdddLi4ELb0ELb1ELi64EEEvPT0_PKT_S5_iiiPKb
                                        ; -- End function
	.section	.AMDGPU.csdata,"",@progbits
; Kernel info:
; codeLenInByte = 964
; NumSgprs: 20
; NumVgprs: 27
; NumAgprs: 0
; TotalNumVgprs: 27
; ScratchSize: 0
; MemoryBound: 0
; FloatMode: 240
; IeeeMode: 1
; LDSByteSize: 0 bytes/workgroup (compile time only)
; SGPRBlocks: 2
; VGPRBlocks: 3
; NumSGPRsForWavesPerEU: 20
; NumVGPRsForWavesPerEU: 27
; AccumOffset: 28
; Occupancy: 8
; WaveLimiterHint : 0
; COMPUTE_PGM_RSRC2:SCRATCH_EN: 0
; COMPUTE_PGM_RSRC2:USER_SGPR: 6
; COMPUTE_PGM_RSRC2:TRAP_HANDLER: 0
; COMPUTE_PGM_RSRC2:TGID_X_EN: 1
; COMPUTE_PGM_RSRC2:TGID_Y_EN: 0
; COMPUTE_PGM_RSRC2:TGID_Z_EN: 0
; COMPUTE_PGM_RSRC2:TIDIG_COMP_CNT: 1
; COMPUTE_PGM_RSRC3_GFX90A:ACCUM_OFFSET: 6
; COMPUTE_PGM_RSRC3_GFX90A:TG_SPLIT: 0
	.section	.text._ZN12_GLOBAL__N_121softmax_warp_backwardIdddLi4ELb0ELb1ELi32EEEvPT0_PKT_S5_iiiPKb,"axG",@progbits,_ZN12_GLOBAL__N_121softmax_warp_backwardIdddLi4ELb0ELb1ELi32EEEvPT0_PKT_S5_iiiPKb,comdat
	.globl	_ZN12_GLOBAL__N_121softmax_warp_backwardIdddLi4ELb0ELb1ELi32EEEvPT0_PKT_S5_iiiPKb ; -- Begin function _ZN12_GLOBAL__N_121softmax_warp_backwardIdddLi4ELb0ELb1ELi32EEEvPT0_PKT_S5_iiiPKb
	.p2align	8
	.type	_ZN12_GLOBAL__N_121softmax_warp_backwardIdddLi4ELb0ELb1ELi32EEEvPT0_PKT_S5_iiiPKb,@function
_ZN12_GLOBAL__N_121softmax_warp_backwardIdddLi4ELb0ELb1ELi32EEEvPT0_PKT_S5_iiiPKb: ; @_ZN12_GLOBAL__N_121softmax_warp_backwardIdddLi4ELb0ELb1ELi32EEEvPT0_PKT_S5_iiiPKb
; %bb.0:
	s_load_dword s2, s[4:5], 0x3c
	s_load_dwordx4 s[8:11], s[4:5], 0x18
	s_load_dwordx4 s[12:15], s[4:5], 0x0
	s_load_dwordx2 s[0:1], s[4:5], 0x10
	v_bfe_u32 v1, v0, 10, 10
	s_waitcnt lgkmcnt(0)
	s_lshr_b32 s2, s2, 16
	s_mul_i32 s6, s6, s2
	v_add_lshl_u32 v1, s6, v1, 1
	v_and_b32_e32 v0, 15, v0
	v_mad_u64_u32 v[10:11], s[2:3], v1, s9, v[0:1]
	v_ashrrev_i32_e32 v11, 31, v10
	v_lshlrev_b64 v[4:5], 3, v[10:11]
	v_sub_u32_e32 v22, s8, v1
	v_mov_b32_e32 v1, s15
	v_add_co_u32_e32 v12, vcc, s14, v4
	v_addc_co_u32_e32 v13, vcc, v1, v5, vcc
	v_mov_b32_e32 v1, s1
	v_add_co_u32_e32 v14, vcc, s0, v4
	v_addc_co_u32_e32 v15, vcc, v1, v5, vcc
	v_cmp_gt_i32_e32 vcc, s10, v0
	v_cmp_lt_i32_e64 s[0:1], 0, v22
	v_pk_mov_b32 v[0:1], 0, 0
	s_and_b64 s[6:7], vcc, s[0:1]
	v_pk_mov_b32 v[6:7], v[0:1], v[0:1] op_sel:[0,1]
	v_pk_mov_b32 v[8:9], v[0:1], v[0:1] op_sel:[0,1]
	s_and_saveexec_b64 s[2:3], s[6:7]
	s_cbranch_execz .LBB777_2
; %bb.1:
	global_load_dwordx2 v[6:7], v[12:13], off
	global_load_dwordx2 v[8:9], v[14:15], off
.LBB777_2:
	s_or_b64 exec, exec, s[2:3]
	v_cmp_lt_i32_e64 s[2:3], 1, v22
	s_and_b64 s[2:3], vcc, s[2:3]
	v_pk_mov_b32 v[2:3], v[0:1], v[0:1] op_sel:[0,1]
	s_and_saveexec_b64 s[6:7], s[2:3]
	s_cbranch_execz .LBB777_4
; %bb.3:
	s_mov_b32 s11, 0
	s_lshl_b64 s[8:9], s[10:11], 3
	v_mov_b32_e32 v3, s9
	v_add_co_u32_e64 v0, s[2:3], s8, v12
	v_addc_co_u32_e64 v1, s[2:3], v13, v3, s[2:3]
	v_add_co_u32_e64 v2, s[2:3], s8, v14
	v_addc_co_u32_e64 v3, s[2:3], v15, v3, s[2:3]
	global_load_dwordx2 v[0:1], v[0:1], off
	s_nop 0
	global_load_dwordx2 v[2:3], v[2:3], off
.LBB777_4:
	s_or_b64 exec, exec, s[6:7]
	s_load_dwordx2 s[2:3], s[4:5], 0x28
	s_ashr_i32 s4, s10, 31
	s_waitcnt vmcnt(1)
	v_add_f64 v[14:15], v[6:7], 0
	v_add_f64 v[16:17], v[0:1], 0
	s_waitcnt lgkmcnt(0)
	v_mov_b32_e32 v13, s3
	v_add_co_u32_e64 v12, s[2:3], s2, v10
	v_addc_co_u32_e64 v13, s[2:3], v13, v11, s[2:3]
	v_mov_b32_e32 v11, s4
	v_add_co_u32_e64 v10, s[2:3], s10, v12
	v_addc_co_u32_e64 v11, s[4:5], v13, v11, s[2:3]
	global_load_ubyte v18, v[12:13], off
	s_nop 0
	global_load_ubyte v11, v[10:11], off
	v_mbcnt_lo_u32_b32 v12, -1, 0
	v_mbcnt_hi_u32_b32 v12, -1, v12
	v_and_b32_e32 v19, 0x70, v12
	v_xor_b32_e32 v20, 8, v12
	v_add_u32_e32 v26, 16, v19
	v_cmp_lt_i32_e64 s[4:5], v20, v26
	v_cndmask_b32_e64 v19, v12, v20, s[4:5]
	v_lshlrev_b32_e32 v20, 2, v19
	v_xor_b32_e32 v23, 4, v12
	v_xor_b32_e32 v24, 2, v12
	;; [unrolled: 1-line block ×3, first 2 shown]
	s_waitcnt vmcnt(1)
	v_and_b32_e32 v18, 1, v18
	v_cmp_eq_u32_e64 s[4:5], 1, v18
	s_waitcnt vmcnt(0)
	v_and_b32_e32 v11, 1, v11
	v_cmp_eq_u32_e64 s[6:7], 1, v11
	v_cndmask_b32_e64 v15, v15, 0, s[4:5]
	v_cndmask_b32_e64 v14, v14, 0, s[4:5]
	;; [unrolled: 1-line block ×4, first 2 shown]
	ds_bpermute_b32 v19, v20, v15
	ds_bpermute_b32 v18, v20, v14
	ds_bpermute_b32 v21, v20, v17
	ds_bpermute_b32 v20, v20, v16
	v_cmp_lt_i32_e64 s[6:7], v23, v26
	v_cndmask_b32_e64 v11, v12, v23, s[6:7]
	v_lshlrev_b32_e32 v11, 2, v11
	s_waitcnt lgkmcnt(2)
	v_add_f64 v[14:15], v[14:15], v[18:19]
	s_waitcnt lgkmcnt(0)
	v_add_f64 v[16:17], v[16:17], v[20:21]
	ds_bpermute_b32 v18, v11, v14
	ds_bpermute_b32 v19, v11, v15
	ds_bpermute_b32 v20, v11, v16
	ds_bpermute_b32 v21, v11, v17
	v_cmp_lt_i32_e64 s[6:7], v24, v26
	v_cndmask_b32_e64 v11, v12, v24, s[6:7]
	v_lshlrev_b32_e32 v11, 2, v11
	s_waitcnt lgkmcnt(2)
	v_add_f64 v[14:15], v[14:15], v[18:19]
	s_waitcnt lgkmcnt(0)
	v_add_f64 v[16:17], v[16:17], v[20:21]
	;; [unrolled: 11-line block ×3, first 2 shown]
	ds_bpermute_b32 v20, v11, v18
	ds_bpermute_b32 v21, v11, v19
	ds_bpermute_b32 v16, v11, v14
	ds_bpermute_b32 v17, v11, v15
	s_and_saveexec_b64 s[6:7], s[0:1]
	s_cbranch_execz .LBB777_10
; %bb.5:
	v_mov_b32_e32 v11, s13
	v_add_co_u32_e64 v4, s[0:1], s12, v4
	v_addc_co_u32_e64 v5, s[0:1], v11, v5, s[0:1]
	s_and_saveexec_b64 s[0:1], vcc
	s_cbranch_execz .LBB777_7
; %bb.6:
	s_waitcnt lgkmcnt(2)
	v_add_f64 v[18:19], v[18:19], v[20:21]
	v_fma_f64 v[6:7], -v[18:19], v[8:9], v[6:7]
	v_cndmask_b32_e64 v7, v7, 0, s[4:5]
	v_cndmask_b32_e64 v6, v6, 0, s[4:5]
	global_store_dwordx2 v[4:5], v[6:7], off
.LBB777_7:
	s_or_b64 exec, exec, s[0:1]
	v_cmp_ne_u32_e64 s[0:1], 1, v22
	s_and_b64 exec, exec, s[0:1]
	s_cbranch_execz .LBB777_10
; %bb.8:
	s_and_b64 exec, exec, vcc
	s_cbranch_execz .LBB777_10
; %bb.9:
	v_addc_co_u32_e64 v11, vcc, 0, v13, s[2:3]
	global_load_ubyte v8, v[10:11], off
	s_mov_b32 s11, 0
	s_waitcnt lgkmcnt(0)
	v_add_f64 v[6:7], v[14:15], v[16:17]
	s_lshl_b64 s[0:1], s[10:11], 3
	v_fma_f64 v[0:1], -v[6:7], v[2:3], v[0:1]
	v_mov_b32_e32 v3, s1
	v_add_co_u32_e32 v2, vcc, s0, v4
	v_addc_co_u32_e32 v3, vcc, v5, v3, vcc
	s_waitcnt vmcnt(0)
	v_and_b32_e32 v4, 1, v8
	v_cmp_eq_u32_e32 vcc, 1, v4
	v_cndmask_b32_e64 v1, v1, 0, vcc
	v_cndmask_b32_e64 v0, v0, 0, vcc
	global_store_dwordx2 v[2:3], v[0:1], off
.LBB777_10:
	s_endpgm
	.section	.rodata,"a",@progbits
	.p2align	6, 0x0
	.amdhsa_kernel _ZN12_GLOBAL__N_121softmax_warp_backwardIdddLi4ELb0ELb1ELi32EEEvPT0_PKT_S5_iiiPKb
		.amdhsa_group_segment_fixed_size 0
		.amdhsa_private_segment_fixed_size 0
		.amdhsa_kernarg_size 304
		.amdhsa_user_sgpr_count 6
		.amdhsa_user_sgpr_private_segment_buffer 1
		.amdhsa_user_sgpr_dispatch_ptr 0
		.amdhsa_user_sgpr_queue_ptr 0
		.amdhsa_user_sgpr_kernarg_segment_ptr 1
		.amdhsa_user_sgpr_dispatch_id 0
		.amdhsa_user_sgpr_flat_scratch_init 0
		.amdhsa_user_sgpr_kernarg_preload_length 0
		.amdhsa_user_sgpr_kernarg_preload_offset 0
		.amdhsa_user_sgpr_private_segment_size 0
		.amdhsa_uses_dynamic_stack 0
		.amdhsa_system_sgpr_private_segment_wavefront_offset 0
		.amdhsa_system_sgpr_workgroup_id_x 1
		.amdhsa_system_sgpr_workgroup_id_y 0
		.amdhsa_system_sgpr_workgroup_id_z 0
		.amdhsa_system_sgpr_workgroup_info 0
		.amdhsa_system_vgpr_workitem_id 1
		.amdhsa_next_free_vgpr 27
		.amdhsa_next_free_sgpr 16
		.amdhsa_accum_offset 28
		.amdhsa_reserve_vcc 1
		.amdhsa_reserve_flat_scratch 0
		.amdhsa_float_round_mode_32 0
		.amdhsa_float_round_mode_16_64 0
		.amdhsa_float_denorm_mode_32 3
		.amdhsa_float_denorm_mode_16_64 3
		.amdhsa_dx10_clamp 1
		.amdhsa_ieee_mode 1
		.amdhsa_fp16_overflow 0
		.amdhsa_tg_split 0
		.amdhsa_exception_fp_ieee_invalid_op 0
		.amdhsa_exception_fp_denorm_src 0
		.amdhsa_exception_fp_ieee_div_zero 0
		.amdhsa_exception_fp_ieee_overflow 0
		.amdhsa_exception_fp_ieee_underflow 0
		.amdhsa_exception_fp_ieee_inexact 0
		.amdhsa_exception_int_div_zero 0
	.end_amdhsa_kernel
	.section	.text._ZN12_GLOBAL__N_121softmax_warp_backwardIdddLi4ELb0ELb1ELi32EEEvPT0_PKT_S5_iiiPKb,"axG",@progbits,_ZN12_GLOBAL__N_121softmax_warp_backwardIdddLi4ELb0ELb1ELi32EEEvPT0_PKT_S5_iiiPKb,comdat
.Lfunc_end777:
	.size	_ZN12_GLOBAL__N_121softmax_warp_backwardIdddLi4ELb0ELb1ELi32EEEvPT0_PKT_S5_iiiPKb, .Lfunc_end777-_ZN12_GLOBAL__N_121softmax_warp_backwardIdddLi4ELb0ELb1ELi32EEEvPT0_PKT_S5_iiiPKb
                                        ; -- End function
	.section	.AMDGPU.csdata,"",@progbits
; Kernel info:
; codeLenInByte = 964
; NumSgprs: 20
; NumVgprs: 27
; NumAgprs: 0
; TotalNumVgprs: 27
; ScratchSize: 0
; MemoryBound: 0
; FloatMode: 240
; IeeeMode: 1
; LDSByteSize: 0 bytes/workgroup (compile time only)
; SGPRBlocks: 2
; VGPRBlocks: 3
; NumSGPRsForWavesPerEU: 20
; NumVGPRsForWavesPerEU: 27
; AccumOffset: 28
; Occupancy: 8
; WaveLimiterHint : 0
; COMPUTE_PGM_RSRC2:SCRATCH_EN: 0
; COMPUTE_PGM_RSRC2:USER_SGPR: 6
; COMPUTE_PGM_RSRC2:TRAP_HANDLER: 0
; COMPUTE_PGM_RSRC2:TGID_X_EN: 1
; COMPUTE_PGM_RSRC2:TGID_Y_EN: 0
; COMPUTE_PGM_RSRC2:TGID_Z_EN: 0
; COMPUTE_PGM_RSRC2:TIDIG_COMP_CNT: 1
; COMPUTE_PGM_RSRC3_GFX90A:ACCUM_OFFSET: 6
; COMPUTE_PGM_RSRC3_GFX90A:TG_SPLIT: 0
	.section	.text._ZN12_GLOBAL__N_121softmax_warp_backwardIdddLi5ELb0ELb1ELi64EEEvPT0_PKT_S5_iiiPKb,"axG",@progbits,_ZN12_GLOBAL__N_121softmax_warp_backwardIdddLi5ELb0ELb1ELi64EEEvPT0_PKT_S5_iiiPKb,comdat
	.globl	_ZN12_GLOBAL__N_121softmax_warp_backwardIdddLi5ELb0ELb1ELi64EEEvPT0_PKT_S5_iiiPKb ; -- Begin function _ZN12_GLOBAL__N_121softmax_warp_backwardIdddLi5ELb0ELb1ELi64EEEvPT0_PKT_S5_iiiPKb
	.p2align	8
	.type	_ZN12_GLOBAL__N_121softmax_warp_backwardIdddLi5ELb0ELb1ELi64EEEvPT0_PKT_S5_iiiPKb,@function
_ZN12_GLOBAL__N_121softmax_warp_backwardIdddLi5ELb0ELb1ELi64EEEvPT0_PKT_S5_iiiPKb: ; @_ZN12_GLOBAL__N_121softmax_warp_backwardIdddLi5ELb0ELb1ELi64EEEvPT0_PKT_S5_iiiPKb
; %bb.0:
	s_load_dword s2, s[4:5], 0x3c
	s_load_dwordx4 s[8:11], s[4:5], 0x18
	s_load_dwordx4 s[12:15], s[4:5], 0x0
	s_load_dwordx2 s[0:1], s[4:5], 0x10
	v_bfe_u32 v1, v0, 10, 10
	s_waitcnt lgkmcnt(0)
	s_lshr_b32 s2, s2, 16
	s_mul_i32 s6, s6, s2
	v_add_lshl_u32 v1, s6, v1, 1
	v_and_b32_e32 v0, 31, v0
	v_mad_u64_u32 v[10:11], s[2:3], v1, s9, v[0:1]
	v_ashrrev_i32_e32 v11, 31, v10
	v_lshlrev_b64 v[4:5], 3, v[10:11]
	v_sub_u32_e32 v22, s8, v1
	v_mov_b32_e32 v1, s15
	v_add_co_u32_e32 v12, vcc, s14, v4
	v_addc_co_u32_e32 v13, vcc, v1, v5, vcc
	v_mov_b32_e32 v1, s1
	v_add_co_u32_e32 v14, vcc, s0, v4
	v_addc_co_u32_e32 v15, vcc, v1, v5, vcc
	v_cmp_gt_i32_e32 vcc, s10, v0
	v_cmp_lt_i32_e64 s[0:1], 0, v22
	v_pk_mov_b32 v[0:1], 0, 0
	s_and_b64 s[6:7], vcc, s[0:1]
	v_pk_mov_b32 v[6:7], v[0:1], v[0:1] op_sel:[0,1]
	v_pk_mov_b32 v[8:9], v[0:1], v[0:1] op_sel:[0,1]
	s_and_saveexec_b64 s[2:3], s[6:7]
	s_cbranch_execz .LBB778_2
; %bb.1:
	global_load_dwordx2 v[6:7], v[12:13], off
	global_load_dwordx2 v[8:9], v[14:15], off
.LBB778_2:
	s_or_b64 exec, exec, s[2:3]
	v_cmp_lt_i32_e64 s[2:3], 1, v22
	s_and_b64 s[2:3], vcc, s[2:3]
	v_pk_mov_b32 v[2:3], v[0:1], v[0:1] op_sel:[0,1]
	s_and_saveexec_b64 s[6:7], s[2:3]
	s_cbranch_execz .LBB778_4
; %bb.3:
	s_mov_b32 s11, 0
	s_lshl_b64 s[8:9], s[10:11], 3
	v_mov_b32_e32 v3, s9
	v_add_co_u32_e64 v0, s[2:3], s8, v12
	v_addc_co_u32_e64 v1, s[2:3], v13, v3, s[2:3]
	v_add_co_u32_e64 v2, s[2:3], s8, v14
	v_addc_co_u32_e64 v3, s[2:3], v15, v3, s[2:3]
	global_load_dwordx2 v[0:1], v[0:1], off
	s_nop 0
	global_load_dwordx2 v[2:3], v[2:3], off
.LBB778_4:
	s_or_b64 exec, exec, s[6:7]
	s_load_dwordx2 s[2:3], s[4:5], 0x28
	s_ashr_i32 s4, s10, 31
	s_waitcnt vmcnt(1)
	v_add_f64 v[14:15], v[6:7], 0
	v_add_f64 v[16:17], v[0:1], 0
	s_waitcnt lgkmcnt(0)
	v_mov_b32_e32 v13, s3
	v_add_co_u32_e64 v12, s[2:3], s2, v10
	v_addc_co_u32_e64 v13, s[2:3], v13, v11, s[2:3]
	v_mov_b32_e32 v11, s4
	v_add_co_u32_e64 v10, s[2:3], s10, v12
	v_addc_co_u32_e64 v11, s[4:5], v13, v11, s[2:3]
	global_load_ubyte v18, v[12:13], off
	s_nop 0
	global_load_ubyte v11, v[10:11], off
	v_mbcnt_lo_u32_b32 v12, -1, 0
	v_mbcnt_hi_u32_b32 v12, -1, v12
	v_and_b32_e32 v19, 0x60, v12
	v_xor_b32_e32 v20, 16, v12
	v_add_u32_e32 v27, 32, v19
	v_cmp_lt_i32_e64 s[4:5], v20, v27
	v_cndmask_b32_e64 v19, v12, v20, s[4:5]
	v_lshlrev_b32_e32 v20, 2, v19
	v_xor_b32_e32 v23, 8, v12
	v_xor_b32_e32 v24, 4, v12
	;; [unrolled: 1-line block ×4, first 2 shown]
	s_waitcnt vmcnt(1)
	v_and_b32_e32 v18, 1, v18
	v_cmp_eq_u32_e64 s[4:5], 1, v18
	s_waitcnt vmcnt(0)
	v_and_b32_e32 v11, 1, v11
	v_cmp_eq_u32_e64 s[6:7], 1, v11
	v_cndmask_b32_e64 v15, v15, 0, s[4:5]
	v_cndmask_b32_e64 v14, v14, 0, s[4:5]
	;; [unrolled: 1-line block ×4, first 2 shown]
	ds_bpermute_b32 v19, v20, v15
	ds_bpermute_b32 v18, v20, v14
	ds_bpermute_b32 v21, v20, v17
	ds_bpermute_b32 v20, v20, v16
	v_cmp_lt_i32_e64 s[6:7], v23, v27
	v_cndmask_b32_e64 v11, v12, v23, s[6:7]
	v_lshlrev_b32_e32 v11, 2, v11
	s_waitcnt lgkmcnt(2)
	v_add_f64 v[14:15], v[14:15], v[18:19]
	s_waitcnt lgkmcnt(0)
	v_add_f64 v[16:17], v[16:17], v[20:21]
	ds_bpermute_b32 v18, v11, v14
	ds_bpermute_b32 v19, v11, v15
	ds_bpermute_b32 v20, v11, v16
	ds_bpermute_b32 v21, v11, v17
	v_cmp_lt_i32_e64 s[6:7], v24, v27
	v_cndmask_b32_e64 v11, v12, v24, s[6:7]
	v_lshlrev_b32_e32 v11, 2, v11
	s_waitcnt lgkmcnt(2)
	v_add_f64 v[14:15], v[14:15], v[18:19]
	s_waitcnt lgkmcnt(0)
	v_add_f64 v[16:17], v[16:17], v[20:21]
	;; [unrolled: 11-line block ×4, first 2 shown]
	ds_bpermute_b32 v20, v11, v18
	ds_bpermute_b32 v21, v11, v19
	;; [unrolled: 1-line block ×4, first 2 shown]
	s_and_saveexec_b64 s[6:7], s[0:1]
	s_cbranch_execz .LBB778_10
; %bb.5:
	v_mov_b32_e32 v11, s13
	v_add_co_u32_e64 v4, s[0:1], s12, v4
	v_addc_co_u32_e64 v5, s[0:1], v11, v5, s[0:1]
	s_and_saveexec_b64 s[0:1], vcc
	s_cbranch_execz .LBB778_7
; %bb.6:
	s_waitcnt lgkmcnt(2)
	v_add_f64 v[18:19], v[18:19], v[20:21]
	v_fma_f64 v[6:7], -v[18:19], v[8:9], v[6:7]
	v_cndmask_b32_e64 v7, v7, 0, s[4:5]
	v_cndmask_b32_e64 v6, v6, 0, s[4:5]
	global_store_dwordx2 v[4:5], v[6:7], off
.LBB778_7:
	s_or_b64 exec, exec, s[0:1]
	v_cmp_ne_u32_e64 s[0:1], 1, v22
	s_and_b64 exec, exec, s[0:1]
	s_cbranch_execz .LBB778_10
; %bb.8:
	s_and_b64 exec, exec, vcc
	s_cbranch_execz .LBB778_10
; %bb.9:
	v_addc_co_u32_e64 v11, vcc, 0, v13, s[2:3]
	global_load_ubyte v8, v[10:11], off
	s_mov_b32 s11, 0
	s_waitcnt lgkmcnt(0)
	v_add_f64 v[6:7], v[14:15], v[16:17]
	s_lshl_b64 s[0:1], s[10:11], 3
	v_fma_f64 v[0:1], -v[6:7], v[2:3], v[0:1]
	v_mov_b32_e32 v3, s1
	v_add_co_u32_e32 v2, vcc, s0, v4
	v_addc_co_u32_e32 v3, vcc, v5, v3, vcc
	s_waitcnt vmcnt(0)
	v_and_b32_e32 v4, 1, v8
	v_cmp_eq_u32_e32 vcc, 1, v4
	v_cndmask_b32_e64 v1, v1, 0, vcc
	v_cndmask_b32_e64 v0, v0, 0, vcc
	global_store_dwordx2 v[2:3], v[0:1], off
.LBB778_10:
	s_endpgm
	.section	.rodata,"a",@progbits
	.p2align	6, 0x0
	.amdhsa_kernel _ZN12_GLOBAL__N_121softmax_warp_backwardIdddLi5ELb0ELb1ELi64EEEvPT0_PKT_S5_iiiPKb
		.amdhsa_group_segment_fixed_size 0
		.amdhsa_private_segment_fixed_size 0
		.amdhsa_kernarg_size 304
		.amdhsa_user_sgpr_count 6
		.amdhsa_user_sgpr_private_segment_buffer 1
		.amdhsa_user_sgpr_dispatch_ptr 0
		.amdhsa_user_sgpr_queue_ptr 0
		.amdhsa_user_sgpr_kernarg_segment_ptr 1
		.amdhsa_user_sgpr_dispatch_id 0
		.amdhsa_user_sgpr_flat_scratch_init 0
		.amdhsa_user_sgpr_kernarg_preload_length 0
		.amdhsa_user_sgpr_kernarg_preload_offset 0
		.amdhsa_user_sgpr_private_segment_size 0
		.amdhsa_uses_dynamic_stack 0
		.amdhsa_system_sgpr_private_segment_wavefront_offset 0
		.amdhsa_system_sgpr_workgroup_id_x 1
		.amdhsa_system_sgpr_workgroup_id_y 0
		.amdhsa_system_sgpr_workgroup_id_z 0
		.amdhsa_system_sgpr_workgroup_info 0
		.amdhsa_system_vgpr_workitem_id 1
		.amdhsa_next_free_vgpr 28
		.amdhsa_next_free_sgpr 16
		.amdhsa_accum_offset 28
		.amdhsa_reserve_vcc 1
		.amdhsa_reserve_flat_scratch 0
		.amdhsa_float_round_mode_32 0
		.amdhsa_float_round_mode_16_64 0
		.amdhsa_float_denorm_mode_32 3
		.amdhsa_float_denorm_mode_16_64 3
		.amdhsa_dx10_clamp 1
		.amdhsa_ieee_mode 1
		.amdhsa_fp16_overflow 0
		.amdhsa_tg_split 0
		.amdhsa_exception_fp_ieee_invalid_op 0
		.amdhsa_exception_fp_denorm_src 0
		.amdhsa_exception_fp_ieee_div_zero 0
		.amdhsa_exception_fp_ieee_overflow 0
		.amdhsa_exception_fp_ieee_underflow 0
		.amdhsa_exception_fp_ieee_inexact 0
		.amdhsa_exception_int_div_zero 0
	.end_amdhsa_kernel
	.section	.text._ZN12_GLOBAL__N_121softmax_warp_backwardIdddLi5ELb0ELb1ELi64EEEvPT0_PKT_S5_iiiPKb,"axG",@progbits,_ZN12_GLOBAL__N_121softmax_warp_backwardIdddLi5ELb0ELb1ELi64EEEvPT0_PKT_S5_iiiPKb,comdat
.Lfunc_end778:
	.size	_ZN12_GLOBAL__N_121softmax_warp_backwardIdddLi5ELb0ELb1ELi64EEEvPT0_PKT_S5_iiiPKb, .Lfunc_end778-_ZN12_GLOBAL__N_121softmax_warp_backwardIdddLi5ELb0ELb1ELi64EEEvPT0_PKT_S5_iiiPKb
                                        ; -- End function
	.section	.AMDGPU.csdata,"",@progbits
; Kernel info:
; codeLenInByte = 1044
; NumSgprs: 20
; NumVgprs: 28
; NumAgprs: 0
; TotalNumVgprs: 28
; ScratchSize: 0
; MemoryBound: 0
; FloatMode: 240
; IeeeMode: 1
; LDSByteSize: 0 bytes/workgroup (compile time only)
; SGPRBlocks: 2
; VGPRBlocks: 3
; NumSGPRsForWavesPerEU: 20
; NumVGPRsForWavesPerEU: 28
; AccumOffset: 28
; Occupancy: 8
; WaveLimiterHint : 0
; COMPUTE_PGM_RSRC2:SCRATCH_EN: 0
; COMPUTE_PGM_RSRC2:USER_SGPR: 6
; COMPUTE_PGM_RSRC2:TRAP_HANDLER: 0
; COMPUTE_PGM_RSRC2:TGID_X_EN: 1
; COMPUTE_PGM_RSRC2:TGID_Y_EN: 0
; COMPUTE_PGM_RSRC2:TGID_Z_EN: 0
; COMPUTE_PGM_RSRC2:TIDIG_COMP_CNT: 1
; COMPUTE_PGM_RSRC3_GFX90A:ACCUM_OFFSET: 6
; COMPUTE_PGM_RSRC3_GFX90A:TG_SPLIT: 0
	.section	.text._ZN12_GLOBAL__N_121softmax_warp_backwardIdddLi5ELb0ELb1ELi32EEEvPT0_PKT_S5_iiiPKb,"axG",@progbits,_ZN12_GLOBAL__N_121softmax_warp_backwardIdddLi5ELb0ELb1ELi32EEEvPT0_PKT_S5_iiiPKb,comdat
	.globl	_ZN12_GLOBAL__N_121softmax_warp_backwardIdddLi5ELb0ELb1ELi32EEEvPT0_PKT_S5_iiiPKb ; -- Begin function _ZN12_GLOBAL__N_121softmax_warp_backwardIdddLi5ELb0ELb1ELi32EEEvPT0_PKT_S5_iiiPKb
	.p2align	8
	.type	_ZN12_GLOBAL__N_121softmax_warp_backwardIdddLi5ELb0ELb1ELi32EEEvPT0_PKT_S5_iiiPKb,@function
_ZN12_GLOBAL__N_121softmax_warp_backwardIdddLi5ELb0ELb1ELi32EEEvPT0_PKT_S5_iiiPKb: ; @_ZN12_GLOBAL__N_121softmax_warp_backwardIdddLi5ELb0ELb1ELi32EEEvPT0_PKT_S5_iiiPKb
; %bb.0:
	s_load_dword s2, s[4:5], 0x3c
	s_load_dwordx4 s[8:11], s[4:5], 0x18
	s_load_dwordx4 s[12:15], s[4:5], 0x0
	s_load_dwordx2 s[0:1], s[4:5], 0x10
	v_bfe_u32 v1, v0, 10, 10
	s_waitcnt lgkmcnt(0)
	s_lshr_b32 s2, s2, 16
	s_mul_i32 s6, s6, s2
	v_add_lshl_u32 v1, s6, v1, 1
	v_and_b32_e32 v0, 31, v0
	v_mad_u64_u32 v[10:11], s[2:3], v1, s9, v[0:1]
	v_ashrrev_i32_e32 v11, 31, v10
	v_lshlrev_b64 v[4:5], 3, v[10:11]
	v_sub_u32_e32 v22, s8, v1
	v_mov_b32_e32 v1, s15
	v_add_co_u32_e32 v12, vcc, s14, v4
	v_addc_co_u32_e32 v13, vcc, v1, v5, vcc
	v_mov_b32_e32 v1, s1
	v_add_co_u32_e32 v14, vcc, s0, v4
	v_addc_co_u32_e32 v15, vcc, v1, v5, vcc
	v_cmp_gt_i32_e32 vcc, s10, v0
	v_cmp_lt_i32_e64 s[0:1], 0, v22
	v_pk_mov_b32 v[0:1], 0, 0
	s_and_b64 s[6:7], vcc, s[0:1]
	v_pk_mov_b32 v[6:7], v[0:1], v[0:1] op_sel:[0,1]
	v_pk_mov_b32 v[8:9], v[0:1], v[0:1] op_sel:[0,1]
	s_and_saveexec_b64 s[2:3], s[6:7]
	s_cbranch_execz .LBB779_2
; %bb.1:
	global_load_dwordx2 v[6:7], v[12:13], off
	global_load_dwordx2 v[8:9], v[14:15], off
.LBB779_2:
	s_or_b64 exec, exec, s[2:3]
	v_cmp_lt_i32_e64 s[2:3], 1, v22
	s_and_b64 s[2:3], vcc, s[2:3]
	v_pk_mov_b32 v[2:3], v[0:1], v[0:1] op_sel:[0,1]
	s_and_saveexec_b64 s[6:7], s[2:3]
	s_cbranch_execz .LBB779_4
; %bb.3:
	s_mov_b32 s11, 0
	s_lshl_b64 s[8:9], s[10:11], 3
	v_mov_b32_e32 v3, s9
	v_add_co_u32_e64 v0, s[2:3], s8, v12
	v_addc_co_u32_e64 v1, s[2:3], v13, v3, s[2:3]
	v_add_co_u32_e64 v2, s[2:3], s8, v14
	v_addc_co_u32_e64 v3, s[2:3], v15, v3, s[2:3]
	global_load_dwordx2 v[0:1], v[0:1], off
	s_nop 0
	global_load_dwordx2 v[2:3], v[2:3], off
.LBB779_4:
	s_or_b64 exec, exec, s[6:7]
	s_load_dwordx2 s[2:3], s[4:5], 0x28
	s_ashr_i32 s4, s10, 31
	s_waitcnt vmcnt(1)
	v_add_f64 v[14:15], v[6:7], 0
	v_add_f64 v[16:17], v[0:1], 0
	s_waitcnt lgkmcnt(0)
	v_mov_b32_e32 v13, s3
	v_add_co_u32_e64 v12, s[2:3], s2, v10
	v_addc_co_u32_e64 v13, s[2:3], v13, v11, s[2:3]
	v_mov_b32_e32 v11, s4
	v_add_co_u32_e64 v10, s[2:3], s10, v12
	v_addc_co_u32_e64 v11, s[4:5], v13, v11, s[2:3]
	global_load_ubyte v18, v[12:13], off
	s_nop 0
	global_load_ubyte v11, v[10:11], off
	v_mbcnt_lo_u32_b32 v12, -1, 0
	v_mbcnt_hi_u32_b32 v12, -1, v12
	v_and_b32_e32 v19, 0x60, v12
	v_xor_b32_e32 v20, 16, v12
	v_add_u32_e32 v27, 32, v19
	v_cmp_lt_i32_e64 s[4:5], v20, v27
	v_cndmask_b32_e64 v19, v12, v20, s[4:5]
	v_lshlrev_b32_e32 v20, 2, v19
	v_xor_b32_e32 v23, 8, v12
	v_xor_b32_e32 v24, 4, v12
	;; [unrolled: 1-line block ×4, first 2 shown]
	s_waitcnt vmcnt(1)
	v_and_b32_e32 v18, 1, v18
	v_cmp_eq_u32_e64 s[4:5], 1, v18
	s_waitcnt vmcnt(0)
	v_and_b32_e32 v11, 1, v11
	v_cmp_eq_u32_e64 s[6:7], 1, v11
	v_cndmask_b32_e64 v15, v15, 0, s[4:5]
	v_cndmask_b32_e64 v14, v14, 0, s[4:5]
	;; [unrolled: 1-line block ×4, first 2 shown]
	ds_bpermute_b32 v19, v20, v15
	ds_bpermute_b32 v18, v20, v14
	ds_bpermute_b32 v21, v20, v17
	ds_bpermute_b32 v20, v20, v16
	v_cmp_lt_i32_e64 s[6:7], v23, v27
	v_cndmask_b32_e64 v11, v12, v23, s[6:7]
	v_lshlrev_b32_e32 v11, 2, v11
	s_waitcnt lgkmcnt(2)
	v_add_f64 v[14:15], v[14:15], v[18:19]
	s_waitcnt lgkmcnt(0)
	v_add_f64 v[16:17], v[16:17], v[20:21]
	ds_bpermute_b32 v18, v11, v14
	ds_bpermute_b32 v19, v11, v15
	ds_bpermute_b32 v20, v11, v16
	ds_bpermute_b32 v21, v11, v17
	v_cmp_lt_i32_e64 s[6:7], v24, v27
	v_cndmask_b32_e64 v11, v12, v24, s[6:7]
	v_lshlrev_b32_e32 v11, 2, v11
	s_waitcnt lgkmcnt(2)
	v_add_f64 v[14:15], v[14:15], v[18:19]
	s_waitcnt lgkmcnt(0)
	v_add_f64 v[16:17], v[16:17], v[20:21]
	ds_bpermute_b32 v18, v11, v14
	ds_bpermute_b32 v19, v11, v15
	ds_bpermute_b32 v20, v11, v16
	ds_bpermute_b32 v21, v11, v17
	v_cmp_lt_i32_e64 s[6:7], v25, v27
	v_cndmask_b32_e64 v11, v12, v25, s[6:7]
	v_lshlrev_b32_e32 v11, 2, v11
	s_waitcnt lgkmcnt(2)
	v_add_f64 v[14:15], v[14:15], v[18:19]
	s_waitcnt lgkmcnt(0)
	v_add_f64 v[16:17], v[16:17], v[20:21]
	ds_bpermute_b32 v18, v11, v14
	ds_bpermute_b32 v19, v11, v15
	ds_bpermute_b32 v20, v11, v16
	ds_bpermute_b32 v21, v11, v17
	v_cmp_lt_i32_e64 s[6:7], v26, v27
	v_cndmask_b32_e64 v11, v12, v26, s[6:7]
	v_lshlrev_b32_e32 v11, 2, v11
	s_waitcnt lgkmcnt(2)
	v_add_f64 v[18:19], v[14:15], v[18:19]
	s_waitcnt lgkmcnt(0)
	v_add_f64 v[14:15], v[16:17], v[20:21]
	ds_bpermute_b32 v20, v11, v18
	ds_bpermute_b32 v21, v11, v19
	;; [unrolled: 1-line block ×4, first 2 shown]
	s_and_saveexec_b64 s[6:7], s[0:1]
	s_cbranch_execz .LBB779_10
; %bb.5:
	v_mov_b32_e32 v11, s13
	v_add_co_u32_e64 v4, s[0:1], s12, v4
	v_addc_co_u32_e64 v5, s[0:1], v11, v5, s[0:1]
	s_and_saveexec_b64 s[0:1], vcc
	s_cbranch_execz .LBB779_7
; %bb.6:
	s_waitcnt lgkmcnt(2)
	v_add_f64 v[18:19], v[18:19], v[20:21]
	v_fma_f64 v[6:7], -v[18:19], v[8:9], v[6:7]
	v_cndmask_b32_e64 v7, v7, 0, s[4:5]
	v_cndmask_b32_e64 v6, v6, 0, s[4:5]
	global_store_dwordx2 v[4:5], v[6:7], off
.LBB779_7:
	s_or_b64 exec, exec, s[0:1]
	v_cmp_ne_u32_e64 s[0:1], 1, v22
	s_and_b64 exec, exec, s[0:1]
	s_cbranch_execz .LBB779_10
; %bb.8:
	s_and_b64 exec, exec, vcc
	s_cbranch_execz .LBB779_10
; %bb.9:
	v_addc_co_u32_e64 v11, vcc, 0, v13, s[2:3]
	global_load_ubyte v8, v[10:11], off
	s_mov_b32 s11, 0
	s_waitcnt lgkmcnt(0)
	v_add_f64 v[6:7], v[14:15], v[16:17]
	s_lshl_b64 s[0:1], s[10:11], 3
	v_fma_f64 v[0:1], -v[6:7], v[2:3], v[0:1]
	v_mov_b32_e32 v3, s1
	v_add_co_u32_e32 v2, vcc, s0, v4
	v_addc_co_u32_e32 v3, vcc, v5, v3, vcc
	s_waitcnt vmcnt(0)
	v_and_b32_e32 v4, 1, v8
	v_cmp_eq_u32_e32 vcc, 1, v4
	v_cndmask_b32_e64 v1, v1, 0, vcc
	v_cndmask_b32_e64 v0, v0, 0, vcc
	global_store_dwordx2 v[2:3], v[0:1], off
.LBB779_10:
	s_endpgm
	.section	.rodata,"a",@progbits
	.p2align	6, 0x0
	.amdhsa_kernel _ZN12_GLOBAL__N_121softmax_warp_backwardIdddLi5ELb0ELb1ELi32EEEvPT0_PKT_S5_iiiPKb
		.amdhsa_group_segment_fixed_size 0
		.amdhsa_private_segment_fixed_size 0
		.amdhsa_kernarg_size 304
		.amdhsa_user_sgpr_count 6
		.amdhsa_user_sgpr_private_segment_buffer 1
		.amdhsa_user_sgpr_dispatch_ptr 0
		.amdhsa_user_sgpr_queue_ptr 0
		.amdhsa_user_sgpr_kernarg_segment_ptr 1
		.amdhsa_user_sgpr_dispatch_id 0
		.amdhsa_user_sgpr_flat_scratch_init 0
		.amdhsa_user_sgpr_kernarg_preload_length 0
		.amdhsa_user_sgpr_kernarg_preload_offset 0
		.amdhsa_user_sgpr_private_segment_size 0
		.amdhsa_uses_dynamic_stack 0
		.amdhsa_system_sgpr_private_segment_wavefront_offset 0
		.amdhsa_system_sgpr_workgroup_id_x 1
		.amdhsa_system_sgpr_workgroup_id_y 0
		.amdhsa_system_sgpr_workgroup_id_z 0
		.amdhsa_system_sgpr_workgroup_info 0
		.amdhsa_system_vgpr_workitem_id 1
		.amdhsa_next_free_vgpr 28
		.amdhsa_next_free_sgpr 16
		.amdhsa_accum_offset 28
		.amdhsa_reserve_vcc 1
		.amdhsa_reserve_flat_scratch 0
		.amdhsa_float_round_mode_32 0
		.amdhsa_float_round_mode_16_64 0
		.amdhsa_float_denorm_mode_32 3
		.amdhsa_float_denorm_mode_16_64 3
		.amdhsa_dx10_clamp 1
		.amdhsa_ieee_mode 1
		.amdhsa_fp16_overflow 0
		.amdhsa_tg_split 0
		.amdhsa_exception_fp_ieee_invalid_op 0
		.amdhsa_exception_fp_denorm_src 0
		.amdhsa_exception_fp_ieee_div_zero 0
		.amdhsa_exception_fp_ieee_overflow 0
		.amdhsa_exception_fp_ieee_underflow 0
		.amdhsa_exception_fp_ieee_inexact 0
		.amdhsa_exception_int_div_zero 0
	.end_amdhsa_kernel
	.section	.text._ZN12_GLOBAL__N_121softmax_warp_backwardIdddLi5ELb0ELb1ELi32EEEvPT0_PKT_S5_iiiPKb,"axG",@progbits,_ZN12_GLOBAL__N_121softmax_warp_backwardIdddLi5ELb0ELb1ELi32EEEvPT0_PKT_S5_iiiPKb,comdat
.Lfunc_end779:
	.size	_ZN12_GLOBAL__N_121softmax_warp_backwardIdddLi5ELb0ELb1ELi32EEEvPT0_PKT_S5_iiiPKb, .Lfunc_end779-_ZN12_GLOBAL__N_121softmax_warp_backwardIdddLi5ELb0ELb1ELi32EEEvPT0_PKT_S5_iiiPKb
                                        ; -- End function
	.section	.AMDGPU.csdata,"",@progbits
; Kernel info:
; codeLenInByte = 1044
; NumSgprs: 20
; NumVgprs: 28
; NumAgprs: 0
; TotalNumVgprs: 28
; ScratchSize: 0
; MemoryBound: 0
; FloatMode: 240
; IeeeMode: 1
; LDSByteSize: 0 bytes/workgroup (compile time only)
; SGPRBlocks: 2
; VGPRBlocks: 3
; NumSGPRsForWavesPerEU: 20
; NumVGPRsForWavesPerEU: 28
; AccumOffset: 28
; Occupancy: 8
; WaveLimiterHint : 0
; COMPUTE_PGM_RSRC2:SCRATCH_EN: 0
; COMPUTE_PGM_RSRC2:USER_SGPR: 6
; COMPUTE_PGM_RSRC2:TRAP_HANDLER: 0
; COMPUTE_PGM_RSRC2:TGID_X_EN: 1
; COMPUTE_PGM_RSRC2:TGID_Y_EN: 0
; COMPUTE_PGM_RSRC2:TGID_Z_EN: 0
; COMPUTE_PGM_RSRC2:TIDIG_COMP_CNT: 1
; COMPUTE_PGM_RSRC3_GFX90A:ACCUM_OFFSET: 6
; COMPUTE_PGM_RSRC3_GFX90A:TG_SPLIT: 0
	.section	.text._ZN12_GLOBAL__N_121softmax_warp_backwardIdddLi6ELb0ELb1ELi64EEEvPT0_PKT_S5_iiiPKb,"axG",@progbits,_ZN12_GLOBAL__N_121softmax_warp_backwardIdddLi6ELb0ELb1ELi64EEEvPT0_PKT_S5_iiiPKb,comdat
	.globl	_ZN12_GLOBAL__N_121softmax_warp_backwardIdddLi6ELb0ELb1ELi64EEEvPT0_PKT_S5_iiiPKb ; -- Begin function _ZN12_GLOBAL__N_121softmax_warp_backwardIdddLi6ELb0ELb1ELi64EEEvPT0_PKT_S5_iiiPKb
	.p2align	8
	.type	_ZN12_GLOBAL__N_121softmax_warp_backwardIdddLi6ELb0ELb1ELi64EEEvPT0_PKT_S5_iiiPKb,@function
_ZN12_GLOBAL__N_121softmax_warp_backwardIdddLi6ELb0ELb1ELi64EEEvPT0_PKT_S5_iiiPKb: ; @_ZN12_GLOBAL__N_121softmax_warp_backwardIdddLi6ELb0ELb1ELi64EEEvPT0_PKT_S5_iiiPKb
; %bb.0:
	s_load_dword s2, s[4:5], 0x3c
	s_load_dwordx4 s[8:11], s[4:5], 0x18
	s_load_dwordx4 s[12:15], s[4:5], 0x0
	s_load_dwordx2 s[0:1], s[4:5], 0x10
	v_bfe_u32 v1, v0, 10, 10
	s_waitcnt lgkmcnt(0)
	s_lshr_b32 s2, s2, 16
	s_mul_i32 s6, s6, s2
	v_add_lshl_u32 v1, s6, v1, 1
	v_and_b32_e32 v0, 63, v0
	v_mad_u64_u32 v[10:11], s[2:3], v1, s9, v[0:1]
	v_ashrrev_i32_e32 v11, 31, v10
	v_lshlrev_b64 v[4:5], 3, v[10:11]
	v_sub_u32_e32 v22, s8, v1
	v_mov_b32_e32 v1, s15
	v_add_co_u32_e32 v12, vcc, s14, v4
	v_addc_co_u32_e32 v13, vcc, v1, v5, vcc
	v_mov_b32_e32 v1, s1
	v_add_co_u32_e32 v14, vcc, s0, v4
	v_addc_co_u32_e32 v15, vcc, v1, v5, vcc
	v_cmp_gt_i32_e32 vcc, s10, v0
	v_cmp_lt_i32_e64 s[0:1], 0, v22
	v_pk_mov_b32 v[0:1], 0, 0
	s_and_b64 s[6:7], vcc, s[0:1]
	v_pk_mov_b32 v[6:7], v[0:1], v[0:1] op_sel:[0,1]
	v_pk_mov_b32 v[8:9], v[0:1], v[0:1] op_sel:[0,1]
	s_and_saveexec_b64 s[2:3], s[6:7]
	s_cbranch_execz .LBB780_2
; %bb.1:
	global_load_dwordx2 v[6:7], v[12:13], off
	global_load_dwordx2 v[8:9], v[14:15], off
.LBB780_2:
	s_or_b64 exec, exec, s[2:3]
	v_cmp_lt_i32_e64 s[2:3], 1, v22
	s_and_b64 s[2:3], vcc, s[2:3]
	v_pk_mov_b32 v[2:3], v[0:1], v[0:1] op_sel:[0,1]
	s_and_saveexec_b64 s[6:7], s[2:3]
	s_cbranch_execz .LBB780_4
; %bb.3:
	s_mov_b32 s11, 0
	s_lshl_b64 s[8:9], s[10:11], 3
	v_mov_b32_e32 v3, s9
	v_add_co_u32_e64 v0, s[2:3], s8, v12
	v_addc_co_u32_e64 v1, s[2:3], v13, v3, s[2:3]
	v_add_co_u32_e64 v2, s[2:3], s8, v14
	v_addc_co_u32_e64 v3, s[2:3], v15, v3, s[2:3]
	global_load_dwordx2 v[0:1], v[0:1], off
	s_nop 0
	global_load_dwordx2 v[2:3], v[2:3], off
.LBB780_4:
	s_or_b64 exec, exec, s[6:7]
	s_load_dwordx2 s[2:3], s[4:5], 0x28
	s_ashr_i32 s4, s10, 31
	s_waitcnt vmcnt(1)
	v_add_f64 v[14:15], v[6:7], 0
	v_add_f64 v[16:17], v[0:1], 0
	s_waitcnt lgkmcnt(0)
	v_mov_b32_e32 v13, s3
	v_add_co_u32_e64 v12, s[2:3], s2, v10
	v_addc_co_u32_e64 v13, s[2:3], v13, v11, s[2:3]
	v_mov_b32_e32 v11, s4
	v_add_co_u32_e64 v10, s[2:3], s10, v12
	v_addc_co_u32_e64 v11, s[4:5], v13, v11, s[2:3]
	global_load_ubyte v18, v[12:13], off
	s_nop 0
	global_load_ubyte v11, v[10:11], off
	v_mbcnt_lo_u32_b32 v12, -1, 0
	v_mbcnt_hi_u32_b32 v12, -1, v12
	v_and_b32_e32 v19, 64, v12
	v_xor_b32_e32 v20, 32, v12
	v_add_u32_e32 v28, 64, v19
	v_cmp_lt_i32_e64 s[4:5], v20, v28
	v_cndmask_b32_e64 v19, v12, v20, s[4:5]
	v_lshlrev_b32_e32 v20, 2, v19
	v_xor_b32_e32 v23, 16, v12
	v_xor_b32_e32 v24, 8, v12
	;; [unrolled: 1-line block ×5, first 2 shown]
	s_waitcnt vmcnt(1)
	v_and_b32_e32 v18, 1, v18
	v_cmp_eq_u32_e64 s[4:5], 1, v18
	s_waitcnt vmcnt(0)
	v_and_b32_e32 v11, 1, v11
	v_cmp_eq_u32_e64 s[6:7], 1, v11
	v_cndmask_b32_e64 v15, v15, 0, s[4:5]
	v_cndmask_b32_e64 v14, v14, 0, s[4:5]
	;; [unrolled: 1-line block ×4, first 2 shown]
	ds_bpermute_b32 v19, v20, v15
	ds_bpermute_b32 v18, v20, v14
	ds_bpermute_b32 v21, v20, v17
	ds_bpermute_b32 v20, v20, v16
	v_cmp_lt_i32_e64 s[6:7], v23, v28
	v_cndmask_b32_e64 v11, v12, v23, s[6:7]
	v_lshlrev_b32_e32 v11, 2, v11
	s_waitcnt lgkmcnt(2)
	v_add_f64 v[14:15], v[14:15], v[18:19]
	s_waitcnt lgkmcnt(0)
	v_add_f64 v[16:17], v[16:17], v[20:21]
	ds_bpermute_b32 v18, v11, v14
	ds_bpermute_b32 v19, v11, v15
	ds_bpermute_b32 v20, v11, v16
	ds_bpermute_b32 v21, v11, v17
	v_cmp_lt_i32_e64 s[6:7], v24, v28
	v_cndmask_b32_e64 v11, v12, v24, s[6:7]
	v_lshlrev_b32_e32 v11, 2, v11
	s_waitcnt lgkmcnt(2)
	v_add_f64 v[14:15], v[14:15], v[18:19]
	s_waitcnt lgkmcnt(0)
	v_add_f64 v[16:17], v[16:17], v[20:21]
	;; [unrolled: 11-line block ×5, first 2 shown]
	ds_bpermute_b32 v20, v11, v18
	ds_bpermute_b32 v21, v11, v19
	;; [unrolled: 1-line block ×4, first 2 shown]
	s_and_saveexec_b64 s[6:7], s[0:1]
	s_cbranch_execz .LBB780_10
; %bb.5:
	v_mov_b32_e32 v11, s13
	v_add_co_u32_e64 v4, s[0:1], s12, v4
	v_addc_co_u32_e64 v5, s[0:1], v11, v5, s[0:1]
	s_and_saveexec_b64 s[0:1], vcc
	s_cbranch_execz .LBB780_7
; %bb.6:
	s_waitcnt lgkmcnt(2)
	v_add_f64 v[18:19], v[18:19], v[20:21]
	v_fma_f64 v[6:7], -v[18:19], v[8:9], v[6:7]
	v_cndmask_b32_e64 v7, v7, 0, s[4:5]
	v_cndmask_b32_e64 v6, v6, 0, s[4:5]
	global_store_dwordx2 v[4:5], v[6:7], off
.LBB780_7:
	s_or_b64 exec, exec, s[0:1]
	v_cmp_ne_u32_e64 s[0:1], 1, v22
	s_and_b64 exec, exec, s[0:1]
	s_cbranch_execz .LBB780_10
; %bb.8:
	s_and_b64 exec, exec, vcc
	s_cbranch_execz .LBB780_10
; %bb.9:
	v_addc_co_u32_e64 v11, vcc, 0, v13, s[2:3]
	global_load_ubyte v8, v[10:11], off
	s_mov_b32 s11, 0
	s_waitcnt lgkmcnt(0)
	v_add_f64 v[6:7], v[14:15], v[16:17]
	s_lshl_b64 s[0:1], s[10:11], 3
	v_fma_f64 v[0:1], -v[6:7], v[2:3], v[0:1]
	v_mov_b32_e32 v3, s1
	v_add_co_u32_e32 v2, vcc, s0, v4
	v_addc_co_u32_e32 v3, vcc, v5, v3, vcc
	s_waitcnt vmcnt(0)
	v_and_b32_e32 v4, 1, v8
	v_cmp_eq_u32_e32 vcc, 1, v4
	v_cndmask_b32_e64 v1, v1, 0, vcc
	v_cndmask_b32_e64 v0, v0, 0, vcc
	global_store_dwordx2 v[2:3], v[0:1], off
.LBB780_10:
	s_endpgm
	.section	.rodata,"a",@progbits
	.p2align	6, 0x0
	.amdhsa_kernel _ZN12_GLOBAL__N_121softmax_warp_backwardIdddLi6ELb0ELb1ELi64EEEvPT0_PKT_S5_iiiPKb
		.amdhsa_group_segment_fixed_size 0
		.amdhsa_private_segment_fixed_size 0
		.amdhsa_kernarg_size 304
		.amdhsa_user_sgpr_count 6
		.amdhsa_user_sgpr_private_segment_buffer 1
		.amdhsa_user_sgpr_dispatch_ptr 0
		.amdhsa_user_sgpr_queue_ptr 0
		.amdhsa_user_sgpr_kernarg_segment_ptr 1
		.amdhsa_user_sgpr_dispatch_id 0
		.amdhsa_user_sgpr_flat_scratch_init 0
		.amdhsa_user_sgpr_kernarg_preload_length 0
		.amdhsa_user_sgpr_kernarg_preload_offset 0
		.amdhsa_user_sgpr_private_segment_size 0
		.amdhsa_uses_dynamic_stack 0
		.amdhsa_system_sgpr_private_segment_wavefront_offset 0
		.amdhsa_system_sgpr_workgroup_id_x 1
		.amdhsa_system_sgpr_workgroup_id_y 0
		.amdhsa_system_sgpr_workgroup_id_z 0
		.amdhsa_system_sgpr_workgroup_info 0
		.amdhsa_system_vgpr_workitem_id 1
		.amdhsa_next_free_vgpr 29
		.amdhsa_next_free_sgpr 16
		.amdhsa_accum_offset 32
		.amdhsa_reserve_vcc 1
		.amdhsa_reserve_flat_scratch 0
		.amdhsa_float_round_mode_32 0
		.amdhsa_float_round_mode_16_64 0
		.amdhsa_float_denorm_mode_32 3
		.amdhsa_float_denorm_mode_16_64 3
		.amdhsa_dx10_clamp 1
		.amdhsa_ieee_mode 1
		.amdhsa_fp16_overflow 0
		.amdhsa_tg_split 0
		.amdhsa_exception_fp_ieee_invalid_op 0
		.amdhsa_exception_fp_denorm_src 0
		.amdhsa_exception_fp_ieee_div_zero 0
		.amdhsa_exception_fp_ieee_overflow 0
		.amdhsa_exception_fp_ieee_underflow 0
		.amdhsa_exception_fp_ieee_inexact 0
		.amdhsa_exception_int_div_zero 0
	.end_amdhsa_kernel
	.section	.text._ZN12_GLOBAL__N_121softmax_warp_backwardIdddLi6ELb0ELb1ELi64EEEvPT0_PKT_S5_iiiPKb,"axG",@progbits,_ZN12_GLOBAL__N_121softmax_warp_backwardIdddLi6ELb0ELb1ELi64EEEvPT0_PKT_S5_iiiPKb,comdat
.Lfunc_end780:
	.size	_ZN12_GLOBAL__N_121softmax_warp_backwardIdddLi6ELb0ELb1ELi64EEEvPT0_PKT_S5_iiiPKb, .Lfunc_end780-_ZN12_GLOBAL__N_121softmax_warp_backwardIdddLi6ELb0ELb1ELi64EEEvPT0_PKT_S5_iiiPKb
                                        ; -- End function
	.section	.AMDGPU.csdata,"",@progbits
; Kernel info:
; codeLenInByte = 1120
; NumSgprs: 20
; NumVgprs: 29
; NumAgprs: 0
; TotalNumVgprs: 29
; ScratchSize: 0
; MemoryBound: 0
; FloatMode: 240
; IeeeMode: 1
; LDSByteSize: 0 bytes/workgroup (compile time only)
; SGPRBlocks: 2
; VGPRBlocks: 3
; NumSGPRsForWavesPerEU: 20
; NumVGPRsForWavesPerEU: 29
; AccumOffset: 32
; Occupancy: 8
; WaveLimiterHint : 0
; COMPUTE_PGM_RSRC2:SCRATCH_EN: 0
; COMPUTE_PGM_RSRC2:USER_SGPR: 6
; COMPUTE_PGM_RSRC2:TRAP_HANDLER: 0
; COMPUTE_PGM_RSRC2:TGID_X_EN: 1
; COMPUTE_PGM_RSRC2:TGID_Y_EN: 0
; COMPUTE_PGM_RSRC2:TGID_Z_EN: 0
; COMPUTE_PGM_RSRC2:TIDIG_COMP_CNT: 1
; COMPUTE_PGM_RSRC3_GFX90A:ACCUM_OFFSET: 7
; COMPUTE_PGM_RSRC3_GFX90A:TG_SPLIT: 0
	.section	.text._ZN12_GLOBAL__N_121softmax_warp_backwardIdddLi6ELb0ELb1ELi32EEEvPT0_PKT_S5_iiiPKb,"axG",@progbits,_ZN12_GLOBAL__N_121softmax_warp_backwardIdddLi6ELb0ELb1ELi32EEEvPT0_PKT_S5_iiiPKb,comdat
	.globl	_ZN12_GLOBAL__N_121softmax_warp_backwardIdddLi6ELb0ELb1ELi32EEEvPT0_PKT_S5_iiiPKb ; -- Begin function _ZN12_GLOBAL__N_121softmax_warp_backwardIdddLi6ELb0ELb1ELi32EEEvPT0_PKT_S5_iiiPKb
	.p2align	8
	.type	_ZN12_GLOBAL__N_121softmax_warp_backwardIdddLi6ELb0ELb1ELi32EEEvPT0_PKT_S5_iiiPKb,@function
_ZN12_GLOBAL__N_121softmax_warp_backwardIdddLi6ELb0ELb1ELi32EEEvPT0_PKT_S5_iiiPKb: ; @_ZN12_GLOBAL__N_121softmax_warp_backwardIdddLi6ELb0ELb1ELi32EEEvPT0_PKT_S5_iiiPKb
; %bb.0:
	s_load_dword s2, s[4:5], 0x3c
	s_load_dwordx4 s[8:11], s[4:5], 0x18
	s_load_dwordx4 s[12:15], s[4:5], 0x0
	s_load_dwordx2 s[0:1], s[4:5], 0x10
	v_bfe_u32 v1, v0, 10, 10
	s_waitcnt lgkmcnt(0)
	s_lshr_b32 s2, s2, 16
	s_mul_i32 s6, s6, s2
	v_add_lshl_u32 v1, s6, v1, 1
	v_and_b32_e32 v0, 31, v0
	v_mad_u64_u32 v[18:19], s[2:3], v1, s9, v[0:1]
	v_ashrrev_i32_e32 v19, 31, v18
	v_lshlrev_b64 v[6:7], 3, v[18:19]
	v_sub_u32_e32 v30, s8, v1
	v_mov_b32_e32 v1, s15
	v_add_co_u32_e32 v20, vcc, s14, v6
	v_addc_co_u32_e32 v21, vcc, v1, v7, vcc
	v_mov_b32_e32 v1, s1
	v_add_co_u32_e32 v22, vcc, s0, v6
	v_addc_co_u32_e32 v23, vcc, v1, v7, vcc
	v_cmp_lt_i32_e64 s[2:3], 0, v30
	v_cmp_gt_i32_e32 vcc, s10, v0
	v_pk_mov_b32 v[2:3], 0, 0
	s_and_b64 s[6:7], s[2:3], vcc
	v_pk_mov_b32 v[10:11], v[2:3], v[2:3] op_sel:[0,1]
	v_pk_mov_b32 v[12:13], v[2:3], v[2:3] op_sel:[0,1]
	s_and_saveexec_b64 s[0:1], s[6:7]
	s_cbranch_execz .LBB781_2
; %bb.1:
	global_load_dwordx2 v[10:11], v[20:21], off
	global_load_dwordx2 v[12:13], v[22:23], off
.LBB781_2:
	s_or_b64 exec, exec, s[0:1]
	v_or_b32_e32 v0, 32, v0
	v_cmp_gt_i32_e64 s[0:1], s10, v0
	s_and_b64 s[8:9], s[2:3], s[0:1]
	v_pk_mov_b32 v[14:15], v[2:3], v[2:3] op_sel:[0,1]
	s_and_saveexec_b64 s[6:7], s[8:9]
	s_cbranch_execz .LBB781_4
; %bb.3:
	global_load_dwordx2 v[2:3], v[20:21], off offset:256
	global_load_dwordx2 v[14:15], v[22:23], off offset:256
.LBB781_4:
	s_or_b64 exec, exec, s[6:7]
	v_cmp_lt_i32_e64 s[6:7], 1, v30
	v_pk_mov_b32 v[0:1], 0, 0
	s_and_b64 s[8:9], s[6:7], vcc
	v_pk_mov_b32 v[4:5], v[0:1], v[0:1] op_sel:[0,1]
	v_pk_mov_b32 v[8:9], v[0:1], v[0:1] op_sel:[0,1]
	s_and_saveexec_b64 s[14:15], s[8:9]
	s_cbranch_execz .LBB781_6
; %bb.5:
	s_mov_b32 s11, 0
	s_lshl_b64 s[16:17], s[10:11], 3
	v_mov_b32_e32 v9, s17
	v_add_co_u32_e64 v4, s[8:9], s16, v20
	v_addc_co_u32_e64 v5, s[8:9], v21, v9, s[8:9]
	v_add_co_u32_e64 v8, s[8:9], s16, v22
	v_addc_co_u32_e64 v9, s[8:9], v23, v9, s[8:9]
	global_load_dwordx2 v[4:5], v[4:5], off
	s_nop 0
	global_load_dwordx2 v[8:9], v[8:9], off
.LBB781_6:
	s_or_b64 exec, exec, s[14:15]
	s_and_b64 s[6:7], s[6:7], s[0:1]
	v_pk_mov_b32 v[16:17], v[0:1], v[0:1] op_sel:[0,1]
	s_and_saveexec_b64 s[8:9], s[6:7]
	s_cbranch_execz .LBB781_8
; %bb.7:
	s_mov_b32 s11, 0
	s_lshl_b64 s[14:15], s[10:11], 3
	v_mov_b32_e32 v17, s15
	v_add_co_u32_e64 v0, s[6:7], s14, v20
	v_addc_co_u32_e64 v1, s[6:7], v21, v17, s[6:7]
	v_add_co_u32_e64 v16, s[6:7], s14, v22
	v_addc_co_u32_e64 v17, s[6:7], v23, v17, s[6:7]
	global_load_dwordx2 v[0:1], v[0:1], off offset:256
	s_nop 0
	global_load_dwordx2 v[16:17], v[16:17], off offset:256
.LBB781_8:
	s_or_b64 exec, exec, s[8:9]
	s_load_dwordx2 s[4:5], s[4:5], 0x28
	s_waitcnt vmcnt(1)
	v_add_f64 v[22:23], v[10:11], 0
	v_add_f64 v[24:25], v[4:5], 0
	s_waitcnt lgkmcnt(0)
	v_mov_b32_e32 v21, s5
	v_add_co_u32_e64 v20, s[4:5], s4, v18
	v_addc_co_u32_e64 v21, s[4:5], v21, v19, s[4:5]
	s_ashr_i32 s4, s10, 31
	v_mov_b32_e32 v19, s4
	v_add_co_u32_e64 v18, s[4:5], s10, v20
	global_load_ubyte v26, v[20:21], off
	global_load_ubyte v27, v[20:21], off offset:32
	v_addc_co_u32_e64 v19, s[6:7], v21, v19, s[4:5]
	global_load_ubyte v28, v[18:19], off
	global_load_ubyte v29, v[18:19], off offset:32
	v_mbcnt_lo_u32_b32 v19, -1, 0
	v_mbcnt_hi_u32_b32 v19, -1, v19
	v_and_b32_e32 v31, 0x60, v19
	v_xor_b32_e32 v32, 16, v19
	v_add_u32_e32 v31, 32, v31
	v_cmp_lt_i32_e64 s[6:7], v32, v31
	v_cndmask_b32_e64 v32, v19, v32, s[6:7]
	v_lshlrev_b32_e32 v32, 2, v32
	v_xor_b32_e32 v33, 8, v19
	v_xor_b32_e32 v34, 4, v19
	;; [unrolled: 1-line block ×4, first 2 shown]
	s_waitcnt vmcnt(3)
	v_and_b32_e32 v26, 1, v26
	v_cmp_eq_u32_e64 s[6:7], 1, v26
	s_waitcnt vmcnt(2)
	v_and_b32_e32 v37, 1, v27
	s_waitcnt vmcnt(1)
	v_and_b32_e32 v26, 1, v28
	v_cndmask_b32_e64 v23, v23, 0, s[6:7]
	v_cndmask_b32_e64 v22, v22, 0, s[6:7]
	v_cmp_eq_u32_e64 s[8:9], 1, v26
	s_waitcnt vmcnt(0)
	v_and_b32_e32 v28, 1, v29
	v_cndmask_b32_e64 v25, v25, 0, s[8:9]
	v_add_f64 v[26:27], v[22:23], v[2:3]
	v_cndmask_b32_e64 v24, v24, 0, s[8:9]
	v_cmp_eq_u32_e64 s[8:9], 1, v37
	v_cndmask_b32_e64 v23, v27, v23, s[8:9]
	v_cndmask_b32_e64 v22, v26, v22, s[8:9]
	v_add_f64 v[26:27], v[24:25], v[0:1]
	v_cmp_eq_u32_e64 s[8:9], 1, v28
	v_cndmask_b32_e64 v25, v27, v25, s[8:9]
	v_cndmask_b32_e64 v24, v26, v24, s[8:9]
	ds_bpermute_b32 v26, v32, v22
	ds_bpermute_b32 v27, v32, v23
	ds_bpermute_b32 v28, v32, v24
	ds_bpermute_b32 v29, v32, v25
	v_cmp_lt_i32_e64 s[8:9], v33, v31
	v_cndmask_b32_e64 v32, v19, v33, s[8:9]
	v_lshlrev_b32_e32 v32, 2, v32
	s_waitcnt lgkmcnt(2)
	v_add_f64 v[22:23], v[22:23], v[26:27]
	s_waitcnt lgkmcnt(0)
	v_add_f64 v[24:25], v[24:25], v[28:29]
	ds_bpermute_b32 v26, v32, v22
	ds_bpermute_b32 v27, v32, v23
	ds_bpermute_b32 v28, v32, v24
	ds_bpermute_b32 v29, v32, v25
	v_cmp_lt_i32_e64 s[8:9], v34, v31
	v_cndmask_b32_e64 v32, v19, v34, s[8:9]
	v_lshlrev_b32_e32 v32, 2, v32
	s_waitcnt lgkmcnt(2)
	v_add_f64 v[22:23], v[22:23], v[26:27]
	s_waitcnt lgkmcnt(0)
	v_add_f64 v[24:25], v[24:25], v[28:29]
	;; [unrolled: 11-line block ×4, first 2 shown]
	ds_bpermute_b32 v28, v19, v26
	ds_bpermute_b32 v29, v19, v27
	ds_bpermute_b32 v24, v19, v22
	ds_bpermute_b32 v25, v19, v23
	s_and_saveexec_b64 s[8:9], s[2:3]
	s_cbranch_execz .LBB781_12
; %bb.9:
	v_mov_b32_e32 v19, s13
	v_add_co_u32_e64 v6, s[2:3], s12, v6
	s_waitcnt lgkmcnt(2)
	v_add_f64 v[26:27], v[26:27], v[28:29]
	v_addc_co_u32_e64 v7, s[2:3], v19, v7, s[2:3]
	s_and_saveexec_b64 s[2:3], vcc
	s_cbranch_execnz .LBB781_13
; %bb.10:
	s_or_b64 exec, exec, s[2:3]
	s_and_saveexec_b64 s[6:7], s[0:1]
	s_cbranch_execnz .LBB781_14
.LBB781_11:
	s_or_b64 exec, exec, s[6:7]
	v_cmp_ne_u32_e64 s[2:3], 1, v30
	s_and_b64 exec, exec, s[2:3]
	s_cbranch_execnz .LBB781_15
.LBB781_12:
	s_endpgm
.LBB781_13:
	v_fma_f64 v[10:11], -v[26:27], v[12:13], v[10:11]
	v_cndmask_b32_e64 v11, v11, 0, s[6:7]
	v_cndmask_b32_e64 v10, v10, 0, s[6:7]
	global_store_dwordx2 v[6:7], v[10:11], off
	s_or_b64 exec, exec, s[2:3]
	s_and_saveexec_b64 s[6:7], s[0:1]
	s_cbranch_execz .LBB781_11
.LBB781_14:
	global_load_ubyte v10, v[20:21], off offset:32
	v_fma_f64 v[2:3], -v[26:27], v[14:15], v[2:3]
	s_waitcnt vmcnt(0)
	v_and_b32_e32 v10, 1, v10
	v_cmp_eq_u32_e64 s[2:3], 1, v10
	v_cndmask_b32_e64 v3, v3, 0, s[2:3]
	v_cndmask_b32_e64 v2, v2, 0, s[2:3]
	global_store_dwordx2 v[6:7], v[2:3], off offset:256
	s_or_b64 exec, exec, s[6:7]
	v_cmp_ne_u32_e64 s[2:3], 1, v30
	s_and_b64 exec, exec, s[2:3]
	s_cbranch_execz .LBB781_12
.LBB781_15:
	s_mov_b32 s11, 0
	v_addc_co_u32_e64 v19, s[2:3], 0, v21, s[4:5]
	s_lshl_b64 s[2:3], s[10:11], 3
	v_mov_b32_e32 v10, s3
	v_add_co_u32_e64 v6, s[2:3], s2, v6
	s_waitcnt lgkmcnt(0)
	v_add_f64 v[2:3], v[22:23], v[24:25]
	v_addc_co_u32_e64 v7, s[2:3], v7, v10, s[2:3]
	s_and_saveexec_b64 s[2:3], vcc
	s_cbranch_execz .LBB781_17
; %bb.16:
	global_load_ubyte v10, v[18:19], off
	v_fma_f64 v[4:5], -v[2:3], v[8:9], v[4:5]
	s_waitcnt vmcnt(0)
	v_and_b32_e32 v8, 1, v10
	v_cmp_eq_u32_e32 vcc, 1, v8
	v_cndmask_b32_e64 v5, v5, 0, vcc
	v_cndmask_b32_e64 v4, v4, 0, vcc
	global_store_dwordx2 v[6:7], v[4:5], off
.LBB781_17:
	s_or_b64 exec, exec, s[2:3]
	s_and_b64 exec, exec, s[0:1]
	s_cbranch_execz .LBB781_12
; %bb.18:
	global_load_ubyte v4, v[18:19], off offset:32
	v_fma_f64 v[0:1], -v[2:3], v[16:17], v[0:1]
	s_waitcnt vmcnt(0)
	v_and_b32_e32 v2, 1, v4
	v_cmp_eq_u32_e32 vcc, 1, v2
	v_cndmask_b32_e64 v1, v1, 0, vcc
	v_cndmask_b32_e64 v0, v0, 0, vcc
	global_store_dwordx2 v[6:7], v[0:1], off offset:256
	s_endpgm
	.section	.rodata,"a",@progbits
	.p2align	6, 0x0
	.amdhsa_kernel _ZN12_GLOBAL__N_121softmax_warp_backwardIdddLi6ELb0ELb1ELi32EEEvPT0_PKT_S5_iiiPKb
		.amdhsa_group_segment_fixed_size 0
		.amdhsa_private_segment_fixed_size 0
		.amdhsa_kernarg_size 304
		.amdhsa_user_sgpr_count 6
		.amdhsa_user_sgpr_private_segment_buffer 1
		.amdhsa_user_sgpr_dispatch_ptr 0
		.amdhsa_user_sgpr_queue_ptr 0
		.amdhsa_user_sgpr_kernarg_segment_ptr 1
		.amdhsa_user_sgpr_dispatch_id 0
		.amdhsa_user_sgpr_flat_scratch_init 0
		.amdhsa_user_sgpr_kernarg_preload_length 0
		.amdhsa_user_sgpr_kernarg_preload_offset 0
		.amdhsa_user_sgpr_private_segment_size 0
		.amdhsa_uses_dynamic_stack 0
		.amdhsa_system_sgpr_private_segment_wavefront_offset 0
		.amdhsa_system_sgpr_workgroup_id_x 1
		.amdhsa_system_sgpr_workgroup_id_y 0
		.amdhsa_system_sgpr_workgroup_id_z 0
		.amdhsa_system_sgpr_workgroup_info 0
		.amdhsa_system_vgpr_workitem_id 1
		.amdhsa_next_free_vgpr 38
		.amdhsa_next_free_sgpr 18
		.amdhsa_accum_offset 40
		.amdhsa_reserve_vcc 1
		.amdhsa_reserve_flat_scratch 0
		.amdhsa_float_round_mode_32 0
		.amdhsa_float_round_mode_16_64 0
		.amdhsa_float_denorm_mode_32 3
		.amdhsa_float_denorm_mode_16_64 3
		.amdhsa_dx10_clamp 1
		.amdhsa_ieee_mode 1
		.amdhsa_fp16_overflow 0
		.amdhsa_tg_split 0
		.amdhsa_exception_fp_ieee_invalid_op 0
		.amdhsa_exception_fp_denorm_src 0
		.amdhsa_exception_fp_ieee_div_zero 0
		.amdhsa_exception_fp_ieee_overflow 0
		.amdhsa_exception_fp_ieee_underflow 0
		.amdhsa_exception_fp_ieee_inexact 0
		.amdhsa_exception_int_div_zero 0
	.end_amdhsa_kernel
	.section	.text._ZN12_GLOBAL__N_121softmax_warp_backwardIdddLi6ELb0ELb1ELi32EEEvPT0_PKT_S5_iiiPKb,"axG",@progbits,_ZN12_GLOBAL__N_121softmax_warp_backwardIdddLi6ELb0ELb1ELi32EEEvPT0_PKT_S5_iiiPKb,comdat
.Lfunc_end781:
	.size	_ZN12_GLOBAL__N_121softmax_warp_backwardIdddLi6ELb0ELb1ELi32EEEvPT0_PKT_S5_iiiPKb, .Lfunc_end781-_ZN12_GLOBAL__N_121softmax_warp_backwardIdddLi6ELb0ELb1ELi32EEEvPT0_PKT_S5_iiiPKb
                                        ; -- End function
	.section	.AMDGPU.csdata,"",@progbits
; Kernel info:
; codeLenInByte = 1468
; NumSgprs: 22
; NumVgprs: 38
; NumAgprs: 0
; TotalNumVgprs: 38
; ScratchSize: 0
; MemoryBound: 0
; FloatMode: 240
; IeeeMode: 1
; LDSByteSize: 0 bytes/workgroup (compile time only)
; SGPRBlocks: 2
; VGPRBlocks: 4
; NumSGPRsForWavesPerEU: 22
; NumVGPRsForWavesPerEU: 38
; AccumOffset: 40
; Occupancy: 8
; WaveLimiterHint : 0
; COMPUTE_PGM_RSRC2:SCRATCH_EN: 0
; COMPUTE_PGM_RSRC2:USER_SGPR: 6
; COMPUTE_PGM_RSRC2:TRAP_HANDLER: 0
; COMPUTE_PGM_RSRC2:TGID_X_EN: 1
; COMPUTE_PGM_RSRC2:TGID_Y_EN: 0
; COMPUTE_PGM_RSRC2:TGID_Z_EN: 0
; COMPUTE_PGM_RSRC2:TIDIG_COMP_CNT: 1
; COMPUTE_PGM_RSRC3_GFX90A:ACCUM_OFFSET: 9
; COMPUTE_PGM_RSRC3_GFX90A:TG_SPLIT: 0
	.section	.text._ZN12_GLOBAL__N_121softmax_warp_backwardIdddLi7ELb0ELb1ELi64EEEvPT0_PKT_S5_iiiPKb,"axG",@progbits,_ZN12_GLOBAL__N_121softmax_warp_backwardIdddLi7ELb0ELb1ELi64EEEvPT0_PKT_S5_iiiPKb,comdat
	.globl	_ZN12_GLOBAL__N_121softmax_warp_backwardIdddLi7ELb0ELb1ELi64EEEvPT0_PKT_S5_iiiPKb ; -- Begin function _ZN12_GLOBAL__N_121softmax_warp_backwardIdddLi7ELb0ELb1ELi64EEEvPT0_PKT_S5_iiiPKb
	.p2align	8
	.type	_ZN12_GLOBAL__N_121softmax_warp_backwardIdddLi7ELb0ELb1ELi64EEEvPT0_PKT_S5_iiiPKb,@function
_ZN12_GLOBAL__N_121softmax_warp_backwardIdddLi7ELb0ELb1ELi64EEEvPT0_PKT_S5_iiiPKb: ; @_ZN12_GLOBAL__N_121softmax_warp_backwardIdddLi7ELb0ELb1ELi64EEEvPT0_PKT_S5_iiiPKb
; %bb.0:
	s_load_dword s2, s[4:5], 0x3c
	s_load_dwordx4 s[8:11], s[4:5], 0x18
	s_load_dwordx4 s[12:15], s[4:5], 0x0
	s_load_dwordx2 s[0:1], s[4:5], 0x10
	v_bfe_u32 v1, v0, 10, 10
	s_waitcnt lgkmcnt(0)
	s_lshr_b32 s2, s2, 16
	s_mul_i32 s6, s6, s2
	v_add_lshl_u32 v1, s6, v1, 1
	v_and_b32_e32 v0, 63, v0
	v_mad_u64_u32 v[18:19], s[2:3], v1, s9, v[0:1]
	v_ashrrev_i32_e32 v19, 31, v18
	v_lshlrev_b64 v[6:7], 3, v[18:19]
	v_sub_u32_e32 v30, s8, v1
	v_mov_b32_e32 v1, s15
	v_add_co_u32_e32 v20, vcc, s14, v6
	v_addc_co_u32_e32 v21, vcc, v1, v7, vcc
	v_mov_b32_e32 v1, s1
	v_add_co_u32_e32 v22, vcc, s0, v6
	v_addc_co_u32_e32 v23, vcc, v1, v7, vcc
	v_cmp_lt_i32_e64 s[2:3], 0, v30
	v_cmp_gt_i32_e32 vcc, s10, v0
	v_pk_mov_b32 v[2:3], 0, 0
	s_and_b64 s[6:7], s[2:3], vcc
	v_pk_mov_b32 v[10:11], v[2:3], v[2:3] op_sel:[0,1]
	v_pk_mov_b32 v[12:13], v[2:3], v[2:3] op_sel:[0,1]
	s_and_saveexec_b64 s[0:1], s[6:7]
	s_cbranch_execz .LBB782_2
; %bb.1:
	global_load_dwordx2 v[10:11], v[20:21], off
	global_load_dwordx2 v[12:13], v[22:23], off
.LBB782_2:
	s_or_b64 exec, exec, s[0:1]
	v_or_b32_e32 v0, 64, v0
	v_cmp_gt_i32_e64 s[0:1], s10, v0
	s_and_b64 s[8:9], s[2:3], s[0:1]
	v_pk_mov_b32 v[14:15], v[2:3], v[2:3] op_sel:[0,1]
	s_and_saveexec_b64 s[6:7], s[8:9]
	s_cbranch_execz .LBB782_4
; %bb.3:
	global_load_dwordx2 v[2:3], v[20:21], off offset:512
	global_load_dwordx2 v[14:15], v[22:23], off offset:512
.LBB782_4:
	s_or_b64 exec, exec, s[6:7]
	v_cmp_lt_i32_e64 s[6:7], 1, v30
	v_pk_mov_b32 v[0:1], 0, 0
	s_and_b64 s[8:9], s[6:7], vcc
	v_pk_mov_b32 v[4:5], v[0:1], v[0:1] op_sel:[0,1]
	v_pk_mov_b32 v[8:9], v[0:1], v[0:1] op_sel:[0,1]
	s_and_saveexec_b64 s[14:15], s[8:9]
	s_cbranch_execz .LBB782_6
; %bb.5:
	s_mov_b32 s11, 0
	s_lshl_b64 s[16:17], s[10:11], 3
	v_mov_b32_e32 v9, s17
	v_add_co_u32_e64 v4, s[8:9], s16, v20
	v_addc_co_u32_e64 v5, s[8:9], v21, v9, s[8:9]
	v_add_co_u32_e64 v8, s[8:9], s16, v22
	v_addc_co_u32_e64 v9, s[8:9], v23, v9, s[8:9]
	global_load_dwordx2 v[4:5], v[4:5], off
	s_nop 0
	global_load_dwordx2 v[8:9], v[8:9], off
.LBB782_6:
	s_or_b64 exec, exec, s[14:15]
	s_and_b64 s[6:7], s[6:7], s[0:1]
	v_pk_mov_b32 v[16:17], v[0:1], v[0:1] op_sel:[0,1]
	s_and_saveexec_b64 s[8:9], s[6:7]
	s_cbranch_execz .LBB782_8
; %bb.7:
	s_mov_b32 s11, 0
	s_lshl_b64 s[14:15], s[10:11], 3
	v_mov_b32_e32 v17, s15
	v_add_co_u32_e64 v0, s[6:7], s14, v20
	v_addc_co_u32_e64 v1, s[6:7], v21, v17, s[6:7]
	v_add_co_u32_e64 v16, s[6:7], s14, v22
	v_addc_co_u32_e64 v17, s[6:7], v23, v17, s[6:7]
	global_load_dwordx2 v[0:1], v[0:1], off offset:512
	s_nop 0
	global_load_dwordx2 v[16:17], v[16:17], off offset:512
.LBB782_8:
	s_or_b64 exec, exec, s[8:9]
	s_load_dwordx2 s[4:5], s[4:5], 0x28
	s_waitcnt vmcnt(1)
	v_add_f64 v[22:23], v[10:11], 0
	v_add_f64 v[24:25], v[4:5], 0
	s_waitcnt lgkmcnt(0)
	v_mov_b32_e32 v21, s5
	v_add_co_u32_e64 v20, s[4:5], s4, v18
	v_addc_co_u32_e64 v21, s[4:5], v21, v19, s[4:5]
	s_ashr_i32 s4, s10, 31
	v_mov_b32_e32 v19, s4
	v_add_co_u32_e64 v18, s[4:5], s10, v20
	global_load_ubyte v26, v[20:21], off
	global_load_ubyte v27, v[20:21], off offset:64
	v_addc_co_u32_e64 v19, s[6:7], v21, v19, s[4:5]
	global_load_ubyte v28, v[18:19], off
	global_load_ubyte v29, v[18:19], off offset:64
	v_mbcnt_lo_u32_b32 v19, -1, 0
	v_mbcnt_hi_u32_b32 v19, -1, v19
	v_and_b32_e32 v31, 64, v19
	v_xor_b32_e32 v32, 32, v19
	v_add_u32_e32 v31, 64, v31
	v_cmp_lt_i32_e64 s[6:7], v32, v31
	v_cndmask_b32_e64 v32, v19, v32, s[6:7]
	v_lshlrev_b32_e32 v32, 2, v32
	v_xor_b32_e32 v33, 16, v19
	v_xor_b32_e32 v34, 8, v19
	v_xor_b32_e32 v35, 4, v19
	v_xor_b32_e32 v36, 2, v19
	v_xor_b32_e32 v37, 1, v19
	s_waitcnt vmcnt(3)
	v_and_b32_e32 v26, 1, v26
	v_cmp_eq_u32_e64 s[6:7], 1, v26
	s_waitcnt vmcnt(2)
	v_and_b32_e32 v38, 1, v27
	s_waitcnt vmcnt(1)
	v_and_b32_e32 v26, 1, v28
	v_cndmask_b32_e64 v23, v23, 0, s[6:7]
	v_cndmask_b32_e64 v22, v22, 0, s[6:7]
	v_cmp_eq_u32_e64 s[8:9], 1, v26
	s_waitcnt vmcnt(0)
	v_and_b32_e32 v28, 1, v29
	v_cndmask_b32_e64 v25, v25, 0, s[8:9]
	v_add_f64 v[26:27], v[22:23], v[2:3]
	v_cndmask_b32_e64 v24, v24, 0, s[8:9]
	v_cmp_eq_u32_e64 s[8:9], 1, v38
	v_cndmask_b32_e64 v23, v27, v23, s[8:9]
	v_cndmask_b32_e64 v22, v26, v22, s[8:9]
	v_add_f64 v[26:27], v[24:25], v[0:1]
	v_cmp_eq_u32_e64 s[8:9], 1, v28
	v_cndmask_b32_e64 v25, v27, v25, s[8:9]
	v_cndmask_b32_e64 v24, v26, v24, s[8:9]
	ds_bpermute_b32 v26, v32, v22
	ds_bpermute_b32 v27, v32, v23
	ds_bpermute_b32 v28, v32, v24
	ds_bpermute_b32 v29, v32, v25
	v_cmp_lt_i32_e64 s[8:9], v33, v31
	v_cndmask_b32_e64 v32, v19, v33, s[8:9]
	v_lshlrev_b32_e32 v32, 2, v32
	s_waitcnt lgkmcnt(2)
	v_add_f64 v[22:23], v[22:23], v[26:27]
	s_waitcnt lgkmcnt(0)
	v_add_f64 v[24:25], v[24:25], v[28:29]
	ds_bpermute_b32 v26, v32, v22
	ds_bpermute_b32 v27, v32, v23
	ds_bpermute_b32 v28, v32, v24
	ds_bpermute_b32 v29, v32, v25
	v_cmp_lt_i32_e64 s[8:9], v34, v31
	v_cndmask_b32_e64 v32, v19, v34, s[8:9]
	v_lshlrev_b32_e32 v32, 2, v32
	s_waitcnt lgkmcnt(2)
	v_add_f64 v[22:23], v[22:23], v[26:27]
	s_waitcnt lgkmcnt(0)
	v_add_f64 v[24:25], v[24:25], v[28:29]
	;; [unrolled: 11-line block ×5, first 2 shown]
	ds_bpermute_b32 v28, v19, v26
	ds_bpermute_b32 v29, v19, v27
	;; [unrolled: 1-line block ×4, first 2 shown]
	s_and_saveexec_b64 s[8:9], s[2:3]
	s_cbranch_execz .LBB782_12
; %bb.9:
	v_mov_b32_e32 v19, s13
	v_add_co_u32_e64 v6, s[2:3], s12, v6
	s_waitcnt lgkmcnt(2)
	v_add_f64 v[26:27], v[26:27], v[28:29]
	v_addc_co_u32_e64 v7, s[2:3], v19, v7, s[2:3]
	s_and_saveexec_b64 s[2:3], vcc
	s_cbranch_execnz .LBB782_13
; %bb.10:
	s_or_b64 exec, exec, s[2:3]
	s_and_saveexec_b64 s[6:7], s[0:1]
	s_cbranch_execnz .LBB782_14
.LBB782_11:
	s_or_b64 exec, exec, s[6:7]
	v_cmp_ne_u32_e64 s[2:3], 1, v30
	s_and_b64 exec, exec, s[2:3]
	s_cbranch_execnz .LBB782_15
.LBB782_12:
	s_endpgm
.LBB782_13:
	v_fma_f64 v[10:11], -v[26:27], v[12:13], v[10:11]
	v_cndmask_b32_e64 v11, v11, 0, s[6:7]
	v_cndmask_b32_e64 v10, v10, 0, s[6:7]
	global_store_dwordx2 v[6:7], v[10:11], off
	s_or_b64 exec, exec, s[2:3]
	s_and_saveexec_b64 s[6:7], s[0:1]
	s_cbranch_execz .LBB782_11
.LBB782_14:
	global_load_ubyte v10, v[20:21], off offset:64
	v_fma_f64 v[2:3], -v[26:27], v[14:15], v[2:3]
	s_waitcnt vmcnt(0)
	v_and_b32_e32 v10, 1, v10
	v_cmp_eq_u32_e64 s[2:3], 1, v10
	v_cndmask_b32_e64 v3, v3, 0, s[2:3]
	v_cndmask_b32_e64 v2, v2, 0, s[2:3]
	global_store_dwordx2 v[6:7], v[2:3], off offset:512
	s_or_b64 exec, exec, s[6:7]
	v_cmp_ne_u32_e64 s[2:3], 1, v30
	s_and_b64 exec, exec, s[2:3]
	s_cbranch_execz .LBB782_12
.LBB782_15:
	s_mov_b32 s11, 0
	v_addc_co_u32_e64 v19, s[2:3], 0, v21, s[4:5]
	s_lshl_b64 s[2:3], s[10:11], 3
	v_mov_b32_e32 v10, s3
	v_add_co_u32_e64 v6, s[2:3], s2, v6
	s_waitcnt lgkmcnt(0)
	v_add_f64 v[2:3], v[22:23], v[24:25]
	v_addc_co_u32_e64 v7, s[2:3], v7, v10, s[2:3]
	s_and_saveexec_b64 s[2:3], vcc
	s_cbranch_execz .LBB782_17
; %bb.16:
	global_load_ubyte v10, v[18:19], off
	v_fma_f64 v[4:5], -v[2:3], v[8:9], v[4:5]
	s_waitcnt vmcnt(0)
	v_and_b32_e32 v8, 1, v10
	v_cmp_eq_u32_e32 vcc, 1, v8
	v_cndmask_b32_e64 v5, v5, 0, vcc
	v_cndmask_b32_e64 v4, v4, 0, vcc
	global_store_dwordx2 v[6:7], v[4:5], off
.LBB782_17:
	s_or_b64 exec, exec, s[2:3]
	s_and_b64 exec, exec, s[0:1]
	s_cbranch_execz .LBB782_12
; %bb.18:
	global_load_ubyte v4, v[18:19], off offset:64
	v_fma_f64 v[0:1], -v[2:3], v[16:17], v[0:1]
	s_waitcnt vmcnt(0)
	v_and_b32_e32 v2, 1, v4
	v_cmp_eq_u32_e32 vcc, 1, v2
	v_cndmask_b32_e64 v1, v1, 0, vcc
	v_cndmask_b32_e64 v0, v0, 0, vcc
	global_store_dwordx2 v[6:7], v[0:1], off offset:512
	s_endpgm
	.section	.rodata,"a",@progbits
	.p2align	6, 0x0
	.amdhsa_kernel _ZN12_GLOBAL__N_121softmax_warp_backwardIdddLi7ELb0ELb1ELi64EEEvPT0_PKT_S5_iiiPKb
		.amdhsa_group_segment_fixed_size 0
		.amdhsa_private_segment_fixed_size 0
		.amdhsa_kernarg_size 304
		.amdhsa_user_sgpr_count 6
		.amdhsa_user_sgpr_private_segment_buffer 1
		.amdhsa_user_sgpr_dispatch_ptr 0
		.amdhsa_user_sgpr_queue_ptr 0
		.amdhsa_user_sgpr_kernarg_segment_ptr 1
		.amdhsa_user_sgpr_dispatch_id 0
		.amdhsa_user_sgpr_flat_scratch_init 0
		.amdhsa_user_sgpr_kernarg_preload_length 0
		.amdhsa_user_sgpr_kernarg_preload_offset 0
		.amdhsa_user_sgpr_private_segment_size 0
		.amdhsa_uses_dynamic_stack 0
		.amdhsa_system_sgpr_private_segment_wavefront_offset 0
		.amdhsa_system_sgpr_workgroup_id_x 1
		.amdhsa_system_sgpr_workgroup_id_y 0
		.amdhsa_system_sgpr_workgroup_id_z 0
		.amdhsa_system_sgpr_workgroup_info 0
		.amdhsa_system_vgpr_workitem_id 1
		.amdhsa_next_free_vgpr 39
		.amdhsa_next_free_sgpr 18
		.amdhsa_accum_offset 40
		.amdhsa_reserve_vcc 1
		.amdhsa_reserve_flat_scratch 0
		.amdhsa_float_round_mode_32 0
		.amdhsa_float_round_mode_16_64 0
		.amdhsa_float_denorm_mode_32 3
		.amdhsa_float_denorm_mode_16_64 3
		.amdhsa_dx10_clamp 1
		.amdhsa_ieee_mode 1
		.amdhsa_fp16_overflow 0
		.amdhsa_tg_split 0
		.amdhsa_exception_fp_ieee_invalid_op 0
		.amdhsa_exception_fp_denorm_src 0
		.amdhsa_exception_fp_ieee_div_zero 0
		.amdhsa_exception_fp_ieee_overflow 0
		.amdhsa_exception_fp_ieee_underflow 0
		.amdhsa_exception_fp_ieee_inexact 0
		.amdhsa_exception_int_div_zero 0
	.end_amdhsa_kernel
	.section	.text._ZN12_GLOBAL__N_121softmax_warp_backwardIdddLi7ELb0ELb1ELi64EEEvPT0_PKT_S5_iiiPKb,"axG",@progbits,_ZN12_GLOBAL__N_121softmax_warp_backwardIdddLi7ELb0ELb1ELi64EEEvPT0_PKT_S5_iiiPKb,comdat
.Lfunc_end782:
	.size	_ZN12_GLOBAL__N_121softmax_warp_backwardIdddLi7ELb0ELb1ELi64EEEvPT0_PKT_S5_iiiPKb, .Lfunc_end782-_ZN12_GLOBAL__N_121softmax_warp_backwardIdddLi7ELb0ELb1ELi64EEEvPT0_PKT_S5_iiiPKb
                                        ; -- End function
	.section	.AMDGPU.csdata,"",@progbits
; Kernel info:
; codeLenInByte = 1544
; NumSgprs: 22
; NumVgprs: 39
; NumAgprs: 0
; TotalNumVgprs: 39
; ScratchSize: 0
; MemoryBound: 0
; FloatMode: 240
; IeeeMode: 1
; LDSByteSize: 0 bytes/workgroup (compile time only)
; SGPRBlocks: 2
; VGPRBlocks: 4
; NumSGPRsForWavesPerEU: 22
; NumVGPRsForWavesPerEU: 39
; AccumOffset: 40
; Occupancy: 8
; WaveLimiterHint : 0
; COMPUTE_PGM_RSRC2:SCRATCH_EN: 0
; COMPUTE_PGM_RSRC2:USER_SGPR: 6
; COMPUTE_PGM_RSRC2:TRAP_HANDLER: 0
; COMPUTE_PGM_RSRC2:TGID_X_EN: 1
; COMPUTE_PGM_RSRC2:TGID_Y_EN: 0
; COMPUTE_PGM_RSRC2:TGID_Z_EN: 0
; COMPUTE_PGM_RSRC2:TIDIG_COMP_CNT: 1
; COMPUTE_PGM_RSRC3_GFX90A:ACCUM_OFFSET: 9
; COMPUTE_PGM_RSRC3_GFX90A:TG_SPLIT: 0
	.section	.text._ZN12_GLOBAL__N_121softmax_warp_backwardIdddLi7ELb0ELb1ELi32EEEvPT0_PKT_S5_iiiPKb,"axG",@progbits,_ZN12_GLOBAL__N_121softmax_warp_backwardIdddLi7ELb0ELb1ELi32EEEvPT0_PKT_S5_iiiPKb,comdat
	.globl	_ZN12_GLOBAL__N_121softmax_warp_backwardIdddLi7ELb0ELb1ELi32EEEvPT0_PKT_S5_iiiPKb ; -- Begin function _ZN12_GLOBAL__N_121softmax_warp_backwardIdddLi7ELb0ELb1ELi32EEEvPT0_PKT_S5_iiiPKb
	.p2align	8
	.type	_ZN12_GLOBAL__N_121softmax_warp_backwardIdddLi7ELb0ELb1ELi32EEEvPT0_PKT_S5_iiiPKb,@function
_ZN12_GLOBAL__N_121softmax_warp_backwardIdddLi7ELb0ELb1ELi32EEEvPT0_PKT_S5_iiiPKb: ; @_ZN12_GLOBAL__N_121softmax_warp_backwardIdddLi7ELb0ELb1ELi32EEEvPT0_PKT_S5_iiiPKb
; %bb.0:
	s_load_dword s2, s[4:5], 0x3c
	s_load_dwordx4 s[12:15], s[4:5], 0x18
	s_load_dwordx4 s[16:19], s[4:5], 0x0
	s_load_dwordx2 s[0:1], s[4:5], 0x10
	v_bfe_u32 v1, v0, 10, 10
	s_waitcnt lgkmcnt(0)
	s_lshr_b32 s2, s2, 16
	s_mul_i32 s6, s6, s2
	v_add_lshl_u32 v1, s6, v1, 1
	v_and_b32_e32 v0, 31, v0
	v_mad_u64_u32 v[34:35], s[2:3], v1, s13, v[0:1]
	v_ashrrev_i32_e32 v35, 31, v34
	v_lshlrev_b64 v[6:7], 3, v[34:35]
	v_sub_u32_e32 v46, s12, v1
	v_mov_b32_e32 v1, s19
	v_add_co_u32_e32 v36, vcc, s18, v6
	v_addc_co_u32_e32 v37, vcc, v1, v7, vcc
	v_mov_b32_e32 v1, s1
	v_add_co_u32_e32 v38, vcc, s0, v6
	v_addc_co_u32_e32 v39, vcc, v1, v7, vcc
	v_cmp_lt_i32_e64 s[6:7], 0, v46
	v_cmp_gt_i32_e32 vcc, s14, v0
	v_pk_mov_b32 v[2:3], 0, 0
	s_and_b64 s[2:3], s[6:7], vcc
	v_pk_mov_b32 v[10:11], v[2:3], v[2:3] op_sel:[0,1]
	v_pk_mov_b32 v[12:13], v[2:3], v[2:3] op_sel:[0,1]
	s_and_saveexec_b64 s[0:1], s[2:3]
	s_cbranch_execz .LBB783_2
; %bb.1:
	global_load_dwordx2 v[10:11], v[36:37], off
	global_load_dwordx2 v[12:13], v[38:39], off
.LBB783_2:
	s_or_b64 exec, exec, s[0:1]
	v_or_b32_e32 v1, 32, v0
	v_cmp_gt_i32_e64 s[0:1], s14, v1
	s_and_b64 s[8:9], s[6:7], s[0:1]
	v_pk_mov_b32 v[18:19], v[2:3], v[2:3] op_sel:[0,1]
	s_and_saveexec_b64 s[2:3], s[8:9]
	s_cbranch_execz .LBB783_4
; %bb.3:
	global_load_dwordx2 v[2:3], v[36:37], off offset:256
	global_load_dwordx2 v[18:19], v[38:39], off offset:256
.LBB783_4:
	s_or_b64 exec, exec, s[2:3]
	v_or_b32_e32 v1, 64, v0
	v_cmp_gt_i32_e64 s[2:3], s14, v1
	v_pk_mov_b32 v[4:5], 0, 0
	s_and_b64 s[10:11], s[6:7], s[2:3]
	v_pk_mov_b32 v[14:15], v[4:5], v[4:5] op_sel:[0,1]
	v_pk_mov_b32 v[22:23], v[4:5], v[4:5] op_sel:[0,1]
	s_and_saveexec_b64 s[8:9], s[10:11]
	s_cbranch_execz .LBB783_6
; %bb.5:
	global_load_dwordx2 v[14:15], v[36:37], off offset:512
	global_load_dwordx2 v[22:23], v[38:39], off offset:512
.LBB783_6:
	s_or_b64 exec, exec, s[8:9]
	v_or_b32_e32 v0, 0x60, v0
	v_cmp_gt_i32_e64 s[8:9], s14, v0
	s_and_b64 s[12:13], s[6:7], s[8:9]
	v_pk_mov_b32 v[24:25], v[4:5], v[4:5] op_sel:[0,1]
	s_and_saveexec_b64 s[10:11], s[12:13]
	s_cbranch_execz .LBB783_8
; %bb.7:
	global_load_dwordx2 v[4:5], v[36:37], off offset:768
	global_load_dwordx2 v[24:25], v[38:39], off offset:768
.LBB783_8:
	s_or_b64 exec, exec, s[10:11]
	v_cmp_lt_i32_e64 s[10:11], 1, v46
	v_pk_mov_b32 v[0:1], 0, 0
	s_and_b64 s[12:13], s[10:11], vcc
	v_pk_mov_b32 v[8:9], v[0:1], v[0:1] op_sel:[0,1]
	v_pk_mov_b32 v[16:17], v[0:1], v[0:1] op_sel:[0,1]
	s_and_saveexec_b64 s[18:19], s[12:13]
	s_cbranch_execz .LBB783_10
; %bb.9:
	s_mov_b32 s15, 0
	s_lshl_b64 s[20:21], s[14:15], 3
	v_mov_b32_e32 v17, s21
	v_add_co_u32_e64 v8, s[12:13], s20, v36
	v_addc_co_u32_e64 v9, s[12:13], v37, v17, s[12:13]
	v_add_co_u32_e64 v16, s[12:13], s20, v38
	v_addc_co_u32_e64 v17, s[12:13], v39, v17, s[12:13]
	global_load_dwordx2 v[8:9], v[8:9], off
	s_nop 0
	global_load_dwordx2 v[16:17], v[16:17], off
.LBB783_10:
	s_or_b64 exec, exec, s[18:19]
	s_and_b64 s[12:13], s[10:11], s[0:1]
	v_pk_mov_b32 v[26:27], v[0:1], v[0:1] op_sel:[0,1]
	s_and_saveexec_b64 s[18:19], s[12:13]
	s_cbranch_execz .LBB783_12
; %bb.11:
	s_mov_b32 s15, 0
	s_lshl_b64 s[20:21], s[14:15], 3
	v_mov_b32_e32 v21, s21
	v_add_co_u32_e64 v0, s[12:13], s20, v36
	v_addc_co_u32_e64 v1, s[12:13], v37, v21, s[12:13]
	v_add_co_u32_e64 v20, s[12:13], s20, v38
	v_addc_co_u32_e64 v21, s[12:13], v39, v21, s[12:13]
	global_load_dwordx2 v[0:1], v[0:1], off offset:256
	s_nop 0
	global_load_dwordx2 v[26:27], v[20:21], off offset:256
.LBB783_12:
	s_or_b64 exec, exec, s[18:19]
	v_pk_mov_b32 v[20:21], 0, 0
	s_and_b64 s[12:13], s[10:11], s[2:3]
	v_pk_mov_b32 v[28:29], v[20:21], v[20:21] op_sel:[0,1]
	v_pk_mov_b32 v[30:31], v[20:21], v[20:21] op_sel:[0,1]
	s_and_saveexec_b64 s[18:19], s[12:13]
	s_cbranch_execz .LBB783_14
; %bb.13:
	s_mov_b32 s15, 0
	s_lshl_b64 s[20:21], s[14:15], 3
	v_mov_b32_e32 v31, s21
	v_add_co_u32_e64 v28, s[12:13], s20, v36
	v_addc_co_u32_e64 v29, s[12:13], v37, v31, s[12:13]
	v_add_co_u32_e64 v30, s[12:13], s20, v38
	v_addc_co_u32_e64 v31, s[12:13], v39, v31, s[12:13]
	global_load_dwordx2 v[28:29], v[28:29], off offset:512
	s_nop 0
	global_load_dwordx2 v[30:31], v[30:31], off offset:512
.LBB783_14:
	s_or_b64 exec, exec, s[18:19]
	s_and_b64 s[10:11], s[10:11], s[8:9]
	v_pk_mov_b32 v[32:33], v[20:21], v[20:21] op_sel:[0,1]
	s_and_saveexec_b64 s[12:13], s[10:11]
	s_cbranch_execz .LBB783_16
; %bb.15:
	s_mov_b32 s15, 0
	s_lshl_b64 s[18:19], s[14:15], 3
	v_mov_b32_e32 v33, s19
	v_add_co_u32_e64 v20, s[10:11], s18, v36
	v_addc_co_u32_e64 v21, s[10:11], v37, v33, s[10:11]
	v_add_co_u32_e64 v32, s[10:11], s18, v38
	v_addc_co_u32_e64 v33, s[10:11], v39, v33, s[10:11]
	global_load_dwordx2 v[20:21], v[20:21], off offset:768
	s_nop 0
	global_load_dwordx2 v[32:33], v[32:33], off offset:768
.LBB783_16:
	s_or_b64 exec, exec, s[12:13]
	s_load_dwordx2 s[4:5], s[4:5], 0x28
	s_ashr_i32 s15, s14, 31
	v_mbcnt_lo_u32_b32 v51, -1, 0
	v_mbcnt_hi_u32_b32 v51, -1, v51
	v_and_b32_e32 v52, 0x60, v51
	s_waitcnt lgkmcnt(0)
	v_mov_b32_e32 v37, s5
	v_add_co_u32_e64 v36, s[4:5], s4, v34
	v_addc_co_u32_e64 v37, s[4:5], v37, v35, s[4:5]
	v_mov_b32_e32 v35, s15
	v_add_co_u32_e64 v34, s[4:5], s14, v36
	global_load_ubyte v42, v[36:37], off
	global_load_ubyte v43, v[36:37], off offset:32
	global_load_ubyte v44, v[36:37], off offset:64
	;; [unrolled: 1-line block ×3, first 2 shown]
	v_addc_co_u32_e64 v35, s[4:5], v37, v35, s[4:5]
	global_load_ubyte v47, v[34:35], off
	global_load_ubyte v48, v[34:35], off offset:32
	global_load_ubyte v49, v[34:35], off offset:64
	;; [unrolled: 1-line block ×3, first 2 shown]
	v_xor_b32_e32 v53, 16, v51
	v_add_u32_e32 v52, 32, v52
	v_cmp_lt_i32_e64 s[4:5], v53, v52
	s_waitcnt vmcnt(9)
	v_add_f64 v[38:39], v[10:11], 0
	v_cndmask_b32_e64 v53, v51, v53, s[4:5]
	v_add_f64 v[40:41], v[8:9], 0
	v_lshlrev_b32_e32 v53, 2, v53
	v_xor_b32_e32 v54, 8, v51
	v_xor_b32_e32 v55, 4, v51
	;; [unrolled: 1-line block ×4, first 2 shown]
	s_waitcnt vmcnt(7)
	v_and_b32_e32 v42, 1, v42
	v_cmp_eq_u32_e64 s[4:5], 1, v42
	s_waitcnt vmcnt(6)
	v_and_b32_e32 v58, 1, v43
	s_waitcnt vmcnt(3)
	v_and_b32_e32 v42, 1, v47
	v_cndmask_b32_e64 v39, v39, 0, s[4:5]
	v_cndmask_b32_e64 v38, v38, 0, s[4:5]
	v_cmp_eq_u32_e64 s[10:11], 1, v42
	s_waitcnt vmcnt(2)
	v_and_b32_e32 v47, 1, v48
	v_cndmask_b32_e64 v41, v41, 0, s[10:11]
	v_add_f64 v[42:43], v[38:39], v[2:3]
	v_cndmask_b32_e64 v40, v40, 0, s[10:11]
	v_cmp_eq_u32_e64 s[10:11], 1, v58
	v_and_b32_e32 v59, 1, v44
	v_cndmask_b32_e64 v39, v43, v39, s[10:11]
	v_cndmask_b32_e64 v38, v42, v38, s[10:11]
	v_add_f64 v[42:43], v[40:41], v[0:1]
	v_cmp_eq_u32_e64 s[10:11], 1, v47
	v_and_b32_e32 v60, 1, v45
	s_waitcnt vmcnt(1)
	v_and_b32_e32 v48, 1, v49
	v_add_f64 v[44:45], v[38:39], v[14:15]
	v_cndmask_b32_e64 v41, v43, v41, s[10:11]
	v_cndmask_b32_e64 v40, v42, v40, s[10:11]
	v_cmp_eq_u32_e64 s[10:11], 1, v59
	v_cndmask_b32_e64 v39, v45, v39, s[10:11]
	v_cndmask_b32_e64 v38, v44, v38, s[10:11]
	v_add_f64 v[42:43], v[40:41], v[28:29]
	v_cmp_eq_u32_e64 s[10:11], 1, v48
	s_waitcnt vmcnt(0)
	v_and_b32_e32 v49, 1, v50
	v_add_f64 v[44:45], v[38:39], v[4:5]
	v_cndmask_b32_e64 v41, v43, v41, s[10:11]
	v_cndmask_b32_e64 v40, v42, v40, s[10:11]
	v_cmp_eq_u32_e64 s[10:11], 1, v60
	v_cndmask_b32_e64 v39, v45, v39, s[10:11]
	v_cndmask_b32_e64 v38, v44, v38, s[10:11]
	v_add_f64 v[42:43], v[40:41], v[20:21]
	v_cmp_eq_u32_e64 s[10:11], 1, v49
	v_cndmask_b32_e64 v41, v43, v41, s[10:11]
	v_cndmask_b32_e64 v40, v42, v40, s[10:11]
	ds_bpermute_b32 v42, v53, v38
	ds_bpermute_b32 v43, v53, v39
	ds_bpermute_b32 v44, v53, v40
	ds_bpermute_b32 v45, v53, v41
	v_cmp_lt_i32_e64 s[10:11], v54, v52
	v_cndmask_b32_e64 v47, v51, v54, s[10:11]
	v_lshlrev_b32_e32 v47, 2, v47
	s_waitcnt lgkmcnt(2)
	v_add_f64 v[38:39], v[38:39], v[42:43]
	s_waitcnt lgkmcnt(0)
	v_add_f64 v[40:41], v[40:41], v[44:45]
	ds_bpermute_b32 v42, v47, v38
	ds_bpermute_b32 v43, v47, v39
	ds_bpermute_b32 v44, v47, v40
	ds_bpermute_b32 v45, v47, v41
	v_cmp_lt_i32_e64 s[10:11], v55, v52
	v_cndmask_b32_e64 v47, v51, v55, s[10:11]
	v_lshlrev_b32_e32 v47, 2, v47
	s_waitcnt lgkmcnt(2)
	v_add_f64 v[38:39], v[38:39], v[42:43]
	s_waitcnt lgkmcnt(0)
	v_add_f64 v[40:41], v[40:41], v[44:45]
	;; [unrolled: 11-line block ×4, first 2 shown]
	ds_bpermute_b32 v44, v47, v42
	ds_bpermute_b32 v45, v47, v43
	;; [unrolled: 1-line block ×4, first 2 shown]
	s_and_saveexec_b64 s[10:11], s[6:7]
	s_cbranch_execz .LBB783_22
; %bb.17:
	s_waitcnt lgkmcnt(2)
	v_add_f64 v[42:43], v[42:43], v[44:45]
	v_mov_b32_e32 v44, s17
	v_add_co_u32_e64 v6, s[6:7], s16, v6
	v_addc_co_u32_e64 v7, s[6:7], v44, v7, s[6:7]
	s_and_saveexec_b64 s[6:7], vcc
	s_cbranch_execnz .LBB783_23
; %bb.18:
	s_or_b64 exec, exec, s[6:7]
	s_and_saveexec_b64 s[6:7], s[0:1]
	s_cbranch_execnz .LBB783_24
.LBB783_19:
	s_or_b64 exec, exec, s[6:7]
	s_and_saveexec_b64 s[6:7], s[2:3]
	s_cbranch_execnz .LBB783_25
.LBB783_20:
	s_or_b64 exec, exec, s[6:7]
	s_and_saveexec_b64 s[6:7], s[8:9]
	s_cbranch_execnz .LBB783_26
.LBB783_21:
	s_or_b64 exec, exec, s[6:7]
	v_cmp_ne_u32_e64 s[4:5], 1, v46
	s_and_b64 exec, exec, s[4:5]
	s_cbranch_execnz .LBB783_27
.LBB783_22:
	s_endpgm
.LBB783_23:
	v_fma_f64 v[10:11], -v[42:43], v[12:13], v[10:11]
	v_cndmask_b32_e64 v11, v11, 0, s[4:5]
	v_cndmask_b32_e64 v10, v10, 0, s[4:5]
	global_store_dwordx2 v[6:7], v[10:11], off
	s_or_b64 exec, exec, s[6:7]
	s_and_saveexec_b64 s[6:7], s[0:1]
	s_cbranch_execz .LBB783_19
.LBB783_24:
	global_load_ubyte v10, v[36:37], off offset:32
	v_fma_f64 v[2:3], -v[42:43], v[18:19], v[2:3]
	s_waitcnt vmcnt(0)
	v_and_b32_e32 v10, 1, v10
	v_cmp_eq_u32_e64 s[4:5], 1, v10
	v_cndmask_b32_e64 v3, v3, 0, s[4:5]
	v_cndmask_b32_e64 v2, v2, 0, s[4:5]
	global_store_dwordx2 v[6:7], v[2:3], off offset:256
	s_or_b64 exec, exec, s[6:7]
	s_and_saveexec_b64 s[6:7], s[2:3]
	s_cbranch_execz .LBB783_20
.LBB783_25:
	global_load_ubyte v10, v[36:37], off offset:64
	v_fma_f64 v[2:3], -v[42:43], v[22:23], v[14:15]
	s_waitcnt vmcnt(0)
	v_and_b32_e32 v10, 1, v10
	v_cmp_eq_u32_e64 s[4:5], 1, v10
	v_cndmask_b32_e64 v3, v3, 0, s[4:5]
	v_cndmask_b32_e64 v2, v2, 0, s[4:5]
	global_store_dwordx2 v[6:7], v[2:3], off offset:512
	s_or_b64 exec, exec, s[6:7]
	s_and_saveexec_b64 s[6:7], s[8:9]
	s_cbranch_execz .LBB783_21
.LBB783_26:
	global_load_ubyte v10, v[36:37], off offset:96
	v_fma_f64 v[2:3], -v[42:43], v[24:25], v[4:5]
	s_waitcnt vmcnt(0)
	v_and_b32_e32 v4, 1, v10
	v_cmp_eq_u32_e64 s[4:5], 1, v4
	v_cndmask_b32_e64 v3, v3, 0, s[4:5]
	v_cndmask_b32_e64 v2, v2, 0, s[4:5]
	global_store_dwordx2 v[6:7], v[2:3], off offset:768
	s_or_b64 exec, exec, s[6:7]
	v_cmp_ne_u32_e64 s[4:5], 1, v46
	s_and_b64 exec, exec, s[4:5]
	s_cbranch_execz .LBB783_22
.LBB783_27:
	s_lshl_b64 s[4:5], s[14:15], 3
	v_mov_b32_e32 v3, s5
	v_add_co_u32_e64 v2, s[4:5], s4, v6
	s_waitcnt lgkmcnt(0)
	v_add_f64 v[4:5], v[38:39], v[40:41]
	v_addc_co_u32_e64 v3, s[4:5], v7, v3, s[4:5]
	s_and_saveexec_b64 s[4:5], vcc
	s_cbranch_execnz .LBB783_31
; %bb.28:
	s_or_b64 exec, exec, s[4:5]
	s_and_saveexec_b64 s[4:5], s[0:1]
	s_cbranch_execnz .LBB783_32
.LBB783_29:
	s_or_b64 exec, exec, s[4:5]
	s_and_saveexec_b64 s[0:1], s[2:3]
	s_cbranch_execnz .LBB783_33
.LBB783_30:
	s_or_b64 exec, exec, s[0:1]
	s_and_b64 exec, exec, s[8:9]
	s_cbranch_execz .LBB783_22
	s_branch .LBB783_34
.LBB783_31:
	global_load_ubyte v10, v[34:35], off
	v_fma_f64 v[6:7], -v[4:5], v[16:17], v[8:9]
	s_waitcnt vmcnt(0)
	v_and_b32_e32 v8, 1, v10
	v_cmp_eq_u32_e32 vcc, 1, v8
	v_cndmask_b32_e64 v7, v7, 0, vcc
	v_cndmask_b32_e64 v6, v6, 0, vcc
	global_store_dwordx2 v[2:3], v[6:7], off
	s_or_b64 exec, exec, s[4:5]
	s_and_saveexec_b64 s[4:5], s[0:1]
	s_cbranch_execz .LBB783_29
.LBB783_32:
	global_load_ubyte v6, v[34:35], off offset:32
	v_fma_f64 v[0:1], -v[4:5], v[26:27], v[0:1]
	s_waitcnt vmcnt(0)
	v_and_b32_e32 v6, 1, v6
	v_cmp_eq_u32_e32 vcc, 1, v6
	v_cndmask_b32_e64 v1, v1, 0, vcc
	v_cndmask_b32_e64 v0, v0, 0, vcc
	global_store_dwordx2 v[2:3], v[0:1], off offset:256
	s_or_b64 exec, exec, s[4:5]
	s_and_saveexec_b64 s[0:1], s[2:3]
	s_cbranch_execz .LBB783_30
.LBB783_33:
	global_load_ubyte v6, v[34:35], off offset:64
	v_fma_f64 v[0:1], -v[4:5], v[30:31], v[28:29]
	s_waitcnt vmcnt(0)
	v_and_b32_e32 v6, 1, v6
	v_cmp_eq_u32_e32 vcc, 1, v6
	v_cndmask_b32_e64 v1, v1, 0, vcc
	v_cndmask_b32_e64 v0, v0, 0, vcc
	global_store_dwordx2 v[2:3], v[0:1], off offset:512
	s_or_b64 exec, exec, s[0:1]
	s_and_b64 exec, exec, s[8:9]
	s_cbranch_execz .LBB783_22
.LBB783_34:
	global_load_ubyte v6, v[34:35], off offset:96
	v_fma_f64 v[0:1], -v[4:5], v[32:33], v[20:21]
	s_waitcnt vmcnt(0)
	v_and_b32_e32 v4, 1, v6
	v_cmp_eq_u32_e32 vcc, 1, v4
	v_cndmask_b32_e64 v1, v1, 0, vcc
	v_cndmask_b32_e64 v0, v0, 0, vcc
	global_store_dwordx2 v[2:3], v[0:1], off offset:768
	s_endpgm
	.section	.rodata,"a",@progbits
	.p2align	6, 0x0
	.amdhsa_kernel _ZN12_GLOBAL__N_121softmax_warp_backwardIdddLi7ELb0ELb1ELi32EEEvPT0_PKT_S5_iiiPKb
		.amdhsa_group_segment_fixed_size 0
		.amdhsa_private_segment_fixed_size 0
		.amdhsa_kernarg_size 304
		.amdhsa_user_sgpr_count 6
		.amdhsa_user_sgpr_private_segment_buffer 1
		.amdhsa_user_sgpr_dispatch_ptr 0
		.amdhsa_user_sgpr_queue_ptr 0
		.amdhsa_user_sgpr_kernarg_segment_ptr 1
		.amdhsa_user_sgpr_dispatch_id 0
		.amdhsa_user_sgpr_flat_scratch_init 0
		.amdhsa_user_sgpr_kernarg_preload_length 0
		.amdhsa_user_sgpr_kernarg_preload_offset 0
		.amdhsa_user_sgpr_private_segment_size 0
		.amdhsa_uses_dynamic_stack 0
		.amdhsa_system_sgpr_private_segment_wavefront_offset 0
		.amdhsa_system_sgpr_workgroup_id_x 1
		.amdhsa_system_sgpr_workgroup_id_y 0
		.amdhsa_system_sgpr_workgroup_id_z 0
		.amdhsa_system_sgpr_workgroup_info 0
		.amdhsa_system_vgpr_workitem_id 1
		.amdhsa_next_free_vgpr 61
		.amdhsa_next_free_sgpr 22
		.amdhsa_accum_offset 64
		.amdhsa_reserve_vcc 1
		.amdhsa_reserve_flat_scratch 0
		.amdhsa_float_round_mode_32 0
		.amdhsa_float_round_mode_16_64 0
		.amdhsa_float_denorm_mode_32 3
		.amdhsa_float_denorm_mode_16_64 3
		.amdhsa_dx10_clamp 1
		.amdhsa_ieee_mode 1
		.amdhsa_fp16_overflow 0
		.amdhsa_tg_split 0
		.amdhsa_exception_fp_ieee_invalid_op 0
		.amdhsa_exception_fp_denorm_src 0
		.amdhsa_exception_fp_ieee_div_zero 0
		.amdhsa_exception_fp_ieee_overflow 0
		.amdhsa_exception_fp_ieee_underflow 0
		.amdhsa_exception_fp_ieee_inexact 0
		.amdhsa_exception_int_div_zero 0
	.end_amdhsa_kernel
	.section	.text._ZN12_GLOBAL__N_121softmax_warp_backwardIdddLi7ELb0ELb1ELi32EEEvPT0_PKT_S5_iiiPKb,"axG",@progbits,_ZN12_GLOBAL__N_121softmax_warp_backwardIdddLi7ELb0ELb1ELi32EEEvPT0_PKT_S5_iiiPKb,comdat
.Lfunc_end783:
	.size	_ZN12_GLOBAL__N_121softmax_warp_backwardIdddLi7ELb0ELb1ELi32EEEvPT0_PKT_S5_iiiPKb, .Lfunc_end783-_ZN12_GLOBAL__N_121softmax_warp_backwardIdddLi7ELb0ELb1ELi32EEEvPT0_PKT_S5_iiiPKb
                                        ; -- End function
	.section	.AMDGPU.csdata,"",@progbits
; Kernel info:
; codeLenInByte = 2284
; NumSgprs: 26
; NumVgprs: 61
; NumAgprs: 0
; TotalNumVgprs: 61
; ScratchSize: 0
; MemoryBound: 0
; FloatMode: 240
; IeeeMode: 1
; LDSByteSize: 0 bytes/workgroup (compile time only)
; SGPRBlocks: 3
; VGPRBlocks: 7
; NumSGPRsForWavesPerEU: 26
; NumVGPRsForWavesPerEU: 61
; AccumOffset: 64
; Occupancy: 8
; WaveLimiterHint : 0
; COMPUTE_PGM_RSRC2:SCRATCH_EN: 0
; COMPUTE_PGM_RSRC2:USER_SGPR: 6
; COMPUTE_PGM_RSRC2:TRAP_HANDLER: 0
; COMPUTE_PGM_RSRC2:TGID_X_EN: 1
; COMPUTE_PGM_RSRC2:TGID_Y_EN: 0
; COMPUTE_PGM_RSRC2:TGID_Z_EN: 0
; COMPUTE_PGM_RSRC2:TIDIG_COMP_CNT: 1
; COMPUTE_PGM_RSRC3_GFX90A:ACCUM_OFFSET: 15
; COMPUTE_PGM_RSRC3_GFX90A:TG_SPLIT: 0
	.section	.text._ZN12_GLOBAL__N_121softmax_warp_backwardIdddLi8ELb0ELb1ELi64EEEvPT0_PKT_S5_iiiPKb,"axG",@progbits,_ZN12_GLOBAL__N_121softmax_warp_backwardIdddLi8ELb0ELb1ELi64EEEvPT0_PKT_S5_iiiPKb,comdat
	.globl	_ZN12_GLOBAL__N_121softmax_warp_backwardIdddLi8ELb0ELb1ELi64EEEvPT0_PKT_S5_iiiPKb ; -- Begin function _ZN12_GLOBAL__N_121softmax_warp_backwardIdddLi8ELb0ELb1ELi64EEEvPT0_PKT_S5_iiiPKb
	.p2align	8
	.type	_ZN12_GLOBAL__N_121softmax_warp_backwardIdddLi8ELb0ELb1ELi64EEEvPT0_PKT_S5_iiiPKb,@function
_ZN12_GLOBAL__N_121softmax_warp_backwardIdddLi8ELb0ELb1ELi64EEEvPT0_PKT_S5_iiiPKb: ; @_ZN12_GLOBAL__N_121softmax_warp_backwardIdddLi8ELb0ELb1ELi64EEEvPT0_PKT_S5_iiiPKb
; %bb.0:
	s_load_dword s2, s[4:5], 0x3c
	s_load_dwordx4 s[8:11], s[4:5], 0x18
	s_load_dwordx4 s[12:15], s[4:5], 0x0
	s_load_dwordx2 s[0:1], s[4:5], 0x10
	v_bfe_u32 v1, v0, 10, 10
	s_waitcnt lgkmcnt(0)
	s_lshr_b32 s2, s2, 16
	s_mul_i32 s6, s6, s2
	v_add_u32_e32 v1, s6, v1
	v_and_b32_e32 v16, 63, v0
	v_mad_u64_u32 v[18:19], s[2:3], v1, s9, v[16:17]
	v_ashrrev_i32_e32 v19, 31, v18
	v_lshlrev_b64 v[4:5], 3, v[18:19]
	v_mov_b32_e32 v0, s15
	v_add_co_u32_e32 v20, vcc, s14, v4
	v_addc_co_u32_e32 v21, vcc, v0, v5, vcc
	v_mov_b32_e32 v0, s1
	v_add_co_u32_e32 v22, vcc, s0, v4
	v_sub_u32_e32 v24, s8, v1
	v_addc_co_u32_e32 v23, vcc, v0, v5, vcc
	v_cmp_lt_i32_e64 s[8:9], 0, v24
	v_cmp_gt_i32_e32 vcc, s10, v16
	v_pk_mov_b32 v[0:1], 0, 0
	s_and_b64 s[2:3], s[8:9], vcc
	v_pk_mov_b32 v[6:7], v[0:1], v[0:1] op_sel:[0,1]
	v_pk_mov_b32 v[8:9], v[0:1], v[0:1] op_sel:[0,1]
	s_and_saveexec_b64 s[0:1], s[2:3]
	s_cbranch_execz .LBB784_2
; %bb.1:
	global_load_dwordx2 v[6:7], v[20:21], off
	global_load_dwordx2 v[8:9], v[22:23], off
.LBB784_2:
	s_or_b64 exec, exec, s[0:1]
	v_or_b32_e32 v2, 64, v16
	v_cmp_gt_i32_e64 s[0:1], s10, v2
	s_and_b64 s[6:7], s[8:9], s[0:1]
	v_pk_mov_b32 v[12:13], v[0:1], v[0:1] op_sel:[0,1]
	s_and_saveexec_b64 s[2:3], s[6:7]
	s_cbranch_execz .LBB784_4
; %bb.3:
	global_load_dwordx2 v[0:1], v[20:21], off offset:512
	global_load_dwordx2 v[12:13], v[22:23], off offset:512
.LBB784_4:
	s_or_b64 exec, exec, s[2:3]
	v_or_b32_e32 v2, 0x80, v16
	v_cmp_gt_i32_e64 s[2:3], s10, v2
	v_pk_mov_b32 v[2:3], 0, 0
	s_and_b64 s[14:15], s[8:9], s[2:3]
	v_pk_mov_b32 v[10:11], v[2:3], v[2:3] op_sel:[0,1]
	v_pk_mov_b32 v[14:15], v[2:3], v[2:3] op_sel:[0,1]
	s_and_saveexec_b64 s[6:7], s[14:15]
	s_cbranch_execz .LBB784_6
; %bb.5:
	global_load_dwordx2 v[10:11], v[20:21], off offset:1024
	global_load_dwordx2 v[14:15], v[22:23], off offset:1024
.LBB784_6:
	s_or_b64 exec, exec, s[6:7]
	v_or_b32_e32 v16, 0xc0, v16
	v_cmp_gt_i32_e64 s[6:7], s10, v16
	s_and_b64 s[10:11], s[8:9], s[6:7]
	v_pk_mov_b32 v[16:17], v[2:3], v[2:3] op_sel:[0,1]
	s_and_saveexec_b64 s[8:9], s[10:11]
	s_cbranch_execz .LBB784_8
; %bb.7:
	global_load_dwordx2 v[2:3], v[20:21], off offset:1536
	global_load_dwordx2 v[16:17], v[22:23], off offset:1536
.LBB784_8:
	s_or_b64 exec, exec, s[8:9]
	s_load_dwordx2 s[4:5], s[4:5], 0x28
	v_mbcnt_lo_u32_b32 v27, -1, 0
	v_mbcnt_hi_u32_b32 v27, -1, v27
	v_and_b32_e32 v28, 64, v27
	v_xor_b32_e32 v29, 32, v27
	s_waitcnt lgkmcnt(0)
	v_mov_b32_e32 v20, s5
	v_add_co_u32_e64 v18, s[4:5], s4, v18
	v_addc_co_u32_e64 v19, s[4:5], v20, v19, s[4:5]
	global_load_ubyte v22, v[18:19], off
	global_load_ubyte v23, v[18:19], off offset:64
	global_load_ubyte v25, v[18:19], off offset:128
	global_load_ubyte v26, v[18:19], off offset:192
	v_add_u32_e32 v28, 64, v28
	v_cmp_lt_i32_e64 s[4:5], v29, v28
	s_waitcnt vmcnt(5)
	v_add_f64 v[20:21], v[6:7], 0
	v_cndmask_b32_e64 v29, v27, v29, s[4:5]
	v_lshlrev_b32_e32 v29, 2, v29
	s_waitcnt vmcnt(3)
	v_and_b32_e32 v22, 1, v22
	v_cmp_eq_u32_e64 s[4:5], 1, v22
	s_waitcnt vmcnt(2)
	v_and_b32_e32 v30, 1, v23
	v_cndmask_b32_e64 v21, v21, 0, s[4:5]
	v_cndmask_b32_e64 v20, v20, 0, s[4:5]
	v_add_f64 v[22:23], v[20:21], v[0:1]
	v_cmp_eq_u32_e64 s[8:9], 1, v30
	s_waitcnt vmcnt(1)
	v_and_b32_e32 v25, 1, v25
	v_cndmask_b32_e64 v21, v23, v21, s[8:9]
	v_cndmask_b32_e64 v20, v22, v20, s[8:9]
	v_add_f64 v[22:23], v[20:21], v[10:11]
	;; [unrolled: 6-line block ×3, first 2 shown]
	v_cmp_eq_u32_e64 s[8:9], 1, v26
	v_cndmask_b32_e64 v21, v23, v21, s[8:9]
	v_cndmask_b32_e64 v20, v22, v20, s[8:9]
	ds_bpermute_b32 v22, v29, v20
	ds_bpermute_b32 v23, v29, v21
	v_xor_b32_e32 v25, 16, v27
	v_cmp_lt_i32_e64 s[8:9], v25, v28
	v_cndmask_b32_e64 v25, v27, v25, s[8:9]
	v_lshlrev_b32_e32 v25, 2, v25
	s_waitcnt lgkmcnt(0)
	v_add_f64 v[20:21], v[20:21], v[22:23]
	ds_bpermute_b32 v22, v25, v20
	ds_bpermute_b32 v23, v25, v21
	v_xor_b32_e32 v25, 8, v27
	v_cmp_lt_i32_e64 s[8:9], v25, v28
	v_cndmask_b32_e64 v25, v27, v25, s[8:9]
	v_lshlrev_b32_e32 v25, 2, v25
	s_waitcnt lgkmcnt(0)
	v_add_f64 v[20:21], v[20:21], v[22:23]
	;; [unrolled: 8-line block ×5, first 2 shown]
	ds_bpermute_b32 v22, v25, v20
	ds_bpermute_b32 v23, v25, v21
	v_cmp_lt_i32_e64 s[8:9], 0, v24
	s_and_saveexec_b64 s[10:11], s[8:9]
	s_cbranch_execz .LBB784_14
; %bb.9:
	s_waitcnt lgkmcnt(0)
	v_add_f64 v[20:21], v[20:21], v[22:23]
	v_mov_b32_e32 v22, s13
	v_add_co_u32_e64 v4, s[8:9], s12, v4
	v_addc_co_u32_e64 v5, s[8:9], v22, v5, s[8:9]
	s_and_saveexec_b64 s[8:9], vcc
	s_cbranch_execnz .LBB784_15
; %bb.10:
	s_or_b64 exec, exec, s[8:9]
	s_and_saveexec_b64 s[4:5], s[0:1]
	s_cbranch_execnz .LBB784_16
.LBB784_11:
	s_or_b64 exec, exec, s[4:5]
	s_and_saveexec_b64 s[0:1], s[2:3]
	s_cbranch_execnz .LBB784_17
.LBB784_12:
	s_or_b64 exec, exec, s[0:1]
	s_and_b64 exec, exec, s[6:7]
	s_cbranch_execz .LBB784_14
.LBB784_13:
	global_load_ubyte v6, v[18:19], off offset:192
	v_fma_f64 v[0:1], -v[20:21], v[16:17], v[2:3]
	s_waitcnt vmcnt(0)
	v_and_b32_e32 v2, 1, v6
	v_cmp_eq_u32_e32 vcc, 1, v2
	v_cndmask_b32_e64 v1, v1, 0, vcc
	v_cndmask_b32_e64 v0, v0, 0, vcc
	global_store_dwordx2 v[4:5], v[0:1], off offset:1536
.LBB784_14:
	s_endpgm
.LBB784_15:
	v_fma_f64 v[6:7], -v[20:21], v[8:9], v[6:7]
	v_cndmask_b32_e64 v7, v7, 0, s[4:5]
	v_cndmask_b32_e64 v6, v6, 0, s[4:5]
	global_store_dwordx2 v[4:5], v[6:7], off
	s_or_b64 exec, exec, s[8:9]
	s_and_saveexec_b64 s[4:5], s[0:1]
	s_cbranch_execz .LBB784_11
.LBB784_16:
	global_load_ubyte v6, v[18:19], off offset:64
	v_fma_f64 v[0:1], -v[20:21], v[12:13], v[0:1]
	s_waitcnt vmcnt(0)
	v_and_b32_e32 v6, 1, v6
	v_cmp_eq_u32_e32 vcc, 1, v6
	v_cndmask_b32_e64 v1, v1, 0, vcc
	v_cndmask_b32_e64 v0, v0, 0, vcc
	global_store_dwordx2 v[4:5], v[0:1], off offset:512
	s_or_b64 exec, exec, s[4:5]
	s_and_saveexec_b64 s[0:1], s[2:3]
	s_cbranch_execz .LBB784_12
.LBB784_17:
	global_load_ubyte v6, v[18:19], off offset:128
	v_fma_f64 v[0:1], -v[20:21], v[14:15], v[10:11]
	s_waitcnt vmcnt(0)
	v_and_b32_e32 v6, 1, v6
	v_cmp_eq_u32_e32 vcc, 1, v6
	v_cndmask_b32_e64 v1, v1, 0, vcc
	v_cndmask_b32_e64 v0, v0, 0, vcc
	global_store_dwordx2 v[4:5], v[0:1], off offset:1024
	s_or_b64 exec, exec, s[0:1]
	s_and_b64 exec, exec, s[6:7]
	s_cbranch_execnz .LBB784_13
	s_branch .LBB784_14
	.section	.rodata,"a",@progbits
	.p2align	6, 0x0
	.amdhsa_kernel _ZN12_GLOBAL__N_121softmax_warp_backwardIdddLi8ELb0ELb1ELi64EEEvPT0_PKT_S5_iiiPKb
		.amdhsa_group_segment_fixed_size 0
		.amdhsa_private_segment_fixed_size 0
		.amdhsa_kernarg_size 304
		.amdhsa_user_sgpr_count 6
		.amdhsa_user_sgpr_private_segment_buffer 1
		.amdhsa_user_sgpr_dispatch_ptr 0
		.amdhsa_user_sgpr_queue_ptr 0
		.amdhsa_user_sgpr_kernarg_segment_ptr 1
		.amdhsa_user_sgpr_dispatch_id 0
		.amdhsa_user_sgpr_flat_scratch_init 0
		.amdhsa_user_sgpr_kernarg_preload_length 0
		.amdhsa_user_sgpr_kernarg_preload_offset 0
		.amdhsa_user_sgpr_private_segment_size 0
		.amdhsa_uses_dynamic_stack 0
		.amdhsa_system_sgpr_private_segment_wavefront_offset 0
		.amdhsa_system_sgpr_workgroup_id_x 1
		.amdhsa_system_sgpr_workgroup_id_y 0
		.amdhsa_system_sgpr_workgroup_id_z 0
		.amdhsa_system_sgpr_workgroup_info 0
		.amdhsa_system_vgpr_workitem_id 1
		.amdhsa_next_free_vgpr 31
		.amdhsa_next_free_sgpr 16
		.amdhsa_accum_offset 32
		.amdhsa_reserve_vcc 1
		.amdhsa_reserve_flat_scratch 0
		.amdhsa_float_round_mode_32 0
		.amdhsa_float_round_mode_16_64 0
		.amdhsa_float_denorm_mode_32 3
		.amdhsa_float_denorm_mode_16_64 3
		.amdhsa_dx10_clamp 1
		.amdhsa_ieee_mode 1
		.amdhsa_fp16_overflow 0
		.amdhsa_tg_split 0
		.amdhsa_exception_fp_ieee_invalid_op 0
		.amdhsa_exception_fp_denorm_src 0
		.amdhsa_exception_fp_ieee_div_zero 0
		.amdhsa_exception_fp_ieee_overflow 0
		.amdhsa_exception_fp_ieee_underflow 0
		.amdhsa_exception_fp_ieee_inexact 0
		.amdhsa_exception_int_div_zero 0
	.end_amdhsa_kernel
	.section	.text._ZN12_GLOBAL__N_121softmax_warp_backwardIdddLi8ELb0ELb1ELi64EEEvPT0_PKT_S5_iiiPKb,"axG",@progbits,_ZN12_GLOBAL__N_121softmax_warp_backwardIdddLi8ELb0ELb1ELi64EEEvPT0_PKT_S5_iiiPKb,comdat
.Lfunc_end784:
	.size	_ZN12_GLOBAL__N_121softmax_warp_backwardIdddLi8ELb0ELb1ELi64EEEvPT0_PKT_S5_iiiPKb, .Lfunc_end784-_ZN12_GLOBAL__N_121softmax_warp_backwardIdddLi8ELb0ELb1ELi64EEEvPT0_PKT_S5_iiiPKb
                                        ; -- End function
	.section	.AMDGPU.csdata,"",@progbits
; Kernel info:
; codeLenInByte = 1232
; NumSgprs: 20
; NumVgprs: 31
; NumAgprs: 0
; TotalNumVgprs: 31
; ScratchSize: 0
; MemoryBound: 0
; FloatMode: 240
; IeeeMode: 1
; LDSByteSize: 0 bytes/workgroup (compile time only)
; SGPRBlocks: 2
; VGPRBlocks: 3
; NumSGPRsForWavesPerEU: 20
; NumVGPRsForWavesPerEU: 31
; AccumOffset: 32
; Occupancy: 8
; WaveLimiterHint : 0
; COMPUTE_PGM_RSRC2:SCRATCH_EN: 0
; COMPUTE_PGM_RSRC2:USER_SGPR: 6
; COMPUTE_PGM_RSRC2:TRAP_HANDLER: 0
; COMPUTE_PGM_RSRC2:TGID_X_EN: 1
; COMPUTE_PGM_RSRC2:TGID_Y_EN: 0
; COMPUTE_PGM_RSRC2:TGID_Z_EN: 0
; COMPUTE_PGM_RSRC2:TIDIG_COMP_CNT: 1
; COMPUTE_PGM_RSRC3_GFX90A:ACCUM_OFFSET: 7
; COMPUTE_PGM_RSRC3_GFX90A:TG_SPLIT: 0
	.section	.text._ZN12_GLOBAL__N_121softmax_warp_backwardIdddLi8ELb0ELb1ELi32EEEvPT0_PKT_S5_iiiPKb,"axG",@progbits,_ZN12_GLOBAL__N_121softmax_warp_backwardIdddLi8ELb0ELb1ELi32EEEvPT0_PKT_S5_iiiPKb,comdat
	.globl	_ZN12_GLOBAL__N_121softmax_warp_backwardIdddLi8ELb0ELb1ELi32EEEvPT0_PKT_S5_iiiPKb ; -- Begin function _ZN12_GLOBAL__N_121softmax_warp_backwardIdddLi8ELb0ELb1ELi32EEEvPT0_PKT_S5_iiiPKb
	.p2align	8
	.type	_ZN12_GLOBAL__N_121softmax_warp_backwardIdddLi8ELb0ELb1ELi32EEEvPT0_PKT_S5_iiiPKb,@function
_ZN12_GLOBAL__N_121softmax_warp_backwardIdddLi8ELb0ELb1ELi32EEEvPT0_PKT_S5_iiiPKb: ; @_ZN12_GLOBAL__N_121softmax_warp_backwardIdddLi8ELb0ELb1ELi32EEEvPT0_PKT_S5_iiiPKb
; %bb.0:
	s_load_dword s2, s[4:5], 0x3c
	s_load_dwordx4 s[16:19], s[4:5], 0x18
	s_load_dwordx4 s[36:39], s[4:5], 0x0
	s_load_dwordx2 s[0:1], s[4:5], 0x10
	v_bfe_u32 v1, v0, 10, 10
	s_waitcnt lgkmcnt(0)
	s_lshr_b32 s2, s2, 16
	s_mul_i32 s6, s6, s2
	v_add_u32_e32 v1, s6, v1
	v_and_b32_e32 v32, 31, v0
	v_mad_u64_u32 v[34:35], s[2:3], v1, s17, v[32:33]
	v_ashrrev_i32_e32 v35, 31, v34
	v_lshlrev_b64 v[2:3], 3, v[34:35]
	v_mov_b32_e32 v0, s39
	v_add_co_u32_e32 v36, vcc, s38, v2
	v_addc_co_u32_e32 v37, vcc, v0, v3, vcc
	v_mov_b32_e32 v0, s1
	v_add_co_u32_e32 v38, vcc, s0, v2
	v_sub_u32_e32 v40, s16, v1
	v_addc_co_u32_e32 v39, vcc, v0, v3, vcc
	v_cmp_lt_i32_e64 s[16:17], 0, v40
	v_cmp_gt_i32_e32 vcc, s18, v32
	v_pk_mov_b32 v[0:1], 0, 0
	s_and_b64 s[2:3], s[16:17], vcc
	v_pk_mov_b32 v[6:7], v[0:1], v[0:1] op_sel:[0,1]
	v_pk_mov_b32 v[8:9], v[0:1], v[0:1] op_sel:[0,1]
	s_and_saveexec_b64 s[0:1], s[2:3]
	s_cbranch_execz .LBB785_2
; %bb.1:
	global_load_dwordx2 v[6:7], v[36:37], off
	global_load_dwordx2 v[8:9], v[38:39], off
.LBB785_2:
	s_or_b64 exec, exec, s[0:1]
	v_or_b32_e32 v4, 32, v32
	v_cmp_gt_i32_e64 s[0:1], s18, v4
	s_and_b64 s[6:7], s[16:17], s[0:1]
	v_pk_mov_b32 v[10:11], v[0:1], v[0:1] op_sel:[0,1]
	s_and_saveexec_b64 s[2:3], s[6:7]
	s_cbranch_execz .LBB785_4
; %bb.3:
	global_load_dwordx2 v[0:1], v[36:37], off offset:256
	global_load_dwordx2 v[10:11], v[38:39], off offset:256
.LBB785_4:
	s_or_b64 exec, exec, s[2:3]
	v_or_b32_e32 v4, 64, v32
	v_cmp_gt_i32_e64 s[2:3], s18, v4
	v_pk_mov_b32 v[4:5], 0, 0
	s_and_b64 s[8:9], s[16:17], s[2:3]
	v_pk_mov_b32 v[14:15], v[4:5], v[4:5] op_sel:[0,1]
	v_pk_mov_b32 v[16:17], v[4:5], v[4:5] op_sel:[0,1]
	s_and_saveexec_b64 s[6:7], s[8:9]
	s_cbranch_execz .LBB785_6
; %bb.5:
	global_load_dwordx2 v[14:15], v[36:37], off offset:512
	global_load_dwordx2 v[16:17], v[38:39], off offset:512
.LBB785_6:
	s_or_b64 exec, exec, s[6:7]
	v_or_b32_e32 v12, 0x60, v32
	v_cmp_gt_i32_e64 s[14:15], s18, v12
	s_and_b64 s[8:9], s[16:17], s[14:15]
	v_pk_mov_b32 v[18:19], v[4:5], v[4:5] op_sel:[0,1]
	s_and_saveexec_b64 s[6:7], s[8:9]
	s_cbranch_execz .LBB785_8
; %bb.7:
	global_load_dwordx2 v[4:5], v[36:37], off offset:768
	global_load_dwordx2 v[18:19], v[38:39], off offset:768
.LBB785_8:
	s_or_b64 exec, exec, s[6:7]
	v_or_b32_e32 v12, 0x80, v32
	v_cmp_gt_i32_e64 s[6:7], s18, v12
	v_pk_mov_b32 v[12:13], 0, 0
	s_and_b64 s[10:11], s[16:17], s[6:7]
	v_pk_mov_b32 v[22:23], v[12:13], v[12:13] op_sel:[0,1]
	v_pk_mov_b32 v[24:25], v[12:13], v[12:13] op_sel:[0,1]
	s_and_saveexec_b64 s[8:9], s[10:11]
	s_cbranch_execz .LBB785_10
; %bb.9:
	global_load_dwordx2 v[22:23], v[36:37], off offset:1024
	global_load_dwordx2 v[24:25], v[38:39], off offset:1024
.LBB785_10:
	;; [unrolled: 24-line block ×3, first 2 shown]
	s_or_b64 exec, exec, s[12:13]
	v_or_b32_e32 v32, 0xe0, v32
	v_cmp_gt_i32_e64 s[12:13], s18, v32
	s_and_b64 s[18:19], s[16:17], s[12:13]
	v_pk_mov_b32 v[32:33], v[20:21], v[20:21] op_sel:[0,1]
	s_and_saveexec_b64 s[16:17], s[18:19]
	s_cbranch_execz .LBB785_16
; %bb.15:
	global_load_dwordx2 v[20:21], v[36:37], off offset:1792
	global_load_dwordx2 v[32:33], v[38:39], off offset:1792
.LBB785_16:
	s_or_b64 exec, exec, s[16:17]
	s_load_dwordx2 s[4:5], s[4:5], 0x28
	v_mbcnt_lo_u32_b32 v45, -1, 0
	v_mbcnt_hi_u32_b32 v45, -1, v45
	v_and_b32_e32 v46, 0x60, v45
	v_xor_b32_e32 v47, 16, v45
	s_waitcnt lgkmcnt(0)
	v_mov_b32_e32 v36, s5
	v_add_co_u32_e64 v34, s[4:5], s4, v34
	v_addc_co_u32_e64 v35, s[4:5], v36, v35, s[4:5]
	global_load_ubyte v36, v[34:35], off
	global_load_ubyte v37, v[34:35], off offset:32
	global_load_ubyte v38, v[34:35], off offset:64
	;; [unrolled: 1-line block ×7, first 2 shown]
	s_waitcnt vmcnt(9)
	v_add_f64 v[34:35], v[6:7], 0
	v_add_u32_e32 v46, 32, v46
	v_cmp_lt_i32_e64 s[4:5], v47, v46
	v_cndmask_b32_e64 v47, v45, v47, s[4:5]
	v_lshlrev_b32_e32 v47, 2, v47
	s_waitcnt vmcnt(7)
	v_and_b32_e32 v36, 1, v36
	v_cmp_eq_u32_e64 s[28:29], 1, v36
	s_waitcnt vmcnt(6)
	v_and_b32_e32 v48, 1, v37
	v_cndmask_b32_e64 v35, v35, 0, s[28:29]
	v_cndmask_b32_e64 v34, v34, 0, s[28:29]
	v_add_f64 v[36:37], v[34:35], v[0:1]
	v_cmp_eq_u32_e64 s[26:27], 1, v48
	s_waitcnt vmcnt(5)
	v_and_b32_e32 v38, 1, v38
	v_cndmask_b32_e64 v35, v37, v35, s[26:27]
	v_cndmask_b32_e64 v34, v36, v34, s[26:27]
	v_add_f64 v[36:37], v[34:35], v[14:15]
	;; [unrolled: 6-line block ×7, first 2 shown]
	v_cmp_eq_u32_e64 s[4:5], 1, v44
	v_cndmask_b32_e64 v35, v37, v35, s[4:5]
	v_cndmask_b32_e64 v34, v36, v34, s[4:5]
	ds_bpermute_b32 v36, v47, v34
	ds_bpermute_b32 v37, v47, v35
	v_xor_b32_e32 v38, 8, v45
	v_cmp_lt_i32_e64 s[30:31], v38, v46
	v_cndmask_b32_e64 v38, v45, v38, s[30:31]
	v_lshlrev_b32_e32 v38, 2, v38
	s_waitcnt lgkmcnt(0)
	v_add_f64 v[34:35], v[34:35], v[36:37]
	ds_bpermute_b32 v36, v38, v34
	ds_bpermute_b32 v37, v38, v35
	v_xor_b32_e32 v38, 4, v45
	v_cmp_lt_i32_e64 s[30:31], v38, v46
	v_cndmask_b32_e64 v38, v45, v38, s[30:31]
	v_lshlrev_b32_e32 v38, 2, v38
	s_waitcnt lgkmcnt(0)
	v_add_f64 v[34:35], v[34:35], v[36:37]
	;; [unrolled: 8-line block ×4, first 2 shown]
	ds_bpermute_b32 v36, v38, v34
	ds_bpermute_b32 v37, v38, v35
	v_cmp_lt_i32_e64 s[30:31], 0, v40
	s_and_saveexec_b64 s[34:35], s[30:31]
	s_cbranch_execz .LBB785_26
; %bb.17:
	s_waitcnt lgkmcnt(0)
	v_add_f64 v[34:35], v[34:35], v[36:37]
	v_mov_b32_e32 v36, s37
	v_add_co_u32_e64 v2, s[30:31], s36, v2
	v_addc_co_u32_e64 v3, s[30:31], v36, v3, s[30:31]
	s_and_saveexec_b64 s[30:31], vcc
	s_cbranch_execnz .LBB785_27
; %bb.18:
	s_or_b64 exec, exec, s[30:31]
	s_and_saveexec_b64 s[28:29], s[0:1]
	s_cbranch_execnz .LBB785_28
.LBB785_19:
	s_or_b64 exec, exec, s[28:29]
	s_and_saveexec_b64 s[0:1], s[2:3]
	s_cbranch_execnz .LBB785_29
.LBB785_20:
	s_or_b64 exec, exec, s[0:1]
	s_and_saveexec_b64 s[0:1], s[14:15]
	s_cbranch_execnz .LBB785_30
.LBB785_21:
	s_or_b64 exec, exec, s[0:1]
	s_and_saveexec_b64 s[0:1], s[6:7]
	s_cbranch_execnz .LBB785_31
.LBB785_22:
	s_or_b64 exec, exec, s[0:1]
	s_and_saveexec_b64 s[0:1], s[8:9]
	s_cbranch_execnz .LBB785_32
.LBB785_23:
	s_or_b64 exec, exec, s[0:1]
	s_and_saveexec_b64 s[0:1], s[10:11]
	s_cbranch_execnz .LBB785_33
.LBB785_24:
	s_or_b64 exec, exec, s[0:1]
	s_and_b64 exec, exec, s[12:13]
	s_cbranch_execz .LBB785_26
.LBB785_25:
	v_fma_f64 v[0:1], -v[34:35], v[32:33], v[20:21]
	v_cndmask_b32_e64 v1, v1, 0, s[4:5]
	v_cndmask_b32_e64 v0, v0, 0, s[4:5]
	global_store_dwordx2 v[2:3], v[0:1], off offset:1792
.LBB785_26:
	s_endpgm
.LBB785_27:
	v_fma_f64 v[6:7], -v[34:35], v[8:9], v[6:7]
	v_cndmask_b32_e64 v7, v7, 0, s[28:29]
	v_cndmask_b32_e64 v6, v6, 0, s[28:29]
	global_store_dwordx2 v[2:3], v[6:7], off
	s_or_b64 exec, exec, s[30:31]
	s_and_saveexec_b64 s[28:29], s[0:1]
	s_cbranch_execz .LBB785_19
.LBB785_28:
	v_fma_f64 v[0:1], -v[34:35], v[10:11], v[0:1]
	v_cndmask_b32_e64 v1, v1, 0, s[26:27]
	v_cndmask_b32_e64 v0, v0, 0, s[26:27]
	global_store_dwordx2 v[2:3], v[0:1], off offset:256
	s_or_b64 exec, exec, s[28:29]
	s_and_saveexec_b64 s[0:1], s[2:3]
	s_cbranch_execz .LBB785_20
.LBB785_29:
	v_fma_f64 v[0:1], -v[34:35], v[16:17], v[14:15]
	v_cndmask_b32_e64 v1, v1, 0, s[24:25]
	v_cndmask_b32_e64 v0, v0, 0, s[24:25]
	global_store_dwordx2 v[2:3], v[0:1], off offset:512
	s_or_b64 exec, exec, s[0:1]
	s_and_saveexec_b64 s[0:1], s[14:15]
	s_cbranch_execz .LBB785_21
.LBB785_30:
	v_fma_f64 v[0:1], -v[34:35], v[18:19], v[4:5]
	v_cndmask_b32_e64 v1, v1, 0, s[22:23]
	v_cndmask_b32_e64 v0, v0, 0, s[22:23]
	global_store_dwordx2 v[2:3], v[0:1], off offset:768
	s_or_b64 exec, exec, s[0:1]
	s_and_saveexec_b64 s[0:1], s[6:7]
	s_cbranch_execz .LBB785_22
.LBB785_31:
	v_fma_f64 v[0:1], -v[34:35], v[24:25], v[22:23]
	v_cndmask_b32_e64 v1, v1, 0, s[20:21]
	v_cndmask_b32_e64 v0, v0, 0, s[20:21]
	global_store_dwordx2 v[2:3], v[0:1], off offset:1024
	s_or_b64 exec, exec, s[0:1]
	s_and_saveexec_b64 s[0:1], s[8:9]
	s_cbranch_execz .LBB785_23
.LBB785_32:
	v_fma_f64 v[0:1], -v[34:35], v[26:27], v[12:13]
	v_cndmask_b32_e64 v1, v1, 0, s[18:19]
	v_cndmask_b32_e64 v0, v0, 0, s[18:19]
	global_store_dwordx2 v[2:3], v[0:1], off offset:1280
	s_or_b64 exec, exec, s[0:1]
	s_and_saveexec_b64 s[0:1], s[10:11]
	s_cbranch_execz .LBB785_24
.LBB785_33:
	v_fma_f64 v[0:1], -v[34:35], v[30:31], v[28:29]
	v_cndmask_b32_e64 v1, v1, 0, s[16:17]
	v_cndmask_b32_e64 v0, v0, 0, s[16:17]
	global_store_dwordx2 v[2:3], v[0:1], off offset:1536
	s_or_b64 exec, exec, s[0:1]
	s_and_b64 exec, exec, s[12:13]
	s_cbranch_execnz .LBB785_25
	s_branch .LBB785_26
	.section	.rodata,"a",@progbits
	.p2align	6, 0x0
	.amdhsa_kernel _ZN12_GLOBAL__N_121softmax_warp_backwardIdddLi8ELb0ELb1ELi32EEEvPT0_PKT_S5_iiiPKb
		.amdhsa_group_segment_fixed_size 0
		.amdhsa_private_segment_fixed_size 0
		.amdhsa_kernarg_size 304
		.amdhsa_user_sgpr_count 6
		.amdhsa_user_sgpr_private_segment_buffer 1
		.amdhsa_user_sgpr_dispatch_ptr 0
		.amdhsa_user_sgpr_queue_ptr 0
		.amdhsa_user_sgpr_kernarg_segment_ptr 1
		.amdhsa_user_sgpr_dispatch_id 0
		.amdhsa_user_sgpr_flat_scratch_init 0
		.amdhsa_user_sgpr_kernarg_preload_length 0
		.amdhsa_user_sgpr_kernarg_preload_offset 0
		.amdhsa_user_sgpr_private_segment_size 0
		.amdhsa_uses_dynamic_stack 0
		.amdhsa_system_sgpr_private_segment_wavefront_offset 0
		.amdhsa_system_sgpr_workgroup_id_x 1
		.amdhsa_system_sgpr_workgroup_id_y 0
		.amdhsa_system_sgpr_workgroup_id_z 0
		.amdhsa_system_sgpr_workgroup_info 0
		.amdhsa_system_vgpr_workitem_id 1
		.amdhsa_next_free_vgpr 49
		.amdhsa_next_free_sgpr 40
		.amdhsa_accum_offset 52
		.amdhsa_reserve_vcc 1
		.amdhsa_reserve_flat_scratch 0
		.amdhsa_float_round_mode_32 0
		.amdhsa_float_round_mode_16_64 0
		.amdhsa_float_denorm_mode_32 3
		.amdhsa_float_denorm_mode_16_64 3
		.amdhsa_dx10_clamp 1
		.amdhsa_ieee_mode 1
		.amdhsa_fp16_overflow 0
		.amdhsa_tg_split 0
		.amdhsa_exception_fp_ieee_invalid_op 0
		.amdhsa_exception_fp_denorm_src 0
		.amdhsa_exception_fp_ieee_div_zero 0
		.amdhsa_exception_fp_ieee_overflow 0
		.amdhsa_exception_fp_ieee_underflow 0
		.amdhsa_exception_fp_ieee_inexact 0
		.amdhsa_exception_int_div_zero 0
	.end_amdhsa_kernel
	.section	.text._ZN12_GLOBAL__N_121softmax_warp_backwardIdddLi8ELb0ELb1ELi32EEEvPT0_PKT_S5_iiiPKb,"axG",@progbits,_ZN12_GLOBAL__N_121softmax_warp_backwardIdddLi8ELb0ELb1ELi32EEEvPT0_PKT_S5_iiiPKb,comdat
.Lfunc_end785:
	.size	_ZN12_GLOBAL__N_121softmax_warp_backwardIdddLi8ELb0ELb1ELi32EEEvPT0_PKT_S5_iiiPKb, .Lfunc_end785-_ZN12_GLOBAL__N_121softmax_warp_backwardIdddLi8ELb0ELb1ELi32EEEvPT0_PKT_S5_iiiPKb
                                        ; -- End function
	.section	.AMDGPU.csdata,"",@progbits
; Kernel info:
; codeLenInByte = 1792
; NumSgprs: 44
; NumVgprs: 49
; NumAgprs: 0
; TotalNumVgprs: 49
; ScratchSize: 0
; MemoryBound: 0
; FloatMode: 240
; IeeeMode: 1
; LDSByteSize: 0 bytes/workgroup (compile time only)
; SGPRBlocks: 5
; VGPRBlocks: 6
; NumSGPRsForWavesPerEU: 44
; NumVGPRsForWavesPerEU: 49
; AccumOffset: 52
; Occupancy: 8
; WaveLimiterHint : 0
; COMPUTE_PGM_RSRC2:SCRATCH_EN: 0
; COMPUTE_PGM_RSRC2:USER_SGPR: 6
; COMPUTE_PGM_RSRC2:TRAP_HANDLER: 0
; COMPUTE_PGM_RSRC2:TGID_X_EN: 1
; COMPUTE_PGM_RSRC2:TGID_Y_EN: 0
; COMPUTE_PGM_RSRC2:TGID_Z_EN: 0
; COMPUTE_PGM_RSRC2:TIDIG_COMP_CNT: 1
; COMPUTE_PGM_RSRC3_GFX90A:ACCUM_OFFSET: 12
; COMPUTE_PGM_RSRC3_GFX90A:TG_SPLIT: 0
	.section	.text._ZN12_GLOBAL__N_121softmax_warp_backwardIdddLi9ELb0ELb1ELi64EEEvPT0_PKT_S5_iiiPKb,"axG",@progbits,_ZN12_GLOBAL__N_121softmax_warp_backwardIdddLi9ELb0ELb1ELi64EEEvPT0_PKT_S5_iiiPKb,comdat
	.globl	_ZN12_GLOBAL__N_121softmax_warp_backwardIdddLi9ELb0ELb1ELi64EEEvPT0_PKT_S5_iiiPKb ; -- Begin function _ZN12_GLOBAL__N_121softmax_warp_backwardIdddLi9ELb0ELb1ELi64EEEvPT0_PKT_S5_iiiPKb
	.p2align	8
	.type	_ZN12_GLOBAL__N_121softmax_warp_backwardIdddLi9ELb0ELb1ELi64EEEvPT0_PKT_S5_iiiPKb,@function
_ZN12_GLOBAL__N_121softmax_warp_backwardIdddLi9ELb0ELb1ELi64EEEvPT0_PKT_S5_iiiPKb: ; @_ZN12_GLOBAL__N_121softmax_warp_backwardIdddLi9ELb0ELb1ELi64EEEvPT0_PKT_S5_iiiPKb
; %bb.0:
	s_load_dword s2, s[4:5], 0x3c
	s_load_dwordx4 s[16:19], s[4:5], 0x18
	s_load_dwordx4 s[20:23], s[4:5], 0x0
	s_load_dwordx2 s[0:1], s[4:5], 0x10
	v_bfe_u32 v1, v0, 10, 10
	s_waitcnt lgkmcnt(0)
	s_lshr_b32 s2, s2, 16
	s_mul_i32 s6, s6, s2
	v_add_u32_e32 v1, s6, v1
	v_and_b32_e32 v32, 63, v0
	v_mad_u64_u32 v[34:35], s[2:3], v1, s17, v[32:33]
	v_ashrrev_i32_e32 v35, 31, v34
	v_lshlrev_b64 v[8:9], 3, v[34:35]
	v_mov_b32_e32 v0, s23
	v_add_co_u32_e32 v36, vcc, s22, v8
	v_addc_co_u32_e32 v37, vcc, v0, v9, vcc
	v_mov_b32_e32 v0, s1
	v_add_co_u32_e32 v38, vcc, s0, v8
	v_sub_u32_e32 v40, s16, v1
	v_addc_co_u32_e32 v39, vcc, v0, v9, vcc
	v_cmp_lt_i32_e64 s[16:17], 0, v40
	v_cmp_gt_i32_e32 vcc, s18, v32
	v_pk_mov_b32 v[0:1], 0, 0
	s_and_b64 s[2:3], s[16:17], vcc
	v_pk_mov_b32 v[10:11], v[0:1], v[0:1] op_sel:[0,1]
	v_pk_mov_b32 v[12:13], v[0:1], v[0:1] op_sel:[0,1]
	s_and_saveexec_b64 s[0:1], s[2:3]
	s_cbranch_execz .LBB786_2
; %bb.1:
	global_load_dwordx2 v[10:11], v[36:37], off
	global_load_dwordx2 v[12:13], v[38:39], off
.LBB786_2:
	s_or_b64 exec, exec, s[0:1]
	v_or_b32_e32 v2, 64, v32
	v_cmp_gt_i32_e64 s[0:1], s18, v2
	s_and_b64 s[6:7], s[16:17], s[0:1]
	v_pk_mov_b32 v[16:17], v[0:1], v[0:1] op_sel:[0,1]
	s_and_saveexec_b64 s[2:3], s[6:7]
	s_cbranch_execz .LBB786_4
; %bb.3:
	global_load_dwordx2 v[0:1], v[36:37], off offset:512
	global_load_dwordx2 v[16:17], v[38:39], off offset:512
.LBB786_4:
	s_or_b64 exec, exec, s[2:3]
	v_or_b32_e32 v2, 0x80, v32
	v_cmp_gt_i32_e64 s[2:3], s18, v2
	v_pk_mov_b32 v[2:3], 0, 0
	s_and_b64 s[8:9], s[16:17], s[2:3]
	v_pk_mov_b32 v[14:15], v[2:3], v[2:3] op_sel:[0,1]
	v_pk_mov_b32 v[20:21], v[2:3], v[2:3] op_sel:[0,1]
	s_and_saveexec_b64 s[6:7], s[8:9]
	s_cbranch_execz .LBB786_6
; %bb.5:
	global_load_dwordx2 v[14:15], v[36:37], off offset:1024
	global_load_dwordx2 v[20:21], v[38:39], off offset:1024
.LBB786_6:
	s_or_b64 exec, exec, s[6:7]
	v_or_b32_e32 v4, 0xc0, v32
	v_cmp_gt_i32_e64 s[14:15], s18, v4
	s_and_b64 s[8:9], s[16:17], s[14:15]
	v_pk_mov_b32 v[22:23], v[2:3], v[2:3] op_sel:[0,1]
	s_and_saveexec_b64 s[6:7], s[8:9]
	s_cbranch_execz .LBB786_8
; %bb.7:
	global_load_dwordx2 v[2:3], v[36:37], off offset:1536
	global_load_dwordx2 v[22:23], v[38:39], off offset:1536
.LBB786_8:
	s_or_b64 exec, exec, s[6:7]
	v_or_b32_e32 v4, 0x100, v32
	v_cmp_gt_i32_e64 s[6:7], s18, v4
	v_pk_mov_b32 v[4:5], 0, 0
	s_and_b64 s[10:11], s[16:17], s[6:7]
	v_pk_mov_b32 v[18:19], v[4:5], v[4:5] op_sel:[0,1]
	v_pk_mov_b32 v[26:27], v[4:5], v[4:5] op_sel:[0,1]
	s_and_saveexec_b64 s[8:9], s[10:11]
	s_cbranch_execz .LBB786_10
; %bb.9:
	global_load_dwordx2 v[18:19], v[36:37], off offset:2048
	global_load_dwordx2 v[26:27], v[38:39], off offset:2048
.LBB786_10:
	;; [unrolled: 24-line block ×3, first 2 shown]
	s_or_b64 exec, exec, s[12:13]
	v_or_b32_e32 v32, 0x1c0, v32
	v_cmp_gt_i32_e64 s[12:13], s18, v32
	s_and_b64 s[18:19], s[16:17], s[12:13]
	v_pk_mov_b32 v[32:33], v[6:7], v[6:7] op_sel:[0,1]
	s_and_saveexec_b64 s[16:17], s[18:19]
	s_cbranch_execz .LBB786_16
; %bb.15:
	global_load_dwordx2 v[6:7], v[36:37], off offset:3584
	global_load_dwordx2 v[32:33], v[38:39], off offset:3584
.LBB786_16:
	s_or_b64 exec, exec, s[16:17]
	s_load_dwordx2 s[4:5], s[4:5], 0x28
	v_mbcnt_lo_u32_b32 v47, -1, 0
	v_mbcnt_hi_u32_b32 v47, -1, v47
	v_and_b32_e32 v48, 64, v47
	v_xor_b32_e32 v49, 32, v47
	s_waitcnt lgkmcnt(0)
	v_mov_b32_e32 v36, s5
	v_add_co_u32_e64 v34, s[4:5], s4, v34
	v_addc_co_u32_e64 v35, s[4:5], v36, v35, s[4:5]
	global_load_ubyte v38, v[34:35], off
	global_load_ubyte v39, v[34:35], off offset:64
	global_load_ubyte v41, v[34:35], off offset:128
	;; [unrolled: 1-line block ×7, first 2 shown]
	v_add_u32_e32 v48, 64, v48
	v_cmp_lt_i32_e64 s[4:5], v49, v48
	s_waitcnt vmcnt(9)
	v_add_f64 v[36:37], v[10:11], 0
	v_cndmask_b32_e64 v49, v47, v49, s[4:5]
	v_lshlrev_b32_e32 v49, 2, v49
	s_waitcnt vmcnt(7)
	v_and_b32_e32 v38, 1, v38
	v_cmp_eq_u32_e64 s[4:5], 1, v38
	s_waitcnt vmcnt(6)
	v_and_b32_e32 v50, 1, v39
	v_cndmask_b32_e64 v37, v37, 0, s[4:5]
	v_cndmask_b32_e64 v36, v36, 0, s[4:5]
	v_add_f64 v[38:39], v[36:37], v[0:1]
	v_cmp_eq_u32_e64 s[16:17], 1, v50
	s_waitcnt vmcnt(5)
	v_and_b32_e32 v41, 1, v41
	v_cndmask_b32_e64 v37, v39, v37, s[16:17]
	v_cndmask_b32_e64 v36, v38, v36, s[16:17]
	v_add_f64 v[38:39], v[36:37], v[14:15]
	;; [unrolled: 6-line block ×7, first 2 shown]
	v_cmp_eq_u32_e64 s[16:17], 1, v46
	v_cndmask_b32_e64 v37, v39, v37, s[16:17]
	v_cndmask_b32_e64 v36, v38, v36, s[16:17]
	ds_bpermute_b32 v38, v49, v36
	ds_bpermute_b32 v39, v49, v37
	v_xor_b32_e32 v41, 16, v47
	v_cmp_lt_i32_e64 s[16:17], v41, v48
	v_cndmask_b32_e64 v41, v47, v41, s[16:17]
	v_lshlrev_b32_e32 v41, 2, v41
	s_waitcnt lgkmcnt(0)
	v_add_f64 v[36:37], v[36:37], v[38:39]
	ds_bpermute_b32 v38, v41, v36
	ds_bpermute_b32 v39, v41, v37
	v_xor_b32_e32 v41, 8, v47
	v_cmp_lt_i32_e64 s[16:17], v41, v48
	v_cndmask_b32_e64 v41, v47, v41, s[16:17]
	v_lshlrev_b32_e32 v41, 2, v41
	s_waitcnt lgkmcnt(0)
	v_add_f64 v[36:37], v[36:37], v[38:39]
	;; [unrolled: 8-line block ×5, first 2 shown]
	ds_bpermute_b32 v38, v41, v36
	ds_bpermute_b32 v39, v41, v37
	v_cmp_lt_i32_e64 s[16:17], 0, v40
	s_and_saveexec_b64 s[18:19], s[16:17]
	s_cbranch_execz .LBB786_26
; %bb.17:
	s_waitcnt lgkmcnt(0)
	v_add_f64 v[36:37], v[36:37], v[38:39]
	v_mov_b32_e32 v38, s21
	v_add_co_u32_e64 v8, s[16:17], s20, v8
	v_addc_co_u32_e64 v9, s[16:17], v38, v9, s[16:17]
	s_and_saveexec_b64 s[16:17], vcc
	s_cbranch_execnz .LBB786_27
; %bb.18:
	s_or_b64 exec, exec, s[16:17]
	s_and_saveexec_b64 s[4:5], s[0:1]
	s_cbranch_execnz .LBB786_28
.LBB786_19:
	s_or_b64 exec, exec, s[4:5]
	s_and_saveexec_b64 s[0:1], s[2:3]
	s_cbranch_execnz .LBB786_29
.LBB786_20:
	s_or_b64 exec, exec, s[0:1]
	s_and_saveexec_b64 s[0:1], s[14:15]
	s_cbranch_execnz .LBB786_30
.LBB786_21:
	s_or_b64 exec, exec, s[0:1]
	s_and_saveexec_b64 s[0:1], s[6:7]
	s_cbranch_execnz .LBB786_31
.LBB786_22:
	s_or_b64 exec, exec, s[0:1]
	s_and_saveexec_b64 s[0:1], s[8:9]
	s_cbranch_execnz .LBB786_32
.LBB786_23:
	s_or_b64 exec, exec, s[0:1]
	s_and_saveexec_b64 s[0:1], s[10:11]
	s_cbranch_execnz .LBB786_33
.LBB786_24:
	s_or_b64 exec, exec, s[0:1]
	s_and_b64 exec, exec, s[12:13]
	s_cbranch_execz .LBB786_26
.LBB786_25:
	global_load_ubyte v2, v[34:35], off offset:448
	v_fma_f64 v[0:1], -v[36:37], v[32:33], v[6:7]
	s_waitcnt vmcnt(0)
	v_and_b32_e32 v2, 1, v2
	v_cmp_eq_u32_e32 vcc, 1, v2
	v_cndmask_b32_e64 v1, v1, 0, vcc
	v_cndmask_b32_e64 v0, v0, 0, vcc
	global_store_dwordx2 v[8:9], v[0:1], off offset:3584
.LBB786_26:
	s_endpgm
.LBB786_27:
	v_fma_f64 v[10:11], -v[36:37], v[12:13], v[10:11]
	v_cndmask_b32_e64 v11, v11, 0, s[4:5]
	v_cndmask_b32_e64 v10, v10, 0, s[4:5]
	global_store_dwordx2 v[8:9], v[10:11], off
	s_or_b64 exec, exec, s[16:17]
	s_and_saveexec_b64 s[4:5], s[0:1]
	s_cbranch_execz .LBB786_19
.LBB786_28:
	global_load_ubyte v10, v[34:35], off offset:64
	v_fma_f64 v[0:1], -v[36:37], v[16:17], v[0:1]
	s_waitcnt vmcnt(0)
	v_and_b32_e32 v10, 1, v10
	v_cmp_eq_u32_e32 vcc, 1, v10
	v_cndmask_b32_e64 v1, v1, 0, vcc
	v_cndmask_b32_e64 v0, v0, 0, vcc
	global_store_dwordx2 v[8:9], v[0:1], off offset:512
	s_or_b64 exec, exec, s[4:5]
	s_and_saveexec_b64 s[0:1], s[2:3]
	s_cbranch_execz .LBB786_20
.LBB786_29:
	global_load_ubyte v10, v[34:35], off offset:128
	v_fma_f64 v[0:1], -v[36:37], v[20:21], v[14:15]
	s_waitcnt vmcnt(0)
	v_and_b32_e32 v10, 1, v10
	v_cmp_eq_u32_e32 vcc, 1, v10
	v_cndmask_b32_e64 v1, v1, 0, vcc
	v_cndmask_b32_e64 v0, v0, 0, vcc
	global_store_dwordx2 v[8:9], v[0:1], off offset:1024
	s_or_b64 exec, exec, s[0:1]
	s_and_saveexec_b64 s[0:1], s[14:15]
	s_cbranch_execz .LBB786_21
.LBB786_30:
	global_load_ubyte v10, v[34:35], off offset:192
	v_fma_f64 v[0:1], -v[36:37], v[22:23], v[2:3]
	s_waitcnt vmcnt(0)
	v_and_b32_e32 v2, 1, v10
	v_cmp_eq_u32_e32 vcc, 1, v2
	v_cndmask_b32_e64 v1, v1, 0, vcc
	v_cndmask_b32_e64 v0, v0, 0, vcc
	global_store_dwordx2 v[8:9], v[0:1], off offset:1536
	s_or_b64 exec, exec, s[0:1]
	s_and_saveexec_b64 s[0:1], s[6:7]
	s_cbranch_execz .LBB786_22
.LBB786_31:
	global_load_ubyte v2, v[34:35], off offset:256
	v_fma_f64 v[0:1], -v[36:37], v[26:27], v[18:19]
	s_waitcnt vmcnt(0)
	v_and_b32_e32 v2, 1, v2
	v_cmp_eq_u32_e32 vcc, 1, v2
	v_cndmask_b32_e64 v1, v1, 0, vcc
	v_cndmask_b32_e64 v0, v0, 0, vcc
	global_store_dwordx2 v[8:9], v[0:1], off offset:2048
	s_or_b64 exec, exec, s[0:1]
	s_and_saveexec_b64 s[0:1], s[8:9]
	s_cbranch_execz .LBB786_23
.LBB786_32:
	global_load_ubyte v2, v[34:35], off offset:320
	v_fma_f64 v[0:1], -v[36:37], v[28:29], v[4:5]
	s_waitcnt vmcnt(0)
	v_and_b32_e32 v2, 1, v2
	v_cmp_eq_u32_e32 vcc, 1, v2
	v_cndmask_b32_e64 v1, v1, 0, vcc
	v_cndmask_b32_e64 v0, v0, 0, vcc
	global_store_dwordx2 v[8:9], v[0:1], off offset:2560
	s_or_b64 exec, exec, s[0:1]
	s_and_saveexec_b64 s[0:1], s[10:11]
	s_cbranch_execz .LBB786_24
.LBB786_33:
	global_load_ubyte v2, v[34:35], off offset:384
	v_fma_f64 v[0:1], -v[36:37], v[30:31], v[24:25]
	s_waitcnt vmcnt(0)
	v_and_b32_e32 v2, 1, v2
	v_cmp_eq_u32_e32 vcc, 1, v2
	v_cndmask_b32_e64 v1, v1, 0, vcc
	v_cndmask_b32_e64 v0, v0, 0, vcc
	global_store_dwordx2 v[8:9], v[0:1], off offset:3072
	s_or_b64 exec, exec, s[0:1]
	s_and_b64 exec, exec, s[12:13]
	s_cbranch_execnz .LBB786_25
	s_branch .LBB786_26
	.section	.rodata,"a",@progbits
	.p2align	6, 0x0
	.amdhsa_kernel _ZN12_GLOBAL__N_121softmax_warp_backwardIdddLi9ELb0ELb1ELi64EEEvPT0_PKT_S5_iiiPKb
		.amdhsa_group_segment_fixed_size 0
		.amdhsa_private_segment_fixed_size 0
		.amdhsa_kernarg_size 304
		.amdhsa_user_sgpr_count 6
		.amdhsa_user_sgpr_private_segment_buffer 1
		.amdhsa_user_sgpr_dispatch_ptr 0
		.amdhsa_user_sgpr_queue_ptr 0
		.amdhsa_user_sgpr_kernarg_segment_ptr 1
		.amdhsa_user_sgpr_dispatch_id 0
		.amdhsa_user_sgpr_flat_scratch_init 0
		.amdhsa_user_sgpr_kernarg_preload_length 0
		.amdhsa_user_sgpr_kernarg_preload_offset 0
		.amdhsa_user_sgpr_private_segment_size 0
		.amdhsa_uses_dynamic_stack 0
		.amdhsa_system_sgpr_private_segment_wavefront_offset 0
		.amdhsa_system_sgpr_workgroup_id_x 1
		.amdhsa_system_sgpr_workgroup_id_y 0
		.amdhsa_system_sgpr_workgroup_id_z 0
		.amdhsa_system_sgpr_workgroup_info 0
		.amdhsa_system_vgpr_workitem_id 1
		.amdhsa_next_free_vgpr 51
		.amdhsa_next_free_sgpr 24
		.amdhsa_accum_offset 52
		.amdhsa_reserve_vcc 1
		.amdhsa_reserve_flat_scratch 0
		.amdhsa_float_round_mode_32 0
		.amdhsa_float_round_mode_16_64 0
		.amdhsa_float_denorm_mode_32 3
		.amdhsa_float_denorm_mode_16_64 3
		.amdhsa_dx10_clamp 1
		.amdhsa_ieee_mode 1
		.amdhsa_fp16_overflow 0
		.amdhsa_tg_split 0
		.amdhsa_exception_fp_ieee_invalid_op 0
		.amdhsa_exception_fp_denorm_src 0
		.amdhsa_exception_fp_ieee_div_zero 0
		.amdhsa_exception_fp_ieee_overflow 0
		.amdhsa_exception_fp_ieee_underflow 0
		.amdhsa_exception_fp_ieee_inexact 0
		.amdhsa_exception_int_div_zero 0
	.end_amdhsa_kernel
	.section	.text._ZN12_GLOBAL__N_121softmax_warp_backwardIdddLi9ELb0ELb1ELi64EEEvPT0_PKT_S5_iiiPKb,"axG",@progbits,_ZN12_GLOBAL__N_121softmax_warp_backwardIdddLi9ELb0ELb1ELi64EEEvPT0_PKT_S5_iiiPKb,comdat
.Lfunc_end786:
	.size	_ZN12_GLOBAL__N_121softmax_warp_backwardIdddLi9ELb0ELb1ELi64EEEvPT0_PKT_S5_iiiPKb, .Lfunc_end786-_ZN12_GLOBAL__N_121softmax_warp_backwardIdddLi9ELb0ELb1ELi64EEEvPT0_PKT_S5_iiiPKb
                                        ; -- End function
	.section	.AMDGPU.csdata,"",@progbits
; Kernel info:
; codeLenInByte = 1984
; NumSgprs: 28
; NumVgprs: 51
; NumAgprs: 0
; TotalNumVgprs: 51
; ScratchSize: 0
; MemoryBound: 0
; FloatMode: 240
; IeeeMode: 1
; LDSByteSize: 0 bytes/workgroup (compile time only)
; SGPRBlocks: 3
; VGPRBlocks: 6
; NumSGPRsForWavesPerEU: 28
; NumVGPRsForWavesPerEU: 51
; AccumOffset: 52
; Occupancy: 8
; WaveLimiterHint : 0
; COMPUTE_PGM_RSRC2:SCRATCH_EN: 0
; COMPUTE_PGM_RSRC2:USER_SGPR: 6
; COMPUTE_PGM_RSRC2:TRAP_HANDLER: 0
; COMPUTE_PGM_RSRC2:TGID_X_EN: 1
; COMPUTE_PGM_RSRC2:TGID_Y_EN: 0
; COMPUTE_PGM_RSRC2:TGID_Z_EN: 0
; COMPUTE_PGM_RSRC2:TIDIG_COMP_CNT: 1
; COMPUTE_PGM_RSRC3_GFX90A:ACCUM_OFFSET: 12
; COMPUTE_PGM_RSRC3_GFX90A:TG_SPLIT: 0
	.section	.text._ZN12_GLOBAL__N_121softmax_warp_backwardIdddLi9ELb0ELb1ELi32EEEvPT0_PKT_S5_iiiPKb,"axG",@progbits,_ZN12_GLOBAL__N_121softmax_warp_backwardIdddLi9ELb0ELb1ELi32EEEvPT0_PKT_S5_iiiPKb,comdat
	.globl	_ZN12_GLOBAL__N_121softmax_warp_backwardIdddLi9ELb0ELb1ELi32EEEvPT0_PKT_S5_iiiPKb ; -- Begin function _ZN12_GLOBAL__N_121softmax_warp_backwardIdddLi9ELb0ELb1ELi32EEEvPT0_PKT_S5_iiiPKb
	.p2align	8
	.type	_ZN12_GLOBAL__N_121softmax_warp_backwardIdddLi9ELb0ELb1ELi32EEEvPT0_PKT_S5_iiiPKb,@function
_ZN12_GLOBAL__N_121softmax_warp_backwardIdddLi9ELb0ELb1ELi32EEEvPT0_PKT_S5_iiiPKb: ; @_ZN12_GLOBAL__N_121softmax_warp_backwardIdddLi9ELb0ELb1ELi32EEEvPT0_PKT_S5_iiiPKb
; %bb.0:
	s_load_dword s2, s[4:5], 0x3c
	s_load_dwordx4 s[36:39], s[4:5], 0x18
	s_load_dwordx4 s[68:71], s[4:5], 0x0
	s_load_dwordx2 s[0:1], s[4:5], 0x10
	v_bfe_u32 v1, v0, 10, 10
	s_waitcnt lgkmcnt(0)
	s_lshr_b32 s2, s2, 16
	s_mul_i32 s6, s6, s2
	v_add_u32_e32 v1, s6, v1
	v_and_b32_e32 v64, 31, v0
	v_mad_u64_u32 v[66:67], s[2:3], v1, s37, v[64:65]
	v_ashrrev_i32_e32 v67, 31, v66
	v_lshlrev_b64 v[2:3], 3, v[66:67]
	v_mov_b32_e32 v0, s71
	v_add_co_u32_e32 v68, vcc, s70, v2
	v_addc_co_u32_e32 v69, vcc, v0, v3, vcc
	v_mov_b32_e32 v0, s1
	v_add_co_u32_e32 v70, vcc, s0, v2
	v_sub_u32_e32 v72, s36, v1
	v_addc_co_u32_e32 v71, vcc, v0, v3, vcc
	v_cmp_lt_i32_e64 s[30:31], 0, v72
	v_cmp_gt_i32_e32 vcc, s38, v64
	v_pk_mov_b32 v[0:1], 0, 0
	s_and_b64 s[2:3], s[30:31], vcc
	v_pk_mov_b32 v[6:7], v[0:1], v[0:1] op_sel:[0,1]
	v_pk_mov_b32 v[8:9], v[0:1], v[0:1] op_sel:[0,1]
	s_and_saveexec_b64 s[0:1], s[2:3]
	s_cbranch_execz .LBB787_2
; %bb.1:
	global_load_dwordx2 v[6:7], v[68:69], off
	global_load_dwordx2 v[8:9], v[70:71], off
.LBB787_2:
	s_or_b64 exec, exec, s[0:1]
	v_or_b32_e32 v4, 32, v64
	v_cmp_gt_i32_e64 s[0:1], s38, v4
	s_and_b64 s[6:7], s[30:31], s[0:1]
	v_pk_mov_b32 v[10:11], v[0:1], v[0:1] op_sel:[0,1]
	s_and_saveexec_b64 s[2:3], s[6:7]
	s_cbranch_execz .LBB787_4
; %bb.3:
	global_load_dwordx2 v[0:1], v[68:69], off offset:256
	global_load_dwordx2 v[10:11], v[70:71], off offset:256
.LBB787_4:
	s_or_b64 exec, exec, s[2:3]
	v_or_b32_e32 v4, 64, v64
	v_cmp_gt_i32_e64 s[2:3], s38, v4
	v_pk_mov_b32 v[4:5], 0, 0
	s_and_b64 s[8:9], s[30:31], s[2:3]
	v_pk_mov_b32 v[14:15], v[4:5], v[4:5] op_sel:[0,1]
	v_pk_mov_b32 v[16:17], v[4:5], v[4:5] op_sel:[0,1]
	s_and_saveexec_b64 s[6:7], s[8:9]
	s_cbranch_execz .LBB787_6
; %bb.5:
	global_load_dwordx2 v[14:15], v[68:69], off offset:512
	global_load_dwordx2 v[16:17], v[70:71], off offset:512
.LBB787_6:
	s_or_b64 exec, exec, s[6:7]
	v_or_b32_e32 v12, 0x60, v64
	v_cmp_gt_i32_e64 s[64:65], s38, v12
	s_and_b64 s[8:9], s[30:31], s[64:65]
	v_pk_mov_b32 v[18:19], v[4:5], v[4:5] op_sel:[0,1]
	s_and_saveexec_b64 s[6:7], s[8:9]
	s_cbranch_execz .LBB787_8
; %bb.7:
	global_load_dwordx2 v[4:5], v[68:69], off offset:768
	global_load_dwordx2 v[18:19], v[70:71], off offset:768
.LBB787_8:
	s_or_b64 exec, exec, s[6:7]
	v_or_b32_e32 v12, 0x80, v64
	v_cmp_gt_i32_e64 s[6:7], s38, v12
	v_pk_mov_b32 v[12:13], 0, 0
	s_and_b64 s[10:11], s[30:31], s[6:7]
	v_pk_mov_b32 v[22:23], v[12:13], v[12:13] op_sel:[0,1]
	v_pk_mov_b32 v[24:25], v[12:13], v[12:13] op_sel:[0,1]
	s_and_saveexec_b64 s[8:9], s[10:11]
	s_cbranch_execz .LBB787_10
; %bb.9:
	global_load_dwordx2 v[22:23], v[68:69], off offset:1024
	global_load_dwordx2 v[24:25], v[70:71], off offset:1024
.LBB787_10:
	s_or_b64 exec, exec, s[8:9]
	v_or_b32_e32 v20, 0xa0, v64
	v_cmp_gt_i32_e64 s[8:9], s38, v20
	s_and_b64 s[12:13], s[30:31], s[8:9]
	v_pk_mov_b32 v[26:27], v[12:13], v[12:13] op_sel:[0,1]
	s_and_saveexec_b64 s[10:11], s[12:13]
	s_cbranch_execz .LBB787_12
; %bb.11:
	global_load_dwordx2 v[12:13], v[68:69], off offset:1280
	global_load_dwordx2 v[26:27], v[70:71], off offset:1280
.LBB787_12:
	s_or_b64 exec, exec, s[10:11]
	v_or_b32_e32 v20, 0xc0, v64
	v_cmp_gt_i32_e64 s[10:11], s38, v20
	v_pk_mov_b32 v[20:21], 0, 0
	s_and_b64 s[14:15], s[30:31], s[10:11]
	v_pk_mov_b32 v[30:31], v[20:21], v[20:21] op_sel:[0,1]
	v_pk_mov_b32 v[32:33], v[20:21], v[20:21] op_sel:[0,1]
	s_and_saveexec_b64 s[12:13], s[14:15]
	s_cbranch_execz .LBB787_14
; %bb.13:
	global_load_dwordx2 v[30:31], v[68:69], off offset:1536
	global_load_dwordx2 v[32:33], v[70:71], off offset:1536
.LBB787_14:
	s_or_b64 exec, exec, s[12:13]
	v_or_b32_e32 v28, 0xe0, v64
	v_cmp_gt_i32_e64 s[12:13], s38, v28
	s_and_b64 s[16:17], s[30:31], s[12:13]
	v_pk_mov_b32 v[34:35], v[20:21], v[20:21] op_sel:[0,1]
	s_and_saveexec_b64 s[14:15], s[16:17]
	s_cbranch_execz .LBB787_16
; %bb.15:
	global_load_dwordx2 v[20:21], v[68:69], off offset:1792
	global_load_dwordx2 v[34:35], v[70:71], off offset:1792
.LBB787_16:
	s_or_b64 exec, exec, s[14:15]
	v_or_b32_e32 v28, 0x100, v64
	v_cmp_gt_i32_e64 s[14:15], s38, v28
	v_pk_mov_b32 v[28:29], 0, 0
	s_and_b64 s[18:19], s[30:31], s[14:15]
	v_pk_mov_b32 v[38:39], v[28:29], v[28:29] op_sel:[0,1]
	v_pk_mov_b32 v[40:41], v[28:29], v[28:29] op_sel:[0,1]
	s_and_saveexec_b64 s[16:17], s[18:19]
	s_cbranch_execz .LBB787_18
; %bb.17:
	global_load_dwordx2 v[38:39], v[68:69], off offset:2048
	global_load_dwordx2 v[40:41], v[70:71], off offset:2048
.LBB787_18:
	s_or_b64 exec, exec, s[16:17]
	v_or_b32_e32 v36, 0x120, v64
	v_cmp_gt_i32_e64 s[16:17], s38, v36
	s_and_b64 s[20:21], s[30:31], s[16:17]
	v_pk_mov_b32 v[42:43], v[28:29], v[28:29] op_sel:[0,1]
	s_and_saveexec_b64 s[18:19], s[20:21]
	s_cbranch_execz .LBB787_20
; %bb.19:
	global_load_dwordx2 v[28:29], v[68:69], off offset:2304
	global_load_dwordx2 v[42:43], v[70:71], off offset:2304
.LBB787_20:
	s_or_b64 exec, exec, s[18:19]
	v_or_b32_e32 v36, 0x140, v64
	v_cmp_gt_i32_e64 s[18:19], s38, v36
	v_pk_mov_b32 v[36:37], 0, 0
	s_and_b64 s[22:23], s[30:31], s[18:19]
	v_pk_mov_b32 v[46:47], v[36:37], v[36:37] op_sel:[0,1]
	v_pk_mov_b32 v[48:49], v[36:37], v[36:37] op_sel:[0,1]
	s_and_saveexec_b64 s[20:21], s[22:23]
	s_cbranch_execz .LBB787_22
; %bb.21:
	global_load_dwordx2 v[46:47], v[68:69], off offset:2560
	global_load_dwordx2 v[48:49], v[70:71], off offset:2560
.LBB787_22:
	s_or_b64 exec, exec, s[20:21]
	v_or_b32_e32 v44, 0x160, v64
	v_cmp_gt_i32_e64 s[20:21], s38, v44
	s_and_b64 s[24:25], s[30:31], s[20:21]
	v_pk_mov_b32 v[50:51], v[36:37], v[36:37] op_sel:[0,1]
	s_and_saveexec_b64 s[22:23], s[24:25]
	s_cbranch_execz .LBB787_24
; %bb.23:
	global_load_dwordx2 v[36:37], v[68:69], off offset:2816
	global_load_dwordx2 v[50:51], v[70:71], off offset:2816
.LBB787_24:
	s_or_b64 exec, exec, s[22:23]
	v_or_b32_e32 v44, 0x180, v64
	v_cmp_gt_i32_e64 s[22:23], s38, v44
	v_pk_mov_b32 v[44:45], 0, 0
	s_and_b64 s[26:27], s[30:31], s[22:23]
	v_pk_mov_b32 v[54:55], v[44:45], v[44:45] op_sel:[0,1]
	v_pk_mov_b32 v[56:57], v[44:45], v[44:45] op_sel:[0,1]
	s_and_saveexec_b64 s[24:25], s[26:27]
	s_cbranch_execz .LBB787_26
; %bb.25:
	global_load_dwordx2 v[54:55], v[68:69], off offset:3072
	global_load_dwordx2 v[56:57], v[70:71], off offset:3072
.LBB787_26:
	s_or_b64 exec, exec, s[24:25]
	v_or_b32_e32 v52, 0x1a0, v64
	v_cmp_gt_i32_e64 s[24:25], s38, v52
	s_and_b64 s[28:29], s[30:31], s[24:25]
	v_pk_mov_b32 v[58:59], v[44:45], v[44:45] op_sel:[0,1]
	s_and_saveexec_b64 s[26:27], s[28:29]
	s_cbranch_execz .LBB787_28
; %bb.27:
	global_load_dwordx2 v[44:45], v[68:69], off offset:3328
	global_load_dwordx2 v[58:59], v[70:71], off offset:3328
.LBB787_28:
	s_or_b64 exec, exec, s[26:27]
	v_or_b32_e32 v52, 0x1c0, v64
	v_cmp_gt_i32_e64 s[26:27], s38, v52
	v_pk_mov_b32 v[52:53], 0, 0
	s_and_b64 s[34:35], s[30:31], s[26:27]
	v_pk_mov_b32 v[60:61], v[52:53], v[52:53] op_sel:[0,1]
	v_pk_mov_b32 v[62:63], v[52:53], v[52:53] op_sel:[0,1]
	s_and_saveexec_b64 s[28:29], s[34:35]
	s_cbranch_execz .LBB787_30
; %bb.29:
	global_load_dwordx2 v[60:61], v[68:69], off offset:3584
	global_load_dwordx2 v[62:63], v[70:71], off offset:3584
.LBB787_30:
	s_or_b64 exec, exec, s[28:29]
	v_or_b32_e32 v64, 0x1e0, v64
	v_cmp_gt_i32_e64 s[28:29], s38, v64
	s_and_b64 s[34:35], s[30:31], s[28:29]
	v_pk_mov_b32 v[64:65], v[52:53], v[52:53] op_sel:[0,1]
	s_and_saveexec_b64 s[30:31], s[34:35]
	s_cbranch_execz .LBB787_32
; %bb.31:
	global_load_dwordx2 v[52:53], v[68:69], off offset:3840
	global_load_dwordx2 v[64:65], v[70:71], off offset:3840
.LBB787_32:
	s_or_b64 exec, exec, s[30:31]
	s_load_dwordx2 s[30:31], s[4:5], 0x28
	s_waitcnt lgkmcnt(0)
	v_add_co_u32_e64 v66, s[4:5], s30, v66
	v_mov_b32_e32 v68, s31
	v_addc_co_u32_e64 v67, s[4:5], v68, v67, s[4:5]
	global_load_ubyte v68, v[66:67], off
	global_load_ubyte v70, v[66:67], off offset:32
	s_waitcnt vmcnt(1)
	v_and_b32_e32 v68, 1, v68
	v_cmp_eq_u32_e64 s[62:63], 1, v68
	v_add_f64 v[68:69], v[6:7], 0
	v_cndmask_b32_e64 v69, v69, 0, s[62:63]
	v_cndmask_b32_e64 v68, v68, 0, s[62:63]
	s_waitcnt vmcnt(0)
	v_and_b32_e32 v70, 1, v70
	v_cmp_eq_u32_e64 s[60:61], 1, v70
	v_add_f64 v[70:71], v[68:69], v[0:1]
	v_cndmask_b32_e64 v68, v70, v68, s[60:61]
	global_load_ubyte v70, v[66:67], off offset:64
	v_cndmask_b32_e64 v69, v71, v69, s[60:61]
	s_waitcnt vmcnt(0)
	v_and_b32_e32 v70, 1, v70
	v_cmp_eq_u32_e64 s[58:59], 1, v70
	v_add_f64 v[70:71], v[68:69], v[14:15]
	v_cndmask_b32_e64 v68, v70, v68, s[58:59]
	global_load_ubyte v70, v[66:67], off offset:96
	;; [unrolled: 7-line block ×13, first 2 shown]
	v_cndmask_b32_e64 v69, v71, v69, s[36:37]
	global_load_ubyte v66, v[66:67], off offset:480
	s_waitcnt vmcnt(1)
	v_and_b32_e32 v70, 1, v70
	v_cmp_eq_u32_e64 s[34:35], 1, v70
	v_add_f64 v[70:71], v[68:69], v[60:61]
	v_cndmask_b32_e64 v69, v71, v69, s[34:35]
	v_cndmask_b32_e64 v68, v70, v68, s[34:35]
	s_waitcnt vmcnt(0)
	v_and_b32_e32 v66, 1, v66
	v_cmp_eq_u32_e64 s[30:31], 1, v66
	v_add_f64 v[66:67], v[68:69], v[52:53]
	v_cndmask_b32_e64 v66, v66, v68, s[30:31]
	v_mbcnt_lo_u32_b32 v68, -1, 0
	v_mbcnt_hi_u32_b32 v70, -1, v68
	v_and_b32_e32 v68, 0x60, v70
	v_add_u32_e32 v71, 32, v68
	v_xor_b32_e32 v68, 16, v70
	v_cmp_lt_i32_e64 s[4:5], v68, v71
	v_cndmask_b32_e64 v68, v70, v68, s[4:5]
	v_cndmask_b32_e64 v67, v67, v69, s[30:31]
	v_lshlrev_b32_e32 v69, 2, v68
	ds_bpermute_b32 v68, v69, v66
	ds_bpermute_b32 v69, v69, v67
	s_waitcnt lgkmcnt(0)
	v_add_f64 v[66:67], v[66:67], v[68:69]
	v_xor_b32_e32 v68, 8, v70
	v_cmp_lt_i32_e64 s[4:5], v68, v71
	v_cndmask_b32_e64 v68, v70, v68, s[4:5]
	v_lshlrev_b32_e32 v69, 2, v68
	ds_bpermute_b32 v68, v69, v66
	ds_bpermute_b32 v69, v69, v67
	s_waitcnt lgkmcnt(0)
	v_add_f64 v[66:67], v[66:67], v[68:69]
	v_xor_b32_e32 v68, 4, v70
	v_cmp_lt_i32_e64 s[4:5], v68, v71
	;; [unrolled: 8-line block ×4, first 2 shown]
	v_cndmask_b32_e64 v68, v70, v68, s[4:5]
	v_lshlrev_b32_e32 v69, 2, v68
	ds_bpermute_b32 v68, v69, v66
	ds_bpermute_b32 v69, v69, v67
	v_cmp_lt_i32_e64 s[4:5], 0, v72
	s_and_saveexec_b64 s[66:67], s[4:5]
	s_cbranch_execz .LBB787_50
; %bb.33:
	s_waitcnt lgkmcnt(0)
	v_add_f64 v[66:67], v[66:67], v[68:69]
	v_mov_b32_e32 v68, s69
	v_add_co_u32_e64 v2, s[4:5], s68, v2
	v_addc_co_u32_e64 v3, s[4:5], v68, v3, s[4:5]
	s_and_saveexec_b64 s[4:5], vcc
	s_cbranch_execnz .LBB787_51
; %bb.34:
	s_or_b64 exec, exec, s[4:5]
	s_and_saveexec_b64 s[4:5], s[0:1]
	s_cbranch_execnz .LBB787_52
.LBB787_35:
	s_or_b64 exec, exec, s[4:5]
	s_and_saveexec_b64 s[0:1], s[2:3]
	s_cbranch_execnz .LBB787_53
.LBB787_36:
	s_or_b64 exec, exec, s[0:1]
	s_and_saveexec_b64 s[0:1], s[64:65]
	s_cbranch_execnz .LBB787_54
.LBB787_37:
	s_or_b64 exec, exec, s[0:1]
	s_and_saveexec_b64 s[0:1], s[6:7]
	s_cbranch_execnz .LBB787_55
.LBB787_38:
	s_or_b64 exec, exec, s[0:1]
	s_and_saveexec_b64 s[0:1], s[8:9]
	s_cbranch_execnz .LBB787_56
.LBB787_39:
	s_or_b64 exec, exec, s[0:1]
	s_and_saveexec_b64 s[0:1], s[10:11]
	s_cbranch_execnz .LBB787_57
.LBB787_40:
	s_or_b64 exec, exec, s[0:1]
	s_and_saveexec_b64 s[0:1], s[12:13]
	s_cbranch_execnz .LBB787_58
.LBB787_41:
	s_or_b64 exec, exec, s[0:1]
	s_and_saveexec_b64 s[0:1], s[14:15]
	s_cbranch_execnz .LBB787_59
.LBB787_42:
	s_or_b64 exec, exec, s[0:1]
	s_and_saveexec_b64 s[0:1], s[16:17]
	s_cbranch_execnz .LBB787_60
.LBB787_43:
	s_or_b64 exec, exec, s[0:1]
	s_and_saveexec_b64 s[0:1], s[18:19]
	s_cbranch_execnz .LBB787_61
.LBB787_44:
	s_or_b64 exec, exec, s[0:1]
	s_and_saveexec_b64 s[0:1], s[20:21]
	s_cbranch_execnz .LBB787_62
.LBB787_45:
	s_or_b64 exec, exec, s[0:1]
	s_and_saveexec_b64 s[0:1], s[22:23]
	s_cbranch_execnz .LBB787_63
.LBB787_46:
	s_or_b64 exec, exec, s[0:1]
	s_and_saveexec_b64 s[0:1], s[24:25]
	s_cbranch_execnz .LBB787_64
.LBB787_47:
	s_or_b64 exec, exec, s[0:1]
	s_and_saveexec_b64 s[0:1], s[26:27]
	s_cbranch_execnz .LBB787_65
.LBB787_48:
	s_or_b64 exec, exec, s[0:1]
	s_and_b64 exec, exec, s[28:29]
	s_cbranch_execz .LBB787_50
.LBB787_49:
	v_fma_f64 v[0:1], -v[66:67], v[64:65], v[52:53]
	v_cndmask_b32_e64 v1, v1, 0, s[30:31]
	v_cndmask_b32_e64 v0, v0, 0, s[30:31]
	global_store_dwordx2 v[2:3], v[0:1], off offset:3840
.LBB787_50:
	s_endpgm
.LBB787_51:
	v_fma_f64 v[6:7], -v[66:67], v[8:9], v[6:7]
	v_cndmask_b32_e64 v7, v7, 0, s[62:63]
	v_cndmask_b32_e64 v6, v6, 0, s[62:63]
	global_store_dwordx2 v[2:3], v[6:7], off
	s_or_b64 exec, exec, s[4:5]
	s_and_saveexec_b64 s[4:5], s[0:1]
	s_cbranch_execz .LBB787_35
.LBB787_52:
	v_fma_f64 v[0:1], -v[66:67], v[10:11], v[0:1]
	v_cndmask_b32_e64 v1, v1, 0, s[60:61]
	v_cndmask_b32_e64 v0, v0, 0, s[60:61]
	global_store_dwordx2 v[2:3], v[0:1], off offset:256
	s_or_b64 exec, exec, s[4:5]
	s_and_saveexec_b64 s[0:1], s[2:3]
	s_cbranch_execz .LBB787_36
.LBB787_53:
	v_fma_f64 v[0:1], -v[66:67], v[16:17], v[14:15]
	v_cndmask_b32_e64 v1, v1, 0, s[58:59]
	v_cndmask_b32_e64 v0, v0, 0, s[58:59]
	global_store_dwordx2 v[2:3], v[0:1], off offset:512
	s_or_b64 exec, exec, s[0:1]
	s_and_saveexec_b64 s[0:1], s[64:65]
	s_cbranch_execz .LBB787_37
.LBB787_54:
	v_fma_f64 v[0:1], -v[66:67], v[18:19], v[4:5]
	v_cndmask_b32_e64 v1, v1, 0, s[56:57]
	v_cndmask_b32_e64 v0, v0, 0, s[56:57]
	global_store_dwordx2 v[2:3], v[0:1], off offset:768
	s_or_b64 exec, exec, s[0:1]
	s_and_saveexec_b64 s[0:1], s[6:7]
	s_cbranch_execz .LBB787_38
.LBB787_55:
	v_fma_f64 v[0:1], -v[66:67], v[24:25], v[22:23]
	v_cndmask_b32_e64 v1, v1, 0, s[54:55]
	v_cndmask_b32_e64 v0, v0, 0, s[54:55]
	global_store_dwordx2 v[2:3], v[0:1], off offset:1024
	s_or_b64 exec, exec, s[0:1]
	s_and_saveexec_b64 s[0:1], s[8:9]
	s_cbranch_execz .LBB787_39
.LBB787_56:
	v_fma_f64 v[0:1], -v[66:67], v[26:27], v[12:13]
	v_cndmask_b32_e64 v1, v1, 0, s[52:53]
	v_cndmask_b32_e64 v0, v0, 0, s[52:53]
	global_store_dwordx2 v[2:3], v[0:1], off offset:1280
	s_or_b64 exec, exec, s[0:1]
	s_and_saveexec_b64 s[0:1], s[10:11]
	s_cbranch_execz .LBB787_40
.LBB787_57:
	v_fma_f64 v[0:1], -v[66:67], v[32:33], v[30:31]
	v_cndmask_b32_e64 v1, v1, 0, s[50:51]
	v_cndmask_b32_e64 v0, v0, 0, s[50:51]
	global_store_dwordx2 v[2:3], v[0:1], off offset:1536
	s_or_b64 exec, exec, s[0:1]
	s_and_saveexec_b64 s[0:1], s[12:13]
	s_cbranch_execz .LBB787_41
.LBB787_58:
	v_fma_f64 v[0:1], -v[66:67], v[34:35], v[20:21]
	v_cndmask_b32_e64 v1, v1, 0, s[48:49]
	v_cndmask_b32_e64 v0, v0, 0, s[48:49]
	global_store_dwordx2 v[2:3], v[0:1], off offset:1792
	s_or_b64 exec, exec, s[0:1]
	s_and_saveexec_b64 s[0:1], s[14:15]
	s_cbranch_execz .LBB787_42
.LBB787_59:
	v_fma_f64 v[0:1], -v[66:67], v[40:41], v[38:39]
	v_cndmask_b32_e64 v1, v1, 0, s[46:47]
	v_cndmask_b32_e64 v0, v0, 0, s[46:47]
	global_store_dwordx2 v[2:3], v[0:1], off offset:2048
	s_or_b64 exec, exec, s[0:1]
	s_and_saveexec_b64 s[0:1], s[16:17]
	s_cbranch_execz .LBB787_43
.LBB787_60:
	v_fma_f64 v[0:1], -v[66:67], v[42:43], v[28:29]
	v_cndmask_b32_e64 v1, v1, 0, s[44:45]
	v_cndmask_b32_e64 v0, v0, 0, s[44:45]
	global_store_dwordx2 v[2:3], v[0:1], off offset:2304
	s_or_b64 exec, exec, s[0:1]
	s_and_saveexec_b64 s[0:1], s[18:19]
	s_cbranch_execz .LBB787_44
.LBB787_61:
	v_fma_f64 v[0:1], -v[66:67], v[48:49], v[46:47]
	v_cndmask_b32_e64 v1, v1, 0, s[42:43]
	v_cndmask_b32_e64 v0, v0, 0, s[42:43]
	global_store_dwordx2 v[2:3], v[0:1], off offset:2560
	s_or_b64 exec, exec, s[0:1]
	s_and_saveexec_b64 s[0:1], s[20:21]
	s_cbranch_execz .LBB787_45
.LBB787_62:
	v_fma_f64 v[0:1], -v[66:67], v[50:51], v[36:37]
	v_cndmask_b32_e64 v1, v1, 0, s[40:41]
	v_cndmask_b32_e64 v0, v0, 0, s[40:41]
	global_store_dwordx2 v[2:3], v[0:1], off offset:2816
	s_or_b64 exec, exec, s[0:1]
	s_and_saveexec_b64 s[0:1], s[22:23]
	s_cbranch_execz .LBB787_46
.LBB787_63:
	v_fma_f64 v[0:1], -v[66:67], v[56:57], v[54:55]
	v_cndmask_b32_e64 v1, v1, 0, s[38:39]
	v_cndmask_b32_e64 v0, v0, 0, s[38:39]
	global_store_dwordx2 v[2:3], v[0:1], off offset:3072
	s_or_b64 exec, exec, s[0:1]
	s_and_saveexec_b64 s[0:1], s[24:25]
	s_cbranch_execz .LBB787_47
.LBB787_64:
	v_fma_f64 v[0:1], -v[66:67], v[58:59], v[44:45]
	v_cndmask_b32_e64 v1, v1, 0, s[36:37]
	v_cndmask_b32_e64 v0, v0, 0, s[36:37]
	global_store_dwordx2 v[2:3], v[0:1], off offset:3328
	s_or_b64 exec, exec, s[0:1]
	s_and_saveexec_b64 s[0:1], s[26:27]
	s_cbranch_execz .LBB787_48
.LBB787_65:
	v_fma_f64 v[0:1], -v[66:67], v[62:63], v[60:61]
	v_cndmask_b32_e64 v1, v1, 0, s[34:35]
	v_cndmask_b32_e64 v0, v0, 0, s[34:35]
	global_store_dwordx2 v[2:3], v[0:1], off offset:3584
	s_or_b64 exec, exec, s[0:1]
	s_and_b64 exec, exec, s[28:29]
	s_cbranch_execnz .LBB787_49
	s_branch .LBB787_50
	.section	.rodata,"a",@progbits
	.p2align	6, 0x0
	.amdhsa_kernel _ZN12_GLOBAL__N_121softmax_warp_backwardIdddLi9ELb0ELb1ELi32EEEvPT0_PKT_S5_iiiPKb
		.amdhsa_group_segment_fixed_size 0
		.amdhsa_private_segment_fixed_size 0
		.amdhsa_kernarg_size 304
		.amdhsa_user_sgpr_count 6
		.amdhsa_user_sgpr_private_segment_buffer 1
		.amdhsa_user_sgpr_dispatch_ptr 0
		.amdhsa_user_sgpr_queue_ptr 0
		.amdhsa_user_sgpr_kernarg_segment_ptr 1
		.amdhsa_user_sgpr_dispatch_id 0
		.amdhsa_user_sgpr_flat_scratch_init 0
		.amdhsa_user_sgpr_kernarg_preload_length 0
		.amdhsa_user_sgpr_kernarg_preload_offset 0
		.amdhsa_user_sgpr_private_segment_size 0
		.amdhsa_uses_dynamic_stack 0
		.amdhsa_system_sgpr_private_segment_wavefront_offset 0
		.amdhsa_system_sgpr_workgroup_id_x 1
		.amdhsa_system_sgpr_workgroup_id_y 0
		.amdhsa_system_sgpr_workgroup_id_z 0
		.amdhsa_system_sgpr_workgroup_info 0
		.amdhsa_system_vgpr_workitem_id 1
		.amdhsa_next_free_vgpr 73
		.amdhsa_next_free_sgpr 72
		.amdhsa_accum_offset 76
		.amdhsa_reserve_vcc 1
		.amdhsa_reserve_flat_scratch 0
		.amdhsa_float_round_mode_32 0
		.amdhsa_float_round_mode_16_64 0
		.amdhsa_float_denorm_mode_32 3
		.amdhsa_float_denorm_mode_16_64 3
		.amdhsa_dx10_clamp 1
		.amdhsa_ieee_mode 1
		.amdhsa_fp16_overflow 0
		.amdhsa_tg_split 0
		.amdhsa_exception_fp_ieee_invalid_op 0
		.amdhsa_exception_fp_denorm_src 0
		.amdhsa_exception_fp_ieee_div_zero 0
		.amdhsa_exception_fp_ieee_overflow 0
		.amdhsa_exception_fp_ieee_underflow 0
		.amdhsa_exception_fp_ieee_inexact 0
		.amdhsa_exception_int_div_zero 0
	.end_amdhsa_kernel
	.section	.text._ZN12_GLOBAL__N_121softmax_warp_backwardIdddLi9ELb0ELb1ELi32EEEvPT0_PKT_S5_iiiPKb,"axG",@progbits,_ZN12_GLOBAL__N_121softmax_warp_backwardIdddLi9ELb0ELb1ELi32EEEvPT0_PKT_S5_iiiPKb,comdat
.Lfunc_end787:
	.size	_ZN12_GLOBAL__N_121softmax_warp_backwardIdddLi9ELb0ELb1ELi32EEEvPT0_PKT_S5_iiiPKb, .Lfunc_end787-_ZN12_GLOBAL__N_121softmax_warp_backwardIdddLi9ELb0ELb1ELi32EEEvPT0_PKT_S5_iiiPKb
                                        ; -- End function
	.section	.AMDGPU.csdata,"",@progbits
; Kernel info:
; codeLenInByte = 3132
; NumSgprs: 76
; NumVgprs: 73
; NumAgprs: 0
; TotalNumVgprs: 73
; ScratchSize: 0
; MemoryBound: 0
; FloatMode: 240
; IeeeMode: 1
; LDSByteSize: 0 bytes/workgroup (compile time only)
; SGPRBlocks: 9
; VGPRBlocks: 9
; NumSGPRsForWavesPerEU: 76
; NumVGPRsForWavesPerEU: 73
; AccumOffset: 76
; Occupancy: 6
; WaveLimiterHint : 0
; COMPUTE_PGM_RSRC2:SCRATCH_EN: 0
; COMPUTE_PGM_RSRC2:USER_SGPR: 6
; COMPUTE_PGM_RSRC2:TRAP_HANDLER: 0
; COMPUTE_PGM_RSRC2:TGID_X_EN: 1
; COMPUTE_PGM_RSRC2:TGID_Y_EN: 0
; COMPUTE_PGM_RSRC2:TGID_Z_EN: 0
; COMPUTE_PGM_RSRC2:TIDIG_COMP_CNT: 1
; COMPUTE_PGM_RSRC3_GFX90A:ACCUM_OFFSET: 18
; COMPUTE_PGM_RSRC3_GFX90A:TG_SPLIT: 0
	.section	.text._ZN12_GLOBAL__N_121softmax_warp_backwardIdddLi10ELb0ELb1ELi64EEEvPT0_PKT_S5_iiiPKb,"axG",@progbits,_ZN12_GLOBAL__N_121softmax_warp_backwardIdddLi10ELb0ELb1ELi64EEEvPT0_PKT_S5_iiiPKb,comdat
	.globl	_ZN12_GLOBAL__N_121softmax_warp_backwardIdddLi10ELb0ELb1ELi64EEEvPT0_PKT_S5_iiiPKb ; -- Begin function _ZN12_GLOBAL__N_121softmax_warp_backwardIdddLi10ELb0ELb1ELi64EEEvPT0_PKT_S5_iiiPKb
	.p2align	8
	.type	_ZN12_GLOBAL__N_121softmax_warp_backwardIdddLi10ELb0ELb1ELi64EEEvPT0_PKT_S5_iiiPKb,@function
_ZN12_GLOBAL__N_121softmax_warp_backwardIdddLi10ELb0ELb1ELi64EEEvPT0_PKT_S5_iiiPKb: ; @_ZN12_GLOBAL__N_121softmax_warp_backwardIdddLi10ELb0ELb1ELi64EEEvPT0_PKT_S5_iiiPKb
; %bb.0:
	s_load_dword s2, s[4:5], 0x3c
	s_load_dwordx4 s[28:31], s[4:5], 0x18
	s_load_dwordx4 s[40:43], s[4:5], 0x0
	s_load_dwordx2 s[0:1], s[4:5], 0x10
	v_bfe_u32 v1, v0, 10, 10
	s_waitcnt lgkmcnt(0)
	s_lshr_b32 s2, s2, 16
	s_mul_i32 s6, s6, s2
	v_and_b32_e32 v64, 0x3ff, v0
	v_add_u32_e32 v1, s6, v1
	v_and_b32_e32 v26, 63, v64
	v_mad_u64_u32 v[66:67], s[2:3], v1, s29, v[26:27]
	v_ashrrev_i32_e32 v67, 31, v66
	v_lshlrev_b64 v[12:13], 3, v[66:67]
	v_mov_b32_e32 v0, s43
	v_add_co_u32_e32 v70, vcc, s42, v12
	v_addc_co_u32_e32 v71, vcc, v0, v13, vcc
	v_sub_u32_e32 v72, s28, v1
	v_mov_b32_e32 v0, s1
	v_add_co_u32_e32 v68, vcc, s0, v12
	v_addc_co_u32_e32 v69, vcc, v0, v13, vcc
	v_cmp_lt_i32_e64 s[36:37], 0, v72
	v_cmp_gt_i32_e64 s[0:1], s30, v26
	v_pk_mov_b32 v[0:1], 0, 0
	s_and_b64 s[6:7], s[36:37], s[0:1]
	v_pk_mov_b32 v[16:17], v[0:1], v[0:1] op_sel:[0,1]
	v_pk_mov_b32 v[18:19], v[0:1], v[0:1] op_sel:[0,1]
	s_and_saveexec_b64 s[2:3], s[6:7]
	s_cbranch_execz .LBB788_2
; %bb.1:
	global_load_dwordx2 v[16:17], v[70:71], off
	global_load_dwordx2 v[18:19], v[68:69], off
.LBB788_2:
	s_or_b64 exec, exec, s[2:3]
	v_or_b32_e32 v2, 64, v26
	v_cmp_gt_i32_e64 s[2:3], s30, v2
	s_and_b64 s[8:9], s[36:37], s[2:3]
	v_pk_mov_b32 v[22:23], v[0:1], v[0:1] op_sel:[0,1]
	s_and_saveexec_b64 s[6:7], s[8:9]
	s_cbranch_execz .LBB788_4
; %bb.3:
	global_load_dwordx2 v[0:1], v[70:71], off offset:512
	global_load_dwordx2 v[22:23], v[68:69], off offset:512
.LBB788_4:
	s_or_b64 exec, exec, s[6:7]
	v_or_b32_e32 v2, 0x80, v26
	v_cmp_gt_i32_e64 s[34:35], s30, v2
	v_pk_mov_b32 v[2:3], 0, 0
	s_and_b64 s[8:9], s[36:37], s[34:35]
	v_pk_mov_b32 v[20:21], v[2:3], v[2:3] op_sel:[0,1]
	v_pk_mov_b32 v[28:29], v[2:3], v[2:3] op_sel:[0,1]
	s_and_saveexec_b64 s[6:7], s[8:9]
	s_cbranch_execz .LBB788_6
; %bb.5:
	global_load_dwordx2 v[20:21], v[70:71], off offset:1024
	global_load_dwordx2 v[28:29], v[68:69], off offset:1024
.LBB788_6:
	s_or_b64 exec, exec, s[6:7]
	v_or_b32_e32 v4, 0xc0, v26
	v_cmp_gt_i32_e64 s[6:7], s30, v4
	s_and_b64 s[10:11], s[36:37], s[6:7]
	v_pk_mov_b32 v[30:31], v[2:3], v[2:3] op_sel:[0,1]
	s_and_saveexec_b64 s[8:9], s[10:11]
	s_cbranch_execz .LBB788_8
; %bb.7:
	global_load_dwordx2 v[2:3], v[70:71], off offset:1536
	global_load_dwordx2 v[30:31], v[68:69], off offset:1536
.LBB788_8:
	s_or_b64 exec, exec, s[8:9]
	v_or_b32_e32 v4, 0x100, v26
	v_cmp_gt_i32_e64 s[8:9], s30, v4
	v_pk_mov_b32 v[6:7], 0, 0
	s_and_b64 s[12:13], s[36:37], s[8:9]
	v_pk_mov_b32 v[24:25], v[6:7], v[6:7] op_sel:[0,1]
	v_pk_mov_b32 v[34:35], v[6:7], v[6:7] op_sel:[0,1]
	s_and_saveexec_b64 s[10:11], s[12:13]
	s_cbranch_execz .LBB788_10
; %bb.9:
	global_load_dwordx2 v[24:25], v[70:71], off offset:2048
	global_load_dwordx2 v[34:35], v[68:69], off offset:2048
.LBB788_10:
	s_or_b64 exec, exec, s[10:11]
	v_or_b32_e32 v4, 0x140, v26
	v_cmp_gt_i32_e64 s[10:11], s30, v4
	s_and_b64 s[14:15], s[36:37], s[10:11]
	v_pk_mov_b32 v[36:37], v[6:7], v[6:7] op_sel:[0,1]
	s_and_saveexec_b64 s[12:13], s[14:15]
	s_cbranch_execz .LBB788_12
; %bb.11:
	global_load_dwordx2 v[6:7], v[70:71], off offset:2560
	global_load_dwordx2 v[36:37], v[68:69], off offset:2560
.LBB788_12:
	s_or_b64 exec, exec, s[12:13]
	v_or_b32_e32 v4, 0x180, v26
	v_cmp_gt_i32_e64 s[12:13], s30, v4
	v_pk_mov_b32 v[8:9], 0, 0
	s_and_b64 s[16:17], s[36:37], s[12:13]
	v_pk_mov_b32 v[32:33], v[8:9], v[8:9] op_sel:[0,1]
	v_pk_mov_b32 v[38:39], v[8:9], v[8:9] op_sel:[0,1]
	s_and_saveexec_b64 s[14:15], s[16:17]
	s_cbranch_execz .LBB788_14
; %bb.13:
	global_load_dwordx2 v[32:33], v[70:71], off offset:3072
	global_load_dwordx2 v[38:39], v[68:69], off offset:3072
.LBB788_14:
	s_or_b64 exec, exec, s[14:15]
	v_or_b32_e32 v4, 0x1c0, v26
	v_cmp_gt_i32_e64 s[14:15], s30, v4
	s_and_b64 s[18:19], s[36:37], s[14:15]
	v_pk_mov_b32 v[40:41], v[8:9], v[8:9] op_sel:[0,1]
	s_and_saveexec_b64 s[16:17], s[18:19]
	s_cbranch_execz .LBB788_16
; %bb.15:
	global_load_dwordx2 v[8:9], v[70:71], off offset:3584
	global_load_dwordx2 v[40:41], v[68:69], off offset:3584
.LBB788_16:
	s_or_b64 exec, exec, s[16:17]
	v_or_b32_e32 v4, 0x200, v26
	v_cmp_gt_i32_e64 s[16:17], s30, v4
	v_pk_mov_b32 v[4:5], 0, 0
	s_and_b64 s[20:21], s[36:37], s[16:17]
	v_pk_mov_b32 v[42:43], v[4:5], v[4:5] op_sel:[0,1]
	v_pk_mov_b32 v[46:47], v[4:5], v[4:5] op_sel:[0,1]
	s_and_saveexec_b64 s[18:19], s[20:21]
	s_cbranch_execz .LBB788_18
; %bb.17:
	v_add_co_u32_e32 v10, vcc, 0x1000, v70
	v_addc_co_u32_e32 v11, vcc, 0, v71, vcc
	global_load_dwordx2 v[42:43], v[10:11], off
	v_add_co_u32_e32 v10, vcc, 0x1000, v68
	v_addc_co_u32_e32 v11, vcc, 0, v69, vcc
	global_load_dwordx2 v[46:47], v[10:11], off
.LBB788_18:
	s_or_b64 exec, exec, s[18:19]
	v_or_b32_e32 v10, 0x240, v26
	v_cmp_gt_i32_e64 s[18:19], s30, v10
	s_and_b64 s[22:23], s[36:37], s[18:19]
	v_pk_mov_b32 v[48:49], v[4:5], v[4:5] op_sel:[0,1]
	s_and_saveexec_b64 s[20:21], s[22:23]
	s_cbranch_execz .LBB788_20
; %bb.19:
	v_add_co_u32_e32 v4, vcc, 0x1000, v70
	v_addc_co_u32_e32 v5, vcc, 0, v71, vcc
	v_add_co_u32_e32 v10, vcc, 0x1000, v68
	v_addc_co_u32_e32 v11, vcc, 0, v69, vcc
	global_load_dwordx2 v[4:5], v[4:5], off offset:512
	s_nop 0
	global_load_dwordx2 v[48:49], v[10:11], off offset:512
.LBB788_20:
	s_or_b64 exec, exec, s[20:21]
	v_or_b32_e32 v10, 0x280, v26
	v_cmp_gt_i32_e64 s[20:21], s30, v10
	v_pk_mov_b32 v[10:11], 0, 0
	s_and_b64 s[24:25], s[36:37], s[20:21]
	v_pk_mov_b32 v[44:45], v[10:11], v[10:11] op_sel:[0,1]
	v_pk_mov_b32 v[52:53], v[10:11], v[10:11] op_sel:[0,1]
	s_and_saveexec_b64 s[22:23], s[24:25]
	s_cbranch_execz .LBB788_22
; %bb.21:
	v_add_co_u32_e32 v14, vcc, 0x1000, v70
	v_addc_co_u32_e32 v15, vcc, 0, v71, vcc
	global_load_dwordx2 v[44:45], v[14:15], off offset:1024
	v_add_co_u32_e32 v14, vcc, 0x1000, v68
	v_addc_co_u32_e32 v15, vcc, 0, v69, vcc
	global_load_dwordx2 v[52:53], v[14:15], off offset:1024
.LBB788_22:
	s_or_b64 exec, exec, s[22:23]
	v_or_b32_e32 v14, 0x2c0, v26
	v_cmp_gt_i32_e64 s[22:23], s30, v14
	s_and_b64 s[26:27], s[36:37], s[22:23]
	v_pk_mov_b32 v[54:55], v[10:11], v[10:11] op_sel:[0,1]
	s_and_saveexec_b64 s[24:25], s[26:27]
	s_cbranch_execz .LBB788_24
; %bb.23:
	v_add_co_u32_e32 v10, vcc, 0x1000, v70
	v_addc_co_u32_e32 v11, vcc, 0, v71, vcc
	v_add_co_u32_e32 v14, vcc, 0x1000, v68
	v_addc_co_u32_e32 v15, vcc, 0, v69, vcc
	global_load_dwordx2 v[10:11], v[10:11], off offset:1536
	s_nop 0
	global_load_dwordx2 v[54:55], v[14:15], off offset:1536
.LBB788_24:
	s_or_b64 exec, exec, s[24:25]
	v_or_b32_e32 v14, 0x300, v26
	v_cmp_gt_i32_e64 s[24:25], s30, v14
	v_pk_mov_b32 v[14:15], 0, 0
	s_and_b64 s[28:29], s[36:37], s[24:25]
	v_pk_mov_b32 v[50:51], v[14:15], v[14:15] op_sel:[0,1]
	v_pk_mov_b32 v[58:59], v[14:15], v[14:15] op_sel:[0,1]
	s_and_saveexec_b64 s[26:27], s[28:29]
	s_cbranch_execz .LBB788_26
; %bb.25:
	v_add_co_u32_e32 v50, vcc, 0x1000, v70
	v_addc_co_u32_e32 v51, vcc, 0, v71, vcc
	v_add_co_u32_e32 v56, vcc, 0x1000, v68
	v_addc_co_u32_e32 v57, vcc, 0, v69, vcc
	global_load_dwordx2 v[50:51], v[50:51], off offset:2048
	s_nop 0
	global_load_dwordx2 v[58:59], v[56:57], off offset:2048
.LBB788_26:
	s_or_b64 exec, exec, s[26:27]
	v_or_b32_e32 v27, 0x340, v26
	v_cmp_gt_i32_e64 s[26:27], s30, v27
	s_and_b64 s[38:39], s[36:37], s[26:27]
	v_pk_mov_b32 v[60:61], v[14:15], v[14:15] op_sel:[0,1]
	s_and_saveexec_b64 s[28:29], s[38:39]
	s_cbranch_execz .LBB788_28
; %bb.27:
	v_add_co_u32_e32 v14, vcc, 0x1000, v70
	v_addc_co_u32_e32 v15, vcc, 0, v71, vcc
	v_add_co_u32_e32 v56, vcc, 0x1000, v68
	v_addc_co_u32_e32 v57, vcc, 0, v69, vcc
	global_load_dwordx2 v[14:15], v[14:15], off offset:2560
	s_nop 0
	global_load_dwordx2 v[60:61], v[56:57], off offset:2560
.LBB788_28:
	s_or_b64 exec, exec, s[28:29]
	v_or_b32_e32 v26, 0x380, v26
	v_cmp_gt_i32_e64 s[28:29], s30, v26
	v_pk_mov_b32 v[26:27], 0, 0
	s_and_b64 s[42:43], s[36:37], s[28:29]
	v_pk_mov_b32 v[56:57], v[26:27], v[26:27] op_sel:[0,1]
	v_pk_mov_b32 v[62:63], v[26:27], v[26:27] op_sel:[0,1]
	s_and_saveexec_b64 s[38:39], s[42:43]
	s_cbranch_execz .LBB788_30
; %bb.29:
	v_add_co_u32_e32 v56, vcc, 0x1000, v70
	v_addc_co_u32_e32 v57, vcc, 0, v71, vcc
	v_add_co_u32_e32 v62, vcc, 0x1000, v68
	v_addc_co_u32_e32 v63, vcc, 0, v69, vcc
	global_load_dwordx2 v[56:57], v[56:57], off offset:3072
	s_nop 0
	global_load_dwordx2 v[62:63], v[62:63], off offset:3072
.LBB788_30:
	s_or_b64 exec, exec, s[38:39]
	v_or_b32_e32 v64, 0x3c0, v64
	v_cmp_gt_i32_e64 s[30:31], s30, v64
	s_and_b64 s[38:39], s[36:37], s[30:31]
	v_pk_mov_b32 v[64:65], v[26:27], v[26:27] op_sel:[0,1]
	s_and_saveexec_b64 s[36:37], s[38:39]
	s_cbranch_execz .LBB788_32
; %bb.31:
	v_add_co_u32_e32 v26, vcc, 0x1000, v70
	v_addc_co_u32_e32 v27, vcc, 0, v71, vcc
	v_add_co_u32_e32 v64, vcc, 0x1000, v68
	v_addc_co_u32_e32 v65, vcc, 0, v69, vcc
	global_load_dwordx2 v[26:27], v[26:27], off offset:3584
	s_nop 0
	global_load_dwordx2 v[64:65], v[64:65], off offset:3584
.LBB788_32:
	s_or_b64 exec, exec, s[36:37]
	s_load_dwordx2 s[4:5], s[4:5], 0x28
	s_waitcnt lgkmcnt(0)
	v_add_co_u32_e32 v66, vcc, s4, v66
	v_mov_b32_e32 v68, s5
	v_addc_co_u32_e32 v67, vcc, v68, v67, vcc
	global_load_ubyte v68, v[66:67], off
	global_load_ubyte v70, v[66:67], off offset:64
	s_waitcnt vmcnt(1)
	v_and_b32_e32 v68, 1, v68
	v_cmp_eq_u32_e32 vcc, 1, v68
	v_add_f64 v[68:69], v[16:17], 0
	v_cndmask_b32_e64 v69, v69, 0, vcc
	v_cndmask_b32_e64 v68, v68, 0, vcc
	s_waitcnt vmcnt(0)
	v_and_b32_e32 v70, 1, v70
	v_cmp_eq_u32_e64 s[4:5], 1, v70
	v_add_f64 v[70:71], v[68:69], v[0:1]
	v_cndmask_b32_e64 v68, v70, v68, s[4:5]
	global_load_ubyte v70, v[66:67], off offset:128
	v_cndmask_b32_e64 v69, v71, v69, s[4:5]
	s_waitcnt vmcnt(0)
	v_and_b32_e32 v70, 1, v70
	v_cmp_eq_u32_e64 s[4:5], 1, v70
	v_add_f64 v[70:71], v[68:69], v[20:21]
	v_cndmask_b32_e64 v68, v70, v68, s[4:5]
	global_load_ubyte v70, v[66:67], off offset:192
	v_cndmask_b32_e64 v69, v71, v69, s[4:5]
	;; [unrolled: 7-line block ×14, first 2 shown]
	s_waitcnt vmcnt(0)
	v_and_b32_e32 v70, 1, v70
	v_cmp_eq_u32_e64 s[4:5], 1, v70
	v_add_f64 v[70:71], v[68:69], v[26:27]
	v_cndmask_b32_e64 v68, v70, v68, s[4:5]
	v_mbcnt_lo_u32_b32 v70, -1, 0
	v_mbcnt_hi_u32_b32 v73, -1, v70
	v_and_b32_e32 v70, 64, v73
	v_add_u32_e32 v74, 64, v70
	v_xor_b32_e32 v70, 32, v73
	v_cndmask_b32_e64 v69, v71, v69, s[4:5]
	v_cmp_lt_i32_e64 s[4:5], v70, v74
	v_cndmask_b32_e64 v70, v73, v70, s[4:5]
	v_lshlrev_b32_e32 v71, 2, v70
	ds_bpermute_b32 v70, v71, v68
	ds_bpermute_b32 v71, v71, v69
	s_waitcnt lgkmcnt(0)
	v_add_f64 v[68:69], v[68:69], v[70:71]
	v_xor_b32_e32 v70, 16, v73
	v_cmp_lt_i32_e64 s[4:5], v70, v74
	v_cndmask_b32_e64 v70, v73, v70, s[4:5]
	v_lshlrev_b32_e32 v71, 2, v70
	ds_bpermute_b32 v70, v71, v68
	ds_bpermute_b32 v71, v71, v69
	s_waitcnt lgkmcnt(0)
	v_add_f64 v[68:69], v[68:69], v[70:71]
	v_xor_b32_e32 v70, 8, v73
	;; [unrolled: 8-line block ×5, first 2 shown]
	v_cmp_lt_i32_e64 s[4:5], v70, v74
	v_cndmask_b32_e64 v70, v73, v70, s[4:5]
	v_lshlrev_b32_e32 v71, 2, v70
	ds_bpermute_b32 v70, v71, v68
	ds_bpermute_b32 v71, v71, v69
	v_cmp_lt_i32_e64 s[4:5], 0, v72
	s_and_saveexec_b64 s[36:37], s[4:5]
	s_cbranch_execz .LBB788_50
; %bb.33:
	s_waitcnt lgkmcnt(0)
	v_add_f64 v[68:69], v[68:69], v[70:71]
	v_mov_b32_e32 v70, s41
	v_add_co_u32_e64 v12, s[4:5], s40, v12
	v_addc_co_u32_e64 v13, s[4:5], v70, v13, s[4:5]
	s_and_saveexec_b64 s[4:5], s[0:1]
	s_cbranch_execnz .LBB788_51
; %bb.34:
	s_or_b64 exec, exec, s[4:5]
	s_and_saveexec_b64 s[0:1], s[2:3]
	s_cbranch_execnz .LBB788_52
.LBB788_35:
	s_or_b64 exec, exec, s[0:1]
	s_and_saveexec_b64 s[0:1], s[34:35]
	s_cbranch_execnz .LBB788_53
.LBB788_36:
	s_or_b64 exec, exec, s[0:1]
	s_and_saveexec_b64 s[0:1], s[6:7]
	s_cbranch_execnz .LBB788_54
.LBB788_37:
	s_or_b64 exec, exec, s[0:1]
	s_and_saveexec_b64 s[0:1], s[8:9]
	s_cbranch_execnz .LBB788_55
.LBB788_38:
	s_or_b64 exec, exec, s[0:1]
	s_and_saveexec_b64 s[0:1], s[10:11]
	s_cbranch_execnz .LBB788_56
.LBB788_39:
	s_or_b64 exec, exec, s[0:1]
	s_and_saveexec_b64 s[0:1], s[12:13]
	s_cbranch_execnz .LBB788_57
.LBB788_40:
	s_or_b64 exec, exec, s[0:1]
	s_and_saveexec_b64 s[0:1], s[14:15]
	s_cbranch_execnz .LBB788_58
.LBB788_41:
	s_or_b64 exec, exec, s[0:1]
	s_and_saveexec_b64 s[2:3], s[16:17]
	s_cbranch_execnz .LBB788_59
.LBB788_42:
	s_or_b64 exec, exec, s[2:3]
	s_and_saveexec_b64 s[2:3], s[18:19]
	s_cbranch_execnz .LBB788_60
.LBB788_43:
	s_or_b64 exec, exec, s[2:3]
	s_and_saveexec_b64 s[2:3], s[20:21]
	s_cbranch_execnz .LBB788_61
.LBB788_44:
	s_or_b64 exec, exec, s[2:3]
	s_and_saveexec_b64 s[2:3], s[22:23]
	s_cbranch_execnz .LBB788_62
.LBB788_45:
	s_or_b64 exec, exec, s[2:3]
	s_and_saveexec_b64 s[2:3], s[24:25]
	s_cbranch_execnz .LBB788_63
.LBB788_46:
	s_or_b64 exec, exec, s[2:3]
	s_and_saveexec_b64 s[2:3], s[26:27]
	s_cbranch_execnz .LBB788_64
.LBB788_47:
	s_or_b64 exec, exec, s[2:3]
	s_and_saveexec_b64 s[2:3], s[28:29]
	s_cbranch_execnz .LBB788_65
.LBB788_48:
	s_or_b64 exec, exec, s[2:3]
	s_and_b64 exec, exec, s[30:31]
	s_cbranch_execz .LBB788_50
.LBB788_49:
	global_load_ubyte v3, v[66:67], off offset:960
	v_fma_f64 v[0:1], -v[68:69], v[64:65], v[26:27]
	v_add_co_u32_e32 v2, vcc, 0x1000, v12
	s_waitcnt vmcnt(0)
	v_and_b32_e32 v3, 1, v3
	v_cmp_eq_u32_e64 s[0:1], 1, v3
	v_cndmask_b32_e64 v1, v1, 0, s[0:1]
	v_cndmask_b32_e64 v0, v0, 0, s[0:1]
	v_addc_co_u32_e32 v3, vcc, 0, v13, vcc
	global_store_dwordx2 v[2:3], v[0:1], off offset:3584
.LBB788_50:
	s_endpgm
.LBB788_51:
	v_fma_f64 v[16:17], -v[68:69], v[18:19], v[16:17]
	v_cndmask_b32_e64 v17, v17, 0, vcc
	v_cndmask_b32_e64 v16, v16, 0, vcc
	global_store_dwordx2 v[12:13], v[16:17], off
	s_or_b64 exec, exec, s[4:5]
	s_and_saveexec_b64 s[0:1], s[2:3]
	s_cbranch_execz .LBB788_35
.LBB788_52:
	global_load_ubyte v16, v[66:67], off offset:64
	v_fma_f64 v[0:1], -v[68:69], v[22:23], v[0:1]
	s_waitcnt vmcnt(0)
	v_and_b32_e32 v16, 1, v16
	v_cmp_eq_u32_e32 vcc, 1, v16
	v_cndmask_b32_e64 v1, v1, 0, vcc
	v_cndmask_b32_e64 v0, v0, 0, vcc
	global_store_dwordx2 v[12:13], v[0:1], off offset:512
	s_or_b64 exec, exec, s[0:1]
	s_and_saveexec_b64 s[0:1], s[34:35]
	s_cbranch_execz .LBB788_36
.LBB788_53:
	global_load_ubyte v16, v[66:67], off offset:128
	v_fma_f64 v[0:1], -v[68:69], v[28:29], v[20:21]
	s_waitcnt vmcnt(0)
	v_and_b32_e32 v16, 1, v16
	v_cmp_eq_u32_e32 vcc, 1, v16
	v_cndmask_b32_e64 v1, v1, 0, vcc
	v_cndmask_b32_e64 v0, v0, 0, vcc
	global_store_dwordx2 v[12:13], v[0:1], off offset:1024
	s_or_b64 exec, exec, s[0:1]
	s_and_saveexec_b64 s[0:1], s[6:7]
	s_cbranch_execz .LBB788_37
.LBB788_54:
	global_load_ubyte v16, v[66:67], off offset:192
	v_fma_f64 v[0:1], -v[68:69], v[30:31], v[2:3]
	s_waitcnt vmcnt(0)
	v_and_b32_e32 v2, 1, v16
	v_cmp_eq_u32_e32 vcc, 1, v2
	v_cndmask_b32_e64 v1, v1, 0, vcc
	v_cndmask_b32_e64 v0, v0, 0, vcc
	global_store_dwordx2 v[12:13], v[0:1], off offset:1536
	s_or_b64 exec, exec, s[0:1]
	s_and_saveexec_b64 s[0:1], s[8:9]
	s_cbranch_execz .LBB788_38
.LBB788_55:
	global_load_ubyte v2, v[66:67], off offset:256
	v_fma_f64 v[0:1], -v[68:69], v[34:35], v[24:25]
	s_waitcnt vmcnt(0)
	v_and_b32_e32 v2, 1, v2
	v_cmp_eq_u32_e32 vcc, 1, v2
	v_cndmask_b32_e64 v1, v1, 0, vcc
	v_cndmask_b32_e64 v0, v0, 0, vcc
	global_store_dwordx2 v[12:13], v[0:1], off offset:2048
	s_or_b64 exec, exec, s[0:1]
	s_and_saveexec_b64 s[0:1], s[10:11]
	s_cbranch_execz .LBB788_39
.LBB788_56:
	global_load_ubyte v2, v[66:67], off offset:320
	v_fma_f64 v[0:1], -v[68:69], v[36:37], v[6:7]
	s_waitcnt vmcnt(0)
	v_and_b32_e32 v2, 1, v2
	v_cmp_eq_u32_e32 vcc, 1, v2
	v_cndmask_b32_e64 v1, v1, 0, vcc
	v_cndmask_b32_e64 v0, v0, 0, vcc
	global_store_dwordx2 v[12:13], v[0:1], off offset:2560
	s_or_b64 exec, exec, s[0:1]
	s_and_saveexec_b64 s[0:1], s[12:13]
	s_cbranch_execz .LBB788_40
.LBB788_57:
	global_load_ubyte v2, v[66:67], off offset:384
	v_fma_f64 v[0:1], -v[68:69], v[38:39], v[32:33]
	s_waitcnt vmcnt(0)
	v_and_b32_e32 v2, 1, v2
	v_cmp_eq_u32_e32 vcc, 1, v2
	v_cndmask_b32_e64 v1, v1, 0, vcc
	v_cndmask_b32_e64 v0, v0, 0, vcc
	global_store_dwordx2 v[12:13], v[0:1], off offset:3072
	s_or_b64 exec, exec, s[0:1]
	s_and_saveexec_b64 s[0:1], s[14:15]
	s_cbranch_execz .LBB788_41
.LBB788_58:
	global_load_ubyte v2, v[66:67], off offset:448
	v_fma_f64 v[0:1], -v[68:69], v[40:41], v[8:9]
	s_waitcnt vmcnt(0)
	v_and_b32_e32 v2, 1, v2
	v_cmp_eq_u32_e32 vcc, 1, v2
	v_cndmask_b32_e64 v1, v1, 0, vcc
	v_cndmask_b32_e64 v0, v0, 0, vcc
	global_store_dwordx2 v[12:13], v[0:1], off offset:3584
	s_or_b64 exec, exec, s[0:1]
	s_and_saveexec_b64 s[2:3], s[16:17]
	s_cbranch_execz .LBB788_42
.LBB788_59:
	global_load_ubyte v3, v[66:67], off offset:512
	v_fma_f64 v[0:1], -v[68:69], v[46:47], v[42:43]
	v_add_co_u32_e32 v2, vcc, 0x1000, v12
	s_waitcnt vmcnt(0)
	v_and_b32_e32 v3, 1, v3
	v_cmp_eq_u32_e64 s[0:1], 1, v3
	v_cndmask_b32_e64 v1, v1, 0, s[0:1]
	v_cndmask_b32_e64 v0, v0, 0, s[0:1]
	v_addc_co_u32_e32 v3, vcc, 0, v13, vcc
	global_store_dwordx2 v[2:3], v[0:1], off
	s_or_b64 exec, exec, s[2:3]
	s_and_saveexec_b64 s[2:3], s[18:19]
	s_cbranch_execz .LBB788_43
.LBB788_60:
	global_load_ubyte v3, v[66:67], off offset:576
	v_fma_f64 v[0:1], -v[68:69], v[48:49], v[4:5]
	v_add_co_u32_e32 v2, vcc, 0x1000, v12
	s_waitcnt vmcnt(0)
	v_and_b32_e32 v3, 1, v3
	v_cmp_eq_u32_e64 s[0:1], 1, v3
	v_cndmask_b32_e64 v1, v1, 0, s[0:1]
	v_cndmask_b32_e64 v0, v0, 0, s[0:1]
	v_addc_co_u32_e32 v3, vcc, 0, v13, vcc
	global_store_dwordx2 v[2:3], v[0:1], off offset:512
	s_or_b64 exec, exec, s[2:3]
	s_and_saveexec_b64 s[2:3], s[20:21]
	s_cbranch_execz .LBB788_44
.LBB788_61:
	global_load_ubyte v3, v[66:67], off offset:640
	v_fma_f64 v[0:1], -v[68:69], v[52:53], v[44:45]
	v_add_co_u32_e32 v2, vcc, 0x1000, v12
	s_waitcnt vmcnt(0)
	v_and_b32_e32 v3, 1, v3
	v_cmp_eq_u32_e64 s[0:1], 1, v3
	v_cndmask_b32_e64 v1, v1, 0, s[0:1]
	v_cndmask_b32_e64 v0, v0, 0, s[0:1]
	v_addc_co_u32_e32 v3, vcc, 0, v13, vcc
	global_store_dwordx2 v[2:3], v[0:1], off offset:1024
	s_or_b64 exec, exec, s[2:3]
	s_and_saveexec_b64 s[2:3], s[22:23]
	s_cbranch_execz .LBB788_45
.LBB788_62:
	global_load_ubyte v3, v[66:67], off offset:704
	v_fma_f64 v[0:1], -v[68:69], v[54:55], v[10:11]
	v_add_co_u32_e32 v2, vcc, 0x1000, v12
	s_waitcnt vmcnt(0)
	v_and_b32_e32 v3, 1, v3
	v_cmp_eq_u32_e64 s[0:1], 1, v3
	v_cndmask_b32_e64 v1, v1, 0, s[0:1]
	v_cndmask_b32_e64 v0, v0, 0, s[0:1]
	v_addc_co_u32_e32 v3, vcc, 0, v13, vcc
	global_store_dwordx2 v[2:3], v[0:1], off offset:1536
	s_or_b64 exec, exec, s[2:3]
	s_and_saveexec_b64 s[2:3], s[24:25]
	s_cbranch_execz .LBB788_46
.LBB788_63:
	global_load_ubyte v3, v[66:67], off offset:768
	v_fma_f64 v[0:1], -v[68:69], v[58:59], v[50:51]
	v_add_co_u32_e32 v2, vcc, 0x1000, v12
	s_waitcnt vmcnt(0)
	v_and_b32_e32 v3, 1, v3
	v_cmp_eq_u32_e64 s[0:1], 1, v3
	v_cndmask_b32_e64 v1, v1, 0, s[0:1]
	v_cndmask_b32_e64 v0, v0, 0, s[0:1]
	v_addc_co_u32_e32 v3, vcc, 0, v13, vcc
	global_store_dwordx2 v[2:3], v[0:1], off offset:2048
	s_or_b64 exec, exec, s[2:3]
	s_and_saveexec_b64 s[2:3], s[26:27]
	s_cbranch_execz .LBB788_47
.LBB788_64:
	global_load_ubyte v3, v[66:67], off offset:832
	v_fma_f64 v[0:1], -v[68:69], v[60:61], v[14:15]
	v_add_co_u32_e32 v2, vcc, 0x1000, v12
	s_waitcnt vmcnt(0)
	v_and_b32_e32 v3, 1, v3
	v_cmp_eq_u32_e64 s[0:1], 1, v3
	v_cndmask_b32_e64 v1, v1, 0, s[0:1]
	v_cndmask_b32_e64 v0, v0, 0, s[0:1]
	v_addc_co_u32_e32 v3, vcc, 0, v13, vcc
	global_store_dwordx2 v[2:3], v[0:1], off offset:2560
	s_or_b64 exec, exec, s[2:3]
	s_and_saveexec_b64 s[2:3], s[28:29]
	s_cbranch_execz .LBB788_48
.LBB788_65:
	global_load_ubyte v3, v[66:67], off offset:896
	v_fma_f64 v[0:1], -v[68:69], v[62:63], v[56:57]
	v_add_co_u32_e32 v2, vcc, 0x1000, v12
	s_waitcnt vmcnt(0)
	v_and_b32_e32 v3, 1, v3
	v_cmp_eq_u32_e64 s[0:1], 1, v3
	v_cndmask_b32_e64 v1, v1, 0, s[0:1]
	v_cndmask_b32_e64 v0, v0, 0, s[0:1]
	v_addc_co_u32_e32 v3, vcc, 0, v13, vcc
	global_store_dwordx2 v[2:3], v[0:1], off offset:3072
	s_or_b64 exec, exec, s[2:3]
	s_and_b64 exec, exec, s[30:31]
	s_cbranch_execnz .LBB788_49
	s_branch .LBB788_50
	.section	.rodata,"a",@progbits
	.p2align	6, 0x0
	.amdhsa_kernel _ZN12_GLOBAL__N_121softmax_warp_backwardIdddLi10ELb0ELb1ELi64EEEvPT0_PKT_S5_iiiPKb
		.amdhsa_group_segment_fixed_size 0
		.amdhsa_private_segment_fixed_size 0
		.amdhsa_kernarg_size 304
		.amdhsa_user_sgpr_count 6
		.amdhsa_user_sgpr_private_segment_buffer 1
		.amdhsa_user_sgpr_dispatch_ptr 0
		.amdhsa_user_sgpr_queue_ptr 0
		.amdhsa_user_sgpr_kernarg_segment_ptr 1
		.amdhsa_user_sgpr_dispatch_id 0
		.amdhsa_user_sgpr_flat_scratch_init 0
		.amdhsa_user_sgpr_kernarg_preload_length 0
		.amdhsa_user_sgpr_kernarg_preload_offset 0
		.amdhsa_user_sgpr_private_segment_size 0
		.amdhsa_uses_dynamic_stack 0
		.amdhsa_system_sgpr_private_segment_wavefront_offset 0
		.amdhsa_system_sgpr_workgroup_id_x 1
		.amdhsa_system_sgpr_workgroup_id_y 0
		.amdhsa_system_sgpr_workgroup_id_z 0
		.amdhsa_system_sgpr_workgroup_info 0
		.amdhsa_system_vgpr_workitem_id 1
		.amdhsa_next_free_vgpr 75
		.amdhsa_next_free_sgpr 44
		.amdhsa_accum_offset 76
		.amdhsa_reserve_vcc 1
		.amdhsa_reserve_flat_scratch 0
		.amdhsa_float_round_mode_32 0
		.amdhsa_float_round_mode_16_64 0
		.amdhsa_float_denorm_mode_32 3
		.amdhsa_float_denorm_mode_16_64 3
		.amdhsa_dx10_clamp 1
		.amdhsa_ieee_mode 1
		.amdhsa_fp16_overflow 0
		.amdhsa_tg_split 0
		.amdhsa_exception_fp_ieee_invalid_op 0
		.amdhsa_exception_fp_denorm_src 0
		.amdhsa_exception_fp_ieee_div_zero 0
		.amdhsa_exception_fp_ieee_overflow 0
		.amdhsa_exception_fp_ieee_underflow 0
		.amdhsa_exception_fp_ieee_inexact 0
		.amdhsa_exception_int_div_zero 0
	.end_amdhsa_kernel
	.section	.text._ZN12_GLOBAL__N_121softmax_warp_backwardIdddLi10ELb0ELb1ELi64EEEvPT0_PKT_S5_iiiPKb,"axG",@progbits,_ZN12_GLOBAL__N_121softmax_warp_backwardIdddLi10ELb0ELb1ELi64EEEvPT0_PKT_S5_iiiPKb,comdat
.Lfunc_end788:
	.size	_ZN12_GLOBAL__N_121softmax_warp_backwardIdddLi10ELb0ELb1ELi64EEEvPT0_PKT_S5_iiiPKb, .Lfunc_end788-_ZN12_GLOBAL__N_121softmax_warp_backwardIdddLi10ELb0ELb1ELi64EEEvPT0_PKT_S5_iiiPKb
                                        ; -- End function
	.section	.AMDGPU.csdata,"",@progbits
; Kernel info:
; codeLenInByte = 3828
; NumSgprs: 48
; NumVgprs: 75
; NumAgprs: 0
; TotalNumVgprs: 75
; ScratchSize: 0
; MemoryBound: 0
; FloatMode: 240
; IeeeMode: 1
; LDSByteSize: 0 bytes/workgroup (compile time only)
; SGPRBlocks: 5
; VGPRBlocks: 9
; NumSGPRsForWavesPerEU: 48
; NumVGPRsForWavesPerEU: 75
; AccumOffset: 76
; Occupancy: 6
; WaveLimiterHint : 0
; COMPUTE_PGM_RSRC2:SCRATCH_EN: 0
; COMPUTE_PGM_RSRC2:USER_SGPR: 6
; COMPUTE_PGM_RSRC2:TRAP_HANDLER: 0
; COMPUTE_PGM_RSRC2:TGID_X_EN: 1
; COMPUTE_PGM_RSRC2:TGID_Y_EN: 0
; COMPUTE_PGM_RSRC2:TGID_Z_EN: 0
; COMPUTE_PGM_RSRC2:TIDIG_COMP_CNT: 1
; COMPUTE_PGM_RSRC3_GFX90A:ACCUM_OFFSET: 18
; COMPUTE_PGM_RSRC3_GFX90A:TG_SPLIT: 0
	.section	.text._ZN12_GLOBAL__N_121softmax_warp_backwardIdddLi10ELb0ELb1ELi32EEEvPT0_PKT_S5_iiiPKb,"axG",@progbits,_ZN12_GLOBAL__N_121softmax_warp_backwardIdddLi10ELb0ELb1ELi32EEEvPT0_PKT_S5_iiiPKb,comdat
	.globl	_ZN12_GLOBAL__N_121softmax_warp_backwardIdddLi10ELb0ELb1ELi32EEEvPT0_PKT_S5_iiiPKb ; -- Begin function _ZN12_GLOBAL__N_121softmax_warp_backwardIdddLi10ELb0ELb1ELi32EEEvPT0_PKT_S5_iiiPKb
	.p2align	8
	.type	_ZN12_GLOBAL__N_121softmax_warp_backwardIdddLi10ELb0ELb1ELi32EEEvPT0_PKT_S5_iiiPKb,@function
_ZN12_GLOBAL__N_121softmax_warp_backwardIdddLi10ELb0ELb1ELi32EEEvPT0_PKT_S5_iiiPKb: ; @_ZN12_GLOBAL__N_121softmax_warp_backwardIdddLi10ELb0ELb1ELi32EEEvPT0_PKT_S5_iiiPKb
; %bb.0:
	s_mov_b64 s[98:99], s[2:3]
	s_mov_b64 s[96:97], s[0:1]
	s_add_u32 s96, s96, s7
	s_load_dword s7, s[4:5], 0x3c
	s_load_dwordx4 s[0:3], s[4:5], 0x18
	s_load_dwordx4 s[12:15], s[4:5], 0x0
	s_load_dwordx2 s[8:9], s[4:5], 0x10
	s_addc_u32 s97, s97, 0
	s_waitcnt lgkmcnt(0)
	s_lshr_b32 s3, s7, 16
	s_mul_i32 s6, s6, s3
	v_bfe_u32 v1, v0, 10, 10
	v_and_b32_e32 v12, 0x3ff, v0
	v_add_u32_e32 v1, s6, v1
	v_and_b32_e32 v8, 31, v12
	v_sub_u32_e32 v126, s0, v1
	v_mad_u64_u32 v[16:17], s[0:1], v1, s1, v[8:9]
	v_ashrrev_i32_e32 v17, 31, v16
	v_lshlrev_b64 v[2:3], 3, v[16:17]
	s_mov_b64 s[0:1], s[12:13]
                                        ; implicit-def: $vgpr127 : SGPR spill to VGPR lane
	v_mov_b32_e32 v0, s15
	v_writelane_b32 v127, s0, 0
	v_add_co_u32_e32 v24, vcc, s14, v2
	v_writelane_b32 v127, s1, 1
	v_addc_co_u32_e32 v25, vcc, v0, v3, vcc
	v_writelane_b32 v127, s2, 2
	v_mov_b32_e32 v0, s9
	v_add_co_u32_e32 v20, vcc, s8, v2
	v_writelane_b32 v127, s3, 3
	v_addc_co_u32_e32 v21, vcc, v0, v3, vcc
	v_cmp_lt_i32_e64 s[0:1], 0, v126
	v_cmp_gt_i32_e64 s[38:39], s2, v8
	v_pk_mov_b32 v[0:1], 0, 0
	s_and_b64 s[8:9], s[0:1], s[38:39]
	v_pk_mov_b32 v[6:7], v[0:1], v[0:1] op_sel:[0,1]
	buffer_store_dword v0, off, s[96:99], 0 ; 4-byte Folded Spill
	s_nop 0
	buffer_store_dword v1, off, s[96:99], 0 offset:4 ; 4-byte Folded Spill
	s_and_saveexec_b64 s[6:7], s[8:9]
	s_cbranch_execz .LBB789_2
; %bb.1:
	global_load_dwordx2 v[6:7], v[24:25], off
	global_load_dwordx2 v[4:5], v[20:21], off
	s_waitcnt vmcnt(0)
	buffer_store_dword v4, off, s[96:99], 0 ; 4-byte Folded Spill
	s_nop 0
	buffer_store_dword v5, off, s[96:99], 0 offset:4 ; 4-byte Folded Spill
.LBB789_2:
	s_or_b64 exec, exec, s[6:7]
	v_or_b32_e32 v4, 32, v8
	v_cmp_gt_i32_e64 s[42:43], s2, v4
	s_and_b64 s[8:9], s[0:1], s[42:43]
	buffer_store_dword v0, off, s[96:99], 0 offset:8 ; 4-byte Folded Spill
	s_nop 0
	buffer_store_dword v1, off, s[96:99], 0 offset:12 ; 4-byte Folded Spill
	s_and_saveexec_b64 s[6:7], s[8:9]
	s_cbranch_execz .LBB789_4
; %bb.3:
	global_load_dwordx2 v[0:1], v[24:25], off offset:256
	global_load_dwordx2 v[4:5], v[20:21], off offset:256
	s_waitcnt vmcnt(0)
	buffer_store_dword v4, off, s[96:99], 0 offset:8 ; 4-byte Folded Spill
	s_nop 0
	buffer_store_dword v5, off, s[96:99], 0 offset:12 ; 4-byte Folded Spill
.LBB789_4:
	s_or_b64 exec, exec, s[6:7]
	v_or_b32_e32 v4, 64, v8
	v_cmp_gt_i32_e64 s[6:7], s2, v4
	v_writelane_b32 v127, s6, 4
	v_pk_mov_b32 v[4:5], 0, 0
	v_writelane_b32 v127, s7, 5
	s_and_b64 s[8:9], s[0:1], s[6:7]
	v_pk_mov_b32 v[14:15], v[4:5], v[4:5] op_sel:[0,1]
	buffer_store_dword v4, off, s[96:99], 0 offset:16 ; 4-byte Folded Spill
	s_nop 0
	buffer_store_dword v5, off, s[96:99], 0 offset:20 ; 4-byte Folded Spill
	s_and_saveexec_b64 s[6:7], s[8:9]
	s_cbranch_execz .LBB789_6
; %bb.5:
	global_load_dwordx2 v[14:15], v[24:25], off offset:512
	global_load_dwordx2 v[10:11], v[20:21], off offset:512
	s_waitcnt vmcnt(0)
	buffer_store_dword v10, off, s[96:99], 0 offset:16 ; 4-byte Folded Spill
	s_nop 0
	buffer_store_dword v11, off, s[96:99], 0 offset:20 ; 4-byte Folded Spill
.LBB789_6:
	s_or_b64 exec, exec, s[6:7]
	v_or_b32_e32 v9, 0x60, v8
	v_cmp_gt_i32_e64 s[6:7], s2, v9
	v_writelane_b32 v127, s6, 6
	v_writelane_b32 v127, s7, 7
	s_and_b64 s[8:9], s[0:1], s[6:7]
	buffer_store_dword v4, off, s[96:99], 0 offset:24 ; 4-byte Folded Spill
	s_nop 0
	buffer_store_dword v5, off, s[96:99], 0 offset:28 ; 4-byte Folded Spill
	s_and_saveexec_b64 s[6:7], s[8:9]
	s_cbranch_execz .LBB789_8
; %bb.7:
	global_load_dwordx2 v[4:5], v[24:25], off offset:768
	global_load_dwordx2 v[10:11], v[20:21], off offset:768
	s_waitcnt vmcnt(0)
	buffer_store_dword v10, off, s[96:99], 0 offset:24 ; 4-byte Folded Spill
	s_nop 0
	buffer_store_dword v11, off, s[96:99], 0 offset:28 ; 4-byte Folded Spill
.LBB789_8:
	s_or_b64 exec, exec, s[6:7]
	v_or_b32_e32 v9, 0x80, v8
	v_cmp_gt_i32_e64 s[6:7], s2, v9
	v_writelane_b32 v127, s6, 8
	v_pk_mov_b32 v[10:11], 0, 0
	v_writelane_b32 v127, s7, 9
	s_and_b64 s[8:9], s[0:1], s[6:7]
	v_pk_mov_b32 v[22:23], v[10:11], v[10:11] op_sel:[0,1]
	buffer_store_dword v10, off, s[96:99], 0 offset:32 ; 4-byte Folded Spill
	s_nop 0
	buffer_store_dword v11, off, s[96:99], 0 offset:36 ; 4-byte Folded Spill
	s_and_saveexec_b64 s[6:7], s[8:9]
	s_cbranch_execz .LBB789_10
; %bb.9:
	global_load_dwordx2 v[22:23], v[24:25], off offset:1024
	global_load_dwordx2 v[18:19], v[20:21], off offset:1024
	s_waitcnt vmcnt(0)
	buffer_store_dword v18, off, s[96:99], 0 offset:32 ; 4-byte Folded Spill
	s_nop 0
	buffer_store_dword v19, off, s[96:99], 0 offset:36 ; 4-byte Folded Spill
.LBB789_10:
	s_or_b64 exec, exec, s[6:7]
	v_or_b32_e32 v9, 0xa0, v8
	v_cmp_gt_i32_e64 s[6:7], s2, v9
	v_writelane_b32 v127, s6, 10
	v_writelane_b32 v127, s7, 11
	s_and_b64 s[8:9], s[0:1], s[6:7]
	v_pk_mov_b32 v[28:29], v[10:11], v[10:11] op_sel:[0,1]
	s_and_saveexec_b64 s[6:7], s[8:9]
	s_cbranch_execz .LBB789_12
; %bb.11:
	global_load_dwordx2 v[10:11], v[24:25], off offset:1280
	global_load_dwordx2 v[28:29], v[20:21], off offset:1280
.LBB789_12:
	s_or_b64 exec, exec, s[6:7]
	v_or_b32_e32 v9, 0xc0, v8
	v_cmp_gt_i32_e64 s[6:7], s2, v9
	v_writelane_b32 v127, s6, 12
	v_pk_mov_b32 v[18:19], 0, 0
	v_writelane_b32 v127, s7, 13
	s_and_b64 s[8:9], s[0:1], s[6:7]
	v_pk_mov_b32 v[30:31], v[18:19], v[18:19] op_sel:[0,1]
	v_pk_mov_b32 v[32:33], v[18:19], v[18:19] op_sel:[0,1]
	s_and_saveexec_b64 s[6:7], s[8:9]
	s_cbranch_execz .LBB789_14
; %bb.13:
	global_load_dwordx2 v[30:31], v[24:25], off offset:1536
	global_load_dwordx2 v[32:33], v[20:21], off offset:1536
.LBB789_14:
	s_or_b64 exec, exec, s[6:7]
	v_or_b32_e32 v9, 0xe0, v8
	v_cmp_gt_i32_e64 s[6:7], s2, v9
	v_writelane_b32 v127, s6, 14
	v_writelane_b32 v127, s7, 15
	s_and_b64 s[8:9], s[0:1], s[6:7]
	v_pk_mov_b32 v[36:37], v[18:19], v[18:19] op_sel:[0,1]
	s_and_saveexec_b64 s[6:7], s[8:9]
	s_cbranch_execz .LBB789_16
; %bb.15:
	global_load_dwordx2 v[18:19], v[24:25], off offset:1792
	global_load_dwordx2 v[36:37], v[20:21], off offset:1792
.LBB789_16:
	s_or_b64 exec, exec, s[6:7]
	v_or_b32_e32 v9, 0x100, v8
	v_cmp_gt_i32_e64 s[6:7], s2, v9
	v_writelane_b32 v127, s6, 16
	v_pk_mov_b32 v[26:27], 0, 0
	v_writelane_b32 v127, s7, 17
	s_and_b64 s[8:9], s[0:1], s[6:7]
	v_pk_mov_b32 v[38:39], v[26:27], v[26:27] op_sel:[0,1]
	v_pk_mov_b32 v[40:41], v[26:27], v[26:27] op_sel:[0,1]
	s_and_saveexec_b64 s[6:7], s[8:9]
	s_cbranch_execz .LBB789_18
; %bb.17:
	global_load_dwordx2 v[38:39], v[24:25], off offset:2048
	global_load_dwordx2 v[40:41], v[20:21], off offset:2048
.LBB789_18:
	;; [unrolled: 28-line block ×5, first 2 shown]
	s_or_b64 exec, exec, s[6:7]
	v_or_b32_e32 v9, 0x1e0, v8
	v_cmp_gt_i32_e64 s[6:7], s2, v9
	v_writelane_b32 v127, s6, 30
	v_writelane_b32 v127, s7, 31
	s_and_b64 s[8:9], s[0:1], s[6:7]
	v_pk_mov_b32 v[66:67], v[50:51], v[50:51] op_sel:[0,1]
	s_and_saveexec_b64 s[6:7], s[8:9]
	s_cbranch_execz .LBB789_32
; %bb.31:
	global_load_dwordx2 v[50:51], v[24:25], off offset:3840
	global_load_dwordx2 v[66:67], v[20:21], off offset:3840
.LBB789_32:
	s_or_b64 exec, exec, s[6:7]
	v_or_b32_e32 v9, 0x200, v8
	v_cmp_gt_i32_e64 s[6:7], s2, v9
	v_writelane_b32 v127, s6, 32
	v_pk_mov_b32 v[58:59], 0, 0
	v_writelane_b32 v127, s7, 33
	s_and_b64 s[8:9], s[0:1], s[6:7]
	v_pk_mov_b32 v[70:71], v[58:59], v[58:59] op_sel:[0,1]
	v_pk_mov_b32 v[72:73], v[58:59], v[58:59] op_sel:[0,1]
	s_and_saveexec_b64 s[6:7], s[8:9]
	s_cbranch_execz .LBB789_34
; %bb.33:
	v_add_co_u32_e32 v68, vcc, 0x1000, v24
	v_addc_co_u32_e32 v69, vcc, 0, v25, vcc
	global_load_dwordx2 v[70:71], v[68:69], off
	v_add_co_u32_e32 v68, vcc, 0x1000, v20
	v_addc_co_u32_e32 v69, vcc, 0, v21, vcc
	global_load_dwordx2 v[72:73], v[68:69], off
.LBB789_34:
	s_or_b64 exec, exec, s[6:7]
	v_or_b32_e32 v9, 0x220, v8
	v_cmp_gt_i32_e64 s[6:7], s2, v9
	v_writelane_b32 v127, s6, 34
	v_writelane_b32 v127, s7, 35
	s_and_b64 s[8:9], s[0:1], s[6:7]
	v_pk_mov_b32 v[74:75], v[58:59], v[58:59] op_sel:[0,1]
	s_and_saveexec_b64 s[6:7], s[8:9]
	s_cbranch_execz .LBB789_36
; %bb.35:
	v_add_co_u32_e32 v58, vcc, 0x1000, v24
	v_addc_co_u32_e32 v59, vcc, 0, v25, vcc
	v_add_co_u32_e32 v68, vcc, 0x1000, v20
	v_addc_co_u32_e32 v69, vcc, 0, v21, vcc
	global_load_dwordx2 v[58:59], v[58:59], off offset:256
	s_nop 0
	global_load_dwordx2 v[74:75], v[68:69], off offset:256
.LBB789_36:
	s_or_b64 exec, exec, s[6:7]
	v_or_b32_e32 v9, 0x240, v8
	v_cmp_gt_i32_e64 s[6:7], s2, v9
	v_writelane_b32 v127, s6, 36
	v_pk_mov_b32 v[68:69], 0, 0
	v_writelane_b32 v127, s7, 37
	s_and_b64 s[8:9], s[0:1], s[6:7]
	v_pk_mov_b32 v[76:77], v[68:69], v[68:69] op_sel:[0,1]
	v_pk_mov_b32 v[80:81], v[68:69], v[68:69] op_sel:[0,1]
	s_and_saveexec_b64 s[6:7], s[8:9]
	s_cbranch_execz .LBB789_38
; %bb.37:
	v_add_co_u32_e32 v76, vcc, 0x1000, v24
	v_addc_co_u32_e32 v77, vcc, 0, v25, vcc
	v_add_co_u32_e32 v78, vcc, 0x1000, v20
	v_addc_co_u32_e32 v79, vcc, 0, v21, vcc
	global_load_dwordx2 v[76:77], v[76:77], off offset:512
	s_nop 0
	global_load_dwordx2 v[80:81], v[78:79], off offset:512
.LBB789_38:
	s_or_b64 exec, exec, s[6:7]
	v_or_b32_e32 v9, 0x260, v8
	v_cmp_gt_i32_e64 s[6:7], s2, v9
	v_writelane_b32 v127, s6, 38
	v_writelane_b32 v127, s7, 39
	s_and_b64 s[8:9], s[0:1], s[6:7]
	v_pk_mov_b32 v[82:83], v[68:69], v[68:69] op_sel:[0,1]
	s_and_saveexec_b64 s[6:7], s[8:9]
	s_cbranch_execz .LBB789_40
; %bb.39:
	v_add_co_u32_e32 v68, vcc, 0x1000, v24
	v_addc_co_u32_e32 v69, vcc, 0, v25, vcc
	v_add_co_u32_e32 v78, vcc, 0x1000, v20
	v_addc_co_u32_e32 v79, vcc, 0, v21, vcc
	global_load_dwordx2 v[68:69], v[68:69], off offset:768
	s_nop 0
	global_load_dwordx2 v[82:83], v[78:79], off offset:768
.LBB789_40:
	s_or_b64 exec, exec, s[6:7]
	v_or_b32_e32 v9, 0x280, v8
	v_cmp_gt_i32_e64 s[6:7], s2, v9
	v_writelane_b32 v127, s6, 40
	v_pk_mov_b32 v[78:79], 0, 0
	v_writelane_b32 v127, s7, 41
	s_and_b64 s[8:9], s[0:1], s[6:7]
	v_pk_mov_b32 v[84:85], v[78:79], v[78:79] op_sel:[0,1]
	v_pk_mov_b32 v[88:89], v[78:79], v[78:79] op_sel:[0,1]
	s_and_saveexec_b64 s[6:7], s[8:9]
	s_cbranch_execz .LBB789_42
; %bb.41:
	v_add_co_u32_e32 v84, vcc, 0x1000, v24
	v_addc_co_u32_e32 v85, vcc, 0, v25, vcc
	v_add_co_u32_e32 v86, vcc, 0x1000, v20
	v_addc_co_u32_e32 v87, vcc, 0, v21, vcc
	global_load_dwordx2 v[84:85], v[84:85], off offset:1024
	s_nop 0
	global_load_dwordx2 v[88:89], v[86:87], off offset:1024
.LBB789_42:
	s_or_b64 exec, exec, s[6:7]
	v_or_b32_e32 v9, 0x2a0, v8
	v_cmp_gt_i32_e64 s[44:45], s2, v9
	s_and_b64 s[8:9], s[0:1], s[44:45]
	v_pk_mov_b32 v[90:91], v[78:79], v[78:79] op_sel:[0,1]
	s_and_saveexec_b64 s[6:7], s[8:9]
	s_cbranch_execz .LBB789_44
; %bb.43:
	v_add_co_u32_e32 v78, vcc, 0x1000, v24
	v_addc_co_u32_e32 v79, vcc, 0, v25, vcc
	v_add_co_u32_e32 v86, vcc, 0x1000, v20
	v_addc_co_u32_e32 v87, vcc, 0, v21, vcc
	global_load_dwordx2 v[78:79], v[78:79], off offset:1280
	s_nop 0
	global_load_dwordx2 v[90:91], v[86:87], off offset:1280
.LBB789_44:
	s_or_b64 exec, exec, s[6:7]
	v_or_b32_e32 v9, 0x2c0, v8
	v_cmp_gt_i32_e64 s[46:47], s2, v9
	v_pk_mov_b32 v[86:87], 0, 0
	s_and_b64 s[8:9], s[0:1], s[46:47]
	v_pk_mov_b32 v[92:93], v[86:87], v[86:87] op_sel:[0,1]
	v_pk_mov_b32 v[96:97], v[86:87], v[86:87] op_sel:[0,1]
	s_and_saveexec_b64 s[6:7], s[8:9]
	s_cbranch_execz .LBB789_46
; %bb.45:
	v_add_co_u32_e32 v92, vcc, 0x1000, v24
	v_addc_co_u32_e32 v93, vcc, 0, v25, vcc
	v_add_co_u32_e32 v94, vcc, 0x1000, v20
	v_addc_co_u32_e32 v95, vcc, 0, v21, vcc
	global_load_dwordx2 v[92:93], v[92:93], off offset:1536
	s_nop 0
	global_load_dwordx2 v[96:97], v[94:95], off offset:1536
.LBB789_46:
	s_or_b64 exec, exec, s[6:7]
	v_or_b32_e32 v9, 0x2e0, v8
	v_cmp_gt_i32_e64 s[48:49], s2, v9
	s_and_b64 s[8:9], s[0:1], s[48:49]
	v_pk_mov_b32 v[98:99], v[86:87], v[86:87] op_sel:[0,1]
	s_and_saveexec_b64 s[6:7], s[8:9]
	s_cbranch_execz .LBB789_48
; %bb.47:
	v_add_co_u32_e32 v86, vcc, 0x1000, v24
	v_addc_co_u32_e32 v87, vcc, 0, v25, vcc
	v_add_co_u32_e32 v94, vcc, 0x1000, v20
	v_addc_co_u32_e32 v95, vcc, 0, v21, vcc
	global_load_dwordx2 v[86:87], v[86:87], off offset:1792
	s_nop 0
	global_load_dwordx2 v[98:99], v[94:95], off offset:1792
.LBB789_48:
	s_or_b64 exec, exec, s[6:7]
	v_or_b32_e32 v9, 0x300, v8
	v_cmp_gt_i32_e64 s[50:51], s2, v9
	v_pk_mov_b32 v[94:95], 0, 0
	;; [unrolled: 34-line block ×5, first 2 shown]
	s_and_b64 s[8:9], s[0:1], s[62:63]
	v_pk_mov_b32 v[124:125], v[118:119], v[118:119] op_sel:[0,1]
	v_pk_mov_b32 v[8:9], v[118:119], v[118:119] op_sel:[0,1]
	s_and_saveexec_b64 s[6:7], s[8:9]
	s_cbranch_execz .LBB789_62
; %bb.61:
	v_add_co_u32_e32 v8, vcc, 0x1000, v24
	v_addc_co_u32_e32 v9, vcc, 0, v25, vcc
	global_load_dwordx2 v[124:125], v[8:9], off offset:3584
	v_add_co_u32_e32 v8, vcc, 0x1000, v20
	v_addc_co_u32_e32 v9, vcc, 0, v21, vcc
	global_load_dwordx2 v[8:9], v[8:9], off offset:3584
.LBB789_62:
	s_or_b64 exec, exec, s[6:7]
	v_or_b32_e32 v12, 0x3e0, v12
	v_cmp_gt_i32_e64 s[64:65], s2, v12
	s_and_b64 s[2:3], s[0:1], s[64:65]
	v_pk_mov_b32 v[12:13], v[118:119], v[118:119] op_sel:[0,1]
	s_and_saveexec_b64 s[0:1], s[2:3]
	s_cbranch_execz .LBB789_64
; %bb.63:
	v_add_co_u32_e32 v12, vcc, 0x1000, v24
	v_addc_co_u32_e32 v13, vcc, 0, v25, vcc
	global_load_dwordx2 v[118:119], v[12:13], off offset:3840
	v_add_co_u32_e32 v12, vcc, 0x1000, v20
	v_addc_co_u32_e32 v13, vcc, 0, v21, vcc
	global_load_dwordx2 v[12:13], v[12:13], off offset:3840
.LBB789_64:
	s_or_b64 exec, exec, s[0:1]
	s_load_dwordx2 s[0:1], s[4:5], 0x28
	s_waitcnt lgkmcnt(0)
	v_add_co_u32_e32 v16, vcc, s0, v16
	v_mov_b32_e32 v20, s1
	v_addc_co_u32_e32 v17, vcc, v20, v17, vcc
	global_load_ubyte v20, v[16:17], off
	global_load_ubyte v24, v[16:17], off offset:32
	s_waitcnt vmcnt(1)
	v_and_b32_e32 v20, 1, v20
	v_cmp_eq_u32_e64 s[0:1], 1, v20
	v_add_f64 v[20:21], v[6:7], 0
	v_cndmask_b32_e64 v21, v21, 0, s[0:1]
	v_cndmask_b32_e64 v20, v20, 0, s[0:1]
	s_waitcnt vmcnt(0)
	v_and_b32_e32 v24, 1, v24
	v_cmp_eq_u32_e64 s[66:67], 1, v24
	v_add_f64 v[24:25], v[20:21], v[0:1]
	v_cndmask_b32_e64 v20, v24, v20, s[66:67]
	global_load_ubyte v24, v[16:17], off offset:64
	v_cndmask_b32_e64 v21, v25, v21, s[66:67]
	s_waitcnt vmcnt(0)
	v_and_b32_e32 v24, 1, v24
	v_cmp_eq_u32_e64 s[68:69], 1, v24
	v_add_f64 v[24:25], v[20:21], v[14:15]
	v_cndmask_b32_e64 v20, v24, v20, s[68:69]
	global_load_ubyte v24, v[16:17], off offset:96
	;; [unrolled: 7-line block ×29, first 2 shown]
	v_cndmask_b32_e64 v21, v25, v21, s[26:27]
	global_load_ubyte v16, v[16:17], off offset:992
	s_waitcnt vmcnt(1)
	v_and_b32_e32 v24, 1, v24
	v_cmp_eq_u32_e64 s[28:29], 1, v24
	v_add_f64 v[24:25], v[20:21], v[124:125]
	v_cndmask_b32_e64 v21, v25, v21, s[28:29]
	v_cndmask_b32_e64 v20, v24, v20, s[28:29]
	s_waitcnt vmcnt(0)
	v_and_b32_e32 v16, 1, v16
	v_cmp_eq_u32_e64 s[30:31], 1, v16
	v_add_f64 v[16:17], v[20:21], v[118:119]
	v_cndmask_b32_e64 v16, v16, v20, s[30:31]
	v_mbcnt_lo_u32_b32 v20, -1, 0
	v_mbcnt_hi_u32_b32 v24, -1, v20
	v_and_b32_e32 v20, 0x60, v24
	v_add_u32_e32 v25, 32, v20
	v_xor_b32_e32 v20, 16, v24
	v_cmp_lt_i32_e32 vcc, v20, v25
	v_cndmask_b32_e32 v20, v24, v20, vcc
	v_cndmask_b32_e64 v17, v17, v21, s[30:31]
	v_lshlrev_b32_e32 v21, 2, v20
	ds_bpermute_b32 v20, v21, v16
	ds_bpermute_b32 v21, v21, v17
	s_waitcnt lgkmcnt(0)
	v_add_f64 v[16:17], v[16:17], v[20:21]
	v_xor_b32_e32 v20, 8, v24
	v_cmp_lt_i32_e32 vcc, v20, v25
	v_cndmask_b32_e32 v20, v24, v20, vcc
	v_lshlrev_b32_e32 v21, 2, v20
	ds_bpermute_b32 v20, v21, v16
	ds_bpermute_b32 v21, v21, v17
	s_waitcnt lgkmcnt(0)
	v_add_f64 v[16:17], v[16:17], v[20:21]
	v_xor_b32_e32 v20, 4, v24
	v_cmp_lt_i32_e32 vcc, v20, v25
	v_cndmask_b32_e32 v20, v24, v20, vcc
	;; [unrolled: 8-line block ×4, first 2 shown]
	v_lshlrev_b32_e32 v21, 2, v20
	ds_bpermute_b32 v20, v21, v16
	ds_bpermute_b32 v21, v21, v17
	v_cmp_lt_i32_e32 vcc, 0, v126
	s_and_saveexec_b64 s[36:37], vcc
	s_cbranch_execz .LBB789_118
; %bb.65:
	s_mov_b64 s[40:41], s[38:39]
	v_readlane_b32 s36, v127, 0
	v_readlane_b32 s37, v127, 1
	s_waitcnt lgkmcnt(0)
	v_add_f64 v[16:17], v[16:17], v[20:21]
	v_mov_b32_e32 v20, s37
	v_add_co_u32_e32 v2, vcc, s36, v2
	v_addc_co_u32_e32 v3, vcc, v20, v3, vcc
	v_readlane_b32 s38, v127, 2
	v_readlane_b32 s39, v127, 3
	s_and_saveexec_b64 vcc, s[40:41]
	s_cbranch_execz .LBB789_67
; %bb.66:
	buffer_load_dword v20, off, s[96:99], 0 ; 4-byte Folded Reload
	buffer_load_dword v21, off, s[96:99], 0 offset:4 ; 4-byte Folded Reload
	s_waitcnt vmcnt(0)
	v_fma_f64 v[6:7], -v[16:17], v[20:21], v[6:7]
	v_cndmask_b32_e64 v7, v7, 0, s[0:1]
	v_cndmask_b32_e64 v6, v6, 0, s[0:1]
	global_store_dwordx2 v[2:3], v[6:7], off
.LBB789_67:
	s_or_b64 exec, exec, vcc
	s_and_saveexec_b64 s[0:1], s[42:43]
	s_cbranch_execz .LBB789_69
; %bb.68:
	buffer_load_dword v6, off, s[96:99], 0 offset:8 ; 4-byte Folded Reload
	buffer_load_dword v7, off, s[96:99], 0 offset:12 ; 4-byte Folded Reload
	s_waitcnt vmcnt(0)
	v_fma_f64 v[0:1], -v[16:17], v[6:7], v[0:1]
	v_cndmask_b32_e64 v1, v1, 0, s[66:67]
	v_cndmask_b32_e64 v0, v0, 0, s[66:67]
	global_store_dwordx2 v[2:3], v[0:1], off offset:256
.LBB789_69:
	s_or_b64 exec, exec, s[0:1]
	s_mov_b64 s[0:1], exec
	v_readlane_b32 s36, v127, 4
	v_readlane_b32 s37, v127, 5
	s_and_b64 s[36:37], s[0:1], s[36:37]
	s_mov_b64 exec, s[36:37]
	s_cbranch_execz .LBB789_71
; %bb.70:
	buffer_load_dword v0, off, s[96:99], 0 offset:16 ; 4-byte Folded Reload
	buffer_load_dword v1, off, s[96:99], 0 offset:20 ; 4-byte Folded Reload
	s_waitcnt vmcnt(0)
	v_fma_f64 v[0:1], -v[16:17], v[0:1], v[14:15]
	v_cndmask_b32_e64 v1, v1, 0, s[68:69]
	v_cndmask_b32_e64 v0, v0, 0, s[68:69]
	global_store_dwordx2 v[2:3], v[0:1], off offset:512
.LBB789_71:
	s_or_b64 exec, exec, s[0:1]
	s_mov_b64 s[0:1], exec
	v_readlane_b32 s36, v127, 6
	v_readlane_b32 s37, v127, 7
	s_and_b64 s[36:37], s[0:1], s[36:37]
	s_mov_b64 exec, s[36:37]
	;; [unrolled: 16-line block ×4, first 2 shown]
	s_cbranch_execz .LBB789_77
; %bb.76:
	v_fma_f64 v[0:1], -v[16:17], v[28:29], v[10:11]
	v_cndmask_b32_e64 v1, v1, 0, s[74:75]
	v_cndmask_b32_e64 v0, v0, 0, s[74:75]
	global_store_dwordx2 v[2:3], v[0:1], off offset:1280
.LBB789_77:
	s_or_b64 exec, exec, s[0:1]
	s_mov_b64 s[0:1], exec
	v_readlane_b32 s36, v127, 12
	v_readlane_b32 s37, v127, 13
	s_and_b64 s[36:37], s[0:1], s[36:37]
	s_mov_b64 exec, s[36:37]
	s_cbranch_execz .LBB789_79
; %bb.78:
	v_fma_f64 v[0:1], -v[16:17], v[32:33], v[30:31]
	v_cndmask_b32_e64 v1, v1, 0, s[76:77]
	v_cndmask_b32_e64 v0, v0, 0, s[76:77]
	global_store_dwordx2 v[2:3], v[0:1], off offset:1536
.LBB789_79:
	s_or_b64 exec, exec, s[0:1]
	s_mov_b64 s[0:1], exec
	v_readlane_b32 s36, v127, 14
	v_readlane_b32 s37, v127, 15
	s_and_b64 s[36:37], s[0:1], s[36:37]
	s_mov_b64 exec, s[36:37]
	;; [unrolled: 13-line block ×11, first 2 shown]
	s_cbranch_execz .LBB789_99
; %bb.98:
	v_fma_f64 v[0:1], -v[16:17], v[72:73], v[70:71]
	v_add_co_u32_e32 v4, vcc, 0x1000, v2
	v_cndmask_b32_e64 v1, v1, 0, s[34:35]
	v_cndmask_b32_e64 v0, v0, 0, s[34:35]
	v_addc_co_u32_e32 v5, vcc, 0, v3, vcc
	global_store_dwordx2 v[4:5], v[0:1], off
.LBB789_99:
	s_or_b64 exec, exec, s[0:1]
	s_mov_b64 s[0:1], exec
	v_readlane_b32 s34, v127, 34
	v_readlane_b32 s35, v127, 35
	s_and_b64 s[34:35], s[0:1], s[34:35]
	s_mov_b64 exec, s[34:35]
	s_cbranch_execz .LBB789_101
; %bb.100:
	v_fma_f64 v[0:1], -v[16:17], v[74:75], v[58:59]
	v_add_co_u32_e32 v4, vcc, 0x1000, v2
	v_cndmask_b32_e64 v1, v1, 0, s[2:3]
	v_cndmask_b32_e64 v0, v0, 0, s[2:3]
	v_addc_co_u32_e32 v5, vcc, 0, v3, vcc
	global_store_dwordx2 v[4:5], v[0:1], off offset:256
.LBB789_101:
	s_or_b64 exec, exec, s[0:1]
	s_mov_b64 s[0:1], exec
	v_readlane_b32 s2, v127, 36
	v_readlane_b32 s3, v127, 37
	s_and_b64 s[2:3], s[0:1], s[2:3]
	s_mov_b64 exec, s[2:3]
	s_cbranch_execz .LBB789_103
; %bb.102:
	v_fma_f64 v[0:1], -v[16:17], v[80:81], v[76:77]
	v_add_co_u32_e32 v4, vcc, 0x1000, v2
	v_cndmask_b32_e64 v1, v1, 0, s[4:5]
	v_cndmask_b32_e64 v0, v0, 0, s[4:5]
	v_addc_co_u32_e32 v5, vcc, 0, v3, vcc
	global_store_dwordx2 v[4:5], v[0:1], off offset:512
.LBB789_103:
	;; [unrolled: 15-line block ×3, first 2 shown]
	s_or_b64 exec, exec, s[0:1]
	s_mov_b64 s[0:1], exec
	v_readlane_b32 s2, v127, 40
	v_readlane_b32 s3, v127, 41
	s_and_b64 s[2:3], s[0:1], s[2:3]
	s_mov_b64 exec, s[2:3]
	s_cbranch_execnz .LBB789_119
; %bb.106:
	s_or_b64 exec, exec, s[0:1]
	s_and_saveexec_b64 s[0:1], s[44:45]
	s_cbranch_execnz .LBB789_120
.LBB789_107:
	s_or_b64 exec, exec, s[0:1]
	s_and_saveexec_b64 s[0:1], s[46:47]
	s_cbranch_execnz .LBB789_121
.LBB789_108:
	s_or_b64 exec, exec, s[0:1]
	s_and_saveexec_b64 s[0:1], s[48:49]
	s_cbranch_execnz .LBB789_122
.LBB789_109:
	s_or_b64 exec, exec, s[0:1]
	s_and_saveexec_b64 s[0:1], s[50:51]
	s_cbranch_execnz .LBB789_123
.LBB789_110:
	s_or_b64 exec, exec, s[0:1]
	s_and_saveexec_b64 s[0:1], s[52:53]
	s_cbranch_execnz .LBB789_124
.LBB789_111:
	s_or_b64 exec, exec, s[0:1]
	s_and_saveexec_b64 s[0:1], s[54:55]
	s_cbranch_execnz .LBB789_125
.LBB789_112:
	s_or_b64 exec, exec, s[0:1]
	s_and_saveexec_b64 s[0:1], s[56:57]
	s_cbranch_execnz .LBB789_126
.LBB789_113:
	s_or_b64 exec, exec, s[0:1]
	s_and_saveexec_b64 s[0:1], s[58:59]
	s_cbranch_execnz .LBB789_127
.LBB789_114:
	s_or_b64 exec, exec, s[0:1]
	s_and_saveexec_b64 s[0:1], s[60:61]
	s_cbranch_execnz .LBB789_128
.LBB789_115:
	s_or_b64 exec, exec, s[0:1]
	s_and_saveexec_b64 s[0:1], s[62:63]
	s_cbranch_execnz .LBB789_129
.LBB789_116:
	s_or_b64 exec, exec, s[0:1]
	s_and_b64 exec, exec, s[64:65]
	s_cbranch_execz .LBB789_118
.LBB789_117:
	v_fma_f64 v[0:1], -v[16:17], v[12:13], v[118:119]
	v_add_co_u32_e32 v2, vcc, 0x1000, v2
	v_cndmask_b32_e64 v1, v1, 0, s[30:31]
	v_cndmask_b32_e64 v0, v0, 0, s[30:31]
	v_addc_co_u32_e32 v3, vcc, 0, v3, vcc
	global_store_dwordx2 v[2:3], v[0:1], off offset:3840
.LBB789_118:
	s_endpgm
.LBB789_119:
	v_fma_f64 v[0:1], -v[16:17], v[88:89], v[84:85]
	v_add_co_u32_e32 v4, vcc, 0x1000, v2
	v_cndmask_b32_e64 v1, v1, 0, s[8:9]
	v_cndmask_b32_e64 v0, v0, 0, s[8:9]
	v_addc_co_u32_e32 v5, vcc, 0, v3, vcc
	global_store_dwordx2 v[4:5], v[0:1], off offset:1024
	s_or_b64 exec, exec, s[0:1]
	s_and_saveexec_b64 s[0:1], s[44:45]
	s_cbranch_execz .LBB789_107
.LBB789_120:
	v_fma_f64 v[0:1], -v[16:17], v[90:91], v[78:79]
	v_add_co_u32_e32 v4, vcc, 0x1000, v2
	v_cndmask_b32_e64 v1, v1, 0, s[10:11]
	v_cndmask_b32_e64 v0, v0, 0, s[10:11]
	v_addc_co_u32_e32 v5, vcc, 0, v3, vcc
	global_store_dwordx2 v[4:5], v[0:1], off offset:1280
	s_or_b64 exec, exec, s[0:1]
	s_and_saveexec_b64 s[0:1], s[46:47]
	s_cbranch_execz .LBB789_108
.LBB789_121:
	v_fma_f64 v[0:1], -v[16:17], v[96:97], v[92:93]
	v_add_co_u32_e32 v4, vcc, 0x1000, v2
	v_cndmask_b32_e64 v1, v1, 0, s[12:13]
	v_cndmask_b32_e64 v0, v0, 0, s[12:13]
	v_addc_co_u32_e32 v5, vcc, 0, v3, vcc
	global_store_dwordx2 v[4:5], v[0:1], off offset:1536
	s_or_b64 exec, exec, s[0:1]
	s_and_saveexec_b64 s[0:1], s[48:49]
	s_cbranch_execz .LBB789_109
.LBB789_122:
	v_fma_f64 v[0:1], -v[16:17], v[98:99], v[86:87]
	v_add_co_u32_e32 v4, vcc, 0x1000, v2
	v_cndmask_b32_e64 v1, v1, 0, s[14:15]
	v_cndmask_b32_e64 v0, v0, 0, s[14:15]
	v_addc_co_u32_e32 v5, vcc, 0, v3, vcc
	global_store_dwordx2 v[4:5], v[0:1], off offset:1792
	s_or_b64 exec, exec, s[0:1]
	s_and_saveexec_b64 s[0:1], s[50:51]
	s_cbranch_execz .LBB789_110
.LBB789_123:
	v_fma_f64 v[0:1], -v[16:17], v[104:105], v[100:101]
	v_add_co_u32_e32 v4, vcc, 0x1000, v2
	v_cndmask_b32_e64 v1, v1, 0, s[16:17]
	v_cndmask_b32_e64 v0, v0, 0, s[16:17]
	v_addc_co_u32_e32 v5, vcc, 0, v3, vcc
	global_store_dwordx2 v[4:5], v[0:1], off offset:2048
	s_or_b64 exec, exec, s[0:1]
	s_and_saveexec_b64 s[0:1], s[52:53]
	s_cbranch_execz .LBB789_111
.LBB789_124:
	v_fma_f64 v[0:1], -v[16:17], v[106:107], v[94:95]
	v_add_co_u32_e32 v4, vcc, 0x1000, v2
	v_cndmask_b32_e64 v1, v1, 0, s[18:19]
	v_cndmask_b32_e64 v0, v0, 0, s[18:19]
	v_addc_co_u32_e32 v5, vcc, 0, v3, vcc
	global_store_dwordx2 v[4:5], v[0:1], off offset:2304
	s_or_b64 exec, exec, s[0:1]
	s_and_saveexec_b64 s[0:1], s[54:55]
	s_cbranch_execz .LBB789_112
.LBB789_125:
	v_fma_f64 v[0:1], -v[16:17], v[112:113], v[108:109]
	v_add_co_u32_e32 v4, vcc, 0x1000, v2
	v_cndmask_b32_e64 v1, v1, 0, s[20:21]
	v_cndmask_b32_e64 v0, v0, 0, s[20:21]
	v_addc_co_u32_e32 v5, vcc, 0, v3, vcc
	global_store_dwordx2 v[4:5], v[0:1], off offset:2560
	s_or_b64 exec, exec, s[0:1]
	s_and_saveexec_b64 s[0:1], s[56:57]
	s_cbranch_execz .LBB789_113
.LBB789_126:
	v_fma_f64 v[0:1], -v[16:17], v[114:115], v[102:103]
	v_add_co_u32_e32 v4, vcc, 0x1000, v2
	v_cndmask_b32_e64 v1, v1, 0, s[22:23]
	v_cndmask_b32_e64 v0, v0, 0, s[22:23]
	v_addc_co_u32_e32 v5, vcc, 0, v3, vcc
	global_store_dwordx2 v[4:5], v[0:1], off offset:2816
	s_or_b64 exec, exec, s[0:1]
	s_and_saveexec_b64 s[0:1], s[58:59]
	s_cbranch_execz .LBB789_114
.LBB789_127:
	v_fma_f64 v[0:1], -v[16:17], v[120:121], v[116:117]
	v_add_co_u32_e32 v4, vcc, 0x1000, v2
	v_cndmask_b32_e64 v1, v1, 0, s[24:25]
	v_cndmask_b32_e64 v0, v0, 0, s[24:25]
	v_addc_co_u32_e32 v5, vcc, 0, v3, vcc
	global_store_dwordx2 v[4:5], v[0:1], off offset:3072
	s_or_b64 exec, exec, s[0:1]
	s_and_saveexec_b64 s[0:1], s[60:61]
	s_cbranch_execz .LBB789_115
.LBB789_128:
	v_fma_f64 v[0:1], -v[16:17], v[122:123], v[110:111]
	v_add_co_u32_e32 v4, vcc, 0x1000, v2
	v_cndmask_b32_e64 v1, v1, 0, s[26:27]
	v_cndmask_b32_e64 v0, v0, 0, s[26:27]
	v_addc_co_u32_e32 v5, vcc, 0, v3, vcc
	global_store_dwordx2 v[4:5], v[0:1], off offset:3328
	s_or_b64 exec, exec, s[0:1]
	s_and_saveexec_b64 s[0:1], s[62:63]
	s_cbranch_execz .LBB789_116
.LBB789_129:
	v_fma_f64 v[0:1], -v[16:17], v[8:9], v[124:125]
	v_add_co_u32_e32 v4, vcc, 0x1000, v2
	v_cndmask_b32_e64 v1, v1, 0, s[28:29]
	v_cndmask_b32_e64 v0, v0, 0, s[28:29]
	v_addc_co_u32_e32 v5, vcc, 0, v3, vcc
	global_store_dwordx2 v[4:5], v[0:1], off offset:3584
	s_or_b64 exec, exec, s[0:1]
	s_and_b64 exec, exec, s[64:65]
	s_cbranch_execnz .LBB789_117
	s_branch .LBB789_118
	.section	.rodata,"a",@progbits
	.p2align	6, 0x0
	.amdhsa_kernel _ZN12_GLOBAL__N_121softmax_warp_backwardIdddLi10ELb0ELb1ELi32EEEvPT0_PKT_S5_iiiPKb
		.amdhsa_group_segment_fixed_size 0
		.amdhsa_private_segment_fixed_size 44
		.amdhsa_kernarg_size 304
		.amdhsa_user_sgpr_count 6
		.amdhsa_user_sgpr_private_segment_buffer 1
		.amdhsa_user_sgpr_dispatch_ptr 0
		.amdhsa_user_sgpr_queue_ptr 0
		.amdhsa_user_sgpr_kernarg_segment_ptr 1
		.amdhsa_user_sgpr_dispatch_id 0
		.amdhsa_user_sgpr_flat_scratch_init 0
		.amdhsa_user_sgpr_kernarg_preload_length 0
		.amdhsa_user_sgpr_kernarg_preload_offset 0
		.amdhsa_user_sgpr_private_segment_size 0
		.amdhsa_uses_dynamic_stack 0
		.amdhsa_system_sgpr_private_segment_wavefront_offset 1
		.amdhsa_system_sgpr_workgroup_id_x 1
		.amdhsa_system_sgpr_workgroup_id_y 0
		.amdhsa_system_sgpr_workgroup_id_z 0
		.amdhsa_system_sgpr_workgroup_info 0
		.amdhsa_system_vgpr_workitem_id 1
		.amdhsa_next_free_vgpr 128
		.amdhsa_next_free_sgpr 100
		.amdhsa_accum_offset 128
		.amdhsa_reserve_vcc 1
		.amdhsa_reserve_flat_scratch 0
		.amdhsa_float_round_mode_32 0
		.amdhsa_float_round_mode_16_64 0
		.amdhsa_float_denorm_mode_32 3
		.amdhsa_float_denorm_mode_16_64 3
		.amdhsa_dx10_clamp 1
		.amdhsa_ieee_mode 1
		.amdhsa_fp16_overflow 0
		.amdhsa_tg_split 0
		.amdhsa_exception_fp_ieee_invalid_op 0
		.amdhsa_exception_fp_denorm_src 0
		.amdhsa_exception_fp_ieee_div_zero 0
		.amdhsa_exception_fp_ieee_overflow 0
		.amdhsa_exception_fp_ieee_underflow 0
		.amdhsa_exception_fp_ieee_inexact 0
		.amdhsa_exception_int_div_zero 0
	.end_amdhsa_kernel
	.section	.text._ZN12_GLOBAL__N_121softmax_warp_backwardIdddLi10ELb0ELb1ELi32EEEvPT0_PKT_S5_iiiPKb,"axG",@progbits,_ZN12_GLOBAL__N_121softmax_warp_backwardIdddLi10ELb0ELb1ELi32EEEvPT0_PKT_S5_iiiPKb,comdat
.Lfunc_end789:
	.size	_ZN12_GLOBAL__N_121softmax_warp_backwardIdddLi10ELb0ELb1ELi32EEEvPT0_PKT_S5_iiiPKb, .Lfunc_end789-_ZN12_GLOBAL__N_121softmax_warp_backwardIdddLi10ELb0ELb1ELi32EEEvPT0_PKT_S5_iiiPKb
                                        ; -- End function
	.section	.AMDGPU.csdata,"",@progbits
; Kernel info:
; codeLenInByte = 7288
; NumSgprs: 104
; NumVgprs: 128
; NumAgprs: 0
; TotalNumVgprs: 128
; ScratchSize: 44
; MemoryBound: 0
; FloatMode: 240
; IeeeMode: 1
; LDSByteSize: 0 bytes/workgroup (compile time only)
; SGPRBlocks: 12
; VGPRBlocks: 15
; NumSGPRsForWavesPerEU: 104
; NumVGPRsForWavesPerEU: 128
; AccumOffset: 128
; Occupancy: 4
; WaveLimiterHint : 0
; COMPUTE_PGM_RSRC2:SCRATCH_EN: 1
; COMPUTE_PGM_RSRC2:USER_SGPR: 6
; COMPUTE_PGM_RSRC2:TRAP_HANDLER: 0
; COMPUTE_PGM_RSRC2:TGID_X_EN: 1
; COMPUTE_PGM_RSRC2:TGID_Y_EN: 0
; COMPUTE_PGM_RSRC2:TGID_Z_EN: 0
; COMPUTE_PGM_RSRC2:TIDIG_COMP_CNT: 1
; COMPUTE_PGM_RSRC3_GFX90A:ACCUM_OFFSET: 31
; COMPUTE_PGM_RSRC3_GFX90A:TG_SPLIT: 0
	.section	.text._ZN12_GLOBAL__N_121softmax_warp_backwardIfffLi0ELb0ELb1ELi64EEEvPT0_PKT_S5_iiiPKb,"axG",@progbits,_ZN12_GLOBAL__N_121softmax_warp_backwardIfffLi0ELb0ELb1ELi64EEEvPT0_PKT_S5_iiiPKb,comdat
	.globl	_ZN12_GLOBAL__N_121softmax_warp_backwardIfffLi0ELb0ELb1ELi64EEEvPT0_PKT_S5_iiiPKb ; -- Begin function _ZN12_GLOBAL__N_121softmax_warp_backwardIfffLi0ELb0ELb1ELi64EEEvPT0_PKT_S5_iiiPKb
	.p2align	8
	.type	_ZN12_GLOBAL__N_121softmax_warp_backwardIfffLi0ELb0ELb1ELi64EEEvPT0_PKT_S5_iiiPKb,@function
_ZN12_GLOBAL__N_121softmax_warp_backwardIfffLi0ELb0ELb1ELi64EEEvPT0_PKT_S5_iiiPKb: ; @_ZN12_GLOBAL__N_121softmax_warp_backwardIfffLi0ELb0ELb1ELi64EEEvPT0_PKT_S5_iiiPKb
; %bb.0:
	s_load_dword s2, s[4:5], 0x3c
	s_load_dwordx4 s[8:11], s[4:5], 0x18
	s_load_dwordx4 s[12:15], s[4:5], 0x0
	s_load_dwordx2 s[0:1], s[4:5], 0x10
	v_bfe_u32 v0, v0, 10, 10
	s_waitcnt lgkmcnt(0)
	s_lshr_b32 s2, s2, 16
	s_mul_i32 s6, s6, s2
	v_add_lshl_u32 v0, s6, v0, 1
	v_mul_lo_u32 v2, v0, s9
	v_ashrrev_i32_e32 v3, 31, v2
	v_sub_u32_e32 v8, s8, v0
	v_lshlrev_b64 v[0:1], 2, v[2:3]
	v_mov_b32_e32 v5, s15
	v_add_co_u32_e32 v4, vcc, s14, v0
	v_addc_co_u32_e32 v5, vcc, v5, v1, vcc
	v_mov_b32_e32 v7, s1
	v_add_co_u32_e32 v6, vcc, s0, v0
	v_addc_co_u32_e32 v7, vcc, v7, v1, vcc
	s_cmp_gt_i32 s10, 0
	s_cselect_b64 s[6:7], -1, 0
	v_cmp_lt_i32_e32 vcc, 0, v8
	s_and_b64 s[2:3], s[6:7], vcc
	v_mov_b32_e32 v9, 0
	v_mov_b32_e32 v10, 0
	;; [unrolled: 1-line block ×3, first 2 shown]
	s_and_saveexec_b64 s[0:1], s[2:3]
	s_cbranch_execz .LBB790_2
; %bb.1:
	global_load_dword v10, v[4:5], off
	global_load_dword v11, v[6:7], off
.LBB790_2:
	s_or_b64 exec, exec, s[0:1]
	v_cmp_lt_i32_e64 s[0:1], 1, v8
	s_and_b64 s[0:1], s[6:7], s[0:1]
	s_mov_b32 s11, 0
	v_mov_b32_e32 v12, 0
	s_and_saveexec_b64 s[2:3], s[0:1]
	s_cbranch_execz .LBB790_4
; %bb.3:
	s_lshl_b64 s[8:9], s[10:11], 2
	v_mov_b32_e32 v12, s9
	v_add_co_u32_e64 v4, s[0:1], s8, v4
	v_addc_co_u32_e64 v5, s[0:1], v5, v12, s[0:1]
	global_load_dword v9, v[4:5], off
	v_add_co_u32_e64 v4, s[0:1], s8, v6
	v_addc_co_u32_e64 v5, s[0:1], v7, v12, s[0:1]
	global_load_dword v12, v[4:5], off
.LBB790_4:
	s_or_b64 exec, exec, s[2:3]
	s_and_saveexec_b64 s[0:1], vcc
	s_cbranch_execz .LBB790_10
; %bb.5:
	s_load_dwordx2 s[0:1], s[4:5], 0x28
	s_ashr_i32 s2, s10, 31
	v_mov_b32_e32 v5, s2
	v_mov_b32_e32 v6, s13
	v_cndmask_b32_e64 v7, 0, 1, s[6:7]
	s_waitcnt lgkmcnt(0)
	v_mov_b32_e32 v4, s1
	v_add_co_u32_e32 v2, vcc, s0, v2
	v_addc_co_u32_e32 v3, vcc, v4, v3, vcc
	global_load_ubyte v4, v[2:3], off
	v_add_co_u32_e32 v2, vcc, s10, v2
	v_addc_co_u32_e32 v3, vcc, v3, v5, vcc
	global_load_ubyte v2, v[2:3], off
	s_waitcnt vmcnt(3)
	v_add_f32_e32 v3, 0, v10
	v_add_f32_e32 v5, 0, v9
	s_andn2_b64 vcc, exec, s[6:7]
	v_add_co_u32_e64 v0, s[6:7], s12, v0
	v_cmp_ne_u32_e64 s[2:3], 1, v7
	v_addc_co_u32_e64 v1, s[6:7], v6, v1, s[6:7]
	s_waitcnt vmcnt(1)
	v_and_b32_e32 v4, 1, v4
	v_cmp_eq_u32_e64 s[4:5], 1, v4
	v_cndmask_b32_e64 v3, v3, 0, s[4:5]
	s_waitcnt vmcnt(0)
	v_and_b32_e32 v2, 1, v2
	v_cmp_eq_u32_e64 s[0:1], 1, v2
	v_cndmask_b32_e64 v2, v5, 0, s[0:1]
	s_cbranch_vccnz .LBB790_7
; %bb.6:
	v_fma_f32 v3, -v3, v11, v10
	v_cndmask_b32_e64 v3, v3, 0, s[4:5]
	global_store_dword v[0:1], v3, off
.LBB790_7:
	v_cmp_ne_u32_e32 vcc, 1, v8
	s_and_b64 exec, exec, vcc
	s_cbranch_execz .LBB790_10
; %bb.8:
	s_and_b64 vcc, exec, s[2:3]
	s_cbranch_vccnz .LBB790_10
; %bb.9:
	s_lshl_b64 s[2:3], s[10:11], 2
	v_fma_f32 v2, -v2, v12, v9
	v_mov_b32_e32 v3, s3
	v_add_co_u32_e32 v0, vcc, s2, v0
	v_addc_co_u32_e32 v1, vcc, v1, v3, vcc
	v_cndmask_b32_e64 v2, v2, 0, s[0:1]
	global_store_dword v[0:1], v2, off
.LBB790_10:
	s_endpgm
	.section	.rodata,"a",@progbits
	.p2align	6, 0x0
	.amdhsa_kernel _ZN12_GLOBAL__N_121softmax_warp_backwardIfffLi0ELb0ELb1ELi64EEEvPT0_PKT_S5_iiiPKb
		.amdhsa_group_segment_fixed_size 0
		.amdhsa_private_segment_fixed_size 0
		.amdhsa_kernarg_size 304
		.amdhsa_user_sgpr_count 6
		.amdhsa_user_sgpr_private_segment_buffer 1
		.amdhsa_user_sgpr_dispatch_ptr 0
		.amdhsa_user_sgpr_queue_ptr 0
		.amdhsa_user_sgpr_kernarg_segment_ptr 1
		.amdhsa_user_sgpr_dispatch_id 0
		.amdhsa_user_sgpr_flat_scratch_init 0
		.amdhsa_user_sgpr_kernarg_preload_length 0
		.amdhsa_user_sgpr_kernarg_preload_offset 0
		.amdhsa_user_sgpr_private_segment_size 0
		.amdhsa_uses_dynamic_stack 0
		.amdhsa_system_sgpr_private_segment_wavefront_offset 0
		.amdhsa_system_sgpr_workgroup_id_x 1
		.amdhsa_system_sgpr_workgroup_id_y 0
		.amdhsa_system_sgpr_workgroup_id_z 0
		.amdhsa_system_sgpr_workgroup_info 0
		.amdhsa_system_vgpr_workitem_id 1
		.amdhsa_next_free_vgpr 13
		.amdhsa_next_free_sgpr 16
		.amdhsa_accum_offset 16
		.amdhsa_reserve_vcc 1
		.amdhsa_reserve_flat_scratch 0
		.amdhsa_float_round_mode_32 0
		.amdhsa_float_round_mode_16_64 0
		.amdhsa_float_denorm_mode_32 3
		.amdhsa_float_denorm_mode_16_64 3
		.amdhsa_dx10_clamp 1
		.amdhsa_ieee_mode 1
		.amdhsa_fp16_overflow 0
		.amdhsa_tg_split 0
		.amdhsa_exception_fp_ieee_invalid_op 0
		.amdhsa_exception_fp_denorm_src 0
		.amdhsa_exception_fp_ieee_div_zero 0
		.amdhsa_exception_fp_ieee_overflow 0
		.amdhsa_exception_fp_ieee_underflow 0
		.amdhsa_exception_fp_ieee_inexact 0
		.amdhsa_exception_int_div_zero 0
	.end_amdhsa_kernel
	.section	.text._ZN12_GLOBAL__N_121softmax_warp_backwardIfffLi0ELb0ELb1ELi64EEEvPT0_PKT_S5_iiiPKb,"axG",@progbits,_ZN12_GLOBAL__N_121softmax_warp_backwardIfffLi0ELb0ELb1ELi64EEEvPT0_PKT_S5_iiiPKb,comdat
.Lfunc_end790:
	.size	_ZN12_GLOBAL__N_121softmax_warp_backwardIfffLi0ELb0ELb1ELi64EEEvPT0_PKT_S5_iiiPKb, .Lfunc_end790-_ZN12_GLOBAL__N_121softmax_warp_backwardIfffLi0ELb0ELb1ELi64EEEvPT0_PKT_S5_iiiPKb
                                        ; -- End function
	.section	.AMDGPU.csdata,"",@progbits
; Kernel info:
; codeLenInByte = 508
; NumSgprs: 20
; NumVgprs: 13
; NumAgprs: 0
; TotalNumVgprs: 13
; ScratchSize: 0
; MemoryBound: 0
; FloatMode: 240
; IeeeMode: 1
; LDSByteSize: 0 bytes/workgroup (compile time only)
; SGPRBlocks: 2
; VGPRBlocks: 1
; NumSGPRsForWavesPerEU: 20
; NumVGPRsForWavesPerEU: 13
; AccumOffset: 16
; Occupancy: 8
; WaveLimiterHint : 0
; COMPUTE_PGM_RSRC2:SCRATCH_EN: 0
; COMPUTE_PGM_RSRC2:USER_SGPR: 6
; COMPUTE_PGM_RSRC2:TRAP_HANDLER: 0
; COMPUTE_PGM_RSRC2:TGID_X_EN: 1
; COMPUTE_PGM_RSRC2:TGID_Y_EN: 0
; COMPUTE_PGM_RSRC2:TGID_Z_EN: 0
; COMPUTE_PGM_RSRC2:TIDIG_COMP_CNT: 1
; COMPUTE_PGM_RSRC3_GFX90A:ACCUM_OFFSET: 3
; COMPUTE_PGM_RSRC3_GFX90A:TG_SPLIT: 0
	.section	.text._ZN12_GLOBAL__N_121softmax_warp_backwardIfffLi0ELb0ELb1ELi32EEEvPT0_PKT_S5_iiiPKb,"axG",@progbits,_ZN12_GLOBAL__N_121softmax_warp_backwardIfffLi0ELb0ELb1ELi32EEEvPT0_PKT_S5_iiiPKb,comdat
	.globl	_ZN12_GLOBAL__N_121softmax_warp_backwardIfffLi0ELb0ELb1ELi32EEEvPT0_PKT_S5_iiiPKb ; -- Begin function _ZN12_GLOBAL__N_121softmax_warp_backwardIfffLi0ELb0ELb1ELi32EEEvPT0_PKT_S5_iiiPKb
	.p2align	8
	.type	_ZN12_GLOBAL__N_121softmax_warp_backwardIfffLi0ELb0ELb1ELi32EEEvPT0_PKT_S5_iiiPKb,@function
_ZN12_GLOBAL__N_121softmax_warp_backwardIfffLi0ELb0ELb1ELi32EEEvPT0_PKT_S5_iiiPKb: ; @_ZN12_GLOBAL__N_121softmax_warp_backwardIfffLi0ELb0ELb1ELi32EEEvPT0_PKT_S5_iiiPKb
; %bb.0:
	s_load_dword s2, s[4:5], 0x3c
	s_load_dwordx4 s[8:11], s[4:5], 0x18
	s_load_dwordx4 s[12:15], s[4:5], 0x0
	s_load_dwordx2 s[0:1], s[4:5], 0x10
	v_bfe_u32 v0, v0, 10, 10
	s_waitcnt lgkmcnt(0)
	s_lshr_b32 s2, s2, 16
	s_mul_i32 s6, s6, s2
	v_add_lshl_u32 v0, s6, v0, 1
	v_mul_lo_u32 v2, v0, s9
	v_ashrrev_i32_e32 v3, 31, v2
	v_sub_u32_e32 v8, s8, v0
	v_lshlrev_b64 v[0:1], 2, v[2:3]
	v_mov_b32_e32 v5, s15
	v_add_co_u32_e32 v4, vcc, s14, v0
	v_addc_co_u32_e32 v5, vcc, v5, v1, vcc
	v_mov_b32_e32 v7, s1
	v_add_co_u32_e32 v6, vcc, s0, v0
	v_addc_co_u32_e32 v7, vcc, v7, v1, vcc
	s_cmp_gt_i32 s10, 0
	s_cselect_b64 s[6:7], -1, 0
	v_cmp_lt_i32_e32 vcc, 0, v8
	s_and_b64 s[2:3], s[6:7], vcc
	v_mov_b32_e32 v9, 0
	v_mov_b32_e32 v10, 0
	;; [unrolled: 1-line block ×3, first 2 shown]
	s_and_saveexec_b64 s[0:1], s[2:3]
	s_cbranch_execz .LBB791_2
; %bb.1:
	global_load_dword v10, v[4:5], off
	global_load_dword v11, v[6:7], off
.LBB791_2:
	s_or_b64 exec, exec, s[0:1]
	v_cmp_lt_i32_e64 s[0:1], 1, v8
	s_and_b64 s[0:1], s[6:7], s[0:1]
	s_mov_b32 s11, 0
	v_mov_b32_e32 v12, 0
	s_and_saveexec_b64 s[2:3], s[0:1]
	s_cbranch_execz .LBB791_4
; %bb.3:
	s_lshl_b64 s[8:9], s[10:11], 2
	v_mov_b32_e32 v12, s9
	v_add_co_u32_e64 v4, s[0:1], s8, v4
	v_addc_co_u32_e64 v5, s[0:1], v5, v12, s[0:1]
	global_load_dword v9, v[4:5], off
	v_add_co_u32_e64 v4, s[0:1], s8, v6
	v_addc_co_u32_e64 v5, s[0:1], v7, v12, s[0:1]
	global_load_dword v12, v[4:5], off
.LBB791_4:
	s_or_b64 exec, exec, s[2:3]
	s_and_saveexec_b64 s[0:1], vcc
	s_cbranch_execz .LBB791_10
; %bb.5:
	s_load_dwordx2 s[0:1], s[4:5], 0x28
	s_ashr_i32 s2, s10, 31
	v_mov_b32_e32 v5, s2
	v_mov_b32_e32 v6, s13
	v_cndmask_b32_e64 v7, 0, 1, s[6:7]
	s_waitcnt lgkmcnt(0)
	v_mov_b32_e32 v4, s1
	v_add_co_u32_e32 v2, vcc, s0, v2
	v_addc_co_u32_e32 v3, vcc, v4, v3, vcc
	global_load_ubyte v4, v[2:3], off
	v_add_co_u32_e32 v2, vcc, s10, v2
	v_addc_co_u32_e32 v3, vcc, v3, v5, vcc
	global_load_ubyte v2, v[2:3], off
	s_waitcnt vmcnt(3)
	v_add_f32_e32 v3, 0, v10
	v_add_f32_e32 v5, 0, v9
	s_andn2_b64 vcc, exec, s[6:7]
	v_add_co_u32_e64 v0, s[6:7], s12, v0
	v_cmp_ne_u32_e64 s[2:3], 1, v7
	v_addc_co_u32_e64 v1, s[6:7], v6, v1, s[6:7]
	s_waitcnt vmcnt(1)
	v_and_b32_e32 v4, 1, v4
	v_cmp_eq_u32_e64 s[4:5], 1, v4
	v_cndmask_b32_e64 v3, v3, 0, s[4:5]
	s_waitcnt vmcnt(0)
	v_and_b32_e32 v2, 1, v2
	v_cmp_eq_u32_e64 s[0:1], 1, v2
	v_cndmask_b32_e64 v2, v5, 0, s[0:1]
	s_cbranch_vccnz .LBB791_7
; %bb.6:
	v_fma_f32 v3, -v3, v11, v10
	v_cndmask_b32_e64 v3, v3, 0, s[4:5]
	global_store_dword v[0:1], v3, off
.LBB791_7:
	v_cmp_ne_u32_e32 vcc, 1, v8
	s_and_b64 exec, exec, vcc
	s_cbranch_execz .LBB791_10
; %bb.8:
	s_and_b64 vcc, exec, s[2:3]
	s_cbranch_vccnz .LBB791_10
; %bb.9:
	s_lshl_b64 s[2:3], s[10:11], 2
	v_fma_f32 v2, -v2, v12, v9
	v_mov_b32_e32 v3, s3
	v_add_co_u32_e32 v0, vcc, s2, v0
	v_addc_co_u32_e32 v1, vcc, v1, v3, vcc
	v_cndmask_b32_e64 v2, v2, 0, s[0:1]
	global_store_dword v[0:1], v2, off
.LBB791_10:
	s_endpgm
	.section	.rodata,"a",@progbits
	.p2align	6, 0x0
	.amdhsa_kernel _ZN12_GLOBAL__N_121softmax_warp_backwardIfffLi0ELb0ELb1ELi32EEEvPT0_PKT_S5_iiiPKb
		.amdhsa_group_segment_fixed_size 0
		.amdhsa_private_segment_fixed_size 0
		.amdhsa_kernarg_size 304
		.amdhsa_user_sgpr_count 6
		.amdhsa_user_sgpr_private_segment_buffer 1
		.amdhsa_user_sgpr_dispatch_ptr 0
		.amdhsa_user_sgpr_queue_ptr 0
		.amdhsa_user_sgpr_kernarg_segment_ptr 1
		.amdhsa_user_sgpr_dispatch_id 0
		.amdhsa_user_sgpr_flat_scratch_init 0
		.amdhsa_user_sgpr_kernarg_preload_length 0
		.amdhsa_user_sgpr_kernarg_preload_offset 0
		.amdhsa_user_sgpr_private_segment_size 0
		.amdhsa_uses_dynamic_stack 0
		.amdhsa_system_sgpr_private_segment_wavefront_offset 0
		.amdhsa_system_sgpr_workgroup_id_x 1
		.amdhsa_system_sgpr_workgroup_id_y 0
		.amdhsa_system_sgpr_workgroup_id_z 0
		.amdhsa_system_sgpr_workgroup_info 0
		.amdhsa_system_vgpr_workitem_id 1
		.amdhsa_next_free_vgpr 13
		.amdhsa_next_free_sgpr 16
		.amdhsa_accum_offset 16
		.amdhsa_reserve_vcc 1
		.amdhsa_reserve_flat_scratch 0
		.amdhsa_float_round_mode_32 0
		.amdhsa_float_round_mode_16_64 0
		.amdhsa_float_denorm_mode_32 3
		.amdhsa_float_denorm_mode_16_64 3
		.amdhsa_dx10_clamp 1
		.amdhsa_ieee_mode 1
		.amdhsa_fp16_overflow 0
		.amdhsa_tg_split 0
		.amdhsa_exception_fp_ieee_invalid_op 0
		.amdhsa_exception_fp_denorm_src 0
		.amdhsa_exception_fp_ieee_div_zero 0
		.amdhsa_exception_fp_ieee_overflow 0
		.amdhsa_exception_fp_ieee_underflow 0
		.amdhsa_exception_fp_ieee_inexact 0
		.amdhsa_exception_int_div_zero 0
	.end_amdhsa_kernel
	.section	.text._ZN12_GLOBAL__N_121softmax_warp_backwardIfffLi0ELb0ELb1ELi32EEEvPT0_PKT_S5_iiiPKb,"axG",@progbits,_ZN12_GLOBAL__N_121softmax_warp_backwardIfffLi0ELb0ELb1ELi32EEEvPT0_PKT_S5_iiiPKb,comdat
.Lfunc_end791:
	.size	_ZN12_GLOBAL__N_121softmax_warp_backwardIfffLi0ELb0ELb1ELi32EEEvPT0_PKT_S5_iiiPKb, .Lfunc_end791-_ZN12_GLOBAL__N_121softmax_warp_backwardIfffLi0ELb0ELb1ELi32EEEvPT0_PKT_S5_iiiPKb
                                        ; -- End function
	.section	.AMDGPU.csdata,"",@progbits
; Kernel info:
; codeLenInByte = 508
; NumSgprs: 20
; NumVgprs: 13
; NumAgprs: 0
; TotalNumVgprs: 13
; ScratchSize: 0
; MemoryBound: 0
; FloatMode: 240
; IeeeMode: 1
; LDSByteSize: 0 bytes/workgroup (compile time only)
; SGPRBlocks: 2
; VGPRBlocks: 1
; NumSGPRsForWavesPerEU: 20
; NumVGPRsForWavesPerEU: 13
; AccumOffset: 16
; Occupancy: 8
; WaveLimiterHint : 0
; COMPUTE_PGM_RSRC2:SCRATCH_EN: 0
; COMPUTE_PGM_RSRC2:USER_SGPR: 6
; COMPUTE_PGM_RSRC2:TRAP_HANDLER: 0
; COMPUTE_PGM_RSRC2:TGID_X_EN: 1
; COMPUTE_PGM_RSRC2:TGID_Y_EN: 0
; COMPUTE_PGM_RSRC2:TGID_Z_EN: 0
; COMPUTE_PGM_RSRC2:TIDIG_COMP_CNT: 1
; COMPUTE_PGM_RSRC3_GFX90A:ACCUM_OFFSET: 3
; COMPUTE_PGM_RSRC3_GFX90A:TG_SPLIT: 0
	.section	.text._ZN12_GLOBAL__N_121softmax_warp_backwardIfffLi1ELb0ELb1ELi64EEEvPT0_PKT_S5_iiiPKb,"axG",@progbits,_ZN12_GLOBAL__N_121softmax_warp_backwardIfffLi1ELb0ELb1ELi64EEEvPT0_PKT_S5_iiiPKb,comdat
	.globl	_ZN12_GLOBAL__N_121softmax_warp_backwardIfffLi1ELb0ELb1ELi64EEEvPT0_PKT_S5_iiiPKb ; -- Begin function _ZN12_GLOBAL__N_121softmax_warp_backwardIfffLi1ELb0ELb1ELi64EEEvPT0_PKT_S5_iiiPKb
	.p2align	8
	.type	_ZN12_GLOBAL__N_121softmax_warp_backwardIfffLi1ELb0ELb1ELi64EEEvPT0_PKT_S5_iiiPKb,@function
_ZN12_GLOBAL__N_121softmax_warp_backwardIfffLi1ELb0ELb1ELi64EEEvPT0_PKT_S5_iiiPKb: ; @_ZN12_GLOBAL__N_121softmax_warp_backwardIfffLi1ELb0ELb1ELi64EEEvPT0_PKT_S5_iiiPKb
; %bb.0:
	s_load_dword s2, s[4:5], 0x3c
	s_load_dwordx4 s[8:11], s[4:5], 0x18
	s_load_dwordx4 s[12:15], s[4:5], 0x0
	s_load_dwordx2 s[0:1], s[4:5], 0x10
	v_bfe_u32 v1, v0, 10, 10
	s_waitcnt lgkmcnt(0)
	s_lshr_b32 s2, s2, 16
	s_mul_i32 s6, s6, s2
	v_add_lshl_u32 v1, s6, v1, 1
	v_sub_u32_e32 v8, s8, v1
	v_mul_lo_u32 v1, v1, s9
	v_and_b32_e32 v9, 1, v0
	v_or_b32_e32 v2, v1, v9
	v_ashrrev_i32_e32 v3, 31, v2
	v_lshlrev_b64 v[0:1], 2, v[2:3]
	v_mov_b32_e32 v5, s15
	v_add_co_u32_e32 v4, vcc, s14, v0
	v_addc_co_u32_e32 v5, vcc, v5, v1, vcc
	v_mov_b32_e32 v7, s1
	v_add_co_u32_e32 v6, vcc, s0, v0
	v_addc_co_u32_e32 v7, vcc, v7, v1, vcc
	v_cmp_gt_i32_e32 vcc, s10, v9
	v_cmp_lt_i32_e64 s[0:1], 0, v8
	s_and_b64 s[6:7], vcc, s[0:1]
	v_mov_b32_e32 v9, 0
	v_mov_b32_e32 v10, 0
	;; [unrolled: 1-line block ×3, first 2 shown]
	s_and_saveexec_b64 s[2:3], s[6:7]
	s_cbranch_execz .LBB792_2
; %bb.1:
	global_load_dword v10, v[4:5], off
	global_load_dword v11, v[6:7], off
.LBB792_2:
	s_or_b64 exec, exec, s[2:3]
	v_cmp_lt_i32_e64 s[2:3], 1, v8
	s_and_b64 s[2:3], vcc, s[2:3]
	s_mov_b32 s11, 0
	v_mov_b32_e32 v12, 0
	s_and_saveexec_b64 s[6:7], s[2:3]
	s_cbranch_execz .LBB792_4
; %bb.3:
	s_lshl_b64 s[8:9], s[10:11], 2
	v_mov_b32_e32 v12, s9
	v_add_co_u32_e64 v4, s[2:3], s8, v4
	v_addc_co_u32_e64 v5, s[2:3], v5, v12, s[2:3]
	global_load_dword v9, v[4:5], off
	v_add_co_u32_e64 v4, s[2:3], s8, v6
	v_addc_co_u32_e64 v5, s[2:3], v7, v12, s[2:3]
	global_load_dword v12, v[4:5], off
.LBB792_4:
	s_or_b64 exec, exec, s[6:7]
	s_load_dwordx2 s[2:3], s[4:5], 0x28
	s_ashr_i32 s4, s10, 31
	v_mov_b32_e32 v5, s4
	v_mbcnt_lo_u32_b32 v6, -1, 0
	v_mbcnt_hi_u32_b32 v6, -1, v6
	s_waitcnt lgkmcnt(0)
	v_mov_b32_e32 v4, s3
	v_add_co_u32_e64 v2, s[2:3], s2, v2
	v_addc_co_u32_e64 v3, s[2:3], v4, v3, s[2:3]
	global_load_ubyte v4, v[2:3], off
	v_add_co_u32_e64 v2, s[2:3], s10, v2
	v_addc_co_u32_e64 v3, s[2:3], v3, v5, s[2:3]
	global_load_ubyte v3, v[2:3], off
	v_and_b32_e32 v13, 0x7e, v6
	v_xor_b32_e32 v7, 1, v6
	v_add_u32_e32 v13, 2, v13
	v_cmp_lt_i32_e64 s[2:3], v7, v13
	s_waitcnt vmcnt(3)
	v_add_f32_e32 v2, 0, v10
	v_add_f32_e32 v5, 0, v9
	v_cndmask_b32_e64 v6, v6, v7, s[2:3]
	v_lshlrev_b32_e32 v6, 2, v6
	s_waitcnt vmcnt(1)
	v_and_b32_e32 v4, 1, v4
	v_cmp_eq_u32_e64 s[4:5], 1, v4
	v_cndmask_b32_e64 v2, v2, 0, s[4:5]
	ds_bpermute_b32 v4, v6, v2
	s_waitcnt vmcnt(0)
	v_and_b32_e32 v3, 1, v3
	v_cmp_eq_u32_e64 s[2:3], 1, v3
	v_cndmask_b32_e64 v3, v5, 0, s[2:3]
	ds_bpermute_b32 v5, v6, v3
	s_and_saveexec_b64 s[6:7], s[0:1]
	s_cbranch_execz .LBB792_10
; %bb.5:
	s_waitcnt lgkmcnt(0)
	v_pk_add_f32 v[2:3], v[2:3], v[4:5]
	v_mov_b32_e32 v4, s13
	v_add_co_u32_e64 v0, s[0:1], s12, v0
	v_addc_co_u32_e64 v1, s[0:1], v4, v1, s[0:1]
	s_and_saveexec_b64 s[0:1], vcc
	s_cbranch_execz .LBB792_7
; %bb.6:
	v_fma_f32 v2, -v2, v11, v10
	v_cndmask_b32_e64 v2, v2, 0, s[4:5]
	global_store_dword v[0:1], v2, off
.LBB792_7:
	s_or_b64 exec, exec, s[0:1]
	v_cmp_ne_u32_e64 s[0:1], 1, v8
	s_and_b64 exec, exec, s[0:1]
	s_cbranch_execz .LBB792_10
; %bb.8:
	s_and_b64 exec, exec, vcc
	s_cbranch_execz .LBB792_10
; %bb.9:
	s_lshl_b64 s[0:1], s[10:11], 2
	v_fma_f32 v2, -v3, v12, v9
	v_mov_b32_e32 v3, s1
	v_add_co_u32_e32 v0, vcc, s0, v0
	v_addc_co_u32_e32 v1, vcc, v1, v3, vcc
	v_cndmask_b32_e64 v2, v2, 0, s[2:3]
	global_store_dword v[0:1], v2, off
.LBB792_10:
	s_endpgm
	.section	.rodata,"a",@progbits
	.p2align	6, 0x0
	.amdhsa_kernel _ZN12_GLOBAL__N_121softmax_warp_backwardIfffLi1ELb0ELb1ELi64EEEvPT0_PKT_S5_iiiPKb
		.amdhsa_group_segment_fixed_size 0
		.amdhsa_private_segment_fixed_size 0
		.amdhsa_kernarg_size 304
		.amdhsa_user_sgpr_count 6
		.amdhsa_user_sgpr_private_segment_buffer 1
		.amdhsa_user_sgpr_dispatch_ptr 0
		.amdhsa_user_sgpr_queue_ptr 0
		.amdhsa_user_sgpr_kernarg_segment_ptr 1
		.amdhsa_user_sgpr_dispatch_id 0
		.amdhsa_user_sgpr_flat_scratch_init 0
		.amdhsa_user_sgpr_kernarg_preload_length 0
		.amdhsa_user_sgpr_kernarg_preload_offset 0
		.amdhsa_user_sgpr_private_segment_size 0
		.amdhsa_uses_dynamic_stack 0
		.amdhsa_system_sgpr_private_segment_wavefront_offset 0
		.amdhsa_system_sgpr_workgroup_id_x 1
		.amdhsa_system_sgpr_workgroup_id_y 0
		.amdhsa_system_sgpr_workgroup_id_z 0
		.amdhsa_system_sgpr_workgroup_info 0
		.amdhsa_system_vgpr_workitem_id 1
		.amdhsa_next_free_vgpr 14
		.amdhsa_next_free_sgpr 16
		.amdhsa_accum_offset 16
		.amdhsa_reserve_vcc 1
		.amdhsa_reserve_flat_scratch 0
		.amdhsa_float_round_mode_32 0
		.amdhsa_float_round_mode_16_64 0
		.amdhsa_float_denorm_mode_32 3
		.amdhsa_float_denorm_mode_16_64 3
		.amdhsa_dx10_clamp 1
		.amdhsa_ieee_mode 1
		.amdhsa_fp16_overflow 0
		.amdhsa_tg_split 0
		.amdhsa_exception_fp_ieee_invalid_op 0
		.amdhsa_exception_fp_denorm_src 0
		.amdhsa_exception_fp_ieee_div_zero 0
		.amdhsa_exception_fp_ieee_overflow 0
		.amdhsa_exception_fp_ieee_underflow 0
		.amdhsa_exception_fp_ieee_inexact 0
		.amdhsa_exception_int_div_zero 0
	.end_amdhsa_kernel
	.section	.text._ZN12_GLOBAL__N_121softmax_warp_backwardIfffLi1ELb0ELb1ELi64EEEvPT0_PKT_S5_iiiPKb,"axG",@progbits,_ZN12_GLOBAL__N_121softmax_warp_backwardIfffLi1ELb0ELb1ELi64EEEvPT0_PKT_S5_iiiPKb,comdat
.Lfunc_end792:
	.size	_ZN12_GLOBAL__N_121softmax_warp_backwardIfffLi1ELb0ELb1ELi64EEEvPT0_PKT_S5_iiiPKb, .Lfunc_end792-_ZN12_GLOBAL__N_121softmax_warp_backwardIfffLi1ELb0ELb1ELi64EEEvPT0_PKT_S5_iiiPKb
                                        ; -- End function
	.section	.AMDGPU.csdata,"",@progbits
; Kernel info:
; codeLenInByte = 604
; NumSgprs: 20
; NumVgprs: 14
; NumAgprs: 0
; TotalNumVgprs: 14
; ScratchSize: 0
; MemoryBound: 0
; FloatMode: 240
; IeeeMode: 1
; LDSByteSize: 0 bytes/workgroup (compile time only)
; SGPRBlocks: 2
; VGPRBlocks: 1
; NumSGPRsForWavesPerEU: 20
; NumVGPRsForWavesPerEU: 14
; AccumOffset: 16
; Occupancy: 8
; WaveLimiterHint : 0
; COMPUTE_PGM_RSRC2:SCRATCH_EN: 0
; COMPUTE_PGM_RSRC2:USER_SGPR: 6
; COMPUTE_PGM_RSRC2:TRAP_HANDLER: 0
; COMPUTE_PGM_RSRC2:TGID_X_EN: 1
; COMPUTE_PGM_RSRC2:TGID_Y_EN: 0
; COMPUTE_PGM_RSRC2:TGID_Z_EN: 0
; COMPUTE_PGM_RSRC2:TIDIG_COMP_CNT: 1
; COMPUTE_PGM_RSRC3_GFX90A:ACCUM_OFFSET: 3
; COMPUTE_PGM_RSRC3_GFX90A:TG_SPLIT: 0
	.section	.text._ZN12_GLOBAL__N_121softmax_warp_backwardIfffLi1ELb0ELb1ELi32EEEvPT0_PKT_S5_iiiPKb,"axG",@progbits,_ZN12_GLOBAL__N_121softmax_warp_backwardIfffLi1ELb0ELb1ELi32EEEvPT0_PKT_S5_iiiPKb,comdat
	.globl	_ZN12_GLOBAL__N_121softmax_warp_backwardIfffLi1ELb0ELb1ELi32EEEvPT0_PKT_S5_iiiPKb ; -- Begin function _ZN12_GLOBAL__N_121softmax_warp_backwardIfffLi1ELb0ELb1ELi32EEEvPT0_PKT_S5_iiiPKb
	.p2align	8
	.type	_ZN12_GLOBAL__N_121softmax_warp_backwardIfffLi1ELb0ELb1ELi32EEEvPT0_PKT_S5_iiiPKb,@function
_ZN12_GLOBAL__N_121softmax_warp_backwardIfffLi1ELb0ELb1ELi32EEEvPT0_PKT_S5_iiiPKb: ; @_ZN12_GLOBAL__N_121softmax_warp_backwardIfffLi1ELb0ELb1ELi32EEEvPT0_PKT_S5_iiiPKb
; %bb.0:
	s_load_dword s2, s[4:5], 0x3c
	s_load_dwordx4 s[8:11], s[4:5], 0x18
	s_load_dwordx4 s[12:15], s[4:5], 0x0
	s_load_dwordx2 s[0:1], s[4:5], 0x10
	v_bfe_u32 v1, v0, 10, 10
	s_waitcnt lgkmcnt(0)
	s_lshr_b32 s2, s2, 16
	s_mul_i32 s6, s6, s2
	v_add_lshl_u32 v1, s6, v1, 1
	v_sub_u32_e32 v8, s8, v1
	v_mul_lo_u32 v1, v1, s9
	v_and_b32_e32 v9, 1, v0
	v_or_b32_e32 v2, v1, v9
	v_ashrrev_i32_e32 v3, 31, v2
	v_lshlrev_b64 v[0:1], 2, v[2:3]
	v_mov_b32_e32 v5, s15
	v_add_co_u32_e32 v4, vcc, s14, v0
	v_addc_co_u32_e32 v5, vcc, v5, v1, vcc
	v_mov_b32_e32 v7, s1
	v_add_co_u32_e32 v6, vcc, s0, v0
	v_addc_co_u32_e32 v7, vcc, v7, v1, vcc
	v_cmp_gt_i32_e32 vcc, s10, v9
	v_cmp_lt_i32_e64 s[0:1], 0, v8
	s_and_b64 s[6:7], vcc, s[0:1]
	v_mov_b32_e32 v9, 0
	v_mov_b32_e32 v10, 0
	;; [unrolled: 1-line block ×3, first 2 shown]
	s_and_saveexec_b64 s[2:3], s[6:7]
	s_cbranch_execz .LBB793_2
; %bb.1:
	global_load_dword v10, v[4:5], off
	global_load_dword v11, v[6:7], off
.LBB793_2:
	s_or_b64 exec, exec, s[2:3]
	v_cmp_lt_i32_e64 s[2:3], 1, v8
	s_and_b64 s[2:3], vcc, s[2:3]
	s_mov_b32 s11, 0
	v_mov_b32_e32 v12, 0
	s_and_saveexec_b64 s[6:7], s[2:3]
	s_cbranch_execz .LBB793_4
; %bb.3:
	s_lshl_b64 s[8:9], s[10:11], 2
	v_mov_b32_e32 v12, s9
	v_add_co_u32_e64 v4, s[2:3], s8, v4
	v_addc_co_u32_e64 v5, s[2:3], v5, v12, s[2:3]
	global_load_dword v9, v[4:5], off
	v_add_co_u32_e64 v4, s[2:3], s8, v6
	v_addc_co_u32_e64 v5, s[2:3], v7, v12, s[2:3]
	global_load_dword v12, v[4:5], off
.LBB793_4:
	s_or_b64 exec, exec, s[6:7]
	s_load_dwordx2 s[2:3], s[4:5], 0x28
	s_ashr_i32 s4, s10, 31
	v_mov_b32_e32 v5, s4
	v_mbcnt_lo_u32_b32 v6, -1, 0
	v_mbcnt_hi_u32_b32 v6, -1, v6
	s_waitcnt lgkmcnt(0)
	v_mov_b32_e32 v4, s3
	v_add_co_u32_e64 v2, s[2:3], s2, v2
	v_addc_co_u32_e64 v3, s[2:3], v4, v3, s[2:3]
	global_load_ubyte v4, v[2:3], off
	v_add_co_u32_e64 v2, s[2:3], s10, v2
	v_addc_co_u32_e64 v3, s[2:3], v3, v5, s[2:3]
	global_load_ubyte v3, v[2:3], off
	v_and_b32_e32 v13, 0x7e, v6
	v_xor_b32_e32 v7, 1, v6
	v_add_u32_e32 v13, 2, v13
	v_cmp_lt_i32_e64 s[2:3], v7, v13
	s_waitcnt vmcnt(3)
	v_add_f32_e32 v2, 0, v10
	v_add_f32_e32 v5, 0, v9
	v_cndmask_b32_e64 v6, v6, v7, s[2:3]
	v_lshlrev_b32_e32 v6, 2, v6
	s_waitcnt vmcnt(1)
	v_and_b32_e32 v4, 1, v4
	v_cmp_eq_u32_e64 s[4:5], 1, v4
	v_cndmask_b32_e64 v2, v2, 0, s[4:5]
	ds_bpermute_b32 v4, v6, v2
	s_waitcnt vmcnt(0)
	v_and_b32_e32 v3, 1, v3
	v_cmp_eq_u32_e64 s[2:3], 1, v3
	v_cndmask_b32_e64 v3, v5, 0, s[2:3]
	ds_bpermute_b32 v5, v6, v3
	s_and_saveexec_b64 s[6:7], s[0:1]
	s_cbranch_execz .LBB793_10
; %bb.5:
	s_waitcnt lgkmcnt(0)
	v_pk_add_f32 v[2:3], v[2:3], v[4:5]
	v_mov_b32_e32 v4, s13
	v_add_co_u32_e64 v0, s[0:1], s12, v0
	v_addc_co_u32_e64 v1, s[0:1], v4, v1, s[0:1]
	s_and_saveexec_b64 s[0:1], vcc
	s_cbranch_execz .LBB793_7
; %bb.6:
	v_fma_f32 v2, -v2, v11, v10
	v_cndmask_b32_e64 v2, v2, 0, s[4:5]
	global_store_dword v[0:1], v2, off
.LBB793_7:
	s_or_b64 exec, exec, s[0:1]
	v_cmp_ne_u32_e64 s[0:1], 1, v8
	s_and_b64 exec, exec, s[0:1]
	s_cbranch_execz .LBB793_10
; %bb.8:
	s_and_b64 exec, exec, vcc
	s_cbranch_execz .LBB793_10
; %bb.9:
	s_lshl_b64 s[0:1], s[10:11], 2
	v_fma_f32 v2, -v3, v12, v9
	v_mov_b32_e32 v3, s1
	v_add_co_u32_e32 v0, vcc, s0, v0
	v_addc_co_u32_e32 v1, vcc, v1, v3, vcc
	v_cndmask_b32_e64 v2, v2, 0, s[2:3]
	global_store_dword v[0:1], v2, off
.LBB793_10:
	s_endpgm
	.section	.rodata,"a",@progbits
	.p2align	6, 0x0
	.amdhsa_kernel _ZN12_GLOBAL__N_121softmax_warp_backwardIfffLi1ELb0ELb1ELi32EEEvPT0_PKT_S5_iiiPKb
		.amdhsa_group_segment_fixed_size 0
		.amdhsa_private_segment_fixed_size 0
		.amdhsa_kernarg_size 304
		.amdhsa_user_sgpr_count 6
		.amdhsa_user_sgpr_private_segment_buffer 1
		.amdhsa_user_sgpr_dispatch_ptr 0
		.amdhsa_user_sgpr_queue_ptr 0
		.amdhsa_user_sgpr_kernarg_segment_ptr 1
		.amdhsa_user_sgpr_dispatch_id 0
		.amdhsa_user_sgpr_flat_scratch_init 0
		.amdhsa_user_sgpr_kernarg_preload_length 0
		.amdhsa_user_sgpr_kernarg_preload_offset 0
		.amdhsa_user_sgpr_private_segment_size 0
		.amdhsa_uses_dynamic_stack 0
		.amdhsa_system_sgpr_private_segment_wavefront_offset 0
		.amdhsa_system_sgpr_workgroup_id_x 1
		.amdhsa_system_sgpr_workgroup_id_y 0
		.amdhsa_system_sgpr_workgroup_id_z 0
		.amdhsa_system_sgpr_workgroup_info 0
		.amdhsa_system_vgpr_workitem_id 1
		.amdhsa_next_free_vgpr 14
		.amdhsa_next_free_sgpr 16
		.amdhsa_accum_offset 16
		.amdhsa_reserve_vcc 1
		.amdhsa_reserve_flat_scratch 0
		.amdhsa_float_round_mode_32 0
		.amdhsa_float_round_mode_16_64 0
		.amdhsa_float_denorm_mode_32 3
		.amdhsa_float_denorm_mode_16_64 3
		.amdhsa_dx10_clamp 1
		.amdhsa_ieee_mode 1
		.amdhsa_fp16_overflow 0
		.amdhsa_tg_split 0
		.amdhsa_exception_fp_ieee_invalid_op 0
		.amdhsa_exception_fp_denorm_src 0
		.amdhsa_exception_fp_ieee_div_zero 0
		.amdhsa_exception_fp_ieee_overflow 0
		.amdhsa_exception_fp_ieee_underflow 0
		.amdhsa_exception_fp_ieee_inexact 0
		.amdhsa_exception_int_div_zero 0
	.end_amdhsa_kernel
	.section	.text._ZN12_GLOBAL__N_121softmax_warp_backwardIfffLi1ELb0ELb1ELi32EEEvPT0_PKT_S5_iiiPKb,"axG",@progbits,_ZN12_GLOBAL__N_121softmax_warp_backwardIfffLi1ELb0ELb1ELi32EEEvPT0_PKT_S5_iiiPKb,comdat
.Lfunc_end793:
	.size	_ZN12_GLOBAL__N_121softmax_warp_backwardIfffLi1ELb0ELb1ELi32EEEvPT0_PKT_S5_iiiPKb, .Lfunc_end793-_ZN12_GLOBAL__N_121softmax_warp_backwardIfffLi1ELb0ELb1ELi32EEEvPT0_PKT_S5_iiiPKb
                                        ; -- End function
	.section	.AMDGPU.csdata,"",@progbits
; Kernel info:
; codeLenInByte = 604
; NumSgprs: 20
; NumVgprs: 14
; NumAgprs: 0
; TotalNumVgprs: 14
; ScratchSize: 0
; MemoryBound: 0
; FloatMode: 240
; IeeeMode: 1
; LDSByteSize: 0 bytes/workgroup (compile time only)
; SGPRBlocks: 2
; VGPRBlocks: 1
; NumSGPRsForWavesPerEU: 20
; NumVGPRsForWavesPerEU: 14
; AccumOffset: 16
; Occupancy: 8
; WaveLimiterHint : 0
; COMPUTE_PGM_RSRC2:SCRATCH_EN: 0
; COMPUTE_PGM_RSRC2:USER_SGPR: 6
; COMPUTE_PGM_RSRC2:TRAP_HANDLER: 0
; COMPUTE_PGM_RSRC2:TGID_X_EN: 1
; COMPUTE_PGM_RSRC2:TGID_Y_EN: 0
; COMPUTE_PGM_RSRC2:TGID_Z_EN: 0
; COMPUTE_PGM_RSRC2:TIDIG_COMP_CNT: 1
; COMPUTE_PGM_RSRC3_GFX90A:ACCUM_OFFSET: 3
; COMPUTE_PGM_RSRC3_GFX90A:TG_SPLIT: 0
	.section	.text._ZN12_GLOBAL__N_121softmax_warp_backwardIfffLi2ELb0ELb1ELi64EEEvPT0_PKT_S5_iiiPKb,"axG",@progbits,_ZN12_GLOBAL__N_121softmax_warp_backwardIfffLi2ELb0ELb1ELi64EEEvPT0_PKT_S5_iiiPKb,comdat
	.globl	_ZN12_GLOBAL__N_121softmax_warp_backwardIfffLi2ELb0ELb1ELi64EEEvPT0_PKT_S5_iiiPKb ; -- Begin function _ZN12_GLOBAL__N_121softmax_warp_backwardIfffLi2ELb0ELb1ELi64EEEvPT0_PKT_S5_iiiPKb
	.p2align	8
	.type	_ZN12_GLOBAL__N_121softmax_warp_backwardIfffLi2ELb0ELb1ELi64EEEvPT0_PKT_S5_iiiPKb,@function
_ZN12_GLOBAL__N_121softmax_warp_backwardIfffLi2ELb0ELb1ELi64EEEvPT0_PKT_S5_iiiPKb: ; @_ZN12_GLOBAL__N_121softmax_warp_backwardIfffLi2ELb0ELb1ELi64EEEvPT0_PKT_S5_iiiPKb
; %bb.0:
	s_load_dword s2, s[4:5], 0x3c
	s_load_dwordx4 s[8:11], s[4:5], 0x18
	s_load_dwordx4 s[12:15], s[4:5], 0x0
	s_load_dwordx2 s[0:1], s[4:5], 0x10
	v_bfe_u32 v1, v0, 10, 10
	s_waitcnt lgkmcnt(0)
	s_lshr_b32 s2, s2, 16
	s_mul_i32 s6, s6, s2
	v_add_lshl_u32 v1, s6, v1, 1
	v_and_b32_e32 v10, 3, v0
	v_mad_u64_u32 v[2:3], s[2:3], v1, s9, v[10:11]
	v_ashrrev_i32_e32 v3, 31, v2
	v_sub_u32_e32 v8, s8, v1
	v_lshlrev_b64 v[0:1], 2, v[2:3]
	v_mov_b32_e32 v5, s15
	v_add_co_u32_e32 v4, vcc, s14, v0
	v_addc_co_u32_e32 v5, vcc, v5, v1, vcc
	v_mov_b32_e32 v7, s1
	v_add_co_u32_e32 v6, vcc, s0, v0
	v_addc_co_u32_e32 v7, vcc, v7, v1, vcc
	v_cmp_gt_i32_e32 vcc, s10, v10
	v_cmp_lt_i32_e64 s[0:1], 0, v8
	s_and_b64 s[6:7], vcc, s[0:1]
	v_mov_b32_e32 v9, 0
	v_mov_b32_e32 v10, 0
	v_mov_b32_e32 v11, 0
	s_and_saveexec_b64 s[2:3], s[6:7]
	s_cbranch_execz .LBB794_2
; %bb.1:
	global_load_dword v10, v[4:5], off
	global_load_dword v11, v[6:7], off
.LBB794_2:
	s_or_b64 exec, exec, s[2:3]
	v_cmp_lt_i32_e64 s[2:3], 1, v8
	s_and_b64 s[2:3], vcc, s[2:3]
	s_mov_b32 s11, 0
	v_mov_b32_e32 v12, 0
	s_and_saveexec_b64 s[6:7], s[2:3]
	s_cbranch_execz .LBB794_4
; %bb.3:
	s_lshl_b64 s[8:9], s[10:11], 2
	v_mov_b32_e32 v12, s9
	v_add_co_u32_e64 v4, s[2:3], s8, v4
	v_addc_co_u32_e64 v5, s[2:3], v5, v12, s[2:3]
	global_load_dword v9, v[4:5], off
	v_add_co_u32_e64 v4, s[2:3], s8, v6
	v_addc_co_u32_e64 v5, s[2:3], v7, v12, s[2:3]
	global_load_dword v12, v[4:5], off
.LBB794_4:
	s_or_b64 exec, exec, s[6:7]
	s_load_dwordx2 s[2:3], s[4:5], 0x28
	s_ashr_i32 s4, s10, 31
	v_mov_b32_e32 v5, s4
	v_mbcnt_lo_u32_b32 v6, -1, 0
	v_mbcnt_hi_u32_b32 v6, -1, v6
	s_waitcnt lgkmcnt(0)
	v_mov_b32_e32 v4, s3
	v_add_co_u32_e64 v2, s[2:3], s2, v2
	v_addc_co_u32_e64 v3, s[2:3], v4, v3, s[2:3]
	global_load_ubyte v4, v[2:3], off
	v_add_co_u32_e64 v2, s[2:3], s10, v2
	v_addc_co_u32_e64 v3, s[2:3], v3, v5, s[2:3]
	global_load_ubyte v3, v[2:3], off
	v_and_b32_e32 v7, 0x7c, v6
	v_xor_b32_e32 v13, 2, v6
	v_add_u32_e32 v7, 4, v7
	v_cmp_lt_i32_e64 s[2:3], v13, v7
	s_waitcnt vmcnt(3)
	v_add_f32_e32 v2, 0, v10
	v_add_f32_e32 v5, 0, v9
	v_cndmask_b32_e64 v13, v6, v13, s[2:3]
	v_lshlrev_b32_e32 v13, 2, v13
	s_waitcnt vmcnt(1)
	v_and_b32_e32 v4, 1, v4
	v_cmp_eq_u32_e64 s[4:5], 1, v4
	v_cndmask_b32_e64 v2, v2, 0, s[4:5]
	ds_bpermute_b32 v4, v13, v2
	s_waitcnt vmcnt(0)
	v_and_b32_e32 v3, 1, v3
	v_cmp_eq_u32_e64 s[2:3], 1, v3
	v_cndmask_b32_e64 v3, v5, 0, s[2:3]
	ds_bpermute_b32 v5, v13, v3
	v_xor_b32_e32 v13, 1, v6
	v_cmp_lt_i32_e64 s[6:7], v13, v7
	v_cndmask_b32_e64 v6, v6, v13, s[6:7]
	v_lshlrev_b32_e32 v6, 2, v6
	s_waitcnt lgkmcnt(0)
	v_pk_add_f32 v[2:3], v[2:3], v[4:5]
	ds_bpermute_b32 v4, v6, v2
	ds_bpermute_b32 v5, v6, v3
	s_and_saveexec_b64 s[6:7], s[0:1]
	s_cbranch_execz .LBB794_10
; %bb.5:
	s_waitcnt lgkmcnt(0)
	v_pk_add_f32 v[2:3], v[2:3], v[4:5]
	v_mov_b32_e32 v4, s13
	v_add_co_u32_e64 v0, s[0:1], s12, v0
	v_addc_co_u32_e64 v1, s[0:1], v4, v1, s[0:1]
	s_and_saveexec_b64 s[0:1], vcc
	s_cbranch_execz .LBB794_7
; %bb.6:
	v_fma_f32 v2, -v2, v11, v10
	v_cndmask_b32_e64 v2, v2, 0, s[4:5]
	global_store_dword v[0:1], v2, off
.LBB794_7:
	s_or_b64 exec, exec, s[0:1]
	v_cmp_ne_u32_e64 s[0:1], 1, v8
	s_and_b64 exec, exec, s[0:1]
	s_cbranch_execz .LBB794_10
; %bb.8:
	s_and_b64 exec, exec, vcc
	s_cbranch_execz .LBB794_10
; %bb.9:
	s_lshl_b64 s[0:1], s[10:11], 2
	v_fma_f32 v2, -v3, v12, v9
	v_mov_b32_e32 v3, s1
	v_add_co_u32_e32 v0, vcc, s0, v0
	v_addc_co_u32_e32 v1, vcc, v1, v3, vcc
	v_cndmask_b32_e64 v2, v2, 0, s[2:3]
	global_store_dword v[0:1], v2, off
.LBB794_10:
	s_endpgm
	.section	.rodata,"a",@progbits
	.p2align	6, 0x0
	.amdhsa_kernel _ZN12_GLOBAL__N_121softmax_warp_backwardIfffLi2ELb0ELb1ELi64EEEvPT0_PKT_S5_iiiPKb
		.amdhsa_group_segment_fixed_size 0
		.amdhsa_private_segment_fixed_size 0
		.amdhsa_kernarg_size 304
		.amdhsa_user_sgpr_count 6
		.amdhsa_user_sgpr_private_segment_buffer 1
		.amdhsa_user_sgpr_dispatch_ptr 0
		.amdhsa_user_sgpr_queue_ptr 0
		.amdhsa_user_sgpr_kernarg_segment_ptr 1
		.amdhsa_user_sgpr_dispatch_id 0
		.amdhsa_user_sgpr_flat_scratch_init 0
		.amdhsa_user_sgpr_kernarg_preload_length 0
		.amdhsa_user_sgpr_kernarg_preload_offset 0
		.amdhsa_user_sgpr_private_segment_size 0
		.amdhsa_uses_dynamic_stack 0
		.amdhsa_system_sgpr_private_segment_wavefront_offset 0
		.amdhsa_system_sgpr_workgroup_id_x 1
		.amdhsa_system_sgpr_workgroup_id_y 0
		.amdhsa_system_sgpr_workgroup_id_z 0
		.amdhsa_system_sgpr_workgroup_info 0
		.amdhsa_system_vgpr_workitem_id 1
		.amdhsa_next_free_vgpr 14
		.amdhsa_next_free_sgpr 16
		.amdhsa_accum_offset 16
		.amdhsa_reserve_vcc 1
		.amdhsa_reserve_flat_scratch 0
		.amdhsa_float_round_mode_32 0
		.amdhsa_float_round_mode_16_64 0
		.amdhsa_float_denorm_mode_32 3
		.amdhsa_float_denorm_mode_16_64 3
		.amdhsa_dx10_clamp 1
		.amdhsa_ieee_mode 1
		.amdhsa_fp16_overflow 0
		.amdhsa_tg_split 0
		.amdhsa_exception_fp_ieee_invalid_op 0
		.amdhsa_exception_fp_denorm_src 0
		.amdhsa_exception_fp_ieee_div_zero 0
		.amdhsa_exception_fp_ieee_overflow 0
		.amdhsa_exception_fp_ieee_underflow 0
		.amdhsa_exception_fp_ieee_inexact 0
		.amdhsa_exception_int_div_zero 0
	.end_amdhsa_kernel
	.section	.text._ZN12_GLOBAL__N_121softmax_warp_backwardIfffLi2ELb0ELb1ELi64EEEvPT0_PKT_S5_iiiPKb,"axG",@progbits,_ZN12_GLOBAL__N_121softmax_warp_backwardIfffLi2ELb0ELb1ELi64EEEvPT0_PKT_S5_iiiPKb,comdat
.Lfunc_end794:
	.size	_ZN12_GLOBAL__N_121softmax_warp_backwardIfffLi2ELb0ELb1ELi64EEEvPT0_PKT_S5_iiiPKb, .Lfunc_end794-_ZN12_GLOBAL__N_121softmax_warp_backwardIfffLi2ELb0ELb1ELi64EEEvPT0_PKT_S5_iiiPKb
                                        ; -- End function
	.section	.AMDGPU.csdata,"",@progbits
; Kernel info:
; codeLenInByte = 652
; NumSgprs: 20
; NumVgprs: 14
; NumAgprs: 0
; TotalNumVgprs: 14
; ScratchSize: 0
; MemoryBound: 0
; FloatMode: 240
; IeeeMode: 1
; LDSByteSize: 0 bytes/workgroup (compile time only)
; SGPRBlocks: 2
; VGPRBlocks: 1
; NumSGPRsForWavesPerEU: 20
; NumVGPRsForWavesPerEU: 14
; AccumOffset: 16
; Occupancy: 8
; WaveLimiterHint : 0
; COMPUTE_PGM_RSRC2:SCRATCH_EN: 0
; COMPUTE_PGM_RSRC2:USER_SGPR: 6
; COMPUTE_PGM_RSRC2:TRAP_HANDLER: 0
; COMPUTE_PGM_RSRC2:TGID_X_EN: 1
; COMPUTE_PGM_RSRC2:TGID_Y_EN: 0
; COMPUTE_PGM_RSRC2:TGID_Z_EN: 0
; COMPUTE_PGM_RSRC2:TIDIG_COMP_CNT: 1
; COMPUTE_PGM_RSRC3_GFX90A:ACCUM_OFFSET: 3
; COMPUTE_PGM_RSRC3_GFX90A:TG_SPLIT: 0
	.section	.text._ZN12_GLOBAL__N_121softmax_warp_backwardIfffLi2ELb0ELb1ELi32EEEvPT0_PKT_S5_iiiPKb,"axG",@progbits,_ZN12_GLOBAL__N_121softmax_warp_backwardIfffLi2ELb0ELb1ELi32EEEvPT0_PKT_S5_iiiPKb,comdat
	.globl	_ZN12_GLOBAL__N_121softmax_warp_backwardIfffLi2ELb0ELb1ELi32EEEvPT0_PKT_S5_iiiPKb ; -- Begin function _ZN12_GLOBAL__N_121softmax_warp_backwardIfffLi2ELb0ELb1ELi32EEEvPT0_PKT_S5_iiiPKb
	.p2align	8
	.type	_ZN12_GLOBAL__N_121softmax_warp_backwardIfffLi2ELb0ELb1ELi32EEEvPT0_PKT_S5_iiiPKb,@function
_ZN12_GLOBAL__N_121softmax_warp_backwardIfffLi2ELb0ELb1ELi32EEEvPT0_PKT_S5_iiiPKb: ; @_ZN12_GLOBAL__N_121softmax_warp_backwardIfffLi2ELb0ELb1ELi32EEEvPT0_PKT_S5_iiiPKb
; %bb.0:
	s_load_dword s2, s[4:5], 0x3c
	s_load_dwordx4 s[8:11], s[4:5], 0x18
	s_load_dwordx4 s[12:15], s[4:5], 0x0
	s_load_dwordx2 s[0:1], s[4:5], 0x10
	v_bfe_u32 v1, v0, 10, 10
	s_waitcnt lgkmcnt(0)
	s_lshr_b32 s2, s2, 16
	s_mul_i32 s6, s6, s2
	v_add_lshl_u32 v1, s6, v1, 1
	v_and_b32_e32 v10, 3, v0
	v_mad_u64_u32 v[2:3], s[2:3], v1, s9, v[10:11]
	v_ashrrev_i32_e32 v3, 31, v2
	v_sub_u32_e32 v8, s8, v1
	v_lshlrev_b64 v[0:1], 2, v[2:3]
	v_mov_b32_e32 v5, s15
	v_add_co_u32_e32 v4, vcc, s14, v0
	v_addc_co_u32_e32 v5, vcc, v5, v1, vcc
	v_mov_b32_e32 v7, s1
	v_add_co_u32_e32 v6, vcc, s0, v0
	v_addc_co_u32_e32 v7, vcc, v7, v1, vcc
	v_cmp_gt_i32_e32 vcc, s10, v10
	v_cmp_lt_i32_e64 s[0:1], 0, v8
	s_and_b64 s[6:7], vcc, s[0:1]
	v_mov_b32_e32 v9, 0
	v_mov_b32_e32 v10, 0
	;; [unrolled: 1-line block ×3, first 2 shown]
	s_and_saveexec_b64 s[2:3], s[6:7]
	s_cbranch_execz .LBB795_2
; %bb.1:
	global_load_dword v10, v[4:5], off
	global_load_dword v11, v[6:7], off
.LBB795_2:
	s_or_b64 exec, exec, s[2:3]
	v_cmp_lt_i32_e64 s[2:3], 1, v8
	s_and_b64 s[2:3], vcc, s[2:3]
	s_mov_b32 s11, 0
	v_mov_b32_e32 v12, 0
	s_and_saveexec_b64 s[6:7], s[2:3]
	s_cbranch_execz .LBB795_4
; %bb.3:
	s_lshl_b64 s[8:9], s[10:11], 2
	v_mov_b32_e32 v12, s9
	v_add_co_u32_e64 v4, s[2:3], s8, v4
	v_addc_co_u32_e64 v5, s[2:3], v5, v12, s[2:3]
	global_load_dword v9, v[4:5], off
	v_add_co_u32_e64 v4, s[2:3], s8, v6
	v_addc_co_u32_e64 v5, s[2:3], v7, v12, s[2:3]
	global_load_dword v12, v[4:5], off
.LBB795_4:
	s_or_b64 exec, exec, s[6:7]
	s_load_dwordx2 s[2:3], s[4:5], 0x28
	s_ashr_i32 s4, s10, 31
	v_mov_b32_e32 v5, s4
	v_mbcnt_lo_u32_b32 v6, -1, 0
	v_mbcnt_hi_u32_b32 v6, -1, v6
	s_waitcnt lgkmcnt(0)
	v_mov_b32_e32 v4, s3
	v_add_co_u32_e64 v2, s[2:3], s2, v2
	v_addc_co_u32_e64 v3, s[2:3], v4, v3, s[2:3]
	global_load_ubyte v4, v[2:3], off
	v_add_co_u32_e64 v2, s[2:3], s10, v2
	v_addc_co_u32_e64 v3, s[2:3], v3, v5, s[2:3]
	global_load_ubyte v3, v[2:3], off
	v_and_b32_e32 v7, 0x7c, v6
	v_xor_b32_e32 v13, 2, v6
	v_add_u32_e32 v7, 4, v7
	v_cmp_lt_i32_e64 s[2:3], v13, v7
	s_waitcnt vmcnt(3)
	v_add_f32_e32 v2, 0, v10
	v_add_f32_e32 v5, 0, v9
	v_cndmask_b32_e64 v13, v6, v13, s[2:3]
	v_lshlrev_b32_e32 v13, 2, v13
	s_waitcnt vmcnt(1)
	v_and_b32_e32 v4, 1, v4
	v_cmp_eq_u32_e64 s[4:5], 1, v4
	v_cndmask_b32_e64 v2, v2, 0, s[4:5]
	ds_bpermute_b32 v4, v13, v2
	s_waitcnt vmcnt(0)
	v_and_b32_e32 v3, 1, v3
	v_cmp_eq_u32_e64 s[2:3], 1, v3
	v_cndmask_b32_e64 v3, v5, 0, s[2:3]
	ds_bpermute_b32 v5, v13, v3
	v_xor_b32_e32 v13, 1, v6
	v_cmp_lt_i32_e64 s[6:7], v13, v7
	v_cndmask_b32_e64 v6, v6, v13, s[6:7]
	v_lshlrev_b32_e32 v6, 2, v6
	s_waitcnt lgkmcnt(0)
	v_pk_add_f32 v[2:3], v[2:3], v[4:5]
	ds_bpermute_b32 v4, v6, v2
	ds_bpermute_b32 v5, v6, v3
	s_and_saveexec_b64 s[6:7], s[0:1]
	s_cbranch_execz .LBB795_10
; %bb.5:
	s_waitcnt lgkmcnt(0)
	v_pk_add_f32 v[2:3], v[2:3], v[4:5]
	v_mov_b32_e32 v4, s13
	v_add_co_u32_e64 v0, s[0:1], s12, v0
	v_addc_co_u32_e64 v1, s[0:1], v4, v1, s[0:1]
	s_and_saveexec_b64 s[0:1], vcc
	s_cbranch_execz .LBB795_7
; %bb.6:
	v_fma_f32 v2, -v2, v11, v10
	v_cndmask_b32_e64 v2, v2, 0, s[4:5]
	global_store_dword v[0:1], v2, off
.LBB795_7:
	s_or_b64 exec, exec, s[0:1]
	v_cmp_ne_u32_e64 s[0:1], 1, v8
	s_and_b64 exec, exec, s[0:1]
	s_cbranch_execz .LBB795_10
; %bb.8:
	s_and_b64 exec, exec, vcc
	s_cbranch_execz .LBB795_10
; %bb.9:
	s_lshl_b64 s[0:1], s[10:11], 2
	v_fma_f32 v2, -v3, v12, v9
	v_mov_b32_e32 v3, s1
	v_add_co_u32_e32 v0, vcc, s0, v0
	v_addc_co_u32_e32 v1, vcc, v1, v3, vcc
	v_cndmask_b32_e64 v2, v2, 0, s[2:3]
	global_store_dword v[0:1], v2, off
.LBB795_10:
	s_endpgm
	.section	.rodata,"a",@progbits
	.p2align	6, 0x0
	.amdhsa_kernel _ZN12_GLOBAL__N_121softmax_warp_backwardIfffLi2ELb0ELb1ELi32EEEvPT0_PKT_S5_iiiPKb
		.amdhsa_group_segment_fixed_size 0
		.amdhsa_private_segment_fixed_size 0
		.amdhsa_kernarg_size 304
		.amdhsa_user_sgpr_count 6
		.amdhsa_user_sgpr_private_segment_buffer 1
		.amdhsa_user_sgpr_dispatch_ptr 0
		.amdhsa_user_sgpr_queue_ptr 0
		.amdhsa_user_sgpr_kernarg_segment_ptr 1
		.amdhsa_user_sgpr_dispatch_id 0
		.amdhsa_user_sgpr_flat_scratch_init 0
		.amdhsa_user_sgpr_kernarg_preload_length 0
		.amdhsa_user_sgpr_kernarg_preload_offset 0
		.amdhsa_user_sgpr_private_segment_size 0
		.amdhsa_uses_dynamic_stack 0
		.amdhsa_system_sgpr_private_segment_wavefront_offset 0
		.amdhsa_system_sgpr_workgroup_id_x 1
		.amdhsa_system_sgpr_workgroup_id_y 0
		.amdhsa_system_sgpr_workgroup_id_z 0
		.amdhsa_system_sgpr_workgroup_info 0
		.amdhsa_system_vgpr_workitem_id 1
		.amdhsa_next_free_vgpr 14
		.amdhsa_next_free_sgpr 16
		.amdhsa_accum_offset 16
		.amdhsa_reserve_vcc 1
		.amdhsa_reserve_flat_scratch 0
		.amdhsa_float_round_mode_32 0
		.amdhsa_float_round_mode_16_64 0
		.amdhsa_float_denorm_mode_32 3
		.amdhsa_float_denorm_mode_16_64 3
		.amdhsa_dx10_clamp 1
		.amdhsa_ieee_mode 1
		.amdhsa_fp16_overflow 0
		.amdhsa_tg_split 0
		.amdhsa_exception_fp_ieee_invalid_op 0
		.amdhsa_exception_fp_denorm_src 0
		.amdhsa_exception_fp_ieee_div_zero 0
		.amdhsa_exception_fp_ieee_overflow 0
		.amdhsa_exception_fp_ieee_underflow 0
		.amdhsa_exception_fp_ieee_inexact 0
		.amdhsa_exception_int_div_zero 0
	.end_amdhsa_kernel
	.section	.text._ZN12_GLOBAL__N_121softmax_warp_backwardIfffLi2ELb0ELb1ELi32EEEvPT0_PKT_S5_iiiPKb,"axG",@progbits,_ZN12_GLOBAL__N_121softmax_warp_backwardIfffLi2ELb0ELb1ELi32EEEvPT0_PKT_S5_iiiPKb,comdat
.Lfunc_end795:
	.size	_ZN12_GLOBAL__N_121softmax_warp_backwardIfffLi2ELb0ELb1ELi32EEEvPT0_PKT_S5_iiiPKb, .Lfunc_end795-_ZN12_GLOBAL__N_121softmax_warp_backwardIfffLi2ELb0ELb1ELi32EEEvPT0_PKT_S5_iiiPKb
                                        ; -- End function
	.section	.AMDGPU.csdata,"",@progbits
; Kernel info:
; codeLenInByte = 652
; NumSgprs: 20
; NumVgprs: 14
; NumAgprs: 0
; TotalNumVgprs: 14
; ScratchSize: 0
; MemoryBound: 0
; FloatMode: 240
; IeeeMode: 1
; LDSByteSize: 0 bytes/workgroup (compile time only)
; SGPRBlocks: 2
; VGPRBlocks: 1
; NumSGPRsForWavesPerEU: 20
; NumVGPRsForWavesPerEU: 14
; AccumOffset: 16
; Occupancy: 8
; WaveLimiterHint : 0
; COMPUTE_PGM_RSRC2:SCRATCH_EN: 0
; COMPUTE_PGM_RSRC2:USER_SGPR: 6
; COMPUTE_PGM_RSRC2:TRAP_HANDLER: 0
; COMPUTE_PGM_RSRC2:TGID_X_EN: 1
; COMPUTE_PGM_RSRC2:TGID_Y_EN: 0
; COMPUTE_PGM_RSRC2:TGID_Z_EN: 0
; COMPUTE_PGM_RSRC2:TIDIG_COMP_CNT: 1
; COMPUTE_PGM_RSRC3_GFX90A:ACCUM_OFFSET: 3
; COMPUTE_PGM_RSRC3_GFX90A:TG_SPLIT: 0
	.section	.text._ZN12_GLOBAL__N_121softmax_warp_backwardIfffLi3ELb0ELb1ELi64EEEvPT0_PKT_S5_iiiPKb,"axG",@progbits,_ZN12_GLOBAL__N_121softmax_warp_backwardIfffLi3ELb0ELb1ELi64EEEvPT0_PKT_S5_iiiPKb,comdat
	.globl	_ZN12_GLOBAL__N_121softmax_warp_backwardIfffLi3ELb0ELb1ELi64EEEvPT0_PKT_S5_iiiPKb ; -- Begin function _ZN12_GLOBAL__N_121softmax_warp_backwardIfffLi3ELb0ELb1ELi64EEEvPT0_PKT_S5_iiiPKb
	.p2align	8
	.type	_ZN12_GLOBAL__N_121softmax_warp_backwardIfffLi3ELb0ELb1ELi64EEEvPT0_PKT_S5_iiiPKb,@function
_ZN12_GLOBAL__N_121softmax_warp_backwardIfffLi3ELb0ELb1ELi64EEEvPT0_PKT_S5_iiiPKb: ; @_ZN12_GLOBAL__N_121softmax_warp_backwardIfffLi3ELb0ELb1ELi64EEEvPT0_PKT_S5_iiiPKb
; %bb.0:
	s_load_dword s2, s[4:5], 0x3c
	s_load_dwordx4 s[8:11], s[4:5], 0x18
	s_load_dwordx4 s[12:15], s[4:5], 0x0
	s_load_dwordx2 s[0:1], s[4:5], 0x10
	v_bfe_u32 v1, v0, 10, 10
	s_waitcnt lgkmcnt(0)
	s_lshr_b32 s2, s2, 16
	s_mul_i32 s6, s6, s2
	v_add_lshl_u32 v1, s6, v1, 1
	v_and_b32_e32 v10, 7, v0
	v_mad_u64_u32 v[2:3], s[2:3], v1, s9, v[10:11]
	v_ashrrev_i32_e32 v3, 31, v2
	v_sub_u32_e32 v8, s8, v1
	v_lshlrev_b64 v[0:1], 2, v[2:3]
	v_mov_b32_e32 v5, s15
	v_add_co_u32_e32 v4, vcc, s14, v0
	v_addc_co_u32_e32 v5, vcc, v5, v1, vcc
	v_mov_b32_e32 v7, s1
	v_add_co_u32_e32 v6, vcc, s0, v0
	v_addc_co_u32_e32 v7, vcc, v7, v1, vcc
	v_cmp_gt_i32_e32 vcc, s10, v10
	v_cmp_lt_i32_e64 s[0:1], 0, v8
	s_and_b64 s[6:7], vcc, s[0:1]
	v_mov_b32_e32 v9, 0
	v_mov_b32_e32 v10, 0
	;; [unrolled: 1-line block ×3, first 2 shown]
	s_and_saveexec_b64 s[2:3], s[6:7]
	s_cbranch_execz .LBB796_2
; %bb.1:
	global_load_dword v10, v[4:5], off
	global_load_dword v11, v[6:7], off
.LBB796_2:
	s_or_b64 exec, exec, s[2:3]
	v_cmp_lt_i32_e64 s[2:3], 1, v8
	s_and_b64 s[2:3], vcc, s[2:3]
	s_mov_b32 s11, 0
	v_mov_b32_e32 v12, 0
	s_and_saveexec_b64 s[6:7], s[2:3]
	s_cbranch_execz .LBB796_4
; %bb.3:
	s_lshl_b64 s[8:9], s[10:11], 2
	v_mov_b32_e32 v12, s9
	v_add_co_u32_e64 v4, s[2:3], s8, v4
	v_addc_co_u32_e64 v5, s[2:3], v5, v12, s[2:3]
	global_load_dword v9, v[4:5], off
	v_add_co_u32_e64 v4, s[2:3], s8, v6
	v_addc_co_u32_e64 v5, s[2:3], v7, v12, s[2:3]
	global_load_dword v12, v[4:5], off
.LBB796_4:
	s_or_b64 exec, exec, s[6:7]
	s_load_dwordx2 s[2:3], s[4:5], 0x28
	s_ashr_i32 s4, s10, 31
	v_mov_b32_e32 v5, s4
	v_mbcnt_lo_u32_b32 v6, -1, 0
	v_mbcnt_hi_u32_b32 v6, -1, v6
	s_waitcnt lgkmcnt(0)
	v_mov_b32_e32 v4, s3
	v_add_co_u32_e64 v2, s[2:3], s2, v2
	v_addc_co_u32_e64 v3, s[2:3], v4, v3, s[2:3]
	global_load_ubyte v4, v[2:3], off
	v_add_co_u32_e64 v2, s[2:3], s10, v2
	v_addc_co_u32_e64 v3, s[2:3], v3, v5, s[2:3]
	global_load_ubyte v3, v[2:3], off
	v_and_b32_e32 v7, 0x78, v6
	v_xor_b32_e32 v13, 4, v6
	v_add_u32_e32 v7, 8, v7
	v_cmp_lt_i32_e64 s[2:3], v13, v7
	s_waitcnt vmcnt(3)
	v_add_f32_e32 v2, 0, v10
	v_add_f32_e32 v5, 0, v9
	v_cndmask_b32_e64 v13, v6, v13, s[2:3]
	v_lshlrev_b32_e32 v13, 2, v13
	s_waitcnt vmcnt(1)
	v_and_b32_e32 v4, 1, v4
	v_cmp_eq_u32_e64 s[4:5], 1, v4
	v_cndmask_b32_e64 v2, v2, 0, s[4:5]
	ds_bpermute_b32 v4, v13, v2
	s_waitcnt vmcnt(0)
	v_and_b32_e32 v3, 1, v3
	v_cmp_eq_u32_e64 s[2:3], 1, v3
	v_cndmask_b32_e64 v3, v5, 0, s[2:3]
	ds_bpermute_b32 v5, v13, v3
	v_xor_b32_e32 v13, 2, v6
	v_cmp_lt_i32_e64 s[6:7], v13, v7
	v_cndmask_b32_e64 v13, v6, v13, s[6:7]
	v_lshlrev_b32_e32 v13, 2, v13
	s_waitcnt lgkmcnt(0)
	v_pk_add_f32 v[2:3], v[2:3], v[4:5]
	ds_bpermute_b32 v4, v13, v2
	ds_bpermute_b32 v5, v13, v3
	v_xor_b32_e32 v13, 1, v6
	v_cmp_lt_i32_e64 s[6:7], v13, v7
	v_cndmask_b32_e64 v6, v6, v13, s[6:7]
	v_lshlrev_b32_e32 v6, 2, v6
	s_waitcnt lgkmcnt(0)
	v_pk_add_f32 v[2:3], v[2:3], v[4:5]
	ds_bpermute_b32 v4, v6, v2
	ds_bpermute_b32 v5, v6, v3
	s_and_saveexec_b64 s[6:7], s[0:1]
	s_cbranch_execz .LBB796_10
; %bb.5:
	s_waitcnt lgkmcnt(0)
	v_pk_add_f32 v[2:3], v[2:3], v[4:5]
	v_mov_b32_e32 v4, s13
	v_add_co_u32_e64 v0, s[0:1], s12, v0
	v_addc_co_u32_e64 v1, s[0:1], v4, v1, s[0:1]
	s_and_saveexec_b64 s[0:1], vcc
	s_cbranch_execz .LBB796_7
; %bb.6:
	v_fma_f32 v2, -v2, v11, v10
	v_cndmask_b32_e64 v2, v2, 0, s[4:5]
	global_store_dword v[0:1], v2, off
.LBB796_7:
	s_or_b64 exec, exec, s[0:1]
	v_cmp_ne_u32_e64 s[0:1], 1, v8
	s_and_b64 exec, exec, s[0:1]
	s_cbranch_execz .LBB796_10
; %bb.8:
	s_and_b64 exec, exec, vcc
	s_cbranch_execz .LBB796_10
; %bb.9:
	s_lshl_b64 s[0:1], s[10:11], 2
	v_fma_f32 v2, -v3, v12, v9
	v_mov_b32_e32 v3, s1
	v_add_co_u32_e32 v0, vcc, s0, v0
	v_addc_co_u32_e32 v1, vcc, v1, v3, vcc
	v_cndmask_b32_e64 v2, v2, 0, s[2:3]
	global_store_dword v[0:1], v2, off
.LBB796_10:
	s_endpgm
	.section	.rodata,"a",@progbits
	.p2align	6, 0x0
	.amdhsa_kernel _ZN12_GLOBAL__N_121softmax_warp_backwardIfffLi3ELb0ELb1ELi64EEEvPT0_PKT_S5_iiiPKb
		.amdhsa_group_segment_fixed_size 0
		.amdhsa_private_segment_fixed_size 0
		.amdhsa_kernarg_size 304
		.amdhsa_user_sgpr_count 6
		.amdhsa_user_sgpr_private_segment_buffer 1
		.amdhsa_user_sgpr_dispatch_ptr 0
		.amdhsa_user_sgpr_queue_ptr 0
		.amdhsa_user_sgpr_kernarg_segment_ptr 1
		.amdhsa_user_sgpr_dispatch_id 0
		.amdhsa_user_sgpr_flat_scratch_init 0
		.amdhsa_user_sgpr_kernarg_preload_length 0
		.amdhsa_user_sgpr_kernarg_preload_offset 0
		.amdhsa_user_sgpr_private_segment_size 0
		.amdhsa_uses_dynamic_stack 0
		.amdhsa_system_sgpr_private_segment_wavefront_offset 0
		.amdhsa_system_sgpr_workgroup_id_x 1
		.amdhsa_system_sgpr_workgroup_id_y 0
		.amdhsa_system_sgpr_workgroup_id_z 0
		.amdhsa_system_sgpr_workgroup_info 0
		.amdhsa_system_vgpr_workitem_id 1
		.amdhsa_next_free_vgpr 14
		.amdhsa_next_free_sgpr 16
		.amdhsa_accum_offset 16
		.amdhsa_reserve_vcc 1
		.amdhsa_reserve_flat_scratch 0
		.amdhsa_float_round_mode_32 0
		.amdhsa_float_round_mode_16_64 0
		.amdhsa_float_denorm_mode_32 3
		.amdhsa_float_denorm_mode_16_64 3
		.amdhsa_dx10_clamp 1
		.amdhsa_ieee_mode 1
		.amdhsa_fp16_overflow 0
		.amdhsa_tg_split 0
		.amdhsa_exception_fp_ieee_invalid_op 0
		.amdhsa_exception_fp_denorm_src 0
		.amdhsa_exception_fp_ieee_div_zero 0
		.amdhsa_exception_fp_ieee_overflow 0
		.amdhsa_exception_fp_ieee_underflow 0
		.amdhsa_exception_fp_ieee_inexact 0
		.amdhsa_exception_int_div_zero 0
	.end_amdhsa_kernel
	.section	.text._ZN12_GLOBAL__N_121softmax_warp_backwardIfffLi3ELb0ELb1ELi64EEEvPT0_PKT_S5_iiiPKb,"axG",@progbits,_ZN12_GLOBAL__N_121softmax_warp_backwardIfffLi3ELb0ELb1ELi64EEEvPT0_PKT_S5_iiiPKb,comdat
.Lfunc_end796:
	.size	_ZN12_GLOBAL__N_121softmax_warp_backwardIfffLi3ELb0ELb1ELi64EEEvPT0_PKT_S5_iiiPKb, .Lfunc_end796-_ZN12_GLOBAL__N_121softmax_warp_backwardIfffLi3ELb0ELb1ELi64EEEvPT0_PKT_S5_iiiPKb
                                        ; -- End function
	.section	.AMDGPU.csdata,"",@progbits
; Kernel info:
; codeLenInByte = 704
; NumSgprs: 20
; NumVgprs: 14
; NumAgprs: 0
; TotalNumVgprs: 14
; ScratchSize: 0
; MemoryBound: 0
; FloatMode: 240
; IeeeMode: 1
; LDSByteSize: 0 bytes/workgroup (compile time only)
; SGPRBlocks: 2
; VGPRBlocks: 1
; NumSGPRsForWavesPerEU: 20
; NumVGPRsForWavesPerEU: 14
; AccumOffset: 16
; Occupancy: 8
; WaveLimiterHint : 0
; COMPUTE_PGM_RSRC2:SCRATCH_EN: 0
; COMPUTE_PGM_RSRC2:USER_SGPR: 6
; COMPUTE_PGM_RSRC2:TRAP_HANDLER: 0
; COMPUTE_PGM_RSRC2:TGID_X_EN: 1
; COMPUTE_PGM_RSRC2:TGID_Y_EN: 0
; COMPUTE_PGM_RSRC2:TGID_Z_EN: 0
; COMPUTE_PGM_RSRC2:TIDIG_COMP_CNT: 1
; COMPUTE_PGM_RSRC3_GFX90A:ACCUM_OFFSET: 3
; COMPUTE_PGM_RSRC3_GFX90A:TG_SPLIT: 0
	.section	.text._ZN12_GLOBAL__N_121softmax_warp_backwardIfffLi3ELb0ELb1ELi32EEEvPT0_PKT_S5_iiiPKb,"axG",@progbits,_ZN12_GLOBAL__N_121softmax_warp_backwardIfffLi3ELb0ELb1ELi32EEEvPT0_PKT_S5_iiiPKb,comdat
	.globl	_ZN12_GLOBAL__N_121softmax_warp_backwardIfffLi3ELb0ELb1ELi32EEEvPT0_PKT_S5_iiiPKb ; -- Begin function _ZN12_GLOBAL__N_121softmax_warp_backwardIfffLi3ELb0ELb1ELi32EEEvPT0_PKT_S5_iiiPKb
	.p2align	8
	.type	_ZN12_GLOBAL__N_121softmax_warp_backwardIfffLi3ELb0ELb1ELi32EEEvPT0_PKT_S5_iiiPKb,@function
_ZN12_GLOBAL__N_121softmax_warp_backwardIfffLi3ELb0ELb1ELi32EEEvPT0_PKT_S5_iiiPKb: ; @_ZN12_GLOBAL__N_121softmax_warp_backwardIfffLi3ELb0ELb1ELi32EEEvPT0_PKT_S5_iiiPKb
; %bb.0:
	s_load_dword s2, s[4:5], 0x3c
	s_load_dwordx4 s[8:11], s[4:5], 0x18
	s_load_dwordx4 s[12:15], s[4:5], 0x0
	s_load_dwordx2 s[0:1], s[4:5], 0x10
	v_bfe_u32 v1, v0, 10, 10
	s_waitcnt lgkmcnt(0)
	s_lshr_b32 s2, s2, 16
	s_mul_i32 s6, s6, s2
	v_add_lshl_u32 v1, s6, v1, 1
	v_and_b32_e32 v10, 7, v0
	v_mad_u64_u32 v[2:3], s[2:3], v1, s9, v[10:11]
	v_ashrrev_i32_e32 v3, 31, v2
	v_sub_u32_e32 v8, s8, v1
	v_lshlrev_b64 v[0:1], 2, v[2:3]
	v_mov_b32_e32 v5, s15
	v_add_co_u32_e32 v4, vcc, s14, v0
	v_addc_co_u32_e32 v5, vcc, v5, v1, vcc
	v_mov_b32_e32 v7, s1
	v_add_co_u32_e32 v6, vcc, s0, v0
	v_addc_co_u32_e32 v7, vcc, v7, v1, vcc
	v_cmp_gt_i32_e32 vcc, s10, v10
	v_cmp_lt_i32_e64 s[0:1], 0, v8
	s_and_b64 s[6:7], vcc, s[0:1]
	v_mov_b32_e32 v9, 0
	v_mov_b32_e32 v10, 0
	;; [unrolled: 1-line block ×3, first 2 shown]
	s_and_saveexec_b64 s[2:3], s[6:7]
	s_cbranch_execz .LBB797_2
; %bb.1:
	global_load_dword v10, v[4:5], off
	global_load_dword v11, v[6:7], off
.LBB797_2:
	s_or_b64 exec, exec, s[2:3]
	v_cmp_lt_i32_e64 s[2:3], 1, v8
	s_and_b64 s[2:3], vcc, s[2:3]
	s_mov_b32 s11, 0
	v_mov_b32_e32 v12, 0
	s_and_saveexec_b64 s[6:7], s[2:3]
	s_cbranch_execz .LBB797_4
; %bb.3:
	s_lshl_b64 s[8:9], s[10:11], 2
	v_mov_b32_e32 v12, s9
	v_add_co_u32_e64 v4, s[2:3], s8, v4
	v_addc_co_u32_e64 v5, s[2:3], v5, v12, s[2:3]
	global_load_dword v9, v[4:5], off
	v_add_co_u32_e64 v4, s[2:3], s8, v6
	v_addc_co_u32_e64 v5, s[2:3], v7, v12, s[2:3]
	global_load_dword v12, v[4:5], off
.LBB797_4:
	s_or_b64 exec, exec, s[6:7]
	s_load_dwordx2 s[2:3], s[4:5], 0x28
	s_ashr_i32 s4, s10, 31
	v_mov_b32_e32 v5, s4
	v_mbcnt_lo_u32_b32 v6, -1, 0
	v_mbcnt_hi_u32_b32 v6, -1, v6
	s_waitcnt lgkmcnt(0)
	v_mov_b32_e32 v4, s3
	v_add_co_u32_e64 v2, s[2:3], s2, v2
	v_addc_co_u32_e64 v3, s[2:3], v4, v3, s[2:3]
	global_load_ubyte v4, v[2:3], off
	v_add_co_u32_e64 v2, s[2:3], s10, v2
	v_addc_co_u32_e64 v3, s[2:3], v3, v5, s[2:3]
	global_load_ubyte v3, v[2:3], off
	v_and_b32_e32 v7, 0x78, v6
	v_xor_b32_e32 v13, 4, v6
	v_add_u32_e32 v7, 8, v7
	v_cmp_lt_i32_e64 s[2:3], v13, v7
	s_waitcnt vmcnt(3)
	v_add_f32_e32 v2, 0, v10
	v_add_f32_e32 v5, 0, v9
	v_cndmask_b32_e64 v13, v6, v13, s[2:3]
	v_lshlrev_b32_e32 v13, 2, v13
	s_waitcnt vmcnt(1)
	v_and_b32_e32 v4, 1, v4
	v_cmp_eq_u32_e64 s[4:5], 1, v4
	v_cndmask_b32_e64 v2, v2, 0, s[4:5]
	ds_bpermute_b32 v4, v13, v2
	s_waitcnt vmcnt(0)
	v_and_b32_e32 v3, 1, v3
	v_cmp_eq_u32_e64 s[2:3], 1, v3
	v_cndmask_b32_e64 v3, v5, 0, s[2:3]
	ds_bpermute_b32 v5, v13, v3
	v_xor_b32_e32 v13, 2, v6
	v_cmp_lt_i32_e64 s[6:7], v13, v7
	v_cndmask_b32_e64 v13, v6, v13, s[6:7]
	v_lshlrev_b32_e32 v13, 2, v13
	s_waitcnt lgkmcnt(0)
	v_pk_add_f32 v[2:3], v[2:3], v[4:5]
	ds_bpermute_b32 v4, v13, v2
	ds_bpermute_b32 v5, v13, v3
	v_xor_b32_e32 v13, 1, v6
	v_cmp_lt_i32_e64 s[6:7], v13, v7
	v_cndmask_b32_e64 v6, v6, v13, s[6:7]
	v_lshlrev_b32_e32 v6, 2, v6
	s_waitcnt lgkmcnt(0)
	v_pk_add_f32 v[2:3], v[2:3], v[4:5]
	ds_bpermute_b32 v4, v6, v2
	ds_bpermute_b32 v5, v6, v3
	s_and_saveexec_b64 s[6:7], s[0:1]
	s_cbranch_execz .LBB797_10
; %bb.5:
	s_waitcnt lgkmcnt(0)
	v_pk_add_f32 v[2:3], v[2:3], v[4:5]
	v_mov_b32_e32 v4, s13
	v_add_co_u32_e64 v0, s[0:1], s12, v0
	v_addc_co_u32_e64 v1, s[0:1], v4, v1, s[0:1]
	s_and_saveexec_b64 s[0:1], vcc
	s_cbranch_execz .LBB797_7
; %bb.6:
	v_fma_f32 v2, -v2, v11, v10
	v_cndmask_b32_e64 v2, v2, 0, s[4:5]
	global_store_dword v[0:1], v2, off
.LBB797_7:
	s_or_b64 exec, exec, s[0:1]
	v_cmp_ne_u32_e64 s[0:1], 1, v8
	s_and_b64 exec, exec, s[0:1]
	s_cbranch_execz .LBB797_10
; %bb.8:
	s_and_b64 exec, exec, vcc
	s_cbranch_execz .LBB797_10
; %bb.9:
	s_lshl_b64 s[0:1], s[10:11], 2
	v_fma_f32 v2, -v3, v12, v9
	v_mov_b32_e32 v3, s1
	v_add_co_u32_e32 v0, vcc, s0, v0
	v_addc_co_u32_e32 v1, vcc, v1, v3, vcc
	v_cndmask_b32_e64 v2, v2, 0, s[2:3]
	global_store_dword v[0:1], v2, off
.LBB797_10:
	s_endpgm
	.section	.rodata,"a",@progbits
	.p2align	6, 0x0
	.amdhsa_kernel _ZN12_GLOBAL__N_121softmax_warp_backwardIfffLi3ELb0ELb1ELi32EEEvPT0_PKT_S5_iiiPKb
		.amdhsa_group_segment_fixed_size 0
		.amdhsa_private_segment_fixed_size 0
		.amdhsa_kernarg_size 304
		.amdhsa_user_sgpr_count 6
		.amdhsa_user_sgpr_private_segment_buffer 1
		.amdhsa_user_sgpr_dispatch_ptr 0
		.amdhsa_user_sgpr_queue_ptr 0
		.amdhsa_user_sgpr_kernarg_segment_ptr 1
		.amdhsa_user_sgpr_dispatch_id 0
		.amdhsa_user_sgpr_flat_scratch_init 0
		.amdhsa_user_sgpr_kernarg_preload_length 0
		.amdhsa_user_sgpr_kernarg_preload_offset 0
		.amdhsa_user_sgpr_private_segment_size 0
		.amdhsa_uses_dynamic_stack 0
		.amdhsa_system_sgpr_private_segment_wavefront_offset 0
		.amdhsa_system_sgpr_workgroup_id_x 1
		.amdhsa_system_sgpr_workgroup_id_y 0
		.amdhsa_system_sgpr_workgroup_id_z 0
		.amdhsa_system_sgpr_workgroup_info 0
		.amdhsa_system_vgpr_workitem_id 1
		.amdhsa_next_free_vgpr 14
		.amdhsa_next_free_sgpr 16
		.amdhsa_accum_offset 16
		.amdhsa_reserve_vcc 1
		.amdhsa_reserve_flat_scratch 0
		.amdhsa_float_round_mode_32 0
		.amdhsa_float_round_mode_16_64 0
		.amdhsa_float_denorm_mode_32 3
		.amdhsa_float_denorm_mode_16_64 3
		.amdhsa_dx10_clamp 1
		.amdhsa_ieee_mode 1
		.amdhsa_fp16_overflow 0
		.amdhsa_tg_split 0
		.amdhsa_exception_fp_ieee_invalid_op 0
		.amdhsa_exception_fp_denorm_src 0
		.amdhsa_exception_fp_ieee_div_zero 0
		.amdhsa_exception_fp_ieee_overflow 0
		.amdhsa_exception_fp_ieee_underflow 0
		.amdhsa_exception_fp_ieee_inexact 0
		.amdhsa_exception_int_div_zero 0
	.end_amdhsa_kernel
	.section	.text._ZN12_GLOBAL__N_121softmax_warp_backwardIfffLi3ELb0ELb1ELi32EEEvPT0_PKT_S5_iiiPKb,"axG",@progbits,_ZN12_GLOBAL__N_121softmax_warp_backwardIfffLi3ELb0ELb1ELi32EEEvPT0_PKT_S5_iiiPKb,comdat
.Lfunc_end797:
	.size	_ZN12_GLOBAL__N_121softmax_warp_backwardIfffLi3ELb0ELb1ELi32EEEvPT0_PKT_S5_iiiPKb, .Lfunc_end797-_ZN12_GLOBAL__N_121softmax_warp_backwardIfffLi3ELb0ELb1ELi32EEEvPT0_PKT_S5_iiiPKb
                                        ; -- End function
	.section	.AMDGPU.csdata,"",@progbits
; Kernel info:
; codeLenInByte = 704
; NumSgprs: 20
; NumVgprs: 14
; NumAgprs: 0
; TotalNumVgprs: 14
; ScratchSize: 0
; MemoryBound: 0
; FloatMode: 240
; IeeeMode: 1
; LDSByteSize: 0 bytes/workgroup (compile time only)
; SGPRBlocks: 2
; VGPRBlocks: 1
; NumSGPRsForWavesPerEU: 20
; NumVGPRsForWavesPerEU: 14
; AccumOffset: 16
; Occupancy: 8
; WaveLimiterHint : 0
; COMPUTE_PGM_RSRC2:SCRATCH_EN: 0
; COMPUTE_PGM_RSRC2:USER_SGPR: 6
; COMPUTE_PGM_RSRC2:TRAP_HANDLER: 0
; COMPUTE_PGM_RSRC2:TGID_X_EN: 1
; COMPUTE_PGM_RSRC2:TGID_Y_EN: 0
; COMPUTE_PGM_RSRC2:TGID_Z_EN: 0
; COMPUTE_PGM_RSRC2:TIDIG_COMP_CNT: 1
; COMPUTE_PGM_RSRC3_GFX90A:ACCUM_OFFSET: 3
; COMPUTE_PGM_RSRC3_GFX90A:TG_SPLIT: 0
	.section	.text._ZN12_GLOBAL__N_121softmax_warp_backwardIfffLi4ELb0ELb1ELi64EEEvPT0_PKT_S5_iiiPKb,"axG",@progbits,_ZN12_GLOBAL__N_121softmax_warp_backwardIfffLi4ELb0ELb1ELi64EEEvPT0_PKT_S5_iiiPKb,comdat
	.globl	_ZN12_GLOBAL__N_121softmax_warp_backwardIfffLi4ELb0ELb1ELi64EEEvPT0_PKT_S5_iiiPKb ; -- Begin function _ZN12_GLOBAL__N_121softmax_warp_backwardIfffLi4ELb0ELb1ELi64EEEvPT0_PKT_S5_iiiPKb
	.p2align	8
	.type	_ZN12_GLOBAL__N_121softmax_warp_backwardIfffLi4ELb0ELb1ELi64EEEvPT0_PKT_S5_iiiPKb,@function
_ZN12_GLOBAL__N_121softmax_warp_backwardIfffLi4ELb0ELb1ELi64EEEvPT0_PKT_S5_iiiPKb: ; @_ZN12_GLOBAL__N_121softmax_warp_backwardIfffLi4ELb0ELb1ELi64EEEvPT0_PKT_S5_iiiPKb
; %bb.0:
	s_load_dword s2, s[4:5], 0x3c
	s_load_dwordx4 s[8:11], s[4:5], 0x18
	s_load_dwordx4 s[12:15], s[4:5], 0x0
	s_load_dwordx2 s[0:1], s[4:5], 0x10
	v_bfe_u32 v1, v0, 10, 10
	s_waitcnt lgkmcnt(0)
	s_lshr_b32 s2, s2, 16
	s_mul_i32 s6, s6, s2
	v_add_lshl_u32 v1, s6, v1, 1
	v_and_b32_e32 v10, 15, v0
	v_mad_u64_u32 v[2:3], s[2:3], v1, s9, v[10:11]
	v_ashrrev_i32_e32 v3, 31, v2
	v_sub_u32_e32 v8, s8, v1
	v_lshlrev_b64 v[0:1], 2, v[2:3]
	v_mov_b32_e32 v5, s15
	v_add_co_u32_e32 v4, vcc, s14, v0
	v_addc_co_u32_e32 v5, vcc, v5, v1, vcc
	v_mov_b32_e32 v7, s1
	v_add_co_u32_e32 v6, vcc, s0, v0
	v_addc_co_u32_e32 v7, vcc, v7, v1, vcc
	v_cmp_gt_i32_e32 vcc, s10, v10
	v_cmp_lt_i32_e64 s[0:1], 0, v8
	s_and_b64 s[6:7], vcc, s[0:1]
	v_mov_b32_e32 v9, 0
	v_mov_b32_e32 v10, 0
	;; [unrolled: 1-line block ×3, first 2 shown]
	s_and_saveexec_b64 s[2:3], s[6:7]
	s_cbranch_execz .LBB798_2
; %bb.1:
	global_load_dword v10, v[4:5], off
	global_load_dword v11, v[6:7], off
.LBB798_2:
	s_or_b64 exec, exec, s[2:3]
	v_cmp_lt_i32_e64 s[2:3], 1, v8
	s_and_b64 s[2:3], vcc, s[2:3]
	s_mov_b32 s11, 0
	v_mov_b32_e32 v12, 0
	s_and_saveexec_b64 s[6:7], s[2:3]
	s_cbranch_execz .LBB798_4
; %bb.3:
	s_lshl_b64 s[8:9], s[10:11], 2
	v_mov_b32_e32 v12, s9
	v_add_co_u32_e64 v4, s[2:3], s8, v4
	v_addc_co_u32_e64 v5, s[2:3], v5, v12, s[2:3]
	global_load_dword v9, v[4:5], off
	v_add_co_u32_e64 v4, s[2:3], s8, v6
	v_addc_co_u32_e64 v5, s[2:3], v7, v12, s[2:3]
	global_load_dword v12, v[4:5], off
.LBB798_4:
	s_or_b64 exec, exec, s[6:7]
	s_load_dwordx2 s[2:3], s[4:5], 0x28
	s_ashr_i32 s4, s10, 31
	v_mov_b32_e32 v5, s4
	v_mbcnt_lo_u32_b32 v6, -1, 0
	v_mbcnt_hi_u32_b32 v6, -1, v6
	s_waitcnt lgkmcnt(0)
	v_mov_b32_e32 v4, s3
	v_add_co_u32_e64 v2, s[2:3], s2, v2
	v_addc_co_u32_e64 v3, s[2:3], v4, v3, s[2:3]
	global_load_ubyte v4, v[2:3], off
	v_add_co_u32_e64 v2, s[2:3], s10, v2
	v_addc_co_u32_e64 v3, s[2:3], v3, v5, s[2:3]
	global_load_ubyte v3, v[2:3], off
	v_and_b32_e32 v7, 0x70, v6
	v_xor_b32_e32 v13, 8, v6
	v_add_u32_e32 v7, 16, v7
	v_cmp_lt_i32_e64 s[2:3], v13, v7
	s_waitcnt vmcnt(3)
	v_add_f32_e32 v2, 0, v10
	v_add_f32_e32 v5, 0, v9
	v_cndmask_b32_e64 v13, v6, v13, s[2:3]
	v_lshlrev_b32_e32 v13, 2, v13
	s_waitcnt vmcnt(1)
	v_and_b32_e32 v4, 1, v4
	v_cmp_eq_u32_e64 s[4:5], 1, v4
	v_cndmask_b32_e64 v2, v2, 0, s[4:5]
	ds_bpermute_b32 v4, v13, v2
	s_waitcnt vmcnt(0)
	v_and_b32_e32 v3, 1, v3
	v_cmp_eq_u32_e64 s[2:3], 1, v3
	v_cndmask_b32_e64 v3, v5, 0, s[2:3]
	ds_bpermute_b32 v5, v13, v3
	v_xor_b32_e32 v13, 4, v6
	v_cmp_lt_i32_e64 s[6:7], v13, v7
	v_cndmask_b32_e64 v13, v6, v13, s[6:7]
	v_lshlrev_b32_e32 v13, 2, v13
	s_waitcnt lgkmcnt(0)
	v_pk_add_f32 v[2:3], v[2:3], v[4:5]
	ds_bpermute_b32 v4, v13, v2
	ds_bpermute_b32 v5, v13, v3
	v_xor_b32_e32 v13, 2, v6
	v_cmp_lt_i32_e64 s[6:7], v13, v7
	v_cndmask_b32_e64 v13, v6, v13, s[6:7]
	v_lshlrev_b32_e32 v13, 2, v13
	s_waitcnt lgkmcnt(0)
	v_pk_add_f32 v[2:3], v[2:3], v[4:5]
	ds_bpermute_b32 v4, v13, v2
	ds_bpermute_b32 v5, v13, v3
	v_xor_b32_e32 v13, 1, v6
	v_cmp_lt_i32_e64 s[6:7], v13, v7
	v_cndmask_b32_e64 v6, v6, v13, s[6:7]
	v_lshlrev_b32_e32 v6, 2, v6
	s_waitcnt lgkmcnt(0)
	v_pk_add_f32 v[2:3], v[2:3], v[4:5]
	ds_bpermute_b32 v4, v6, v2
	ds_bpermute_b32 v5, v6, v3
	s_and_saveexec_b64 s[6:7], s[0:1]
	s_cbranch_execz .LBB798_10
; %bb.5:
	s_waitcnt lgkmcnt(0)
	v_pk_add_f32 v[2:3], v[2:3], v[4:5]
	v_mov_b32_e32 v4, s13
	v_add_co_u32_e64 v0, s[0:1], s12, v0
	v_addc_co_u32_e64 v1, s[0:1], v4, v1, s[0:1]
	s_and_saveexec_b64 s[0:1], vcc
	s_cbranch_execz .LBB798_7
; %bb.6:
	v_fma_f32 v2, -v2, v11, v10
	v_cndmask_b32_e64 v2, v2, 0, s[4:5]
	global_store_dword v[0:1], v2, off
.LBB798_7:
	s_or_b64 exec, exec, s[0:1]
	v_cmp_ne_u32_e64 s[0:1], 1, v8
	s_and_b64 exec, exec, s[0:1]
	s_cbranch_execz .LBB798_10
; %bb.8:
	s_and_b64 exec, exec, vcc
	s_cbranch_execz .LBB798_10
; %bb.9:
	s_lshl_b64 s[0:1], s[10:11], 2
	v_fma_f32 v2, -v3, v12, v9
	v_mov_b32_e32 v3, s1
	v_add_co_u32_e32 v0, vcc, s0, v0
	v_addc_co_u32_e32 v1, vcc, v1, v3, vcc
	v_cndmask_b32_e64 v2, v2, 0, s[2:3]
	global_store_dword v[0:1], v2, off
.LBB798_10:
	s_endpgm
	.section	.rodata,"a",@progbits
	.p2align	6, 0x0
	.amdhsa_kernel _ZN12_GLOBAL__N_121softmax_warp_backwardIfffLi4ELb0ELb1ELi64EEEvPT0_PKT_S5_iiiPKb
		.amdhsa_group_segment_fixed_size 0
		.amdhsa_private_segment_fixed_size 0
		.amdhsa_kernarg_size 304
		.amdhsa_user_sgpr_count 6
		.amdhsa_user_sgpr_private_segment_buffer 1
		.amdhsa_user_sgpr_dispatch_ptr 0
		.amdhsa_user_sgpr_queue_ptr 0
		.amdhsa_user_sgpr_kernarg_segment_ptr 1
		.amdhsa_user_sgpr_dispatch_id 0
		.amdhsa_user_sgpr_flat_scratch_init 0
		.amdhsa_user_sgpr_kernarg_preload_length 0
		.amdhsa_user_sgpr_kernarg_preload_offset 0
		.amdhsa_user_sgpr_private_segment_size 0
		.amdhsa_uses_dynamic_stack 0
		.amdhsa_system_sgpr_private_segment_wavefront_offset 0
		.amdhsa_system_sgpr_workgroup_id_x 1
		.amdhsa_system_sgpr_workgroup_id_y 0
		.amdhsa_system_sgpr_workgroup_id_z 0
		.amdhsa_system_sgpr_workgroup_info 0
		.amdhsa_system_vgpr_workitem_id 1
		.amdhsa_next_free_vgpr 14
		.amdhsa_next_free_sgpr 16
		.amdhsa_accum_offset 16
		.amdhsa_reserve_vcc 1
		.amdhsa_reserve_flat_scratch 0
		.amdhsa_float_round_mode_32 0
		.amdhsa_float_round_mode_16_64 0
		.amdhsa_float_denorm_mode_32 3
		.amdhsa_float_denorm_mode_16_64 3
		.amdhsa_dx10_clamp 1
		.amdhsa_ieee_mode 1
		.amdhsa_fp16_overflow 0
		.amdhsa_tg_split 0
		.amdhsa_exception_fp_ieee_invalid_op 0
		.amdhsa_exception_fp_denorm_src 0
		.amdhsa_exception_fp_ieee_div_zero 0
		.amdhsa_exception_fp_ieee_overflow 0
		.amdhsa_exception_fp_ieee_underflow 0
		.amdhsa_exception_fp_ieee_inexact 0
		.amdhsa_exception_int_div_zero 0
	.end_amdhsa_kernel
	.section	.text._ZN12_GLOBAL__N_121softmax_warp_backwardIfffLi4ELb0ELb1ELi64EEEvPT0_PKT_S5_iiiPKb,"axG",@progbits,_ZN12_GLOBAL__N_121softmax_warp_backwardIfffLi4ELb0ELb1ELi64EEEvPT0_PKT_S5_iiiPKb,comdat
.Lfunc_end798:
	.size	_ZN12_GLOBAL__N_121softmax_warp_backwardIfffLi4ELb0ELb1ELi64EEEvPT0_PKT_S5_iiiPKb, .Lfunc_end798-_ZN12_GLOBAL__N_121softmax_warp_backwardIfffLi4ELb0ELb1ELi64EEEvPT0_PKT_S5_iiiPKb
                                        ; -- End function
	.section	.AMDGPU.csdata,"",@progbits
; Kernel info:
; codeLenInByte = 756
; NumSgprs: 20
; NumVgprs: 14
; NumAgprs: 0
; TotalNumVgprs: 14
; ScratchSize: 0
; MemoryBound: 0
; FloatMode: 240
; IeeeMode: 1
; LDSByteSize: 0 bytes/workgroup (compile time only)
; SGPRBlocks: 2
; VGPRBlocks: 1
; NumSGPRsForWavesPerEU: 20
; NumVGPRsForWavesPerEU: 14
; AccumOffset: 16
; Occupancy: 8
; WaveLimiterHint : 0
; COMPUTE_PGM_RSRC2:SCRATCH_EN: 0
; COMPUTE_PGM_RSRC2:USER_SGPR: 6
; COMPUTE_PGM_RSRC2:TRAP_HANDLER: 0
; COMPUTE_PGM_RSRC2:TGID_X_EN: 1
; COMPUTE_PGM_RSRC2:TGID_Y_EN: 0
; COMPUTE_PGM_RSRC2:TGID_Z_EN: 0
; COMPUTE_PGM_RSRC2:TIDIG_COMP_CNT: 1
; COMPUTE_PGM_RSRC3_GFX90A:ACCUM_OFFSET: 3
; COMPUTE_PGM_RSRC3_GFX90A:TG_SPLIT: 0
	.section	.text._ZN12_GLOBAL__N_121softmax_warp_backwardIfffLi4ELb0ELb1ELi32EEEvPT0_PKT_S5_iiiPKb,"axG",@progbits,_ZN12_GLOBAL__N_121softmax_warp_backwardIfffLi4ELb0ELb1ELi32EEEvPT0_PKT_S5_iiiPKb,comdat
	.globl	_ZN12_GLOBAL__N_121softmax_warp_backwardIfffLi4ELb0ELb1ELi32EEEvPT0_PKT_S5_iiiPKb ; -- Begin function _ZN12_GLOBAL__N_121softmax_warp_backwardIfffLi4ELb0ELb1ELi32EEEvPT0_PKT_S5_iiiPKb
	.p2align	8
	.type	_ZN12_GLOBAL__N_121softmax_warp_backwardIfffLi4ELb0ELb1ELi32EEEvPT0_PKT_S5_iiiPKb,@function
_ZN12_GLOBAL__N_121softmax_warp_backwardIfffLi4ELb0ELb1ELi32EEEvPT0_PKT_S5_iiiPKb: ; @_ZN12_GLOBAL__N_121softmax_warp_backwardIfffLi4ELb0ELb1ELi32EEEvPT0_PKT_S5_iiiPKb
; %bb.0:
	s_load_dword s2, s[4:5], 0x3c
	s_load_dwordx4 s[8:11], s[4:5], 0x18
	s_load_dwordx4 s[12:15], s[4:5], 0x0
	s_load_dwordx2 s[0:1], s[4:5], 0x10
	v_bfe_u32 v1, v0, 10, 10
	s_waitcnt lgkmcnt(0)
	s_lshr_b32 s2, s2, 16
	s_mul_i32 s6, s6, s2
	v_add_lshl_u32 v1, s6, v1, 1
	v_and_b32_e32 v10, 15, v0
	v_mad_u64_u32 v[2:3], s[2:3], v1, s9, v[10:11]
	v_ashrrev_i32_e32 v3, 31, v2
	v_sub_u32_e32 v8, s8, v1
	v_lshlrev_b64 v[0:1], 2, v[2:3]
	v_mov_b32_e32 v5, s15
	v_add_co_u32_e32 v4, vcc, s14, v0
	v_addc_co_u32_e32 v5, vcc, v5, v1, vcc
	v_mov_b32_e32 v7, s1
	v_add_co_u32_e32 v6, vcc, s0, v0
	v_addc_co_u32_e32 v7, vcc, v7, v1, vcc
	v_cmp_gt_i32_e32 vcc, s10, v10
	v_cmp_lt_i32_e64 s[0:1], 0, v8
	s_and_b64 s[6:7], vcc, s[0:1]
	v_mov_b32_e32 v9, 0
	v_mov_b32_e32 v10, 0
	;; [unrolled: 1-line block ×3, first 2 shown]
	s_and_saveexec_b64 s[2:3], s[6:7]
	s_cbranch_execz .LBB799_2
; %bb.1:
	global_load_dword v10, v[4:5], off
	global_load_dword v11, v[6:7], off
.LBB799_2:
	s_or_b64 exec, exec, s[2:3]
	v_cmp_lt_i32_e64 s[2:3], 1, v8
	s_and_b64 s[2:3], vcc, s[2:3]
	s_mov_b32 s11, 0
	v_mov_b32_e32 v12, 0
	s_and_saveexec_b64 s[6:7], s[2:3]
	s_cbranch_execz .LBB799_4
; %bb.3:
	s_lshl_b64 s[8:9], s[10:11], 2
	v_mov_b32_e32 v12, s9
	v_add_co_u32_e64 v4, s[2:3], s8, v4
	v_addc_co_u32_e64 v5, s[2:3], v5, v12, s[2:3]
	global_load_dword v9, v[4:5], off
	v_add_co_u32_e64 v4, s[2:3], s8, v6
	v_addc_co_u32_e64 v5, s[2:3], v7, v12, s[2:3]
	global_load_dword v12, v[4:5], off
.LBB799_4:
	s_or_b64 exec, exec, s[6:7]
	s_load_dwordx2 s[2:3], s[4:5], 0x28
	s_ashr_i32 s4, s10, 31
	v_mov_b32_e32 v5, s4
	v_mbcnt_lo_u32_b32 v6, -1, 0
	v_mbcnt_hi_u32_b32 v6, -1, v6
	s_waitcnt lgkmcnt(0)
	v_mov_b32_e32 v4, s3
	v_add_co_u32_e64 v2, s[2:3], s2, v2
	v_addc_co_u32_e64 v3, s[2:3], v4, v3, s[2:3]
	global_load_ubyte v4, v[2:3], off
	v_add_co_u32_e64 v2, s[2:3], s10, v2
	v_addc_co_u32_e64 v3, s[2:3], v3, v5, s[2:3]
	global_load_ubyte v3, v[2:3], off
	v_and_b32_e32 v7, 0x70, v6
	v_xor_b32_e32 v13, 8, v6
	v_add_u32_e32 v7, 16, v7
	v_cmp_lt_i32_e64 s[2:3], v13, v7
	s_waitcnt vmcnt(3)
	v_add_f32_e32 v2, 0, v10
	v_add_f32_e32 v5, 0, v9
	v_cndmask_b32_e64 v13, v6, v13, s[2:3]
	v_lshlrev_b32_e32 v13, 2, v13
	s_waitcnt vmcnt(1)
	v_and_b32_e32 v4, 1, v4
	v_cmp_eq_u32_e64 s[4:5], 1, v4
	v_cndmask_b32_e64 v2, v2, 0, s[4:5]
	ds_bpermute_b32 v4, v13, v2
	s_waitcnt vmcnt(0)
	v_and_b32_e32 v3, 1, v3
	v_cmp_eq_u32_e64 s[2:3], 1, v3
	v_cndmask_b32_e64 v3, v5, 0, s[2:3]
	ds_bpermute_b32 v5, v13, v3
	v_xor_b32_e32 v13, 4, v6
	v_cmp_lt_i32_e64 s[6:7], v13, v7
	v_cndmask_b32_e64 v13, v6, v13, s[6:7]
	v_lshlrev_b32_e32 v13, 2, v13
	s_waitcnt lgkmcnt(0)
	v_pk_add_f32 v[2:3], v[2:3], v[4:5]
	ds_bpermute_b32 v4, v13, v2
	ds_bpermute_b32 v5, v13, v3
	v_xor_b32_e32 v13, 2, v6
	v_cmp_lt_i32_e64 s[6:7], v13, v7
	v_cndmask_b32_e64 v13, v6, v13, s[6:7]
	v_lshlrev_b32_e32 v13, 2, v13
	s_waitcnt lgkmcnt(0)
	v_pk_add_f32 v[2:3], v[2:3], v[4:5]
	ds_bpermute_b32 v4, v13, v2
	ds_bpermute_b32 v5, v13, v3
	v_xor_b32_e32 v13, 1, v6
	v_cmp_lt_i32_e64 s[6:7], v13, v7
	v_cndmask_b32_e64 v6, v6, v13, s[6:7]
	v_lshlrev_b32_e32 v6, 2, v6
	s_waitcnt lgkmcnt(0)
	v_pk_add_f32 v[2:3], v[2:3], v[4:5]
	ds_bpermute_b32 v4, v6, v2
	ds_bpermute_b32 v5, v6, v3
	s_and_saveexec_b64 s[6:7], s[0:1]
	s_cbranch_execz .LBB799_10
; %bb.5:
	s_waitcnt lgkmcnt(0)
	v_pk_add_f32 v[2:3], v[2:3], v[4:5]
	v_mov_b32_e32 v4, s13
	v_add_co_u32_e64 v0, s[0:1], s12, v0
	v_addc_co_u32_e64 v1, s[0:1], v4, v1, s[0:1]
	s_and_saveexec_b64 s[0:1], vcc
	s_cbranch_execz .LBB799_7
; %bb.6:
	v_fma_f32 v2, -v2, v11, v10
	v_cndmask_b32_e64 v2, v2, 0, s[4:5]
	global_store_dword v[0:1], v2, off
.LBB799_7:
	s_or_b64 exec, exec, s[0:1]
	v_cmp_ne_u32_e64 s[0:1], 1, v8
	s_and_b64 exec, exec, s[0:1]
	s_cbranch_execz .LBB799_10
; %bb.8:
	s_and_b64 exec, exec, vcc
	s_cbranch_execz .LBB799_10
; %bb.9:
	s_lshl_b64 s[0:1], s[10:11], 2
	v_fma_f32 v2, -v3, v12, v9
	v_mov_b32_e32 v3, s1
	v_add_co_u32_e32 v0, vcc, s0, v0
	v_addc_co_u32_e32 v1, vcc, v1, v3, vcc
	v_cndmask_b32_e64 v2, v2, 0, s[2:3]
	global_store_dword v[0:1], v2, off
.LBB799_10:
	s_endpgm
	.section	.rodata,"a",@progbits
	.p2align	6, 0x0
	.amdhsa_kernel _ZN12_GLOBAL__N_121softmax_warp_backwardIfffLi4ELb0ELb1ELi32EEEvPT0_PKT_S5_iiiPKb
		.amdhsa_group_segment_fixed_size 0
		.amdhsa_private_segment_fixed_size 0
		.amdhsa_kernarg_size 304
		.amdhsa_user_sgpr_count 6
		.amdhsa_user_sgpr_private_segment_buffer 1
		.amdhsa_user_sgpr_dispatch_ptr 0
		.amdhsa_user_sgpr_queue_ptr 0
		.amdhsa_user_sgpr_kernarg_segment_ptr 1
		.amdhsa_user_sgpr_dispatch_id 0
		.amdhsa_user_sgpr_flat_scratch_init 0
		.amdhsa_user_sgpr_kernarg_preload_length 0
		.amdhsa_user_sgpr_kernarg_preload_offset 0
		.amdhsa_user_sgpr_private_segment_size 0
		.amdhsa_uses_dynamic_stack 0
		.amdhsa_system_sgpr_private_segment_wavefront_offset 0
		.amdhsa_system_sgpr_workgroup_id_x 1
		.amdhsa_system_sgpr_workgroup_id_y 0
		.amdhsa_system_sgpr_workgroup_id_z 0
		.amdhsa_system_sgpr_workgroup_info 0
		.amdhsa_system_vgpr_workitem_id 1
		.amdhsa_next_free_vgpr 14
		.amdhsa_next_free_sgpr 16
		.amdhsa_accum_offset 16
		.amdhsa_reserve_vcc 1
		.amdhsa_reserve_flat_scratch 0
		.amdhsa_float_round_mode_32 0
		.amdhsa_float_round_mode_16_64 0
		.amdhsa_float_denorm_mode_32 3
		.amdhsa_float_denorm_mode_16_64 3
		.amdhsa_dx10_clamp 1
		.amdhsa_ieee_mode 1
		.amdhsa_fp16_overflow 0
		.amdhsa_tg_split 0
		.amdhsa_exception_fp_ieee_invalid_op 0
		.amdhsa_exception_fp_denorm_src 0
		.amdhsa_exception_fp_ieee_div_zero 0
		.amdhsa_exception_fp_ieee_overflow 0
		.amdhsa_exception_fp_ieee_underflow 0
		.amdhsa_exception_fp_ieee_inexact 0
		.amdhsa_exception_int_div_zero 0
	.end_amdhsa_kernel
	.section	.text._ZN12_GLOBAL__N_121softmax_warp_backwardIfffLi4ELb0ELb1ELi32EEEvPT0_PKT_S5_iiiPKb,"axG",@progbits,_ZN12_GLOBAL__N_121softmax_warp_backwardIfffLi4ELb0ELb1ELi32EEEvPT0_PKT_S5_iiiPKb,comdat
.Lfunc_end799:
	.size	_ZN12_GLOBAL__N_121softmax_warp_backwardIfffLi4ELb0ELb1ELi32EEEvPT0_PKT_S5_iiiPKb, .Lfunc_end799-_ZN12_GLOBAL__N_121softmax_warp_backwardIfffLi4ELb0ELb1ELi32EEEvPT0_PKT_S5_iiiPKb
                                        ; -- End function
	.section	.AMDGPU.csdata,"",@progbits
; Kernel info:
; codeLenInByte = 756
; NumSgprs: 20
; NumVgprs: 14
; NumAgprs: 0
; TotalNumVgprs: 14
; ScratchSize: 0
; MemoryBound: 0
; FloatMode: 240
; IeeeMode: 1
; LDSByteSize: 0 bytes/workgroup (compile time only)
; SGPRBlocks: 2
; VGPRBlocks: 1
; NumSGPRsForWavesPerEU: 20
; NumVGPRsForWavesPerEU: 14
; AccumOffset: 16
; Occupancy: 8
; WaveLimiterHint : 0
; COMPUTE_PGM_RSRC2:SCRATCH_EN: 0
; COMPUTE_PGM_RSRC2:USER_SGPR: 6
; COMPUTE_PGM_RSRC2:TRAP_HANDLER: 0
; COMPUTE_PGM_RSRC2:TGID_X_EN: 1
; COMPUTE_PGM_RSRC2:TGID_Y_EN: 0
; COMPUTE_PGM_RSRC2:TGID_Z_EN: 0
; COMPUTE_PGM_RSRC2:TIDIG_COMP_CNT: 1
; COMPUTE_PGM_RSRC3_GFX90A:ACCUM_OFFSET: 3
; COMPUTE_PGM_RSRC3_GFX90A:TG_SPLIT: 0
	.section	.text._ZN12_GLOBAL__N_121softmax_warp_backwardIfffLi5ELb0ELb1ELi64EEEvPT0_PKT_S5_iiiPKb,"axG",@progbits,_ZN12_GLOBAL__N_121softmax_warp_backwardIfffLi5ELb0ELb1ELi64EEEvPT0_PKT_S5_iiiPKb,comdat
	.globl	_ZN12_GLOBAL__N_121softmax_warp_backwardIfffLi5ELb0ELb1ELi64EEEvPT0_PKT_S5_iiiPKb ; -- Begin function _ZN12_GLOBAL__N_121softmax_warp_backwardIfffLi5ELb0ELb1ELi64EEEvPT0_PKT_S5_iiiPKb
	.p2align	8
	.type	_ZN12_GLOBAL__N_121softmax_warp_backwardIfffLi5ELb0ELb1ELi64EEEvPT0_PKT_S5_iiiPKb,@function
_ZN12_GLOBAL__N_121softmax_warp_backwardIfffLi5ELb0ELb1ELi64EEEvPT0_PKT_S5_iiiPKb: ; @_ZN12_GLOBAL__N_121softmax_warp_backwardIfffLi5ELb0ELb1ELi64EEEvPT0_PKT_S5_iiiPKb
; %bb.0:
	s_load_dword s2, s[4:5], 0x3c
	s_load_dwordx4 s[8:11], s[4:5], 0x18
	s_load_dwordx4 s[12:15], s[4:5], 0x0
	s_load_dwordx2 s[0:1], s[4:5], 0x10
	v_bfe_u32 v1, v0, 10, 10
	s_waitcnt lgkmcnt(0)
	s_lshr_b32 s2, s2, 16
	s_mul_i32 s6, s6, s2
	v_add_lshl_u32 v1, s6, v1, 1
	v_and_b32_e32 v10, 31, v0
	v_mad_u64_u32 v[2:3], s[2:3], v1, s9, v[10:11]
	v_ashrrev_i32_e32 v3, 31, v2
	v_sub_u32_e32 v8, s8, v1
	v_lshlrev_b64 v[0:1], 2, v[2:3]
	v_mov_b32_e32 v5, s15
	v_add_co_u32_e32 v4, vcc, s14, v0
	v_addc_co_u32_e32 v5, vcc, v5, v1, vcc
	v_mov_b32_e32 v7, s1
	v_add_co_u32_e32 v6, vcc, s0, v0
	v_addc_co_u32_e32 v7, vcc, v7, v1, vcc
	v_cmp_gt_i32_e32 vcc, s10, v10
	v_cmp_lt_i32_e64 s[0:1], 0, v8
	s_and_b64 s[6:7], vcc, s[0:1]
	v_mov_b32_e32 v9, 0
	v_mov_b32_e32 v10, 0
	;; [unrolled: 1-line block ×3, first 2 shown]
	s_and_saveexec_b64 s[2:3], s[6:7]
	s_cbranch_execz .LBB800_2
; %bb.1:
	global_load_dword v10, v[4:5], off
	global_load_dword v11, v[6:7], off
.LBB800_2:
	s_or_b64 exec, exec, s[2:3]
	v_cmp_lt_i32_e64 s[2:3], 1, v8
	s_and_b64 s[2:3], vcc, s[2:3]
	s_mov_b32 s11, 0
	v_mov_b32_e32 v12, 0
	s_and_saveexec_b64 s[6:7], s[2:3]
	s_cbranch_execz .LBB800_4
; %bb.3:
	s_lshl_b64 s[8:9], s[10:11], 2
	v_mov_b32_e32 v12, s9
	v_add_co_u32_e64 v4, s[2:3], s8, v4
	v_addc_co_u32_e64 v5, s[2:3], v5, v12, s[2:3]
	global_load_dword v9, v[4:5], off
	v_add_co_u32_e64 v4, s[2:3], s8, v6
	v_addc_co_u32_e64 v5, s[2:3], v7, v12, s[2:3]
	global_load_dword v12, v[4:5], off
.LBB800_4:
	s_or_b64 exec, exec, s[6:7]
	s_load_dwordx2 s[2:3], s[4:5], 0x28
	s_ashr_i32 s4, s10, 31
	v_mov_b32_e32 v5, s4
	v_mbcnt_lo_u32_b32 v6, -1, 0
	v_mbcnt_hi_u32_b32 v6, -1, v6
	s_waitcnt lgkmcnt(0)
	v_mov_b32_e32 v4, s3
	v_add_co_u32_e64 v2, s[2:3], s2, v2
	v_addc_co_u32_e64 v3, s[2:3], v4, v3, s[2:3]
	global_load_ubyte v4, v[2:3], off
	v_add_co_u32_e64 v2, s[2:3], s10, v2
	v_addc_co_u32_e64 v3, s[2:3], v3, v5, s[2:3]
	global_load_ubyte v3, v[2:3], off
	v_and_b32_e32 v7, 0x60, v6
	v_xor_b32_e32 v13, 16, v6
	v_add_u32_e32 v7, 32, v7
	v_cmp_lt_i32_e64 s[2:3], v13, v7
	s_waitcnt vmcnt(3)
	v_add_f32_e32 v2, 0, v10
	v_add_f32_e32 v5, 0, v9
	v_cndmask_b32_e64 v13, v6, v13, s[2:3]
	v_lshlrev_b32_e32 v13, 2, v13
	s_waitcnt vmcnt(1)
	v_and_b32_e32 v4, 1, v4
	v_cmp_eq_u32_e64 s[4:5], 1, v4
	v_cndmask_b32_e64 v2, v2, 0, s[4:5]
	ds_bpermute_b32 v4, v13, v2
	s_waitcnt vmcnt(0)
	v_and_b32_e32 v3, 1, v3
	v_cmp_eq_u32_e64 s[2:3], 1, v3
	v_cndmask_b32_e64 v3, v5, 0, s[2:3]
	ds_bpermute_b32 v5, v13, v3
	v_xor_b32_e32 v13, 8, v6
	v_cmp_lt_i32_e64 s[6:7], v13, v7
	v_cndmask_b32_e64 v13, v6, v13, s[6:7]
	v_lshlrev_b32_e32 v13, 2, v13
	s_waitcnt lgkmcnt(0)
	v_pk_add_f32 v[2:3], v[2:3], v[4:5]
	ds_bpermute_b32 v4, v13, v2
	ds_bpermute_b32 v5, v13, v3
	v_xor_b32_e32 v13, 4, v6
	v_cmp_lt_i32_e64 s[6:7], v13, v7
	v_cndmask_b32_e64 v13, v6, v13, s[6:7]
	v_lshlrev_b32_e32 v13, 2, v13
	s_waitcnt lgkmcnt(0)
	v_pk_add_f32 v[2:3], v[2:3], v[4:5]
	ds_bpermute_b32 v4, v13, v2
	;; [unrolled: 8-line block ×4, first 2 shown]
	ds_bpermute_b32 v5, v6, v3
	s_and_saveexec_b64 s[6:7], s[0:1]
	s_cbranch_execz .LBB800_10
; %bb.5:
	s_waitcnt lgkmcnt(0)
	v_pk_add_f32 v[2:3], v[2:3], v[4:5]
	v_mov_b32_e32 v4, s13
	v_add_co_u32_e64 v0, s[0:1], s12, v0
	v_addc_co_u32_e64 v1, s[0:1], v4, v1, s[0:1]
	s_and_saveexec_b64 s[0:1], vcc
	s_cbranch_execz .LBB800_7
; %bb.6:
	v_fma_f32 v2, -v2, v11, v10
	v_cndmask_b32_e64 v2, v2, 0, s[4:5]
	global_store_dword v[0:1], v2, off
.LBB800_7:
	s_or_b64 exec, exec, s[0:1]
	v_cmp_ne_u32_e64 s[0:1], 1, v8
	s_and_b64 exec, exec, s[0:1]
	s_cbranch_execz .LBB800_10
; %bb.8:
	s_and_b64 exec, exec, vcc
	s_cbranch_execz .LBB800_10
; %bb.9:
	s_lshl_b64 s[0:1], s[10:11], 2
	v_fma_f32 v2, -v3, v12, v9
	v_mov_b32_e32 v3, s1
	v_add_co_u32_e32 v0, vcc, s0, v0
	v_addc_co_u32_e32 v1, vcc, v1, v3, vcc
	v_cndmask_b32_e64 v2, v2, 0, s[2:3]
	global_store_dword v[0:1], v2, off
.LBB800_10:
	s_endpgm
	.section	.rodata,"a",@progbits
	.p2align	6, 0x0
	.amdhsa_kernel _ZN12_GLOBAL__N_121softmax_warp_backwardIfffLi5ELb0ELb1ELi64EEEvPT0_PKT_S5_iiiPKb
		.amdhsa_group_segment_fixed_size 0
		.amdhsa_private_segment_fixed_size 0
		.amdhsa_kernarg_size 304
		.amdhsa_user_sgpr_count 6
		.amdhsa_user_sgpr_private_segment_buffer 1
		.amdhsa_user_sgpr_dispatch_ptr 0
		.amdhsa_user_sgpr_queue_ptr 0
		.amdhsa_user_sgpr_kernarg_segment_ptr 1
		.amdhsa_user_sgpr_dispatch_id 0
		.amdhsa_user_sgpr_flat_scratch_init 0
		.amdhsa_user_sgpr_kernarg_preload_length 0
		.amdhsa_user_sgpr_kernarg_preload_offset 0
		.amdhsa_user_sgpr_private_segment_size 0
		.amdhsa_uses_dynamic_stack 0
		.amdhsa_system_sgpr_private_segment_wavefront_offset 0
		.amdhsa_system_sgpr_workgroup_id_x 1
		.amdhsa_system_sgpr_workgroup_id_y 0
		.amdhsa_system_sgpr_workgroup_id_z 0
		.amdhsa_system_sgpr_workgroup_info 0
		.amdhsa_system_vgpr_workitem_id 1
		.amdhsa_next_free_vgpr 14
		.amdhsa_next_free_sgpr 16
		.amdhsa_accum_offset 16
		.amdhsa_reserve_vcc 1
		.amdhsa_reserve_flat_scratch 0
		.amdhsa_float_round_mode_32 0
		.amdhsa_float_round_mode_16_64 0
		.amdhsa_float_denorm_mode_32 3
		.amdhsa_float_denorm_mode_16_64 3
		.amdhsa_dx10_clamp 1
		.amdhsa_ieee_mode 1
		.amdhsa_fp16_overflow 0
		.amdhsa_tg_split 0
		.amdhsa_exception_fp_ieee_invalid_op 0
		.amdhsa_exception_fp_denorm_src 0
		.amdhsa_exception_fp_ieee_div_zero 0
		.amdhsa_exception_fp_ieee_overflow 0
		.amdhsa_exception_fp_ieee_underflow 0
		.amdhsa_exception_fp_ieee_inexact 0
		.amdhsa_exception_int_div_zero 0
	.end_amdhsa_kernel
	.section	.text._ZN12_GLOBAL__N_121softmax_warp_backwardIfffLi5ELb0ELb1ELi64EEEvPT0_PKT_S5_iiiPKb,"axG",@progbits,_ZN12_GLOBAL__N_121softmax_warp_backwardIfffLi5ELb0ELb1ELi64EEEvPT0_PKT_S5_iiiPKb,comdat
.Lfunc_end800:
	.size	_ZN12_GLOBAL__N_121softmax_warp_backwardIfffLi5ELb0ELb1ELi64EEEvPT0_PKT_S5_iiiPKb, .Lfunc_end800-_ZN12_GLOBAL__N_121softmax_warp_backwardIfffLi5ELb0ELb1ELi64EEEvPT0_PKT_S5_iiiPKb
                                        ; -- End function
	.section	.AMDGPU.csdata,"",@progbits
; Kernel info:
; codeLenInByte = 808
; NumSgprs: 20
; NumVgprs: 14
; NumAgprs: 0
; TotalNumVgprs: 14
; ScratchSize: 0
; MemoryBound: 0
; FloatMode: 240
; IeeeMode: 1
; LDSByteSize: 0 bytes/workgroup (compile time only)
; SGPRBlocks: 2
; VGPRBlocks: 1
; NumSGPRsForWavesPerEU: 20
; NumVGPRsForWavesPerEU: 14
; AccumOffset: 16
; Occupancy: 8
; WaveLimiterHint : 0
; COMPUTE_PGM_RSRC2:SCRATCH_EN: 0
; COMPUTE_PGM_RSRC2:USER_SGPR: 6
; COMPUTE_PGM_RSRC2:TRAP_HANDLER: 0
; COMPUTE_PGM_RSRC2:TGID_X_EN: 1
; COMPUTE_PGM_RSRC2:TGID_Y_EN: 0
; COMPUTE_PGM_RSRC2:TGID_Z_EN: 0
; COMPUTE_PGM_RSRC2:TIDIG_COMP_CNT: 1
; COMPUTE_PGM_RSRC3_GFX90A:ACCUM_OFFSET: 3
; COMPUTE_PGM_RSRC3_GFX90A:TG_SPLIT: 0
	.section	.text._ZN12_GLOBAL__N_121softmax_warp_backwardIfffLi5ELb0ELb1ELi32EEEvPT0_PKT_S5_iiiPKb,"axG",@progbits,_ZN12_GLOBAL__N_121softmax_warp_backwardIfffLi5ELb0ELb1ELi32EEEvPT0_PKT_S5_iiiPKb,comdat
	.globl	_ZN12_GLOBAL__N_121softmax_warp_backwardIfffLi5ELb0ELb1ELi32EEEvPT0_PKT_S5_iiiPKb ; -- Begin function _ZN12_GLOBAL__N_121softmax_warp_backwardIfffLi5ELb0ELb1ELi32EEEvPT0_PKT_S5_iiiPKb
	.p2align	8
	.type	_ZN12_GLOBAL__N_121softmax_warp_backwardIfffLi5ELb0ELb1ELi32EEEvPT0_PKT_S5_iiiPKb,@function
_ZN12_GLOBAL__N_121softmax_warp_backwardIfffLi5ELb0ELb1ELi32EEEvPT0_PKT_S5_iiiPKb: ; @_ZN12_GLOBAL__N_121softmax_warp_backwardIfffLi5ELb0ELb1ELi32EEEvPT0_PKT_S5_iiiPKb
; %bb.0:
	s_load_dword s2, s[4:5], 0x3c
	s_load_dwordx4 s[8:11], s[4:5], 0x18
	s_load_dwordx4 s[12:15], s[4:5], 0x0
	s_load_dwordx2 s[0:1], s[4:5], 0x10
	v_bfe_u32 v1, v0, 10, 10
	s_waitcnt lgkmcnt(0)
	s_lshr_b32 s2, s2, 16
	s_mul_i32 s6, s6, s2
	v_add_lshl_u32 v1, s6, v1, 1
	v_and_b32_e32 v10, 31, v0
	v_mad_u64_u32 v[2:3], s[2:3], v1, s9, v[10:11]
	v_ashrrev_i32_e32 v3, 31, v2
	v_sub_u32_e32 v8, s8, v1
	v_lshlrev_b64 v[0:1], 2, v[2:3]
	v_mov_b32_e32 v5, s15
	v_add_co_u32_e32 v4, vcc, s14, v0
	v_addc_co_u32_e32 v5, vcc, v5, v1, vcc
	v_mov_b32_e32 v7, s1
	v_add_co_u32_e32 v6, vcc, s0, v0
	v_addc_co_u32_e32 v7, vcc, v7, v1, vcc
	v_cmp_gt_i32_e32 vcc, s10, v10
	v_cmp_lt_i32_e64 s[0:1], 0, v8
	s_and_b64 s[6:7], vcc, s[0:1]
	v_mov_b32_e32 v9, 0
	v_mov_b32_e32 v10, 0
	;; [unrolled: 1-line block ×3, first 2 shown]
	s_and_saveexec_b64 s[2:3], s[6:7]
	s_cbranch_execz .LBB801_2
; %bb.1:
	global_load_dword v10, v[4:5], off
	global_load_dword v11, v[6:7], off
.LBB801_2:
	s_or_b64 exec, exec, s[2:3]
	v_cmp_lt_i32_e64 s[2:3], 1, v8
	s_and_b64 s[2:3], vcc, s[2:3]
	s_mov_b32 s11, 0
	v_mov_b32_e32 v12, 0
	s_and_saveexec_b64 s[6:7], s[2:3]
	s_cbranch_execz .LBB801_4
; %bb.3:
	s_lshl_b64 s[8:9], s[10:11], 2
	v_mov_b32_e32 v12, s9
	v_add_co_u32_e64 v4, s[2:3], s8, v4
	v_addc_co_u32_e64 v5, s[2:3], v5, v12, s[2:3]
	global_load_dword v9, v[4:5], off
	v_add_co_u32_e64 v4, s[2:3], s8, v6
	v_addc_co_u32_e64 v5, s[2:3], v7, v12, s[2:3]
	global_load_dword v12, v[4:5], off
.LBB801_4:
	s_or_b64 exec, exec, s[6:7]
	s_load_dwordx2 s[2:3], s[4:5], 0x28
	s_ashr_i32 s4, s10, 31
	v_mov_b32_e32 v5, s4
	v_mbcnt_lo_u32_b32 v6, -1, 0
	v_mbcnt_hi_u32_b32 v6, -1, v6
	s_waitcnt lgkmcnt(0)
	v_mov_b32_e32 v4, s3
	v_add_co_u32_e64 v2, s[2:3], s2, v2
	v_addc_co_u32_e64 v3, s[2:3], v4, v3, s[2:3]
	global_load_ubyte v4, v[2:3], off
	v_add_co_u32_e64 v2, s[2:3], s10, v2
	v_addc_co_u32_e64 v3, s[2:3], v3, v5, s[2:3]
	global_load_ubyte v3, v[2:3], off
	v_and_b32_e32 v7, 0x60, v6
	v_xor_b32_e32 v13, 16, v6
	v_add_u32_e32 v7, 32, v7
	v_cmp_lt_i32_e64 s[2:3], v13, v7
	s_waitcnt vmcnt(3)
	v_add_f32_e32 v2, 0, v10
	v_add_f32_e32 v5, 0, v9
	v_cndmask_b32_e64 v13, v6, v13, s[2:3]
	v_lshlrev_b32_e32 v13, 2, v13
	s_waitcnt vmcnt(1)
	v_and_b32_e32 v4, 1, v4
	v_cmp_eq_u32_e64 s[4:5], 1, v4
	v_cndmask_b32_e64 v2, v2, 0, s[4:5]
	ds_bpermute_b32 v4, v13, v2
	s_waitcnt vmcnt(0)
	v_and_b32_e32 v3, 1, v3
	v_cmp_eq_u32_e64 s[2:3], 1, v3
	v_cndmask_b32_e64 v3, v5, 0, s[2:3]
	ds_bpermute_b32 v5, v13, v3
	v_xor_b32_e32 v13, 8, v6
	v_cmp_lt_i32_e64 s[6:7], v13, v7
	v_cndmask_b32_e64 v13, v6, v13, s[6:7]
	v_lshlrev_b32_e32 v13, 2, v13
	s_waitcnt lgkmcnt(0)
	v_pk_add_f32 v[2:3], v[2:3], v[4:5]
	ds_bpermute_b32 v4, v13, v2
	ds_bpermute_b32 v5, v13, v3
	v_xor_b32_e32 v13, 4, v6
	v_cmp_lt_i32_e64 s[6:7], v13, v7
	v_cndmask_b32_e64 v13, v6, v13, s[6:7]
	v_lshlrev_b32_e32 v13, 2, v13
	s_waitcnt lgkmcnt(0)
	v_pk_add_f32 v[2:3], v[2:3], v[4:5]
	ds_bpermute_b32 v4, v13, v2
	;; [unrolled: 8-line block ×4, first 2 shown]
	ds_bpermute_b32 v5, v6, v3
	s_and_saveexec_b64 s[6:7], s[0:1]
	s_cbranch_execz .LBB801_10
; %bb.5:
	s_waitcnt lgkmcnt(0)
	v_pk_add_f32 v[2:3], v[2:3], v[4:5]
	v_mov_b32_e32 v4, s13
	v_add_co_u32_e64 v0, s[0:1], s12, v0
	v_addc_co_u32_e64 v1, s[0:1], v4, v1, s[0:1]
	s_and_saveexec_b64 s[0:1], vcc
	s_cbranch_execz .LBB801_7
; %bb.6:
	v_fma_f32 v2, -v2, v11, v10
	v_cndmask_b32_e64 v2, v2, 0, s[4:5]
	global_store_dword v[0:1], v2, off
.LBB801_7:
	s_or_b64 exec, exec, s[0:1]
	v_cmp_ne_u32_e64 s[0:1], 1, v8
	s_and_b64 exec, exec, s[0:1]
	s_cbranch_execz .LBB801_10
; %bb.8:
	s_and_b64 exec, exec, vcc
	s_cbranch_execz .LBB801_10
; %bb.9:
	s_lshl_b64 s[0:1], s[10:11], 2
	v_fma_f32 v2, -v3, v12, v9
	v_mov_b32_e32 v3, s1
	v_add_co_u32_e32 v0, vcc, s0, v0
	v_addc_co_u32_e32 v1, vcc, v1, v3, vcc
	v_cndmask_b32_e64 v2, v2, 0, s[2:3]
	global_store_dword v[0:1], v2, off
.LBB801_10:
	s_endpgm
	.section	.rodata,"a",@progbits
	.p2align	6, 0x0
	.amdhsa_kernel _ZN12_GLOBAL__N_121softmax_warp_backwardIfffLi5ELb0ELb1ELi32EEEvPT0_PKT_S5_iiiPKb
		.amdhsa_group_segment_fixed_size 0
		.amdhsa_private_segment_fixed_size 0
		.amdhsa_kernarg_size 304
		.amdhsa_user_sgpr_count 6
		.amdhsa_user_sgpr_private_segment_buffer 1
		.amdhsa_user_sgpr_dispatch_ptr 0
		.amdhsa_user_sgpr_queue_ptr 0
		.amdhsa_user_sgpr_kernarg_segment_ptr 1
		.amdhsa_user_sgpr_dispatch_id 0
		.amdhsa_user_sgpr_flat_scratch_init 0
		.amdhsa_user_sgpr_kernarg_preload_length 0
		.amdhsa_user_sgpr_kernarg_preload_offset 0
		.amdhsa_user_sgpr_private_segment_size 0
		.amdhsa_uses_dynamic_stack 0
		.amdhsa_system_sgpr_private_segment_wavefront_offset 0
		.amdhsa_system_sgpr_workgroup_id_x 1
		.amdhsa_system_sgpr_workgroup_id_y 0
		.amdhsa_system_sgpr_workgroup_id_z 0
		.amdhsa_system_sgpr_workgroup_info 0
		.amdhsa_system_vgpr_workitem_id 1
		.amdhsa_next_free_vgpr 14
		.amdhsa_next_free_sgpr 16
		.amdhsa_accum_offset 16
		.amdhsa_reserve_vcc 1
		.amdhsa_reserve_flat_scratch 0
		.amdhsa_float_round_mode_32 0
		.amdhsa_float_round_mode_16_64 0
		.amdhsa_float_denorm_mode_32 3
		.amdhsa_float_denorm_mode_16_64 3
		.amdhsa_dx10_clamp 1
		.amdhsa_ieee_mode 1
		.amdhsa_fp16_overflow 0
		.amdhsa_tg_split 0
		.amdhsa_exception_fp_ieee_invalid_op 0
		.amdhsa_exception_fp_denorm_src 0
		.amdhsa_exception_fp_ieee_div_zero 0
		.amdhsa_exception_fp_ieee_overflow 0
		.amdhsa_exception_fp_ieee_underflow 0
		.amdhsa_exception_fp_ieee_inexact 0
		.amdhsa_exception_int_div_zero 0
	.end_amdhsa_kernel
	.section	.text._ZN12_GLOBAL__N_121softmax_warp_backwardIfffLi5ELb0ELb1ELi32EEEvPT0_PKT_S5_iiiPKb,"axG",@progbits,_ZN12_GLOBAL__N_121softmax_warp_backwardIfffLi5ELb0ELb1ELi32EEEvPT0_PKT_S5_iiiPKb,comdat
.Lfunc_end801:
	.size	_ZN12_GLOBAL__N_121softmax_warp_backwardIfffLi5ELb0ELb1ELi32EEEvPT0_PKT_S5_iiiPKb, .Lfunc_end801-_ZN12_GLOBAL__N_121softmax_warp_backwardIfffLi5ELb0ELb1ELi32EEEvPT0_PKT_S5_iiiPKb
                                        ; -- End function
	.section	.AMDGPU.csdata,"",@progbits
; Kernel info:
; codeLenInByte = 808
; NumSgprs: 20
; NumVgprs: 14
; NumAgprs: 0
; TotalNumVgprs: 14
; ScratchSize: 0
; MemoryBound: 0
; FloatMode: 240
; IeeeMode: 1
; LDSByteSize: 0 bytes/workgroup (compile time only)
; SGPRBlocks: 2
; VGPRBlocks: 1
; NumSGPRsForWavesPerEU: 20
; NumVGPRsForWavesPerEU: 14
; AccumOffset: 16
; Occupancy: 8
; WaveLimiterHint : 0
; COMPUTE_PGM_RSRC2:SCRATCH_EN: 0
; COMPUTE_PGM_RSRC2:USER_SGPR: 6
; COMPUTE_PGM_RSRC2:TRAP_HANDLER: 0
; COMPUTE_PGM_RSRC2:TGID_X_EN: 1
; COMPUTE_PGM_RSRC2:TGID_Y_EN: 0
; COMPUTE_PGM_RSRC2:TGID_Z_EN: 0
; COMPUTE_PGM_RSRC2:TIDIG_COMP_CNT: 1
; COMPUTE_PGM_RSRC3_GFX90A:ACCUM_OFFSET: 3
; COMPUTE_PGM_RSRC3_GFX90A:TG_SPLIT: 0
	.section	.text._ZN12_GLOBAL__N_121softmax_warp_backwardIfffLi6ELb0ELb1ELi64EEEvPT0_PKT_S5_iiiPKb,"axG",@progbits,_ZN12_GLOBAL__N_121softmax_warp_backwardIfffLi6ELb0ELb1ELi64EEEvPT0_PKT_S5_iiiPKb,comdat
	.globl	_ZN12_GLOBAL__N_121softmax_warp_backwardIfffLi6ELb0ELb1ELi64EEEvPT0_PKT_S5_iiiPKb ; -- Begin function _ZN12_GLOBAL__N_121softmax_warp_backwardIfffLi6ELb0ELb1ELi64EEEvPT0_PKT_S5_iiiPKb
	.p2align	8
	.type	_ZN12_GLOBAL__N_121softmax_warp_backwardIfffLi6ELb0ELb1ELi64EEEvPT0_PKT_S5_iiiPKb,@function
_ZN12_GLOBAL__N_121softmax_warp_backwardIfffLi6ELb0ELb1ELi64EEEvPT0_PKT_S5_iiiPKb: ; @_ZN12_GLOBAL__N_121softmax_warp_backwardIfffLi6ELb0ELb1ELi64EEEvPT0_PKT_S5_iiiPKb
; %bb.0:
	s_load_dword s2, s[4:5], 0x3c
	s_load_dwordx4 s[8:11], s[4:5], 0x18
	s_load_dwordx4 s[12:15], s[4:5], 0x0
	s_load_dwordx2 s[0:1], s[4:5], 0x10
	v_bfe_u32 v1, v0, 10, 10
	s_waitcnt lgkmcnt(0)
	s_lshr_b32 s2, s2, 16
	s_mul_i32 s6, s6, s2
	v_add_lshl_u32 v1, s6, v1, 1
	v_and_b32_e32 v10, 63, v0
	v_mad_u64_u32 v[2:3], s[2:3], v1, s9, v[10:11]
	v_ashrrev_i32_e32 v3, 31, v2
	v_sub_u32_e32 v8, s8, v1
	v_lshlrev_b64 v[0:1], 2, v[2:3]
	v_mov_b32_e32 v5, s15
	v_add_co_u32_e32 v4, vcc, s14, v0
	v_addc_co_u32_e32 v5, vcc, v5, v1, vcc
	v_mov_b32_e32 v7, s1
	v_add_co_u32_e32 v6, vcc, s0, v0
	v_addc_co_u32_e32 v7, vcc, v7, v1, vcc
	v_cmp_gt_i32_e32 vcc, s10, v10
	v_cmp_lt_i32_e64 s[0:1], 0, v8
	s_and_b64 s[6:7], vcc, s[0:1]
	v_mov_b32_e32 v9, 0
	v_mov_b32_e32 v10, 0
	;; [unrolled: 1-line block ×3, first 2 shown]
	s_and_saveexec_b64 s[2:3], s[6:7]
	s_cbranch_execz .LBB802_2
; %bb.1:
	global_load_dword v10, v[4:5], off
	global_load_dword v11, v[6:7], off
.LBB802_2:
	s_or_b64 exec, exec, s[2:3]
	v_cmp_lt_i32_e64 s[2:3], 1, v8
	s_and_b64 s[2:3], vcc, s[2:3]
	s_mov_b32 s11, 0
	v_mov_b32_e32 v12, 0
	s_and_saveexec_b64 s[6:7], s[2:3]
	s_cbranch_execz .LBB802_4
; %bb.3:
	s_lshl_b64 s[8:9], s[10:11], 2
	v_mov_b32_e32 v12, s9
	v_add_co_u32_e64 v4, s[2:3], s8, v4
	v_addc_co_u32_e64 v5, s[2:3], v5, v12, s[2:3]
	global_load_dword v9, v[4:5], off
	v_add_co_u32_e64 v4, s[2:3], s8, v6
	v_addc_co_u32_e64 v5, s[2:3], v7, v12, s[2:3]
	global_load_dword v12, v[4:5], off
.LBB802_4:
	s_or_b64 exec, exec, s[6:7]
	s_load_dwordx2 s[2:3], s[4:5], 0x28
	s_ashr_i32 s4, s10, 31
	v_mov_b32_e32 v5, s4
	v_mbcnt_lo_u32_b32 v6, -1, 0
	v_mbcnt_hi_u32_b32 v6, -1, v6
	s_waitcnt lgkmcnt(0)
	v_mov_b32_e32 v4, s3
	v_add_co_u32_e64 v2, s[2:3], s2, v2
	v_addc_co_u32_e64 v3, s[2:3], v4, v3, s[2:3]
	global_load_ubyte v4, v[2:3], off
	v_add_co_u32_e64 v2, s[2:3], s10, v2
	v_addc_co_u32_e64 v3, s[2:3], v3, v5, s[2:3]
	global_load_ubyte v3, v[2:3], off
	v_and_b32_e32 v7, 64, v6
	v_xor_b32_e32 v13, 32, v6
	v_add_u32_e32 v7, 64, v7
	v_cmp_lt_i32_e64 s[2:3], v13, v7
	s_waitcnt vmcnt(3)
	v_add_f32_e32 v2, 0, v10
	v_add_f32_e32 v5, 0, v9
	v_cndmask_b32_e64 v13, v6, v13, s[2:3]
	v_lshlrev_b32_e32 v13, 2, v13
	s_waitcnt vmcnt(1)
	v_and_b32_e32 v4, 1, v4
	v_cmp_eq_u32_e64 s[4:5], 1, v4
	v_cndmask_b32_e64 v2, v2, 0, s[4:5]
	ds_bpermute_b32 v4, v13, v2
	s_waitcnt vmcnt(0)
	v_and_b32_e32 v3, 1, v3
	v_cmp_eq_u32_e64 s[2:3], 1, v3
	v_cndmask_b32_e64 v3, v5, 0, s[2:3]
	ds_bpermute_b32 v5, v13, v3
	v_xor_b32_e32 v13, 16, v6
	v_cmp_lt_i32_e64 s[6:7], v13, v7
	v_cndmask_b32_e64 v13, v6, v13, s[6:7]
	v_lshlrev_b32_e32 v13, 2, v13
	s_waitcnt lgkmcnt(0)
	v_pk_add_f32 v[2:3], v[2:3], v[4:5]
	ds_bpermute_b32 v4, v13, v2
	ds_bpermute_b32 v5, v13, v3
	v_xor_b32_e32 v13, 8, v6
	v_cmp_lt_i32_e64 s[6:7], v13, v7
	v_cndmask_b32_e64 v13, v6, v13, s[6:7]
	v_lshlrev_b32_e32 v13, 2, v13
	s_waitcnt lgkmcnt(0)
	v_pk_add_f32 v[2:3], v[2:3], v[4:5]
	ds_bpermute_b32 v4, v13, v2
	ds_bpermute_b32 v5, v13, v3
	v_xor_b32_e32 v13, 4, v6
	v_cmp_lt_i32_e64 s[6:7], v13, v7
	v_cndmask_b32_e64 v13, v6, v13, s[6:7]
	v_lshlrev_b32_e32 v13, 2, v13
	s_waitcnt lgkmcnt(0)
	v_pk_add_f32 v[2:3], v[2:3], v[4:5]
	ds_bpermute_b32 v4, v13, v2
	ds_bpermute_b32 v5, v13, v3
	v_xor_b32_e32 v13, 2, v6
	v_cmp_lt_i32_e64 s[6:7], v13, v7
	v_cndmask_b32_e64 v13, v6, v13, s[6:7]
	v_lshlrev_b32_e32 v13, 2, v13
	s_waitcnt lgkmcnt(0)
	v_pk_add_f32 v[2:3], v[2:3], v[4:5]
	ds_bpermute_b32 v4, v13, v2
	ds_bpermute_b32 v5, v13, v3
	v_xor_b32_e32 v13, 1, v6
	v_cmp_lt_i32_e64 s[6:7], v13, v7
	v_cndmask_b32_e64 v6, v6, v13, s[6:7]
	v_lshlrev_b32_e32 v6, 2, v6
	s_waitcnt lgkmcnt(0)
	v_pk_add_f32 v[2:3], v[2:3], v[4:5]
	ds_bpermute_b32 v4, v6, v2
	ds_bpermute_b32 v5, v6, v3
	s_and_saveexec_b64 s[6:7], s[0:1]
	s_cbranch_execz .LBB802_10
; %bb.5:
	s_waitcnt lgkmcnt(0)
	v_pk_add_f32 v[2:3], v[2:3], v[4:5]
	v_mov_b32_e32 v4, s13
	v_add_co_u32_e64 v0, s[0:1], s12, v0
	v_addc_co_u32_e64 v1, s[0:1], v4, v1, s[0:1]
	s_and_saveexec_b64 s[0:1], vcc
	s_cbranch_execz .LBB802_7
; %bb.6:
	v_fma_f32 v2, -v2, v11, v10
	v_cndmask_b32_e64 v2, v2, 0, s[4:5]
	global_store_dword v[0:1], v2, off
.LBB802_7:
	s_or_b64 exec, exec, s[0:1]
	v_cmp_ne_u32_e64 s[0:1], 1, v8
	s_and_b64 exec, exec, s[0:1]
	s_cbranch_execz .LBB802_10
; %bb.8:
	s_and_b64 exec, exec, vcc
	s_cbranch_execz .LBB802_10
; %bb.9:
	s_lshl_b64 s[0:1], s[10:11], 2
	v_fma_f32 v2, -v3, v12, v9
	v_mov_b32_e32 v3, s1
	v_add_co_u32_e32 v0, vcc, s0, v0
	v_addc_co_u32_e32 v1, vcc, v1, v3, vcc
	v_cndmask_b32_e64 v2, v2, 0, s[2:3]
	global_store_dword v[0:1], v2, off
.LBB802_10:
	s_endpgm
	.section	.rodata,"a",@progbits
	.p2align	6, 0x0
	.amdhsa_kernel _ZN12_GLOBAL__N_121softmax_warp_backwardIfffLi6ELb0ELb1ELi64EEEvPT0_PKT_S5_iiiPKb
		.amdhsa_group_segment_fixed_size 0
		.amdhsa_private_segment_fixed_size 0
		.amdhsa_kernarg_size 304
		.amdhsa_user_sgpr_count 6
		.amdhsa_user_sgpr_private_segment_buffer 1
		.amdhsa_user_sgpr_dispatch_ptr 0
		.amdhsa_user_sgpr_queue_ptr 0
		.amdhsa_user_sgpr_kernarg_segment_ptr 1
		.amdhsa_user_sgpr_dispatch_id 0
		.amdhsa_user_sgpr_flat_scratch_init 0
		.amdhsa_user_sgpr_kernarg_preload_length 0
		.amdhsa_user_sgpr_kernarg_preload_offset 0
		.amdhsa_user_sgpr_private_segment_size 0
		.amdhsa_uses_dynamic_stack 0
		.amdhsa_system_sgpr_private_segment_wavefront_offset 0
		.amdhsa_system_sgpr_workgroup_id_x 1
		.amdhsa_system_sgpr_workgroup_id_y 0
		.amdhsa_system_sgpr_workgroup_id_z 0
		.amdhsa_system_sgpr_workgroup_info 0
		.amdhsa_system_vgpr_workitem_id 1
		.amdhsa_next_free_vgpr 14
		.amdhsa_next_free_sgpr 16
		.amdhsa_accum_offset 16
		.amdhsa_reserve_vcc 1
		.amdhsa_reserve_flat_scratch 0
		.amdhsa_float_round_mode_32 0
		.amdhsa_float_round_mode_16_64 0
		.amdhsa_float_denorm_mode_32 3
		.amdhsa_float_denorm_mode_16_64 3
		.amdhsa_dx10_clamp 1
		.amdhsa_ieee_mode 1
		.amdhsa_fp16_overflow 0
		.amdhsa_tg_split 0
		.amdhsa_exception_fp_ieee_invalid_op 0
		.amdhsa_exception_fp_denorm_src 0
		.amdhsa_exception_fp_ieee_div_zero 0
		.amdhsa_exception_fp_ieee_overflow 0
		.amdhsa_exception_fp_ieee_underflow 0
		.amdhsa_exception_fp_ieee_inexact 0
		.amdhsa_exception_int_div_zero 0
	.end_amdhsa_kernel
	.section	.text._ZN12_GLOBAL__N_121softmax_warp_backwardIfffLi6ELb0ELb1ELi64EEEvPT0_PKT_S5_iiiPKb,"axG",@progbits,_ZN12_GLOBAL__N_121softmax_warp_backwardIfffLi6ELb0ELb1ELi64EEEvPT0_PKT_S5_iiiPKb,comdat
.Lfunc_end802:
	.size	_ZN12_GLOBAL__N_121softmax_warp_backwardIfffLi6ELb0ELb1ELi64EEEvPT0_PKT_S5_iiiPKb, .Lfunc_end802-_ZN12_GLOBAL__N_121softmax_warp_backwardIfffLi6ELb0ELb1ELi64EEEvPT0_PKT_S5_iiiPKb
                                        ; -- End function
	.section	.AMDGPU.csdata,"",@progbits
; Kernel info:
; codeLenInByte = 856
; NumSgprs: 20
; NumVgprs: 14
; NumAgprs: 0
; TotalNumVgprs: 14
; ScratchSize: 0
; MemoryBound: 0
; FloatMode: 240
; IeeeMode: 1
; LDSByteSize: 0 bytes/workgroup (compile time only)
; SGPRBlocks: 2
; VGPRBlocks: 1
; NumSGPRsForWavesPerEU: 20
; NumVGPRsForWavesPerEU: 14
; AccumOffset: 16
; Occupancy: 8
; WaveLimiterHint : 0
; COMPUTE_PGM_RSRC2:SCRATCH_EN: 0
; COMPUTE_PGM_RSRC2:USER_SGPR: 6
; COMPUTE_PGM_RSRC2:TRAP_HANDLER: 0
; COMPUTE_PGM_RSRC2:TGID_X_EN: 1
; COMPUTE_PGM_RSRC2:TGID_Y_EN: 0
; COMPUTE_PGM_RSRC2:TGID_Z_EN: 0
; COMPUTE_PGM_RSRC2:TIDIG_COMP_CNT: 1
; COMPUTE_PGM_RSRC3_GFX90A:ACCUM_OFFSET: 3
; COMPUTE_PGM_RSRC3_GFX90A:TG_SPLIT: 0
	.section	.text._ZN12_GLOBAL__N_121softmax_warp_backwardIfffLi6ELb0ELb1ELi32EEEvPT0_PKT_S5_iiiPKb,"axG",@progbits,_ZN12_GLOBAL__N_121softmax_warp_backwardIfffLi6ELb0ELb1ELi32EEEvPT0_PKT_S5_iiiPKb,comdat
	.globl	_ZN12_GLOBAL__N_121softmax_warp_backwardIfffLi6ELb0ELb1ELi32EEEvPT0_PKT_S5_iiiPKb ; -- Begin function _ZN12_GLOBAL__N_121softmax_warp_backwardIfffLi6ELb0ELb1ELi32EEEvPT0_PKT_S5_iiiPKb
	.p2align	8
	.type	_ZN12_GLOBAL__N_121softmax_warp_backwardIfffLi6ELb0ELb1ELi32EEEvPT0_PKT_S5_iiiPKb,@function
_ZN12_GLOBAL__N_121softmax_warp_backwardIfffLi6ELb0ELb1ELi32EEEvPT0_PKT_S5_iiiPKb: ; @_ZN12_GLOBAL__N_121softmax_warp_backwardIfffLi6ELb0ELb1ELi32EEEvPT0_PKT_S5_iiiPKb
; %bb.0:
	s_load_dword s2, s[4:5], 0x3c
	s_load_dwordx4 s[12:15], s[4:5], 0x18
	s_load_dwordx4 s[16:19], s[4:5], 0x0
	s_load_dwordx2 s[0:1], s[4:5], 0x10
	v_bfe_u32 v1, v0, 10, 10
	s_waitcnt lgkmcnt(0)
	s_lshr_b32 s2, s2, 16
	s_mul_i32 s6, s6, s2
	v_add_lshl_u32 v1, s6, v1, 1
	v_sub_u32_e32 v9, s12, v1
	v_and_b32_e32 v8, 31, v0
	v_mad_u64_u32 v[2:3], s[2:3], v1, s13, v[8:9]
	v_ashrrev_i32_e32 v3, 31, v2
	v_lshlrev_b64 v[0:1], 2, v[2:3]
	v_mov_b32_e32 v5, s19
	v_add_co_u32_e32 v4, vcc, s18, v0
	v_addc_co_u32_e32 v5, vcc, v5, v1, vcc
	v_mov_b32_e32 v7, s1
	v_add_co_u32_e32 v6, vcc, s0, v0
	v_addc_co_u32_e32 v7, vcc, v7, v1, vcc
	v_cmp_lt_i32_e64 s[2:3], 0, v9
	v_cmp_gt_i32_e32 vcc, s14, v8
	s_and_b64 s[6:7], s[2:3], vcc
	v_mov_b32_e32 v10, 0
	v_mov_b32_e32 v11, 0
	v_mov_b32_e32 v12, 0
	s_and_saveexec_b64 s[0:1], s[6:7]
	s_cbranch_execz .LBB803_2
; %bb.1:
	global_load_dword v11, v[4:5], off
	global_load_dword v12, v[6:7], off
.LBB803_2:
	s_or_b64 exec, exec, s[0:1]
	v_or_b32_e32 v8, 32, v8
	v_cmp_gt_i32_e64 s[0:1], s14, v8
	s_and_b64 s[8:9], s[2:3], s[0:1]
	v_mov_b32_e32 v14, 0
	s_and_saveexec_b64 s[6:7], s[8:9]
	s_cbranch_execz .LBB803_4
; %bb.3:
	global_load_dword v10, v[4:5], off offset:128
	global_load_dword v14, v[6:7], off offset:128
.LBB803_4:
	s_or_b64 exec, exec, s[6:7]
	v_cmp_lt_i32_e64 s[6:7], 1, v9
	s_and_b64 s[8:9], s[6:7], vcc
	s_mov_b32 s15, 0
	v_mov_b32_e32 v8, 0
	v_mov_b32_e32 v13, 0
	;; [unrolled: 1-line block ×3, first 2 shown]
	s_and_saveexec_b64 s[10:11], s[8:9]
	s_cbranch_execz .LBB803_6
; %bb.5:
	s_lshl_b64 s[12:13], s[14:15], 2
	v_mov_b32_e32 v15, s13
	v_add_co_u32_e64 v16, s[8:9], s12, v4
	v_addc_co_u32_e64 v17, s[8:9], v5, v15, s[8:9]
	global_load_dword v13, v[16:17], off
	v_add_co_u32_e64 v16, s[8:9], s12, v6
	v_addc_co_u32_e64 v17, s[8:9], v7, v15, s[8:9]
	global_load_dword v15, v[16:17], off
.LBB803_6:
	s_or_b64 exec, exec, s[10:11]
	s_and_b64 s[6:7], s[6:7], s[0:1]
	v_mov_b32_e32 v16, 0
	s_and_saveexec_b64 s[8:9], s[6:7]
	s_cbranch_execz .LBB803_8
; %bb.7:
	s_lshl_b64 s[10:11], s[14:15], 2
	v_mov_b32_e32 v16, s11
	v_add_co_u32_e64 v4, s[6:7], s10, v4
	v_addc_co_u32_e64 v5, s[6:7], v5, v16, s[6:7]
	global_load_dword v8, v[4:5], off offset:128
	v_add_co_u32_e64 v4, s[6:7], s10, v6
	v_addc_co_u32_e64 v5, s[6:7], v7, v16, s[6:7]
	global_load_dword v16, v[4:5], off offset:128
.LBB803_8:
	s_or_b64 exec, exec, s[8:9]
	s_load_dwordx2 s[4:5], s[4:5], 0x28
	v_mbcnt_lo_u32_b32 v17, -1, 0
	v_mbcnt_hi_u32_b32 v17, -1, v17
	v_and_b32_e32 v18, 0x60, v17
	v_xor_b32_e32 v19, 16, v17
	s_waitcnt lgkmcnt(0)
	v_mov_b32_e32 v4, s5
	v_add_co_u32_e64 v2, s[4:5], s4, v2
	v_addc_co_u32_e64 v3, s[4:5], v4, v3, s[4:5]
	s_ashr_i32 s4, s14, 31
	global_load_ubyte v4, v[2:3], off
	global_load_ubyte v5, v[2:3], off offset:32
	v_mov_b32_e32 v6, s4
	v_add_co_u32_e64 v2, s[4:5], s14, v2
	v_addc_co_u32_e64 v3, s[4:5], v3, v6, s[4:5]
	global_load_ubyte v6, v[2:3], off
	global_load_ubyte v7, v[2:3], off offset:32
	s_waitcnt vmcnt(5)
	v_add_f32_e32 v2, 0, v11
	v_add_f32_e32 v3, 0, v13
	v_add_u32_e32 v18, 32, v18
	v_cmp_lt_i32_e64 s[4:5], v19, v18
	v_cndmask_b32_e64 v19, v17, v19, s[4:5]
	v_lshlrev_b32_e32 v19, 2, v19
	s_waitcnt vmcnt(3)
	v_and_b32_e32 v4, 1, v4
	v_cmp_eq_u32_e64 s[10:11], 1, v4
	s_waitcnt vmcnt(2)
	v_and_b32_e32 v5, 1, v5
	v_cndmask_b32_e64 v2, v2, 0, s[10:11]
	v_cmp_eq_u32_e64 s[8:9], 1, v5
	s_waitcnt vmcnt(1)
	v_and_b32_e32 v4, 1, v6
	v_cmp_eq_u32_e64 s[6:7], 1, v4
	s_waitcnt vmcnt(0)
	v_and_b32_e32 v6, 1, v7
	v_cndmask_b32_e64 v3, v3, 0, s[6:7]
	v_add_f32_e32 v7, v2, v10
	v_add_f32_e32 v4, v3, v8
	v_cmp_eq_u32_e64 s[4:5], 1, v6
	v_cndmask_b32_e64 v2, v7, v2, s[8:9]
	v_cndmask_b32_e64 v3, v4, v3, s[4:5]
	ds_bpermute_b32 v4, v19, v2
	ds_bpermute_b32 v5, v19, v3
	v_xor_b32_e32 v6, 8, v17
	v_cmp_lt_i32_e64 s[12:13], v6, v18
	v_cndmask_b32_e64 v6, v17, v6, s[12:13]
	v_lshlrev_b32_e32 v6, 2, v6
	s_waitcnt lgkmcnt(0)
	v_pk_add_f32 v[2:3], v[2:3], v[4:5]
	ds_bpermute_b32 v4, v6, v2
	ds_bpermute_b32 v5, v6, v3
	v_xor_b32_e32 v6, 4, v17
	v_cmp_lt_i32_e64 s[12:13], v6, v18
	v_cndmask_b32_e64 v6, v17, v6, s[12:13]
	v_lshlrev_b32_e32 v6, 2, v6
	s_waitcnt lgkmcnt(0)
	v_pk_add_f32 v[2:3], v[2:3], v[4:5]
	ds_bpermute_b32 v4, v6, v2
	ds_bpermute_b32 v5, v6, v3
	v_xor_b32_e32 v6, 2, v17
	v_cmp_lt_i32_e64 s[12:13], v6, v18
	v_cndmask_b32_e64 v6, v17, v6, s[12:13]
	v_lshlrev_b32_e32 v6, 2, v6
	s_waitcnt lgkmcnt(0)
	v_pk_add_f32 v[2:3], v[2:3], v[4:5]
	ds_bpermute_b32 v4, v6, v2
	ds_bpermute_b32 v5, v6, v3
	v_xor_b32_e32 v6, 1, v17
	v_cmp_lt_i32_e64 s[12:13], v6, v18
	v_cndmask_b32_e64 v6, v17, v6, s[12:13]
	v_lshlrev_b32_e32 v6, 2, v6
	s_waitcnt lgkmcnt(0)
	v_pk_add_f32 v[2:3], v[2:3], v[4:5]
	ds_bpermute_b32 v4, v6, v2
	ds_bpermute_b32 v5, v6, v3
	s_and_saveexec_b64 s[12:13], s[2:3]
	s_cbranch_execz .LBB803_12
; %bb.9:
	s_waitcnt lgkmcnt(0)
	v_pk_add_f32 v[2:3], v[2:3], v[4:5]
	v_mov_b32_e32 v4, s17
	v_add_co_u32_e64 v0, s[2:3], s16, v0
	v_addc_co_u32_e64 v1, s[2:3], v4, v1, s[2:3]
	s_and_saveexec_b64 s[2:3], vcc
	s_cbranch_execnz .LBB803_13
; %bb.10:
	s_or_b64 exec, exec, s[2:3]
	s_and_saveexec_b64 s[2:3], s[0:1]
	s_cbranch_execnz .LBB803_14
.LBB803_11:
	s_or_b64 exec, exec, s[2:3]
	v_cmp_ne_u32_e64 s[2:3], 1, v9
	s_and_b64 exec, exec, s[2:3]
	s_cbranch_execnz .LBB803_15
.LBB803_12:
	s_endpgm
.LBB803_13:
	v_fma_f32 v4, -v2, v12, v11
	v_cndmask_b32_e64 v4, v4, 0, s[10:11]
	global_store_dword v[0:1], v4, off
	s_or_b64 exec, exec, s[2:3]
	s_and_saveexec_b64 s[2:3], s[0:1]
	s_cbranch_execz .LBB803_11
.LBB803_14:
	v_fma_f32 v2, -v2, v14, v10
	v_cndmask_b32_e64 v2, v2, 0, s[8:9]
	global_store_dword v[0:1], v2, off offset:128
	s_or_b64 exec, exec, s[2:3]
	v_cmp_ne_u32_e64 s[2:3], 1, v9
	s_and_b64 exec, exec, s[2:3]
	s_cbranch_execz .LBB803_12
.LBB803_15:
	s_lshl_b64 s[2:3], s[14:15], 2
	v_mov_b32_e32 v2, s3
	v_add_co_u32_e64 v0, s[2:3], s2, v0
	v_addc_co_u32_e64 v1, s[2:3], v1, v2, s[2:3]
	s_and_saveexec_b64 s[2:3], vcc
	s_cbranch_execz .LBB803_17
; %bb.16:
	v_fma_f32 v2, -v3, v15, v13
	v_cndmask_b32_e64 v2, v2, 0, s[6:7]
	global_store_dword v[0:1], v2, off
.LBB803_17:
	s_or_b64 exec, exec, s[2:3]
	s_and_b64 exec, exec, s[0:1]
	s_cbranch_execz .LBB803_12
; %bb.18:
	v_fma_f32 v2, -v3, v16, v8
	v_cndmask_b32_e64 v2, v2, 0, s[4:5]
	global_store_dword v[0:1], v2, off offset:128
	s_endpgm
	.section	.rodata,"a",@progbits
	.p2align	6, 0x0
	.amdhsa_kernel _ZN12_GLOBAL__N_121softmax_warp_backwardIfffLi6ELb0ELb1ELi32EEEvPT0_PKT_S5_iiiPKb
		.amdhsa_group_segment_fixed_size 0
		.amdhsa_private_segment_fixed_size 0
		.amdhsa_kernarg_size 304
		.amdhsa_user_sgpr_count 6
		.amdhsa_user_sgpr_private_segment_buffer 1
		.amdhsa_user_sgpr_dispatch_ptr 0
		.amdhsa_user_sgpr_queue_ptr 0
		.amdhsa_user_sgpr_kernarg_segment_ptr 1
		.amdhsa_user_sgpr_dispatch_id 0
		.amdhsa_user_sgpr_flat_scratch_init 0
		.amdhsa_user_sgpr_kernarg_preload_length 0
		.amdhsa_user_sgpr_kernarg_preload_offset 0
		.amdhsa_user_sgpr_private_segment_size 0
		.amdhsa_uses_dynamic_stack 0
		.amdhsa_system_sgpr_private_segment_wavefront_offset 0
		.amdhsa_system_sgpr_workgroup_id_x 1
		.amdhsa_system_sgpr_workgroup_id_y 0
		.amdhsa_system_sgpr_workgroup_id_z 0
		.amdhsa_system_sgpr_workgroup_info 0
		.amdhsa_system_vgpr_workitem_id 1
		.amdhsa_next_free_vgpr 20
		.amdhsa_next_free_sgpr 20
		.amdhsa_accum_offset 20
		.amdhsa_reserve_vcc 1
		.amdhsa_reserve_flat_scratch 0
		.amdhsa_float_round_mode_32 0
		.amdhsa_float_round_mode_16_64 0
		.amdhsa_float_denorm_mode_32 3
		.amdhsa_float_denorm_mode_16_64 3
		.amdhsa_dx10_clamp 1
		.amdhsa_ieee_mode 1
		.amdhsa_fp16_overflow 0
		.amdhsa_tg_split 0
		.amdhsa_exception_fp_ieee_invalid_op 0
		.amdhsa_exception_fp_denorm_src 0
		.amdhsa_exception_fp_ieee_div_zero 0
		.amdhsa_exception_fp_ieee_overflow 0
		.amdhsa_exception_fp_ieee_underflow 0
		.amdhsa_exception_fp_ieee_inexact 0
		.amdhsa_exception_int_div_zero 0
	.end_amdhsa_kernel
	.section	.text._ZN12_GLOBAL__N_121softmax_warp_backwardIfffLi6ELb0ELb1ELi32EEEvPT0_PKT_S5_iiiPKb,"axG",@progbits,_ZN12_GLOBAL__N_121softmax_warp_backwardIfffLi6ELb0ELb1ELi32EEEvPT0_PKT_S5_iiiPKb,comdat
.Lfunc_end803:
	.size	_ZN12_GLOBAL__N_121softmax_warp_backwardIfffLi6ELb0ELb1ELi32EEEvPT0_PKT_S5_iiiPKb, .Lfunc_end803-_ZN12_GLOBAL__N_121softmax_warp_backwardIfffLi6ELb0ELb1ELi32EEEvPT0_PKT_S5_iiiPKb
                                        ; -- End function
	.section	.AMDGPU.csdata,"",@progbits
; Kernel info:
; codeLenInByte = 1128
; NumSgprs: 24
; NumVgprs: 20
; NumAgprs: 0
; TotalNumVgprs: 20
; ScratchSize: 0
; MemoryBound: 0
; FloatMode: 240
; IeeeMode: 1
; LDSByteSize: 0 bytes/workgroup (compile time only)
; SGPRBlocks: 2
; VGPRBlocks: 2
; NumSGPRsForWavesPerEU: 24
; NumVGPRsForWavesPerEU: 20
; AccumOffset: 20
; Occupancy: 8
; WaveLimiterHint : 0
; COMPUTE_PGM_RSRC2:SCRATCH_EN: 0
; COMPUTE_PGM_RSRC2:USER_SGPR: 6
; COMPUTE_PGM_RSRC2:TRAP_HANDLER: 0
; COMPUTE_PGM_RSRC2:TGID_X_EN: 1
; COMPUTE_PGM_RSRC2:TGID_Y_EN: 0
; COMPUTE_PGM_RSRC2:TGID_Z_EN: 0
; COMPUTE_PGM_RSRC2:TIDIG_COMP_CNT: 1
; COMPUTE_PGM_RSRC3_GFX90A:ACCUM_OFFSET: 4
; COMPUTE_PGM_RSRC3_GFX90A:TG_SPLIT: 0
	.section	.text._ZN12_GLOBAL__N_121softmax_warp_backwardIfffLi7ELb0ELb1ELi64EEEvPT0_PKT_S5_iiiPKb,"axG",@progbits,_ZN12_GLOBAL__N_121softmax_warp_backwardIfffLi7ELb0ELb1ELi64EEEvPT0_PKT_S5_iiiPKb,comdat
	.globl	_ZN12_GLOBAL__N_121softmax_warp_backwardIfffLi7ELb0ELb1ELi64EEEvPT0_PKT_S5_iiiPKb ; -- Begin function _ZN12_GLOBAL__N_121softmax_warp_backwardIfffLi7ELb0ELb1ELi64EEEvPT0_PKT_S5_iiiPKb
	.p2align	8
	.type	_ZN12_GLOBAL__N_121softmax_warp_backwardIfffLi7ELb0ELb1ELi64EEEvPT0_PKT_S5_iiiPKb,@function
_ZN12_GLOBAL__N_121softmax_warp_backwardIfffLi7ELb0ELb1ELi64EEEvPT0_PKT_S5_iiiPKb: ; @_ZN12_GLOBAL__N_121softmax_warp_backwardIfffLi7ELb0ELb1ELi64EEEvPT0_PKT_S5_iiiPKb
; %bb.0:
	s_load_dword s2, s[4:5], 0x3c
	s_load_dwordx4 s[12:15], s[4:5], 0x18
	s_load_dwordx4 s[16:19], s[4:5], 0x0
	s_load_dwordx2 s[0:1], s[4:5], 0x10
	v_bfe_u32 v1, v0, 10, 10
	s_waitcnt lgkmcnt(0)
	s_lshr_b32 s2, s2, 16
	s_mul_i32 s6, s6, s2
	v_add_lshl_u32 v1, s6, v1, 1
	v_sub_u32_e32 v9, s12, v1
	v_and_b32_e32 v8, 63, v0
	v_mad_u64_u32 v[2:3], s[2:3], v1, s13, v[8:9]
	v_ashrrev_i32_e32 v3, 31, v2
	v_lshlrev_b64 v[0:1], 2, v[2:3]
	v_mov_b32_e32 v5, s19
	v_add_co_u32_e32 v4, vcc, s18, v0
	v_addc_co_u32_e32 v5, vcc, v5, v1, vcc
	v_mov_b32_e32 v7, s1
	v_add_co_u32_e32 v6, vcc, s0, v0
	v_addc_co_u32_e32 v7, vcc, v7, v1, vcc
	v_cmp_lt_i32_e64 s[2:3], 0, v9
	v_cmp_gt_i32_e32 vcc, s14, v8
	s_and_b64 s[6:7], s[2:3], vcc
	v_mov_b32_e32 v10, 0
	v_mov_b32_e32 v11, 0
	;; [unrolled: 1-line block ×3, first 2 shown]
	s_and_saveexec_b64 s[0:1], s[6:7]
	s_cbranch_execz .LBB804_2
; %bb.1:
	global_load_dword v11, v[4:5], off
	global_load_dword v12, v[6:7], off
.LBB804_2:
	s_or_b64 exec, exec, s[0:1]
	v_or_b32_e32 v8, 64, v8
	v_cmp_gt_i32_e64 s[0:1], s14, v8
	s_and_b64 s[8:9], s[2:3], s[0:1]
	v_mov_b32_e32 v14, 0
	s_and_saveexec_b64 s[6:7], s[8:9]
	s_cbranch_execz .LBB804_4
; %bb.3:
	global_load_dword v10, v[4:5], off offset:256
	global_load_dword v14, v[6:7], off offset:256
.LBB804_4:
	s_or_b64 exec, exec, s[6:7]
	v_cmp_lt_i32_e64 s[6:7], 1, v9
	s_and_b64 s[8:9], s[6:7], vcc
	s_mov_b32 s15, 0
	v_mov_b32_e32 v8, 0
	v_mov_b32_e32 v13, 0
	;; [unrolled: 1-line block ×3, first 2 shown]
	s_and_saveexec_b64 s[10:11], s[8:9]
	s_cbranch_execz .LBB804_6
; %bb.5:
	s_lshl_b64 s[12:13], s[14:15], 2
	v_mov_b32_e32 v15, s13
	v_add_co_u32_e64 v16, s[8:9], s12, v4
	v_addc_co_u32_e64 v17, s[8:9], v5, v15, s[8:9]
	global_load_dword v13, v[16:17], off
	v_add_co_u32_e64 v16, s[8:9], s12, v6
	v_addc_co_u32_e64 v17, s[8:9], v7, v15, s[8:9]
	global_load_dword v15, v[16:17], off
.LBB804_6:
	s_or_b64 exec, exec, s[10:11]
	s_and_b64 s[6:7], s[6:7], s[0:1]
	v_mov_b32_e32 v16, 0
	s_and_saveexec_b64 s[8:9], s[6:7]
	s_cbranch_execz .LBB804_8
; %bb.7:
	s_lshl_b64 s[10:11], s[14:15], 2
	v_mov_b32_e32 v16, s11
	v_add_co_u32_e64 v4, s[6:7], s10, v4
	v_addc_co_u32_e64 v5, s[6:7], v5, v16, s[6:7]
	global_load_dword v8, v[4:5], off offset:256
	v_add_co_u32_e64 v4, s[6:7], s10, v6
	v_addc_co_u32_e64 v5, s[6:7], v7, v16, s[6:7]
	global_load_dword v16, v[4:5], off offset:256
.LBB804_8:
	s_or_b64 exec, exec, s[8:9]
	s_load_dwordx2 s[4:5], s[4:5], 0x28
	v_mbcnt_lo_u32_b32 v19, -1, 0
	v_mbcnt_hi_u32_b32 v19, -1, v19
	v_and_b32_e32 v20, 64, v19
	v_xor_b32_e32 v21, 32, v19
	s_waitcnt lgkmcnt(0)
	v_mov_b32_e32 v4, s5
	v_add_co_u32_e64 v2, s[4:5], s4, v2
	v_addc_co_u32_e64 v3, s[4:5], v4, v3, s[4:5]
	s_ashr_i32 s4, s14, 31
	v_mov_b32_e32 v5, s4
	v_add_co_u32_e64 v4, s[4:5], s14, v2
	global_load_ubyte v6, v[2:3], off
	global_load_ubyte v7, v[2:3], off offset:64
	v_addc_co_u32_e64 v5, s[4:5], v3, v5, s[4:5]
	global_load_ubyte v17, v[4:5], off
	global_load_ubyte v18, v[4:5], off offset:64
	s_waitcnt vmcnt(5)
	v_add_f32_e32 v4, 0, v11
	v_add_u32_e32 v20, 64, v20
	v_add_f32_e32 v5, 0, v13
	v_cmp_lt_i32_e64 s[4:5], v21, v20
	v_cndmask_b32_e64 v21, v19, v21, s[4:5]
	v_lshlrev_b32_e32 v21, 2, v21
	s_waitcnt vmcnt(3)
	v_and_b32_e32 v6, 1, v6
	v_cmp_eq_u32_e64 s[8:9], 1, v6
	s_waitcnt vmcnt(2)
	v_and_b32_e32 v7, 1, v7
	s_waitcnt vmcnt(1)
	v_and_b32_e32 v6, 1, v17
	v_cndmask_b32_e64 v4, v4, 0, s[8:9]
	v_cmp_eq_u32_e64 s[6:7], 1, v6
	s_waitcnt vmcnt(0)
	v_and_b32_e32 v17, 1, v18
	v_add_f32_e32 v18, v4, v10
	v_cndmask_b32_e64 v5, v5, 0, s[6:7]
	v_cmp_eq_u32_e64 s[4:5], 1, v7
	v_cndmask_b32_e64 v4, v18, v4, s[4:5]
	v_add_f32_e32 v6, v5, v8
	v_cmp_eq_u32_e64 s[4:5], 1, v17
	v_cndmask_b32_e64 v5, v6, v5, s[4:5]
	ds_bpermute_b32 v6, v21, v4
	ds_bpermute_b32 v7, v21, v5
	v_xor_b32_e32 v17, 16, v19
	v_cmp_lt_i32_e64 s[10:11], v17, v20
	v_cndmask_b32_e64 v17, v19, v17, s[10:11]
	v_lshlrev_b32_e32 v17, 2, v17
	s_waitcnt lgkmcnt(0)
	v_pk_add_f32 v[4:5], v[4:5], v[6:7]
	ds_bpermute_b32 v6, v17, v4
	ds_bpermute_b32 v7, v17, v5
	v_xor_b32_e32 v17, 8, v19
	v_cmp_lt_i32_e64 s[10:11], v17, v20
	v_cndmask_b32_e64 v17, v19, v17, s[10:11]
	v_lshlrev_b32_e32 v17, 2, v17
	s_waitcnt lgkmcnt(0)
	v_pk_add_f32 v[4:5], v[4:5], v[6:7]
	;; [unrolled: 8-line block ×5, first 2 shown]
	ds_bpermute_b32 v6, v17, v4
	ds_bpermute_b32 v7, v17, v5
	s_and_saveexec_b64 s[10:11], s[2:3]
	s_cbranch_execz .LBB804_12
; %bb.9:
	s_waitcnt lgkmcnt(0)
	v_pk_add_f32 v[4:5], v[4:5], v[6:7]
	v_mov_b32_e32 v6, s17
	v_add_co_u32_e64 v0, s[2:3], s16, v0
	v_addc_co_u32_e64 v1, s[2:3], v6, v1, s[2:3]
	s_and_saveexec_b64 s[2:3], vcc
	s_cbranch_execnz .LBB804_13
; %bb.10:
	s_or_b64 exec, exec, s[2:3]
	s_and_saveexec_b64 s[8:9], s[0:1]
	s_cbranch_execnz .LBB804_14
.LBB804_11:
	s_or_b64 exec, exec, s[8:9]
	v_cmp_ne_u32_e64 s[2:3], 1, v9
	s_and_b64 exec, exec, s[2:3]
	s_cbranch_execnz .LBB804_15
.LBB804_12:
	s_endpgm
.LBB804_13:
	v_fma_f32 v6, -v4, v12, v11
	v_cndmask_b32_e64 v6, v6, 0, s[8:9]
	global_store_dword v[0:1], v6, off
	s_or_b64 exec, exec, s[2:3]
	s_and_saveexec_b64 s[8:9], s[0:1]
	s_cbranch_execz .LBB804_11
.LBB804_14:
	global_load_ubyte v2, v[2:3], off offset:64
	v_fma_f32 v3, -v4, v14, v10
	s_waitcnt vmcnt(0)
	v_and_b32_e32 v2, 1, v2
	v_cmp_eq_u32_e64 s[2:3], 1, v2
	v_cndmask_b32_e64 v2, v3, 0, s[2:3]
	global_store_dword v[0:1], v2, off offset:256
	s_or_b64 exec, exec, s[8:9]
	v_cmp_ne_u32_e64 s[2:3], 1, v9
	s_and_b64 exec, exec, s[2:3]
	s_cbranch_execz .LBB804_12
.LBB804_15:
	s_lshl_b64 s[2:3], s[14:15], 2
	v_mov_b32_e32 v2, s3
	v_add_co_u32_e64 v0, s[2:3], s2, v0
	v_addc_co_u32_e64 v1, s[2:3], v1, v2, s[2:3]
	s_and_saveexec_b64 s[2:3], vcc
	s_cbranch_execz .LBB804_17
; %bb.16:
	v_fma_f32 v2, -v5, v15, v13
	v_cndmask_b32_e64 v2, v2, 0, s[6:7]
	global_store_dword v[0:1], v2, off
.LBB804_17:
	s_or_b64 exec, exec, s[2:3]
	s_and_b64 exec, exec, s[0:1]
	s_cbranch_execz .LBB804_12
; %bb.18:
	v_fma_f32 v2, -v5, v16, v8
	v_cndmask_b32_e64 v2, v2, 0, s[4:5]
	global_store_dword v[0:1], v2, off offset:256
	s_endpgm
	.section	.rodata,"a",@progbits
	.p2align	6, 0x0
	.amdhsa_kernel _ZN12_GLOBAL__N_121softmax_warp_backwardIfffLi7ELb0ELb1ELi64EEEvPT0_PKT_S5_iiiPKb
		.amdhsa_group_segment_fixed_size 0
		.amdhsa_private_segment_fixed_size 0
		.amdhsa_kernarg_size 304
		.amdhsa_user_sgpr_count 6
		.amdhsa_user_sgpr_private_segment_buffer 1
		.amdhsa_user_sgpr_dispatch_ptr 0
		.amdhsa_user_sgpr_queue_ptr 0
		.amdhsa_user_sgpr_kernarg_segment_ptr 1
		.amdhsa_user_sgpr_dispatch_id 0
		.amdhsa_user_sgpr_flat_scratch_init 0
		.amdhsa_user_sgpr_kernarg_preload_length 0
		.amdhsa_user_sgpr_kernarg_preload_offset 0
		.amdhsa_user_sgpr_private_segment_size 0
		.amdhsa_uses_dynamic_stack 0
		.amdhsa_system_sgpr_private_segment_wavefront_offset 0
		.amdhsa_system_sgpr_workgroup_id_x 1
		.amdhsa_system_sgpr_workgroup_id_y 0
		.amdhsa_system_sgpr_workgroup_id_z 0
		.amdhsa_system_sgpr_workgroup_info 0
		.amdhsa_system_vgpr_workitem_id 1
		.amdhsa_next_free_vgpr 22
		.amdhsa_next_free_sgpr 20
		.amdhsa_accum_offset 24
		.amdhsa_reserve_vcc 1
		.amdhsa_reserve_flat_scratch 0
		.amdhsa_float_round_mode_32 0
		.amdhsa_float_round_mode_16_64 0
		.amdhsa_float_denorm_mode_32 3
		.amdhsa_float_denorm_mode_16_64 3
		.amdhsa_dx10_clamp 1
		.amdhsa_ieee_mode 1
		.amdhsa_fp16_overflow 0
		.amdhsa_tg_split 0
		.amdhsa_exception_fp_ieee_invalid_op 0
		.amdhsa_exception_fp_denorm_src 0
		.amdhsa_exception_fp_ieee_div_zero 0
		.amdhsa_exception_fp_ieee_overflow 0
		.amdhsa_exception_fp_ieee_underflow 0
		.amdhsa_exception_fp_ieee_inexact 0
		.amdhsa_exception_int_div_zero 0
	.end_amdhsa_kernel
	.section	.text._ZN12_GLOBAL__N_121softmax_warp_backwardIfffLi7ELb0ELb1ELi64EEEvPT0_PKT_S5_iiiPKb,"axG",@progbits,_ZN12_GLOBAL__N_121softmax_warp_backwardIfffLi7ELb0ELb1ELi64EEEvPT0_PKT_S5_iiiPKb,comdat
.Lfunc_end804:
	.size	_ZN12_GLOBAL__N_121softmax_warp_backwardIfffLi7ELb0ELb1ELi64EEEvPT0_PKT_S5_iiiPKb, .Lfunc_end804-_ZN12_GLOBAL__N_121softmax_warp_backwardIfffLi7ELb0ELb1ELi64EEEvPT0_PKT_S5_iiiPKb
                                        ; -- End function
	.section	.AMDGPU.csdata,"",@progbits
; Kernel info:
; codeLenInByte = 1200
; NumSgprs: 24
; NumVgprs: 22
; NumAgprs: 0
; TotalNumVgprs: 22
; ScratchSize: 0
; MemoryBound: 0
; FloatMode: 240
; IeeeMode: 1
; LDSByteSize: 0 bytes/workgroup (compile time only)
; SGPRBlocks: 2
; VGPRBlocks: 2
; NumSGPRsForWavesPerEU: 24
; NumVGPRsForWavesPerEU: 22
; AccumOffset: 24
; Occupancy: 8
; WaveLimiterHint : 0
; COMPUTE_PGM_RSRC2:SCRATCH_EN: 0
; COMPUTE_PGM_RSRC2:USER_SGPR: 6
; COMPUTE_PGM_RSRC2:TRAP_HANDLER: 0
; COMPUTE_PGM_RSRC2:TGID_X_EN: 1
; COMPUTE_PGM_RSRC2:TGID_Y_EN: 0
; COMPUTE_PGM_RSRC2:TGID_Z_EN: 0
; COMPUTE_PGM_RSRC2:TIDIG_COMP_CNT: 1
; COMPUTE_PGM_RSRC3_GFX90A:ACCUM_OFFSET: 5
; COMPUTE_PGM_RSRC3_GFX90A:TG_SPLIT: 0
	.section	.text._ZN12_GLOBAL__N_121softmax_warp_backwardIfffLi7ELb0ELb1ELi32EEEvPT0_PKT_S5_iiiPKb,"axG",@progbits,_ZN12_GLOBAL__N_121softmax_warp_backwardIfffLi7ELb0ELb1ELi32EEEvPT0_PKT_S5_iiiPKb,comdat
	.globl	_ZN12_GLOBAL__N_121softmax_warp_backwardIfffLi7ELb0ELb1ELi32EEEvPT0_PKT_S5_iiiPKb ; -- Begin function _ZN12_GLOBAL__N_121softmax_warp_backwardIfffLi7ELb0ELb1ELi32EEEvPT0_PKT_S5_iiiPKb
	.p2align	8
	.type	_ZN12_GLOBAL__N_121softmax_warp_backwardIfffLi7ELb0ELb1ELi32EEEvPT0_PKT_S5_iiiPKb,@function
_ZN12_GLOBAL__N_121softmax_warp_backwardIfffLi7ELb0ELb1ELi32EEEvPT0_PKT_S5_iiiPKb: ; @_ZN12_GLOBAL__N_121softmax_warp_backwardIfffLi7ELb0ELb1ELi32EEEvPT0_PKT_S5_iiiPKb
; %bb.0:
	s_load_dword s2, s[4:5], 0x3c
	s_load_dwordx4 s[20:23], s[4:5], 0x18
	s_load_dwordx4 s[24:27], s[4:5], 0x0
	s_load_dwordx2 s[0:1], s[4:5], 0x10
	v_bfe_u32 v1, v0, 10, 10
	s_waitcnt lgkmcnt(0)
	s_lshr_b32 s2, s2, 16
	s_mul_i32 s6, s6, s2
	v_add_lshl_u32 v1, s6, v1, 1
	v_sub_u32_e32 v9, s20, v1
	v_and_b32_e32 v8, 31, v0
	v_mad_u64_u32 v[2:3], s[2:3], v1, s21, v[8:9]
	v_ashrrev_i32_e32 v3, 31, v2
	v_lshlrev_b64 v[0:1], 2, v[2:3]
	v_mov_b32_e32 v5, s27
	v_add_co_u32_e32 v4, vcc, s26, v0
	v_addc_co_u32_e32 v5, vcc, v5, v1, vcc
	v_mov_b32_e32 v7, s1
	v_add_co_u32_e32 v6, vcc, s0, v0
	v_addc_co_u32_e32 v7, vcc, v7, v1, vcc
	v_cmp_lt_i32_e64 s[6:7], 0, v9
	v_cmp_gt_i32_e32 vcc, s22, v8
	s_and_b64 s[2:3], s[6:7], vcc
	v_mov_b32_e32 v10, 0
	v_mov_b32_e32 v12, 0
	;; [unrolled: 1-line block ×3, first 2 shown]
	s_and_saveexec_b64 s[0:1], s[2:3]
	s_cbranch_execz .LBB805_2
; %bb.1:
	global_load_dword v12, v[4:5], off
	global_load_dword v13, v[6:7], off
.LBB805_2:
	s_or_b64 exec, exec, s[0:1]
	v_or_b32_e32 v11, 32, v8
	v_cmp_gt_i32_e64 s[0:1], s22, v11
	s_and_b64 s[8:9], s[6:7], s[0:1]
	v_mov_b32_e32 v14, 0
	s_and_saveexec_b64 s[2:3], s[8:9]
	s_cbranch_execz .LBB805_4
; %bb.3:
	global_load_dword v10, v[4:5], off offset:128
	global_load_dword v14, v[6:7], off offset:128
.LBB805_4:
	s_or_b64 exec, exec, s[2:3]
	v_or_b32_e32 v11, 64, v8
	v_cmp_gt_i32_e64 s[2:3], s22, v11
	s_and_b64 s[10:11], s[6:7], s[2:3]
	v_mov_b32_e32 v11, 0
	v_mov_b32_e32 v15, 0
	;; [unrolled: 1-line block ×3, first 2 shown]
	s_and_saveexec_b64 s[8:9], s[10:11]
	s_cbranch_execz .LBB805_6
; %bb.5:
	global_load_dword v15, v[4:5], off offset:256
	global_load_dword v16, v[6:7], off offset:256
.LBB805_6:
	s_or_b64 exec, exec, s[8:9]
	v_or_b32_e32 v8, 0x60, v8
	v_cmp_gt_i32_e64 s[8:9], s22, v8
	s_and_b64 s[12:13], s[6:7], s[8:9]
	v_mov_b32_e32 v17, 0
	s_and_saveexec_b64 s[10:11], s[12:13]
	s_cbranch_execz .LBB805_8
; %bb.7:
	global_load_dword v11, v[4:5], off offset:384
	global_load_dword v17, v[6:7], off offset:384
.LBB805_8:
	s_or_b64 exec, exec, s[10:11]
	v_cmp_lt_i32_e64 s[10:11], 1, v9
	s_and_b64 s[12:13], s[10:11], vcc
	s_mov_b32 s23, 0
	v_mov_b32_e32 v8, 0
	v_mov_b32_e32 v18, 0
	;; [unrolled: 1-line block ×3, first 2 shown]
	s_and_saveexec_b64 s[14:15], s[12:13]
	s_cbranch_execz .LBB805_10
; %bb.9:
	s_lshl_b64 s[16:17], s[22:23], 2
	v_mov_b32_e32 v21, s17
	v_add_co_u32_e64 v18, s[12:13], s16, v4
	v_addc_co_u32_e64 v19, s[12:13], v5, v21, s[12:13]
	v_add_co_u32_e64 v20, s[12:13], s16, v6
	v_addc_co_u32_e64 v21, s[12:13], v7, v21, s[12:13]
	global_load_dword v18, v[18:19], off
	s_nop 0
	global_load_dword v19, v[20:21], off
.LBB805_10:
	s_or_b64 exec, exec, s[14:15]
	s_and_b64 s[12:13], s[10:11], s[0:1]
	v_mov_b32_e32 v20, 0
	s_and_saveexec_b64 s[14:15], s[12:13]
	s_cbranch_execz .LBB805_12
; %bb.11:
	s_lshl_b64 s[16:17], s[22:23], 2
	v_mov_b32_e32 v22, s17
	v_add_co_u32_e64 v20, s[12:13], s16, v4
	v_addc_co_u32_e64 v21, s[12:13], v5, v22, s[12:13]
	global_load_dword v8, v[20:21], off offset:128
	v_add_co_u32_e64 v20, s[12:13], s16, v6
	v_addc_co_u32_e64 v21, s[12:13], v7, v22, s[12:13]
	global_load_dword v20, v[20:21], off offset:128
.LBB805_12:
	s_or_b64 exec, exec, s[14:15]
	s_and_b64 s[12:13], s[10:11], s[2:3]
	v_mov_b32_e32 v21, 0
	v_mov_b32_e32 v22, 0
	;; [unrolled: 1-line block ×3, first 2 shown]
	s_and_saveexec_b64 s[14:15], s[12:13]
	s_cbranch_execz .LBB805_14
; %bb.13:
	s_lshl_b64 s[16:17], s[22:23], 2
	v_mov_b32_e32 v25, s17
	v_add_co_u32_e64 v22, s[12:13], s16, v4
	v_addc_co_u32_e64 v23, s[12:13], v5, v25, s[12:13]
	v_add_co_u32_e64 v24, s[12:13], s16, v6
	v_addc_co_u32_e64 v25, s[12:13], v7, v25, s[12:13]
	global_load_dword v22, v[22:23], off offset:256
	s_nop 0
	global_load_dword v23, v[24:25], off offset:256
.LBB805_14:
	s_or_b64 exec, exec, s[14:15]
	s_and_b64 s[10:11], s[10:11], s[8:9]
	v_mov_b32_e32 v24, 0
	s_and_saveexec_b64 s[12:13], s[10:11]
	s_cbranch_execz .LBB805_16
; %bb.15:
	s_lshl_b64 s[14:15], s[22:23], 2
	v_mov_b32_e32 v24, s15
	v_add_co_u32_e64 v4, s[10:11], s14, v4
	v_addc_co_u32_e64 v5, s[10:11], v5, v24, s[10:11]
	global_load_dword v21, v[4:5], off offset:384
	v_add_co_u32_e64 v4, s[10:11], s14, v6
	v_addc_co_u32_e64 v5, s[10:11], v7, v24, s[10:11]
	global_load_dword v24, v[4:5], off offset:384
.LBB805_16:
	s_or_b64 exec, exec, s[12:13]
	s_load_dwordx2 s[4:5], s[4:5], 0x28
	s_ashr_i32 s23, s22, 31
	v_mov_b32_e32 v5, s23
	v_mbcnt_lo_u32_b32 v31, -1, 0
	v_mbcnt_hi_u32_b32 v31, -1, v31
	s_waitcnt lgkmcnt(0)
	v_mov_b32_e32 v4, s5
	v_add_co_u32_e64 v2, s[4:5], s4, v2
	v_addc_co_u32_e64 v3, s[4:5], v4, v3, s[4:5]
	v_add_co_u32_e64 v4, s[4:5], s22, v2
	v_addc_co_u32_e64 v5, s[4:5], v3, v5, s[4:5]
	global_load_ubyte v6, v[2:3], off
	global_load_ubyte v7, v[2:3], off offset:32
	global_load_ubyte v25, v[2:3], off offset:64
	;; [unrolled: 1-line block ×3, first 2 shown]
	global_load_ubyte v27, v[4:5], off
	global_load_ubyte v28, v[4:5], off offset:32
	global_load_ubyte v29, v[4:5], off offset:64
	;; [unrolled: 1-line block ×3, first 2 shown]
	v_and_b32_e32 v32, 0x60, v31
	s_waitcnt vmcnt(9)
	v_add_f32_e32 v4, 0, v12
	v_xor_b32_e32 v33, 16, v31
	v_add_u32_e32 v32, 32, v32
	v_add_f32_e32 v5, 0, v18
	v_cmp_lt_i32_e64 s[4:5], v33, v32
	v_cndmask_b32_e64 v33, v31, v33, s[4:5]
	v_lshlrev_b32_e32 v33, 2, v33
	s_waitcnt vmcnt(7)
	v_and_b32_e32 v6, 1, v6
	v_cmp_eq_u32_e64 s[16:17], 1, v6
	s_waitcnt vmcnt(3)
	v_and_b32_e32 v6, 1, v27
	v_and_b32_e32 v7, 1, v7
	v_cndmask_b32_e64 v4, v4, 0, s[16:17]
	v_cmp_eq_u32_e64 s[14:15], 1, v6
	s_waitcnt vmcnt(2)
	v_and_b32_e32 v27, 1, v28
	s_waitcnt vmcnt(1)
	v_and_b32_e32 v28, 1, v29
	;; [unrolled: 2-line block ×3, first 2 shown]
	v_add_f32_e32 v30, v4, v10
	v_cndmask_b32_e64 v5, v5, 0, s[14:15]
	v_cmp_eq_u32_e64 s[4:5], 1, v7
	v_and_b32_e32 v25, 1, v25
	v_cndmask_b32_e64 v4, v30, v4, s[4:5]
	v_add_f32_e32 v6, v5, v8
	v_cmp_eq_u32_e64 s[12:13], 1, v27
	v_add_f32_e32 v7, v4, v15
	v_cndmask_b32_e64 v5, v6, v5, s[12:13]
	v_cmp_eq_u32_e64 s[4:5], 1, v25
	v_and_b32_e32 v26, 1, v26
	v_cndmask_b32_e64 v4, v7, v4, s[4:5]
	v_add_f32_e32 v6, v5, v22
	v_cmp_eq_u32_e64 s[10:11], 1, v28
	v_add_f32_e32 v7, v4, v11
	v_cndmask_b32_e64 v5, v6, v5, s[10:11]
	v_cmp_eq_u32_e64 s[4:5], 1, v26
	v_cndmask_b32_e64 v4, v7, v4, s[4:5]
	v_add_f32_e32 v6, v5, v21
	v_cmp_eq_u32_e64 s[4:5], 1, v29
	v_cndmask_b32_e64 v5, v6, v5, s[4:5]
	ds_bpermute_b32 v6, v33, v4
	ds_bpermute_b32 v7, v33, v5
	v_xor_b32_e32 v25, 8, v31
	v_cmp_lt_i32_e64 s[18:19], v25, v32
	v_cndmask_b32_e64 v25, v31, v25, s[18:19]
	v_lshlrev_b32_e32 v25, 2, v25
	s_waitcnt lgkmcnt(0)
	v_pk_add_f32 v[4:5], v[4:5], v[6:7]
	ds_bpermute_b32 v6, v25, v4
	ds_bpermute_b32 v7, v25, v5
	v_xor_b32_e32 v25, 4, v31
	v_cmp_lt_i32_e64 s[18:19], v25, v32
	v_cndmask_b32_e64 v25, v31, v25, s[18:19]
	v_lshlrev_b32_e32 v25, 2, v25
	s_waitcnt lgkmcnt(0)
	v_pk_add_f32 v[4:5], v[4:5], v[6:7]
	ds_bpermute_b32 v6, v25, v4
	ds_bpermute_b32 v7, v25, v5
	v_xor_b32_e32 v25, 2, v31
	v_cmp_lt_i32_e64 s[18:19], v25, v32
	v_cndmask_b32_e64 v25, v31, v25, s[18:19]
	v_lshlrev_b32_e32 v25, 2, v25
	s_waitcnt lgkmcnt(0)
	v_pk_add_f32 v[4:5], v[4:5], v[6:7]
	ds_bpermute_b32 v6, v25, v4
	ds_bpermute_b32 v7, v25, v5
	v_xor_b32_e32 v25, 1, v31
	v_cmp_lt_i32_e64 s[18:19], v25, v32
	v_cndmask_b32_e64 v25, v31, v25, s[18:19]
	v_lshlrev_b32_e32 v25, 2, v25
	s_waitcnt lgkmcnt(0)
	v_pk_add_f32 v[4:5], v[4:5], v[6:7]
	ds_bpermute_b32 v6, v25, v4
	ds_bpermute_b32 v7, v25, v5
	s_and_saveexec_b64 s[18:19], s[6:7]
	s_cbranch_execz .LBB805_22
; %bb.17:
	s_waitcnt lgkmcnt(0)
	v_pk_add_f32 v[4:5], v[4:5], v[6:7]
	v_mov_b32_e32 v6, s25
	v_add_co_u32_e64 v0, s[6:7], s24, v0
	v_addc_co_u32_e64 v1, s[6:7], v6, v1, s[6:7]
	s_and_saveexec_b64 s[6:7], vcc
	s_cbranch_execnz .LBB805_23
; %bb.18:
	s_or_b64 exec, exec, s[6:7]
	s_and_saveexec_b64 s[16:17], s[0:1]
	s_cbranch_execnz .LBB805_24
.LBB805_19:
	s_or_b64 exec, exec, s[16:17]
	s_and_saveexec_b64 s[16:17], s[2:3]
	s_cbranch_execnz .LBB805_25
.LBB805_20:
	s_or_b64 exec, exec, s[16:17]
	s_and_saveexec_b64 s[16:17], s[8:9]
	s_cbranch_execnz .LBB805_26
.LBB805_21:
	s_or_b64 exec, exec, s[16:17]
	v_cmp_ne_u32_e64 s[6:7], 1, v9
	s_and_b64 exec, exec, s[6:7]
	s_cbranch_execnz .LBB805_27
.LBB805_22:
	s_endpgm
.LBB805_23:
	v_fma_f32 v6, -v4, v13, v12
	v_cndmask_b32_e64 v6, v6, 0, s[16:17]
	global_store_dword v[0:1], v6, off
	s_or_b64 exec, exec, s[6:7]
	s_and_saveexec_b64 s[16:17], s[0:1]
	s_cbranch_execz .LBB805_19
.LBB805_24:
	global_load_ubyte v6, v[2:3], off offset:32
	v_fma_f32 v7, -v4, v14, v10
	s_waitcnt vmcnt(0)
	v_and_b32_e32 v6, 1, v6
	v_cmp_eq_u32_e64 s[6:7], 1, v6
	v_cndmask_b32_e64 v6, v7, 0, s[6:7]
	global_store_dword v[0:1], v6, off offset:128
	s_or_b64 exec, exec, s[16:17]
	s_and_saveexec_b64 s[16:17], s[2:3]
	s_cbranch_execz .LBB805_20
.LBB805_25:
	global_load_ubyte v6, v[2:3], off offset:64
	v_fma_f32 v7, -v4, v16, v15
	s_waitcnt vmcnt(0)
	v_and_b32_e32 v6, 1, v6
	v_cmp_eq_u32_e64 s[6:7], 1, v6
	v_cndmask_b32_e64 v6, v7, 0, s[6:7]
	global_store_dword v[0:1], v6, off offset:256
	s_or_b64 exec, exec, s[16:17]
	s_and_saveexec_b64 s[16:17], s[8:9]
	s_cbranch_execz .LBB805_21
.LBB805_26:
	global_load_ubyte v2, v[2:3], off offset:96
	v_fma_f32 v3, -v4, v17, v11
	s_waitcnt vmcnt(0)
	v_and_b32_e32 v2, 1, v2
	v_cmp_eq_u32_e64 s[6:7], 1, v2
	v_cndmask_b32_e64 v2, v3, 0, s[6:7]
	global_store_dword v[0:1], v2, off offset:384
	s_or_b64 exec, exec, s[16:17]
	v_cmp_ne_u32_e64 s[6:7], 1, v9
	s_and_b64 exec, exec, s[6:7]
	s_cbranch_execz .LBB805_22
.LBB805_27:
	s_lshl_b64 s[6:7], s[22:23], 2
	v_mov_b32_e32 v2, s7
	v_add_co_u32_e64 v0, s[6:7], s6, v0
	v_addc_co_u32_e64 v1, s[6:7], v1, v2, s[6:7]
	s_and_saveexec_b64 s[6:7], vcc
	s_cbranch_execnz .LBB805_31
; %bb.28:
	s_or_b64 exec, exec, s[6:7]
	s_and_saveexec_b64 s[6:7], s[0:1]
	s_cbranch_execnz .LBB805_32
.LBB805_29:
	s_or_b64 exec, exec, s[6:7]
	s_and_saveexec_b64 s[0:1], s[2:3]
	s_cbranch_execnz .LBB805_33
.LBB805_30:
	s_or_b64 exec, exec, s[0:1]
	s_and_b64 exec, exec, s[8:9]
	s_cbranch_execz .LBB805_22
	s_branch .LBB805_34
.LBB805_31:
	v_fma_f32 v2, -v5, v19, v18
	v_cndmask_b32_e64 v2, v2, 0, s[14:15]
	global_store_dword v[0:1], v2, off
	s_or_b64 exec, exec, s[6:7]
	s_and_saveexec_b64 s[6:7], s[0:1]
	s_cbranch_execz .LBB805_29
.LBB805_32:
	v_fma_f32 v2, -v5, v20, v8
	v_cndmask_b32_e64 v2, v2, 0, s[12:13]
	global_store_dword v[0:1], v2, off offset:128
	s_or_b64 exec, exec, s[6:7]
	s_and_saveexec_b64 s[0:1], s[2:3]
	s_cbranch_execz .LBB805_30
.LBB805_33:
	v_fma_f32 v2, -v5, v23, v22
	v_cndmask_b32_e64 v2, v2, 0, s[10:11]
	global_store_dword v[0:1], v2, off offset:256
	s_or_b64 exec, exec, s[0:1]
	s_and_b64 exec, exec, s[8:9]
	s_cbranch_execz .LBB805_22
.LBB805_34:
	v_fma_f32 v2, -v5, v24, v21
	v_cndmask_b32_e64 v2, v2, 0, s[4:5]
	global_store_dword v[0:1], v2, off offset:384
	s_endpgm
	.section	.rodata,"a",@progbits
	.p2align	6, 0x0
	.amdhsa_kernel _ZN12_GLOBAL__N_121softmax_warp_backwardIfffLi7ELb0ELb1ELi32EEEvPT0_PKT_S5_iiiPKb
		.amdhsa_group_segment_fixed_size 0
		.amdhsa_private_segment_fixed_size 0
		.amdhsa_kernarg_size 304
		.amdhsa_user_sgpr_count 6
		.amdhsa_user_sgpr_private_segment_buffer 1
		.amdhsa_user_sgpr_dispatch_ptr 0
		.amdhsa_user_sgpr_queue_ptr 0
		.amdhsa_user_sgpr_kernarg_segment_ptr 1
		.amdhsa_user_sgpr_dispatch_id 0
		.amdhsa_user_sgpr_flat_scratch_init 0
		.amdhsa_user_sgpr_kernarg_preload_length 0
		.amdhsa_user_sgpr_kernarg_preload_offset 0
		.amdhsa_user_sgpr_private_segment_size 0
		.amdhsa_uses_dynamic_stack 0
		.amdhsa_system_sgpr_private_segment_wavefront_offset 0
		.amdhsa_system_sgpr_workgroup_id_x 1
		.amdhsa_system_sgpr_workgroup_id_y 0
		.amdhsa_system_sgpr_workgroup_id_z 0
		.amdhsa_system_sgpr_workgroup_info 0
		.amdhsa_system_vgpr_workitem_id 1
		.amdhsa_next_free_vgpr 34
		.amdhsa_next_free_sgpr 28
		.amdhsa_accum_offset 36
		.amdhsa_reserve_vcc 1
		.amdhsa_reserve_flat_scratch 0
		.amdhsa_float_round_mode_32 0
		.amdhsa_float_round_mode_16_64 0
		.amdhsa_float_denorm_mode_32 3
		.amdhsa_float_denorm_mode_16_64 3
		.amdhsa_dx10_clamp 1
		.amdhsa_ieee_mode 1
		.amdhsa_fp16_overflow 0
		.amdhsa_tg_split 0
		.amdhsa_exception_fp_ieee_invalid_op 0
		.amdhsa_exception_fp_denorm_src 0
		.amdhsa_exception_fp_ieee_div_zero 0
		.amdhsa_exception_fp_ieee_overflow 0
		.amdhsa_exception_fp_ieee_underflow 0
		.amdhsa_exception_fp_ieee_inexact 0
		.amdhsa_exception_int_div_zero 0
	.end_amdhsa_kernel
	.section	.text._ZN12_GLOBAL__N_121softmax_warp_backwardIfffLi7ELb0ELb1ELi32EEEvPT0_PKT_S5_iiiPKb,"axG",@progbits,_ZN12_GLOBAL__N_121softmax_warp_backwardIfffLi7ELb0ELb1ELi32EEEvPT0_PKT_S5_iiiPKb,comdat
.Lfunc_end805:
	.size	_ZN12_GLOBAL__N_121softmax_warp_backwardIfffLi7ELb0ELb1ELi32EEEvPT0_PKT_S5_iiiPKb, .Lfunc_end805-_ZN12_GLOBAL__N_121softmax_warp_backwardIfffLi7ELb0ELb1ELi32EEEvPT0_PKT_S5_iiiPKb
                                        ; -- End function
	.section	.AMDGPU.csdata,"",@progbits
; Kernel info:
; codeLenInByte = 1816
; NumSgprs: 32
; NumVgprs: 34
; NumAgprs: 0
; TotalNumVgprs: 34
; ScratchSize: 0
; MemoryBound: 0
; FloatMode: 240
; IeeeMode: 1
; LDSByteSize: 0 bytes/workgroup (compile time only)
; SGPRBlocks: 3
; VGPRBlocks: 4
; NumSGPRsForWavesPerEU: 32
; NumVGPRsForWavesPerEU: 34
; AccumOffset: 36
; Occupancy: 8
; WaveLimiterHint : 0
; COMPUTE_PGM_RSRC2:SCRATCH_EN: 0
; COMPUTE_PGM_RSRC2:USER_SGPR: 6
; COMPUTE_PGM_RSRC2:TRAP_HANDLER: 0
; COMPUTE_PGM_RSRC2:TGID_X_EN: 1
; COMPUTE_PGM_RSRC2:TGID_Y_EN: 0
; COMPUTE_PGM_RSRC2:TGID_Z_EN: 0
; COMPUTE_PGM_RSRC2:TIDIG_COMP_CNT: 1
; COMPUTE_PGM_RSRC3_GFX90A:ACCUM_OFFSET: 8
; COMPUTE_PGM_RSRC3_GFX90A:TG_SPLIT: 0
	.section	.text._ZN12_GLOBAL__N_121softmax_warp_backwardIfffLi8ELb0ELb1ELi64EEEvPT0_PKT_S5_iiiPKb,"axG",@progbits,_ZN12_GLOBAL__N_121softmax_warp_backwardIfffLi8ELb0ELb1ELi64EEEvPT0_PKT_S5_iiiPKb,comdat
	.globl	_ZN12_GLOBAL__N_121softmax_warp_backwardIfffLi8ELb0ELb1ELi64EEEvPT0_PKT_S5_iiiPKb ; -- Begin function _ZN12_GLOBAL__N_121softmax_warp_backwardIfffLi8ELb0ELb1ELi64EEEvPT0_PKT_S5_iiiPKb
	.p2align	8
	.type	_ZN12_GLOBAL__N_121softmax_warp_backwardIfffLi8ELb0ELb1ELi64EEEvPT0_PKT_S5_iiiPKb,@function
_ZN12_GLOBAL__N_121softmax_warp_backwardIfffLi8ELb0ELb1ELi64EEEvPT0_PKT_S5_iiiPKb: ; @_ZN12_GLOBAL__N_121softmax_warp_backwardIfffLi8ELb0ELb1ELi64EEEvPT0_PKT_S5_iiiPKb
; %bb.0:
	s_load_dword s2, s[4:5], 0x3c
	s_load_dwordx4 s[8:11], s[4:5], 0x18
	s_load_dwordx4 s[16:19], s[4:5], 0x0
	s_load_dwordx2 s[0:1], s[4:5], 0x10
	v_bfe_u32 v1, v0, 10, 10
	s_waitcnt lgkmcnt(0)
	s_lshr_b32 s2, s2, 16
	s_mul_i32 s6, s6, s2
	v_add_u32_e32 v1, s6, v1
	v_and_b32_e32 v6, 63, v0
	v_mad_u64_u32 v[2:3], s[2:3], v1, s9, v[6:7]
	v_ashrrev_i32_e32 v3, 31, v2
	v_sub_u32_e32 v10, s8, v1
	v_lshlrev_b64 v[0:1], 2, v[2:3]
	v_mov_b32_e32 v5, s19
	v_add_co_u32_e32 v4, vcc, s18, v0
	v_addc_co_u32_e32 v5, vcc, v5, v1, vcc
	v_mov_b32_e32 v7, s1
	v_add_co_u32_e32 v8, vcc, s0, v0
	v_addc_co_u32_e32 v9, vcc, v7, v1, vcc
	v_cmp_lt_i32_e64 s[8:9], 0, v10
	v_cmp_gt_i32_e32 vcc, s10, v6
	s_and_b64 s[2:3], s[8:9], vcc
	v_mov_b32_e32 v7, 0
	v_mov_b32_e32 v11, 0
	;; [unrolled: 1-line block ×3, first 2 shown]
	s_and_saveexec_b64 s[0:1], s[2:3]
	s_cbranch_execz .LBB806_2
; %bb.1:
	global_load_dword v11, v[4:5], off
	global_load_dword v12, v[8:9], off
.LBB806_2:
	s_or_b64 exec, exec, s[0:1]
	v_or_b32_e32 v13, 64, v6
	v_cmp_gt_i32_e64 s[0:1], s10, v13
	s_and_b64 s[6:7], s[8:9], s[0:1]
	v_mov_b32_e32 v14, 0
	s_and_saveexec_b64 s[2:3], s[6:7]
	s_cbranch_execz .LBB806_4
; %bb.3:
	global_load_dword v7, v[4:5], off offset:256
	global_load_dword v14, v[8:9], off offset:256
.LBB806_4:
	s_or_b64 exec, exec, s[2:3]
	v_or_b32_e32 v13, 0x80, v6
	v_cmp_gt_i32_e64 s[2:3], s10, v13
	s_and_b64 s[12:13], s[8:9], s[2:3]
	v_mov_b32_e32 v13, 0
	v_mov_b32_e32 v15, 0
	;; [unrolled: 1-line block ×3, first 2 shown]
	s_and_saveexec_b64 s[6:7], s[12:13]
	s_cbranch_execz .LBB806_6
; %bb.5:
	global_load_dword v15, v[4:5], off offset:512
	global_load_dword v16, v[8:9], off offset:512
.LBB806_6:
	s_or_b64 exec, exec, s[6:7]
	v_or_b32_e32 v6, 0xc0, v6
	v_cmp_gt_i32_e64 s[6:7], s10, v6
	s_and_b64 s[10:11], s[8:9], s[6:7]
	v_mov_b32_e32 v6, 0
	s_and_saveexec_b64 s[8:9], s[10:11]
	s_cbranch_execz .LBB806_8
; %bb.7:
	global_load_dword v13, v[4:5], off offset:768
	global_load_dword v6, v[8:9], off offset:768
.LBB806_8:
	s_or_b64 exec, exec, s[8:9]
	s_load_dwordx2 s[4:5], s[4:5], 0x28
	s_waitcnt lgkmcnt(0)
	v_mov_b32_e32 v4, s5
	v_add_co_u32_e64 v2, s[4:5], s4, v2
	v_addc_co_u32_e64 v3, s[4:5], v4, v3, s[4:5]
	global_load_ubyte v4, v[2:3], off
	global_load_ubyte v5, v[2:3], off offset:64
	global_load_ubyte v8, v[2:3], off offset:128
	;; [unrolled: 1-line block ×3, first 2 shown]
	s_waitcnt vmcnt(5)
	v_add_f32_e32 v2, 0, v11
	v_mbcnt_lo_u32_b32 v3, -1, 0
	v_mbcnt_hi_u32_b32 v3, -1, v3
	v_and_b32_e32 v17, 64, v3
	v_xor_b32_e32 v18, 32, v3
	v_add_u32_e32 v17, 64, v17
	v_cmp_lt_i32_e64 s[4:5], v18, v17
	v_cndmask_b32_e64 v18, v3, v18, s[4:5]
	v_lshlrev_b32_e32 v18, 2, v18
	s_waitcnt vmcnt(3)
	v_and_b32_e32 v4, 1, v4
	v_cmp_eq_u32_e64 s[12:13], 1, v4
	s_waitcnt vmcnt(2)
	v_and_b32_e32 v5, 1, v5
	v_cndmask_b32_e64 v2, v2, 0, s[12:13]
	v_add_f32_e32 v4, v2, v7
	v_cmp_eq_u32_e64 s[10:11], 1, v5
	s_waitcnt vmcnt(1)
	v_and_b32_e32 v8, 1, v8
	v_cndmask_b32_e64 v2, v4, v2, s[10:11]
	v_add_f32_e32 v4, v2, v15
	v_cmp_eq_u32_e64 s[8:9], 1, v8
	s_waitcnt vmcnt(0)
	v_and_b32_e32 v9, 1, v9
	v_cndmask_b32_e64 v2, v4, v2, s[8:9]
	v_add_f32_e32 v4, v2, v13
	v_cmp_eq_u32_e64 s[4:5], 1, v9
	v_cndmask_b32_e64 v2, v4, v2, s[4:5]
	ds_bpermute_b32 v4, v18, v2
	v_xor_b32_e32 v5, 16, v3
	v_cmp_lt_i32_e64 s[14:15], v5, v17
	v_cndmask_b32_e64 v5, v3, v5, s[14:15]
	v_lshlrev_b32_e32 v5, 2, v5
	s_waitcnt lgkmcnt(0)
	v_add_f32_e32 v2, v2, v4
	ds_bpermute_b32 v4, v5, v2
	v_xor_b32_e32 v5, 8, v3
	v_cmp_lt_i32_e64 s[14:15], v5, v17
	v_cndmask_b32_e64 v5, v3, v5, s[14:15]
	v_lshlrev_b32_e32 v5, 2, v5
	s_waitcnt lgkmcnt(0)
	v_add_f32_e32 v2, v2, v4
	;; [unrolled: 7-line block ×5, first 2 shown]
	ds_bpermute_b32 v3, v3, v2
	v_cmp_lt_i32_e64 s[14:15], 0, v10
	s_and_saveexec_b64 s[18:19], s[14:15]
	s_cbranch_execz .LBB806_14
; %bb.9:
	s_waitcnt lgkmcnt(0)
	v_add_f32_e32 v2, v2, v3
	v_mov_b32_e32 v3, s17
	v_add_co_u32_e64 v0, s[14:15], s16, v0
	v_addc_co_u32_e64 v1, s[14:15], v3, v1, s[14:15]
	s_and_saveexec_b64 s[14:15], vcc
	s_cbranch_execnz .LBB806_15
; %bb.10:
	s_or_b64 exec, exec, s[14:15]
	s_and_saveexec_b64 s[12:13], s[0:1]
	s_cbranch_execnz .LBB806_16
.LBB806_11:
	s_or_b64 exec, exec, s[12:13]
	s_and_saveexec_b64 s[0:1], s[2:3]
	s_cbranch_execnz .LBB806_17
.LBB806_12:
	s_or_b64 exec, exec, s[0:1]
	s_and_b64 exec, exec, s[6:7]
	s_cbranch_execz .LBB806_14
.LBB806_13:
	v_fma_f32 v2, -v2, v6, v13
	v_cndmask_b32_e64 v2, v2, 0, s[4:5]
	global_store_dword v[0:1], v2, off offset:768
.LBB806_14:
	s_endpgm
.LBB806_15:
	v_fma_f32 v3, -v2, v12, v11
	v_cndmask_b32_e64 v3, v3, 0, s[12:13]
	global_store_dword v[0:1], v3, off
	s_or_b64 exec, exec, s[14:15]
	s_and_saveexec_b64 s[12:13], s[0:1]
	s_cbranch_execz .LBB806_11
.LBB806_16:
	v_fma_f32 v3, -v2, v14, v7
	v_cndmask_b32_e64 v3, v3, 0, s[10:11]
	global_store_dword v[0:1], v3, off offset:256
	s_or_b64 exec, exec, s[12:13]
	s_and_saveexec_b64 s[0:1], s[2:3]
	s_cbranch_execz .LBB806_12
.LBB806_17:
	v_fma_f32 v3, -v2, v16, v15
	v_cndmask_b32_e64 v3, v3, 0, s[8:9]
	global_store_dword v[0:1], v3, off offset:512
	s_or_b64 exec, exec, s[0:1]
	s_and_b64 exec, exec, s[6:7]
	s_cbranch_execnz .LBB806_13
	s_branch .LBB806_14
	.section	.rodata,"a",@progbits
	.p2align	6, 0x0
	.amdhsa_kernel _ZN12_GLOBAL__N_121softmax_warp_backwardIfffLi8ELb0ELb1ELi64EEEvPT0_PKT_S5_iiiPKb
		.amdhsa_group_segment_fixed_size 0
		.amdhsa_private_segment_fixed_size 0
		.amdhsa_kernarg_size 304
		.amdhsa_user_sgpr_count 6
		.amdhsa_user_sgpr_private_segment_buffer 1
		.amdhsa_user_sgpr_dispatch_ptr 0
		.amdhsa_user_sgpr_queue_ptr 0
		.amdhsa_user_sgpr_kernarg_segment_ptr 1
		.amdhsa_user_sgpr_dispatch_id 0
		.amdhsa_user_sgpr_flat_scratch_init 0
		.amdhsa_user_sgpr_kernarg_preload_length 0
		.amdhsa_user_sgpr_kernarg_preload_offset 0
		.amdhsa_user_sgpr_private_segment_size 0
		.amdhsa_uses_dynamic_stack 0
		.amdhsa_system_sgpr_private_segment_wavefront_offset 0
		.amdhsa_system_sgpr_workgroup_id_x 1
		.amdhsa_system_sgpr_workgroup_id_y 0
		.amdhsa_system_sgpr_workgroup_id_z 0
		.amdhsa_system_sgpr_workgroup_info 0
		.amdhsa_system_vgpr_workitem_id 1
		.amdhsa_next_free_vgpr 19
		.amdhsa_next_free_sgpr 20
		.amdhsa_accum_offset 20
		.amdhsa_reserve_vcc 1
		.amdhsa_reserve_flat_scratch 0
		.amdhsa_float_round_mode_32 0
		.amdhsa_float_round_mode_16_64 0
		.amdhsa_float_denorm_mode_32 3
		.amdhsa_float_denorm_mode_16_64 3
		.amdhsa_dx10_clamp 1
		.amdhsa_ieee_mode 1
		.amdhsa_fp16_overflow 0
		.amdhsa_tg_split 0
		.amdhsa_exception_fp_ieee_invalid_op 0
		.amdhsa_exception_fp_denorm_src 0
		.amdhsa_exception_fp_ieee_div_zero 0
		.amdhsa_exception_fp_ieee_overflow 0
		.amdhsa_exception_fp_ieee_underflow 0
		.amdhsa_exception_fp_ieee_inexact 0
		.amdhsa_exception_int_div_zero 0
	.end_amdhsa_kernel
	.section	.text._ZN12_GLOBAL__N_121softmax_warp_backwardIfffLi8ELb0ELb1ELi64EEEvPT0_PKT_S5_iiiPKb,"axG",@progbits,_ZN12_GLOBAL__N_121softmax_warp_backwardIfffLi8ELb0ELb1ELi64EEEvPT0_PKT_S5_iiiPKb,comdat
.Lfunc_end806:
	.size	_ZN12_GLOBAL__N_121softmax_warp_backwardIfffLi8ELb0ELb1ELi64EEEvPT0_PKT_S5_iiiPKb, .Lfunc_end806-_ZN12_GLOBAL__N_121softmax_warp_backwardIfffLi8ELb0ELb1ELi64EEEvPT0_PKT_S5_iiiPKb
                                        ; -- End function
	.section	.AMDGPU.csdata,"",@progbits
; Kernel info:
; codeLenInByte = 988
; NumSgprs: 24
; NumVgprs: 19
; NumAgprs: 0
; TotalNumVgprs: 19
; ScratchSize: 0
; MemoryBound: 0
; FloatMode: 240
; IeeeMode: 1
; LDSByteSize: 0 bytes/workgroup (compile time only)
; SGPRBlocks: 2
; VGPRBlocks: 2
; NumSGPRsForWavesPerEU: 24
; NumVGPRsForWavesPerEU: 19
; AccumOffset: 20
; Occupancy: 8
; WaveLimiterHint : 0
; COMPUTE_PGM_RSRC2:SCRATCH_EN: 0
; COMPUTE_PGM_RSRC2:USER_SGPR: 6
; COMPUTE_PGM_RSRC2:TRAP_HANDLER: 0
; COMPUTE_PGM_RSRC2:TGID_X_EN: 1
; COMPUTE_PGM_RSRC2:TGID_Y_EN: 0
; COMPUTE_PGM_RSRC2:TGID_Z_EN: 0
; COMPUTE_PGM_RSRC2:TIDIG_COMP_CNT: 1
; COMPUTE_PGM_RSRC3_GFX90A:ACCUM_OFFSET: 4
; COMPUTE_PGM_RSRC3_GFX90A:TG_SPLIT: 0
	.section	.text._ZN12_GLOBAL__N_121softmax_warp_backwardIfffLi8ELb0ELb1ELi32EEEvPT0_PKT_S5_iiiPKb,"axG",@progbits,_ZN12_GLOBAL__N_121softmax_warp_backwardIfffLi8ELb0ELb1ELi32EEEvPT0_PKT_S5_iiiPKb,comdat
	.globl	_ZN12_GLOBAL__N_121softmax_warp_backwardIfffLi8ELb0ELb1ELi32EEEvPT0_PKT_S5_iiiPKb ; -- Begin function _ZN12_GLOBAL__N_121softmax_warp_backwardIfffLi8ELb0ELb1ELi32EEEvPT0_PKT_S5_iiiPKb
	.p2align	8
	.type	_ZN12_GLOBAL__N_121softmax_warp_backwardIfffLi8ELb0ELb1ELi32EEEvPT0_PKT_S5_iiiPKb,@function
_ZN12_GLOBAL__N_121softmax_warp_backwardIfffLi8ELb0ELb1ELi32EEEvPT0_PKT_S5_iiiPKb: ; @_ZN12_GLOBAL__N_121softmax_warp_backwardIfffLi8ELb0ELb1ELi32EEEvPT0_PKT_S5_iiiPKb
; %bb.0:
	s_load_dword s2, s[4:5], 0x3c
	s_load_dwordx4 s[16:19], s[4:5], 0x18
	s_load_dwordx4 s[36:39], s[4:5], 0x0
	s_load_dwordx2 s[0:1], s[4:5], 0x10
	v_bfe_u32 v1, v0, 10, 10
	s_waitcnt lgkmcnt(0)
	s_lshr_b32 s2, s2, 16
	s_mul_i32 s6, s6, s2
	v_add_u32_e32 v1, s6, v1
	v_and_b32_e32 v6, 31, v0
	v_mad_u64_u32 v[2:3], s[2:3], v1, s17, v[6:7]
	v_ashrrev_i32_e32 v3, 31, v2
	v_sub_u32_e32 v10, s16, v1
	v_lshlrev_b64 v[0:1], 2, v[2:3]
	v_mov_b32_e32 v5, s39
	v_add_co_u32_e32 v4, vcc, s38, v0
	v_addc_co_u32_e32 v5, vcc, v5, v1, vcc
	v_mov_b32_e32 v7, s1
	v_add_co_u32_e32 v8, vcc, s0, v0
	v_addc_co_u32_e32 v9, vcc, v7, v1, vcc
	v_cmp_lt_i32_e64 s[16:17], 0, v10
	v_cmp_gt_i32_e32 vcc, s18, v6
	s_and_b64 s[2:3], s[16:17], vcc
	v_mov_b32_e32 v7, 0
	v_mov_b32_e32 v11, 0
	;; [unrolled: 1-line block ×3, first 2 shown]
	s_and_saveexec_b64 s[0:1], s[2:3]
	s_cbranch_execz .LBB807_2
; %bb.1:
	global_load_dword v11, v[4:5], off
	global_load_dword v12, v[8:9], off
.LBB807_2:
	s_or_b64 exec, exec, s[0:1]
	v_or_b32_e32 v13, 32, v6
	v_cmp_gt_i32_e64 s[0:1], s18, v13
	s_and_b64 s[6:7], s[16:17], s[0:1]
	v_mov_b32_e32 v14, 0
	s_and_saveexec_b64 s[2:3], s[6:7]
	s_cbranch_execz .LBB807_4
; %bb.3:
	global_load_dword v7, v[4:5], off offset:128
	global_load_dword v14, v[8:9], off offset:128
.LBB807_4:
	s_or_b64 exec, exec, s[2:3]
	v_or_b32_e32 v13, 64, v6
	v_cmp_gt_i32_e64 s[2:3], s18, v13
	s_and_b64 s[8:9], s[16:17], s[2:3]
	v_mov_b32_e32 v13, 0
	v_mov_b32_e32 v15, 0
	v_mov_b32_e32 v16, 0
	s_and_saveexec_b64 s[6:7], s[8:9]
	s_cbranch_execz .LBB807_6
; %bb.5:
	global_load_dword v15, v[4:5], off offset:256
	global_load_dword v16, v[8:9], off offset:256
.LBB807_6:
	s_or_b64 exec, exec, s[6:7]
	v_or_b32_e32 v17, 0x60, v6
	v_cmp_gt_i32_e64 s[14:15], s18, v17
	s_and_b64 s[8:9], s[16:17], s[14:15]
	v_mov_b32_e32 v18, 0
	s_and_saveexec_b64 s[6:7], s[8:9]
	s_cbranch_execz .LBB807_8
; %bb.7:
	global_load_dword v13, v[4:5], off offset:384
	global_load_dword v18, v[8:9], off offset:384
.LBB807_8:
	s_or_b64 exec, exec, s[6:7]
	v_or_b32_e32 v17, 0x80, v6
	v_cmp_gt_i32_e64 s[6:7], s18, v17
	s_and_b64 s[10:11], s[16:17], s[6:7]
	v_mov_b32_e32 v17, 0
	v_mov_b32_e32 v19, 0
	v_mov_b32_e32 v20, 0
	s_and_saveexec_b64 s[8:9], s[10:11]
	s_cbranch_execz .LBB807_10
; %bb.9:
	global_load_dword v19, v[4:5], off offset:512
	global_load_dword v20, v[8:9], off offset:512
.LBB807_10:
	;; [unrolled: 24-line block ×3, first 2 shown]
	s_or_b64 exec, exec, s[12:13]
	v_or_b32_e32 v6, 0xe0, v6
	v_cmp_gt_i32_e64 s[12:13], s18, v6
	s_and_b64 s[18:19], s[16:17], s[12:13]
	v_mov_b32_e32 v6, 0
	s_and_saveexec_b64 s[16:17], s[18:19]
	s_cbranch_execz .LBB807_16
; %bb.15:
	global_load_dword v21, v[4:5], off offset:896
	global_load_dword v6, v[8:9], off offset:896
.LBB807_16:
	s_or_b64 exec, exec, s[16:17]
	s_load_dwordx2 s[4:5], s[4:5], 0x28
	s_waitcnt lgkmcnt(0)
	v_mov_b32_e32 v4, s5
	v_add_co_u32_e64 v2, s[4:5], s4, v2
	v_addc_co_u32_e64 v3, s[4:5], v4, v3, s[4:5]
	global_load_ubyte v4, v[2:3], off
	global_load_ubyte v5, v[2:3], off offset:32
	global_load_ubyte v8, v[2:3], off offset:64
	;; [unrolled: 1-line block ×7, first 2 shown]
	s_waitcnt vmcnt(9)
	v_add_f32_e32 v2, 0, v11
	v_mbcnt_lo_u32_b32 v3, -1, 0
	v_mbcnt_hi_u32_b32 v3, -1, v3
	v_and_b32_e32 v29, 0x60, v3
	v_xor_b32_e32 v30, 16, v3
	v_add_u32_e32 v29, 32, v29
	v_cmp_lt_i32_e64 s[4:5], v30, v29
	v_cndmask_b32_e64 v30, v3, v30, s[4:5]
	v_lshlrev_b32_e32 v30, 2, v30
	s_waitcnt vmcnt(7)
	v_and_b32_e32 v4, 1, v4
	v_cmp_eq_u32_e64 s[28:29], 1, v4
	s_waitcnt vmcnt(6)
	v_and_b32_e32 v5, 1, v5
	v_cndmask_b32_e64 v2, v2, 0, s[28:29]
	v_add_f32_e32 v4, v2, v7
	v_cmp_eq_u32_e64 s[26:27], 1, v5
	s_waitcnt vmcnt(5)
	v_and_b32_e32 v8, 1, v8
	v_cndmask_b32_e64 v2, v4, v2, s[26:27]
	v_add_f32_e32 v4, v2, v15
	;; [unrolled: 5-line block ×7, first 2 shown]
	v_cmp_eq_u32_e64 s[4:5], 1, v28
	v_cndmask_b32_e64 v2, v4, v2, s[4:5]
	ds_bpermute_b32 v4, v30, v2
	v_xor_b32_e32 v5, 8, v3
	v_cmp_lt_i32_e64 s[30:31], v5, v29
	v_cndmask_b32_e64 v5, v3, v5, s[30:31]
	v_lshlrev_b32_e32 v5, 2, v5
	s_waitcnt lgkmcnt(0)
	v_add_f32_e32 v2, v2, v4
	ds_bpermute_b32 v4, v5, v2
	v_xor_b32_e32 v5, 4, v3
	v_cmp_lt_i32_e64 s[30:31], v5, v29
	v_cndmask_b32_e64 v5, v3, v5, s[30:31]
	v_lshlrev_b32_e32 v5, 2, v5
	s_waitcnt lgkmcnt(0)
	v_add_f32_e32 v2, v2, v4
	;; [unrolled: 7-line block ×4, first 2 shown]
	ds_bpermute_b32 v3, v3, v2
	v_cmp_lt_i32_e64 s[30:31], 0, v10
	s_and_saveexec_b64 s[34:35], s[30:31]
	s_cbranch_execz .LBB807_26
; %bb.17:
	s_waitcnt lgkmcnt(0)
	v_add_f32_e32 v2, v2, v3
	v_mov_b32_e32 v3, s37
	v_add_co_u32_e64 v0, s[30:31], s36, v0
	v_addc_co_u32_e64 v1, s[30:31], v3, v1, s[30:31]
	s_and_saveexec_b64 s[30:31], vcc
	s_cbranch_execnz .LBB807_27
; %bb.18:
	s_or_b64 exec, exec, s[30:31]
	s_and_saveexec_b64 s[28:29], s[0:1]
	s_cbranch_execnz .LBB807_28
.LBB807_19:
	s_or_b64 exec, exec, s[28:29]
	s_and_saveexec_b64 s[0:1], s[2:3]
	s_cbranch_execnz .LBB807_29
.LBB807_20:
	s_or_b64 exec, exec, s[0:1]
	s_and_saveexec_b64 s[0:1], s[14:15]
	s_cbranch_execnz .LBB807_30
.LBB807_21:
	s_or_b64 exec, exec, s[0:1]
	s_and_saveexec_b64 s[0:1], s[6:7]
	s_cbranch_execnz .LBB807_31
.LBB807_22:
	s_or_b64 exec, exec, s[0:1]
	s_and_saveexec_b64 s[0:1], s[8:9]
	s_cbranch_execnz .LBB807_32
.LBB807_23:
	s_or_b64 exec, exec, s[0:1]
	s_and_saveexec_b64 s[0:1], s[10:11]
	s_cbranch_execnz .LBB807_33
.LBB807_24:
	s_or_b64 exec, exec, s[0:1]
	s_and_b64 exec, exec, s[12:13]
	s_cbranch_execz .LBB807_26
.LBB807_25:
	v_fma_f32 v2, -v2, v6, v21
	v_cndmask_b32_e64 v2, v2, 0, s[4:5]
	global_store_dword v[0:1], v2, off offset:896
.LBB807_26:
	s_endpgm
.LBB807_27:
	v_fma_f32 v3, -v2, v12, v11
	v_cndmask_b32_e64 v3, v3, 0, s[28:29]
	global_store_dword v[0:1], v3, off
	s_or_b64 exec, exec, s[30:31]
	s_and_saveexec_b64 s[28:29], s[0:1]
	s_cbranch_execz .LBB807_19
.LBB807_28:
	v_fma_f32 v3, -v2, v14, v7
	v_cndmask_b32_e64 v3, v3, 0, s[26:27]
	global_store_dword v[0:1], v3, off offset:128
	s_or_b64 exec, exec, s[28:29]
	s_and_saveexec_b64 s[0:1], s[2:3]
	s_cbranch_execz .LBB807_20
.LBB807_29:
	v_fma_f32 v3, -v2, v16, v15
	v_cndmask_b32_e64 v3, v3, 0, s[24:25]
	global_store_dword v[0:1], v3, off offset:256
	s_or_b64 exec, exec, s[0:1]
	s_and_saveexec_b64 s[0:1], s[14:15]
	s_cbranch_execz .LBB807_21
.LBB807_30:
	v_fma_f32 v3, -v2, v18, v13
	v_cndmask_b32_e64 v3, v3, 0, s[22:23]
	global_store_dword v[0:1], v3, off offset:384
	s_or_b64 exec, exec, s[0:1]
	s_and_saveexec_b64 s[0:1], s[6:7]
	s_cbranch_execz .LBB807_22
.LBB807_31:
	v_fma_f32 v3, -v2, v20, v19
	v_cndmask_b32_e64 v3, v3, 0, s[20:21]
	global_store_dword v[0:1], v3, off offset:512
	s_or_b64 exec, exec, s[0:1]
	s_and_saveexec_b64 s[0:1], s[8:9]
	s_cbranch_execz .LBB807_23
.LBB807_32:
	v_fma_f32 v3, -v2, v22, v17
	v_cndmask_b32_e64 v3, v3, 0, s[18:19]
	global_store_dword v[0:1], v3, off offset:640
	s_or_b64 exec, exec, s[0:1]
	s_and_saveexec_b64 s[0:1], s[10:11]
	s_cbranch_execz .LBB807_24
.LBB807_33:
	v_fma_f32 v3, -v2, v24, v23
	v_cndmask_b32_e64 v3, v3, 0, s[16:17]
	global_store_dword v[0:1], v3, off offset:768
	s_or_b64 exec, exec, s[0:1]
	s_and_b64 exec, exec, s[12:13]
	s_cbranch_execnz .LBB807_25
	s_branch .LBB807_26
	.section	.rodata,"a",@progbits
	.p2align	6, 0x0
	.amdhsa_kernel _ZN12_GLOBAL__N_121softmax_warp_backwardIfffLi8ELb0ELb1ELi32EEEvPT0_PKT_S5_iiiPKb
		.amdhsa_group_segment_fixed_size 0
		.amdhsa_private_segment_fixed_size 0
		.amdhsa_kernarg_size 304
		.amdhsa_user_sgpr_count 6
		.amdhsa_user_sgpr_private_segment_buffer 1
		.amdhsa_user_sgpr_dispatch_ptr 0
		.amdhsa_user_sgpr_queue_ptr 0
		.amdhsa_user_sgpr_kernarg_segment_ptr 1
		.amdhsa_user_sgpr_dispatch_id 0
		.amdhsa_user_sgpr_flat_scratch_init 0
		.amdhsa_user_sgpr_kernarg_preload_length 0
		.amdhsa_user_sgpr_kernarg_preload_offset 0
		.amdhsa_user_sgpr_private_segment_size 0
		.amdhsa_uses_dynamic_stack 0
		.amdhsa_system_sgpr_private_segment_wavefront_offset 0
		.amdhsa_system_sgpr_workgroup_id_x 1
		.amdhsa_system_sgpr_workgroup_id_y 0
		.amdhsa_system_sgpr_workgroup_id_z 0
		.amdhsa_system_sgpr_workgroup_info 0
		.amdhsa_system_vgpr_workitem_id 1
		.amdhsa_next_free_vgpr 31
		.amdhsa_next_free_sgpr 40
		.amdhsa_accum_offset 32
		.amdhsa_reserve_vcc 1
		.amdhsa_reserve_flat_scratch 0
		.amdhsa_float_round_mode_32 0
		.amdhsa_float_round_mode_16_64 0
		.amdhsa_float_denorm_mode_32 3
		.amdhsa_float_denorm_mode_16_64 3
		.amdhsa_dx10_clamp 1
		.amdhsa_ieee_mode 1
		.amdhsa_fp16_overflow 0
		.amdhsa_tg_split 0
		.amdhsa_exception_fp_ieee_invalid_op 0
		.amdhsa_exception_fp_denorm_src 0
		.amdhsa_exception_fp_ieee_div_zero 0
		.amdhsa_exception_fp_ieee_overflow 0
		.amdhsa_exception_fp_ieee_underflow 0
		.amdhsa_exception_fp_ieee_inexact 0
		.amdhsa_exception_int_div_zero 0
	.end_amdhsa_kernel
	.section	.text._ZN12_GLOBAL__N_121softmax_warp_backwardIfffLi8ELb0ELb1ELi32EEEvPT0_PKT_S5_iiiPKb,"axG",@progbits,_ZN12_GLOBAL__N_121softmax_warp_backwardIfffLi8ELb0ELb1ELi32EEEvPT0_PKT_S5_iiiPKb,comdat
.Lfunc_end807:
	.size	_ZN12_GLOBAL__N_121softmax_warp_backwardIfffLi8ELb0ELb1ELi32EEEvPT0_PKT_S5_iiiPKb, .Lfunc_end807-_ZN12_GLOBAL__N_121softmax_warp_backwardIfffLi8ELb0ELb1ELi32EEEvPT0_PKT_S5_iiiPKb
                                        ; -- End function
	.section	.AMDGPU.csdata,"",@progbits
; Kernel info:
; codeLenInByte = 1508
; NumSgprs: 44
; NumVgprs: 31
; NumAgprs: 0
; TotalNumVgprs: 31
; ScratchSize: 0
; MemoryBound: 0
; FloatMode: 240
; IeeeMode: 1
; LDSByteSize: 0 bytes/workgroup (compile time only)
; SGPRBlocks: 5
; VGPRBlocks: 3
; NumSGPRsForWavesPerEU: 44
; NumVGPRsForWavesPerEU: 31
; AccumOffset: 32
; Occupancy: 8
; WaveLimiterHint : 0
; COMPUTE_PGM_RSRC2:SCRATCH_EN: 0
; COMPUTE_PGM_RSRC2:USER_SGPR: 6
; COMPUTE_PGM_RSRC2:TRAP_HANDLER: 0
; COMPUTE_PGM_RSRC2:TGID_X_EN: 1
; COMPUTE_PGM_RSRC2:TGID_Y_EN: 0
; COMPUTE_PGM_RSRC2:TGID_Z_EN: 0
; COMPUTE_PGM_RSRC2:TIDIG_COMP_CNT: 1
; COMPUTE_PGM_RSRC3_GFX90A:ACCUM_OFFSET: 7
; COMPUTE_PGM_RSRC3_GFX90A:TG_SPLIT: 0
	.section	.text._ZN12_GLOBAL__N_121softmax_warp_backwardIfffLi9ELb0ELb1ELi64EEEvPT0_PKT_S5_iiiPKb,"axG",@progbits,_ZN12_GLOBAL__N_121softmax_warp_backwardIfffLi9ELb0ELb1ELi64EEEvPT0_PKT_S5_iiiPKb,comdat
	.globl	_ZN12_GLOBAL__N_121softmax_warp_backwardIfffLi9ELb0ELb1ELi64EEEvPT0_PKT_S5_iiiPKb ; -- Begin function _ZN12_GLOBAL__N_121softmax_warp_backwardIfffLi9ELb0ELb1ELi64EEEvPT0_PKT_S5_iiiPKb
	.p2align	8
	.type	_ZN12_GLOBAL__N_121softmax_warp_backwardIfffLi9ELb0ELb1ELi64EEEvPT0_PKT_S5_iiiPKb,@function
_ZN12_GLOBAL__N_121softmax_warp_backwardIfffLi9ELb0ELb1ELi64EEEvPT0_PKT_S5_iiiPKb: ; @_ZN12_GLOBAL__N_121softmax_warp_backwardIfffLi9ELb0ELb1ELi64EEEvPT0_PKT_S5_iiiPKb
; %bb.0:
	s_load_dword s2, s[4:5], 0x3c
	s_load_dwordx4 s[16:19], s[4:5], 0x18
	s_load_dwordx4 s[36:39], s[4:5], 0x0
	s_load_dwordx2 s[0:1], s[4:5], 0x10
	v_bfe_u32 v1, v0, 10, 10
	s_waitcnt lgkmcnt(0)
	s_lshr_b32 s2, s2, 16
	s_mul_i32 s6, s6, s2
	v_add_u32_e32 v1, s6, v1
	v_and_b32_e32 v6, 63, v0
	v_mad_u64_u32 v[2:3], s[2:3], v1, s17, v[6:7]
	v_ashrrev_i32_e32 v3, 31, v2
	v_sub_u32_e32 v10, s16, v1
	v_lshlrev_b64 v[0:1], 2, v[2:3]
	v_mov_b32_e32 v5, s39
	v_add_co_u32_e32 v4, vcc, s38, v0
	v_addc_co_u32_e32 v5, vcc, v5, v1, vcc
	v_mov_b32_e32 v7, s1
	v_add_co_u32_e32 v8, vcc, s0, v0
	v_addc_co_u32_e32 v9, vcc, v7, v1, vcc
	v_cmp_lt_i32_e64 s[16:17], 0, v10
	v_cmp_gt_i32_e32 vcc, s18, v6
	s_and_b64 s[2:3], s[16:17], vcc
	v_mov_b32_e32 v7, 0
	v_mov_b32_e32 v11, 0
	;; [unrolled: 1-line block ×3, first 2 shown]
	s_and_saveexec_b64 s[0:1], s[2:3]
	s_cbranch_execz .LBB808_2
; %bb.1:
	global_load_dword v11, v[4:5], off
	global_load_dword v12, v[8:9], off
.LBB808_2:
	s_or_b64 exec, exec, s[0:1]
	v_or_b32_e32 v13, 64, v6
	v_cmp_gt_i32_e64 s[0:1], s18, v13
	s_and_b64 s[6:7], s[16:17], s[0:1]
	v_mov_b32_e32 v14, 0
	s_and_saveexec_b64 s[2:3], s[6:7]
	s_cbranch_execz .LBB808_4
; %bb.3:
	global_load_dword v7, v[4:5], off offset:256
	global_load_dword v14, v[8:9], off offset:256
.LBB808_4:
	s_or_b64 exec, exec, s[2:3]
	v_or_b32_e32 v13, 0x80, v6
	v_cmp_gt_i32_e64 s[2:3], s18, v13
	s_and_b64 s[8:9], s[16:17], s[2:3]
	v_mov_b32_e32 v13, 0
	v_mov_b32_e32 v15, 0
	v_mov_b32_e32 v16, 0
	s_and_saveexec_b64 s[6:7], s[8:9]
	s_cbranch_execz .LBB808_6
; %bb.5:
	global_load_dword v15, v[4:5], off offset:512
	global_load_dword v16, v[8:9], off offset:512
.LBB808_6:
	s_or_b64 exec, exec, s[6:7]
	v_or_b32_e32 v17, 0xc0, v6
	v_cmp_gt_i32_e64 s[14:15], s18, v17
	s_and_b64 s[8:9], s[16:17], s[14:15]
	v_mov_b32_e32 v18, 0
	s_and_saveexec_b64 s[6:7], s[8:9]
	s_cbranch_execz .LBB808_8
; %bb.7:
	global_load_dword v13, v[4:5], off offset:768
	global_load_dword v18, v[8:9], off offset:768
.LBB808_8:
	s_or_b64 exec, exec, s[6:7]
	v_or_b32_e32 v17, 0x100, v6
	v_cmp_gt_i32_e64 s[6:7], s18, v17
	s_and_b64 s[10:11], s[16:17], s[6:7]
	v_mov_b32_e32 v17, 0
	v_mov_b32_e32 v19, 0
	v_mov_b32_e32 v20, 0
	s_and_saveexec_b64 s[8:9], s[10:11]
	s_cbranch_execz .LBB808_10
; %bb.9:
	global_load_dword v19, v[4:5], off offset:1024
	global_load_dword v20, v[8:9], off offset:1024
.LBB808_10:
	;; [unrolled: 24-line block ×3, first 2 shown]
	s_or_b64 exec, exec, s[12:13]
	v_or_b32_e32 v6, 0x1c0, v6
	v_cmp_gt_i32_e64 s[12:13], s18, v6
	s_and_b64 s[18:19], s[16:17], s[12:13]
	v_mov_b32_e32 v6, 0
	s_and_saveexec_b64 s[16:17], s[18:19]
	s_cbranch_execz .LBB808_16
; %bb.15:
	global_load_dword v21, v[4:5], off offset:1792
	global_load_dword v6, v[8:9], off offset:1792
.LBB808_16:
	s_or_b64 exec, exec, s[16:17]
	s_load_dwordx2 s[4:5], s[4:5], 0x28
	s_waitcnt lgkmcnt(0)
	v_mov_b32_e32 v4, s5
	v_add_co_u32_e64 v2, s[4:5], s4, v2
	v_addc_co_u32_e64 v3, s[4:5], v4, v3, s[4:5]
	global_load_ubyte v4, v[2:3], off
	global_load_ubyte v5, v[2:3], off offset:64
	global_load_ubyte v8, v[2:3], off offset:128
	global_load_ubyte v9, v[2:3], off offset:192
	global_load_ubyte v25, v[2:3], off offset:256
	global_load_ubyte v26, v[2:3], off offset:320
	global_load_ubyte v27, v[2:3], off offset:384
	global_load_ubyte v28, v[2:3], off offset:448
	s_waitcnt vmcnt(9)
	v_add_f32_e32 v2, 0, v11
	v_mbcnt_lo_u32_b32 v3, -1, 0
	v_mbcnt_hi_u32_b32 v3, -1, v3
	v_and_b32_e32 v29, 64, v3
	v_xor_b32_e32 v30, 32, v3
	v_add_u32_e32 v29, 64, v29
	v_cmp_lt_i32_e64 s[4:5], v30, v29
	v_cndmask_b32_e64 v30, v3, v30, s[4:5]
	v_lshlrev_b32_e32 v30, 2, v30
	s_waitcnt vmcnt(7)
	v_and_b32_e32 v4, 1, v4
	v_cmp_eq_u32_e64 s[28:29], 1, v4
	s_waitcnt vmcnt(6)
	v_and_b32_e32 v5, 1, v5
	v_cndmask_b32_e64 v2, v2, 0, s[28:29]
	v_add_f32_e32 v4, v2, v7
	v_cmp_eq_u32_e64 s[26:27], 1, v5
	s_waitcnt vmcnt(5)
	v_and_b32_e32 v8, 1, v8
	v_cndmask_b32_e64 v2, v4, v2, s[26:27]
	v_add_f32_e32 v4, v2, v15
	;; [unrolled: 5-line block ×7, first 2 shown]
	v_cmp_eq_u32_e64 s[4:5], 1, v28
	v_cndmask_b32_e64 v2, v4, v2, s[4:5]
	ds_bpermute_b32 v4, v30, v2
	v_xor_b32_e32 v5, 16, v3
	v_cmp_lt_i32_e64 s[30:31], v5, v29
	v_cndmask_b32_e64 v5, v3, v5, s[30:31]
	v_lshlrev_b32_e32 v5, 2, v5
	s_waitcnt lgkmcnt(0)
	v_add_f32_e32 v2, v2, v4
	ds_bpermute_b32 v4, v5, v2
	v_xor_b32_e32 v5, 8, v3
	v_cmp_lt_i32_e64 s[30:31], v5, v29
	v_cndmask_b32_e64 v5, v3, v5, s[30:31]
	v_lshlrev_b32_e32 v5, 2, v5
	s_waitcnt lgkmcnt(0)
	v_add_f32_e32 v2, v2, v4
	;; [unrolled: 7-line block ×5, first 2 shown]
	ds_bpermute_b32 v3, v3, v2
	v_cmp_lt_i32_e64 s[30:31], 0, v10
	s_and_saveexec_b64 s[34:35], s[30:31]
	s_cbranch_execz .LBB808_26
; %bb.17:
	s_waitcnt lgkmcnt(0)
	v_add_f32_e32 v2, v2, v3
	v_mov_b32_e32 v3, s37
	v_add_co_u32_e64 v0, s[30:31], s36, v0
	v_addc_co_u32_e64 v1, s[30:31], v3, v1, s[30:31]
	s_and_saveexec_b64 s[30:31], vcc
	s_cbranch_execnz .LBB808_27
; %bb.18:
	s_or_b64 exec, exec, s[30:31]
	s_and_saveexec_b64 s[28:29], s[0:1]
	s_cbranch_execnz .LBB808_28
.LBB808_19:
	s_or_b64 exec, exec, s[28:29]
	s_and_saveexec_b64 s[0:1], s[2:3]
	s_cbranch_execnz .LBB808_29
.LBB808_20:
	s_or_b64 exec, exec, s[0:1]
	s_and_saveexec_b64 s[0:1], s[14:15]
	s_cbranch_execnz .LBB808_30
.LBB808_21:
	s_or_b64 exec, exec, s[0:1]
	s_and_saveexec_b64 s[0:1], s[6:7]
	s_cbranch_execnz .LBB808_31
.LBB808_22:
	s_or_b64 exec, exec, s[0:1]
	s_and_saveexec_b64 s[0:1], s[8:9]
	s_cbranch_execnz .LBB808_32
.LBB808_23:
	s_or_b64 exec, exec, s[0:1]
	s_and_saveexec_b64 s[0:1], s[10:11]
	s_cbranch_execnz .LBB808_33
.LBB808_24:
	s_or_b64 exec, exec, s[0:1]
	s_and_b64 exec, exec, s[12:13]
	s_cbranch_execz .LBB808_26
.LBB808_25:
	v_fma_f32 v2, -v2, v6, v21
	v_cndmask_b32_e64 v2, v2, 0, s[4:5]
	global_store_dword v[0:1], v2, off offset:1792
.LBB808_26:
	s_endpgm
.LBB808_27:
	v_fma_f32 v3, -v2, v12, v11
	v_cndmask_b32_e64 v3, v3, 0, s[28:29]
	global_store_dword v[0:1], v3, off
	s_or_b64 exec, exec, s[30:31]
	s_and_saveexec_b64 s[28:29], s[0:1]
	s_cbranch_execz .LBB808_19
.LBB808_28:
	v_fma_f32 v3, -v2, v14, v7
	v_cndmask_b32_e64 v3, v3, 0, s[26:27]
	global_store_dword v[0:1], v3, off offset:256
	s_or_b64 exec, exec, s[28:29]
	s_and_saveexec_b64 s[0:1], s[2:3]
	s_cbranch_execz .LBB808_20
.LBB808_29:
	v_fma_f32 v3, -v2, v16, v15
	v_cndmask_b32_e64 v3, v3, 0, s[24:25]
	global_store_dword v[0:1], v3, off offset:512
	s_or_b64 exec, exec, s[0:1]
	s_and_saveexec_b64 s[0:1], s[14:15]
	s_cbranch_execz .LBB808_21
.LBB808_30:
	v_fma_f32 v3, -v2, v18, v13
	v_cndmask_b32_e64 v3, v3, 0, s[22:23]
	global_store_dword v[0:1], v3, off offset:768
	s_or_b64 exec, exec, s[0:1]
	s_and_saveexec_b64 s[0:1], s[6:7]
	s_cbranch_execz .LBB808_22
.LBB808_31:
	v_fma_f32 v3, -v2, v20, v19
	v_cndmask_b32_e64 v3, v3, 0, s[20:21]
	global_store_dword v[0:1], v3, off offset:1024
	s_or_b64 exec, exec, s[0:1]
	s_and_saveexec_b64 s[0:1], s[8:9]
	s_cbranch_execz .LBB808_23
.LBB808_32:
	v_fma_f32 v3, -v2, v22, v17
	v_cndmask_b32_e64 v3, v3, 0, s[18:19]
	global_store_dword v[0:1], v3, off offset:1280
	s_or_b64 exec, exec, s[0:1]
	s_and_saveexec_b64 s[0:1], s[10:11]
	s_cbranch_execz .LBB808_24
.LBB808_33:
	v_fma_f32 v3, -v2, v24, v23
	v_cndmask_b32_e64 v3, v3, 0, s[16:17]
	global_store_dword v[0:1], v3, off offset:1536
	s_or_b64 exec, exec, s[0:1]
	s_and_b64 exec, exec, s[12:13]
	s_cbranch_execnz .LBB808_25
	s_branch .LBB808_26
	.section	.rodata,"a",@progbits
	.p2align	6, 0x0
	.amdhsa_kernel _ZN12_GLOBAL__N_121softmax_warp_backwardIfffLi9ELb0ELb1ELi64EEEvPT0_PKT_S5_iiiPKb
		.amdhsa_group_segment_fixed_size 0
		.amdhsa_private_segment_fixed_size 0
		.amdhsa_kernarg_size 304
		.amdhsa_user_sgpr_count 6
		.amdhsa_user_sgpr_private_segment_buffer 1
		.amdhsa_user_sgpr_dispatch_ptr 0
		.amdhsa_user_sgpr_queue_ptr 0
		.amdhsa_user_sgpr_kernarg_segment_ptr 1
		.amdhsa_user_sgpr_dispatch_id 0
		.amdhsa_user_sgpr_flat_scratch_init 0
		.amdhsa_user_sgpr_kernarg_preload_length 0
		.amdhsa_user_sgpr_kernarg_preload_offset 0
		.amdhsa_user_sgpr_private_segment_size 0
		.amdhsa_uses_dynamic_stack 0
		.amdhsa_system_sgpr_private_segment_wavefront_offset 0
		.amdhsa_system_sgpr_workgroup_id_x 1
		.amdhsa_system_sgpr_workgroup_id_y 0
		.amdhsa_system_sgpr_workgroup_id_z 0
		.amdhsa_system_sgpr_workgroup_info 0
		.amdhsa_system_vgpr_workitem_id 1
		.amdhsa_next_free_vgpr 31
		.amdhsa_next_free_sgpr 40
		.amdhsa_accum_offset 32
		.amdhsa_reserve_vcc 1
		.amdhsa_reserve_flat_scratch 0
		.amdhsa_float_round_mode_32 0
		.amdhsa_float_round_mode_16_64 0
		.amdhsa_float_denorm_mode_32 3
		.amdhsa_float_denorm_mode_16_64 3
		.amdhsa_dx10_clamp 1
		.amdhsa_ieee_mode 1
		.amdhsa_fp16_overflow 0
		.amdhsa_tg_split 0
		.amdhsa_exception_fp_ieee_invalid_op 0
		.amdhsa_exception_fp_denorm_src 0
		.amdhsa_exception_fp_ieee_div_zero 0
		.amdhsa_exception_fp_ieee_overflow 0
		.amdhsa_exception_fp_ieee_underflow 0
		.amdhsa_exception_fp_ieee_inexact 0
		.amdhsa_exception_int_div_zero 0
	.end_amdhsa_kernel
	.section	.text._ZN12_GLOBAL__N_121softmax_warp_backwardIfffLi9ELb0ELb1ELi64EEEvPT0_PKT_S5_iiiPKb,"axG",@progbits,_ZN12_GLOBAL__N_121softmax_warp_backwardIfffLi9ELb0ELb1ELi64EEEvPT0_PKT_S5_iiiPKb,comdat
.Lfunc_end808:
	.size	_ZN12_GLOBAL__N_121softmax_warp_backwardIfffLi9ELb0ELb1ELi64EEEvPT0_PKT_S5_iiiPKb, .Lfunc_end808-_ZN12_GLOBAL__N_121softmax_warp_backwardIfffLi9ELb0ELb1ELi64EEEvPT0_PKT_S5_iiiPKb
                                        ; -- End function
	.section	.AMDGPU.csdata,"",@progbits
; Kernel info:
; codeLenInByte = 1548
; NumSgprs: 44
; NumVgprs: 31
; NumAgprs: 0
; TotalNumVgprs: 31
; ScratchSize: 0
; MemoryBound: 0
; FloatMode: 240
; IeeeMode: 1
; LDSByteSize: 0 bytes/workgroup (compile time only)
; SGPRBlocks: 5
; VGPRBlocks: 3
; NumSGPRsForWavesPerEU: 44
; NumVGPRsForWavesPerEU: 31
; AccumOffset: 32
; Occupancy: 8
; WaveLimiterHint : 0
; COMPUTE_PGM_RSRC2:SCRATCH_EN: 0
; COMPUTE_PGM_RSRC2:USER_SGPR: 6
; COMPUTE_PGM_RSRC2:TRAP_HANDLER: 0
; COMPUTE_PGM_RSRC2:TGID_X_EN: 1
; COMPUTE_PGM_RSRC2:TGID_Y_EN: 0
; COMPUTE_PGM_RSRC2:TGID_Z_EN: 0
; COMPUTE_PGM_RSRC2:TIDIG_COMP_CNT: 1
; COMPUTE_PGM_RSRC3_GFX90A:ACCUM_OFFSET: 7
; COMPUTE_PGM_RSRC3_GFX90A:TG_SPLIT: 0
	.section	.text._ZN12_GLOBAL__N_121softmax_warp_backwardIfffLi9ELb0ELb1ELi32EEEvPT0_PKT_S5_iiiPKb,"axG",@progbits,_ZN12_GLOBAL__N_121softmax_warp_backwardIfffLi9ELb0ELb1ELi32EEEvPT0_PKT_S5_iiiPKb,comdat
	.globl	_ZN12_GLOBAL__N_121softmax_warp_backwardIfffLi9ELb0ELb1ELi32EEEvPT0_PKT_S5_iiiPKb ; -- Begin function _ZN12_GLOBAL__N_121softmax_warp_backwardIfffLi9ELb0ELb1ELi32EEEvPT0_PKT_S5_iiiPKb
	.p2align	8
	.type	_ZN12_GLOBAL__N_121softmax_warp_backwardIfffLi9ELb0ELb1ELi32EEEvPT0_PKT_S5_iiiPKb,@function
_ZN12_GLOBAL__N_121softmax_warp_backwardIfffLi9ELb0ELb1ELi32EEEvPT0_PKT_S5_iiiPKb: ; @_ZN12_GLOBAL__N_121softmax_warp_backwardIfffLi9ELb0ELb1ELi32EEEvPT0_PKT_S5_iiiPKb
; %bb.0:
	s_load_dword s2, s[4:5], 0x3c
	s_load_dwordx4 s[36:39], s[4:5], 0x18
	s_load_dwordx4 s[68:71], s[4:5], 0x0
	s_load_dwordx2 s[0:1], s[4:5], 0x10
	v_bfe_u32 v1, v0, 10, 10
	s_waitcnt lgkmcnt(0)
	s_lshr_b32 s2, s2, 16
	s_mul_i32 s6, s6, s2
	v_add_u32_e32 v1, s6, v1
	v_and_b32_e32 v6, 31, v0
	v_mad_u64_u32 v[2:3], s[2:3], v1, s37, v[6:7]
	v_ashrrev_i32_e32 v3, 31, v2
	v_sub_u32_e32 v10, s36, v1
	v_lshlrev_b64 v[0:1], 2, v[2:3]
	v_mov_b32_e32 v5, s71
	v_add_co_u32_e32 v4, vcc, s70, v0
	v_addc_co_u32_e32 v5, vcc, v5, v1, vcc
	v_mov_b32_e32 v7, s1
	v_add_co_u32_e32 v8, vcc, s0, v0
	v_addc_co_u32_e32 v9, vcc, v7, v1, vcc
	v_cmp_lt_i32_e64 s[34:35], 0, v10
	v_cmp_gt_i32_e32 vcc, s38, v6
	s_and_b64 s[2:3], s[34:35], vcc
	v_mov_b32_e32 v7, 0
	v_mov_b32_e32 v11, 0
	;; [unrolled: 1-line block ×3, first 2 shown]
	s_and_saveexec_b64 s[0:1], s[2:3]
	s_cbranch_execz .LBB809_2
; %bb.1:
	global_load_dword v11, v[4:5], off
	global_load_dword v12, v[8:9], off
.LBB809_2:
	s_or_b64 exec, exec, s[0:1]
	v_or_b32_e32 v13, 32, v6
	v_cmp_gt_i32_e64 s[0:1], s38, v13
	s_and_b64 s[6:7], s[34:35], s[0:1]
	v_mov_b32_e32 v14, 0
	s_and_saveexec_b64 s[2:3], s[6:7]
	s_cbranch_execz .LBB809_4
; %bb.3:
	global_load_dword v7, v[4:5], off offset:128
	global_load_dword v14, v[8:9], off offset:128
.LBB809_4:
	s_or_b64 exec, exec, s[2:3]
	v_or_b32_e32 v13, 64, v6
	v_cmp_gt_i32_e64 s[2:3], s38, v13
	s_and_b64 s[8:9], s[34:35], s[2:3]
	v_mov_b32_e32 v13, 0
	v_mov_b32_e32 v15, 0
	v_mov_b32_e32 v16, 0
	s_and_saveexec_b64 s[6:7], s[8:9]
	s_cbranch_execz .LBB809_6
; %bb.5:
	global_load_dword v15, v[4:5], off offset:256
	global_load_dword v16, v[8:9], off offset:256
.LBB809_6:
	s_or_b64 exec, exec, s[6:7]
	v_or_b32_e32 v17, 0x60, v6
	v_cmp_gt_i32_e64 s[30:31], s38, v17
	s_and_b64 s[8:9], s[34:35], s[30:31]
	v_mov_b32_e32 v18, 0
	s_and_saveexec_b64 s[6:7], s[8:9]
	s_cbranch_execz .LBB809_8
; %bb.7:
	global_load_dword v13, v[4:5], off offset:384
	global_load_dword v18, v[8:9], off offset:384
.LBB809_8:
	s_or_b64 exec, exec, s[6:7]
	v_or_b32_e32 v17, 0x80, v6
	v_cmp_gt_i32_e64 s[6:7], s38, v17
	s_and_b64 s[10:11], s[34:35], s[6:7]
	v_mov_b32_e32 v17, 0
	v_mov_b32_e32 v19, 0
	v_mov_b32_e32 v20, 0
	s_and_saveexec_b64 s[8:9], s[10:11]
	s_cbranch_execz .LBB809_10
; %bb.9:
	global_load_dword v19, v[4:5], off offset:512
	global_load_dword v20, v[8:9], off offset:512
.LBB809_10:
	;; [unrolled: 24-line block ×7, first 2 shown]
	s_or_b64 exec, exec, s[28:29]
	v_or_b32_e32 v6, 0x1e0, v6
	v_cmp_gt_i32_e64 s[28:29], s38, v6
	s_and_b64 s[36:37], s[34:35], s[28:29]
	v_mov_b32_e32 v6, 0
	s_and_saveexec_b64 s[34:35], s[36:37]
	s_cbranch_execz .LBB809_32
; %bb.31:
	global_load_dword v37, v[4:5], off offset:1920
	global_load_dword v6, v[8:9], off offset:1920
.LBB809_32:
	s_or_b64 exec, exec, s[34:35]
	s_load_dwordx2 s[4:5], s[4:5], 0x28
	v_mbcnt_lo_u32_b32 v52, -1, 0
	v_mbcnt_hi_u32_b32 v52, -1, v52
	v_and_b32_e32 v53, 0x60, v52
	v_xor_b32_e32 v54, 16, v52
	s_waitcnt lgkmcnt(0)
	v_mov_b32_e32 v4, s5
	v_add_co_u32_e64 v2, s[4:5], s4, v2
	v_addc_co_u32_e64 v3, s[4:5], v4, v3, s[4:5]
	global_load_ubyte v4, v[2:3], off
	global_load_ubyte v5, v[2:3], off offset:32
	global_load_ubyte v8, v[2:3], off offset:64
	;; [unrolled: 1-line block ×14, first 2 shown]
	s_nop 0
	global_load_ubyte v2, v[2:3], off offset:480
	s_waitcnt vmcnt(17)
	v_add_f32_e32 v3, 0, v11
	v_add_u32_e32 v53, 32, v53
	v_cmp_lt_i32_e64 s[4:5], v54, v53
	v_cndmask_b32_e64 v54, v52, v54, s[4:5]
	v_lshlrev_b32_e32 v54, 2, v54
	s_waitcnt vmcnt(15)
	v_and_b32_e32 v4, 1, v4
	v_cmp_eq_u32_e64 s[62:63], 1, v4
	s_waitcnt vmcnt(14)
	v_and_b32_e32 v5, 1, v5
	v_cndmask_b32_e64 v3, v3, 0, s[62:63]
	v_add_f32_e32 v4, v3, v7
	v_cmp_eq_u32_e64 s[60:61], 1, v5
	s_waitcnt vmcnt(13)
	v_and_b32_e32 v8, 1, v8
	v_cndmask_b32_e64 v3, v4, v3, s[60:61]
	v_add_f32_e32 v4, v3, v15
	;; [unrolled: 5-line block ×15, first 2 shown]
	v_cmp_eq_u32_e64 s[4:5], 1, v2
	v_cndmask_b32_e64 v2, v4, v3, s[4:5]
	ds_bpermute_b32 v3, v54, v2
	v_xor_b32_e32 v4, 8, v52
	v_cmp_lt_i32_e64 s[64:65], v4, v53
	v_cndmask_b32_e64 v4, v52, v4, s[64:65]
	v_lshlrev_b32_e32 v4, 2, v4
	s_waitcnt lgkmcnt(0)
	v_add_f32_e32 v2, v2, v3
	ds_bpermute_b32 v3, v4, v2
	v_xor_b32_e32 v4, 4, v52
	v_cmp_lt_i32_e64 s[64:65], v4, v53
	v_cndmask_b32_e64 v4, v52, v4, s[64:65]
	v_lshlrev_b32_e32 v4, 2, v4
	s_waitcnt lgkmcnt(0)
	v_add_f32_e32 v2, v2, v3
	;; [unrolled: 7-line block ×3, first 2 shown]
	ds_bpermute_b32 v3, v4, v2
	v_xor_b32_e32 v4, 1, v52
	v_cmp_lt_i32_e64 s[64:65], v4, v53
	v_cndmask_b32_e64 v4, v52, v4, s[64:65]
	v_cmp_lt_i32_e64 s[64:65], 0, v10
	s_waitcnt lgkmcnt(0)
	v_add_f32_e32 v2, v2, v3
	v_lshlrev_b32_e32 v3, 2, v4
	ds_bpermute_b32 v3, v3, v2
	s_and_saveexec_b64 s[66:67], s[64:65]
	s_cbranch_execz .LBB809_50
; %bb.33:
	s_waitcnt lgkmcnt(0)
	v_add_f32_e32 v2, v2, v3
	v_mov_b32_e32 v3, s69
	v_add_co_u32_e64 v0, s[64:65], s68, v0
	v_addc_co_u32_e64 v1, s[64:65], v3, v1, s[64:65]
	s_and_saveexec_b64 s[64:65], vcc
	s_cbranch_execnz .LBB809_51
; %bb.34:
	s_or_b64 exec, exec, s[64:65]
	s_and_saveexec_b64 s[62:63], s[0:1]
	s_cbranch_execnz .LBB809_52
.LBB809_35:
	s_or_b64 exec, exec, s[62:63]
	s_and_saveexec_b64 s[0:1], s[2:3]
	s_cbranch_execnz .LBB809_53
.LBB809_36:
	s_or_b64 exec, exec, s[0:1]
	s_and_saveexec_b64 s[0:1], s[30:31]
	s_cbranch_execnz .LBB809_54
.LBB809_37:
	s_or_b64 exec, exec, s[0:1]
	s_and_saveexec_b64 s[0:1], s[6:7]
	s_cbranch_execnz .LBB809_55
.LBB809_38:
	s_or_b64 exec, exec, s[0:1]
	s_and_saveexec_b64 s[0:1], s[8:9]
	s_cbranch_execnz .LBB809_56
.LBB809_39:
	s_or_b64 exec, exec, s[0:1]
	s_and_saveexec_b64 s[0:1], s[10:11]
	s_cbranch_execnz .LBB809_57
.LBB809_40:
	s_or_b64 exec, exec, s[0:1]
	s_and_saveexec_b64 s[0:1], s[12:13]
	s_cbranch_execnz .LBB809_58
.LBB809_41:
	s_or_b64 exec, exec, s[0:1]
	s_and_saveexec_b64 s[0:1], s[14:15]
	s_cbranch_execnz .LBB809_59
.LBB809_42:
	s_or_b64 exec, exec, s[0:1]
	s_and_saveexec_b64 s[0:1], s[16:17]
	s_cbranch_execnz .LBB809_60
.LBB809_43:
	s_or_b64 exec, exec, s[0:1]
	s_and_saveexec_b64 s[0:1], s[18:19]
	s_cbranch_execnz .LBB809_61
.LBB809_44:
	s_or_b64 exec, exec, s[0:1]
	s_and_saveexec_b64 s[0:1], s[20:21]
	s_cbranch_execnz .LBB809_62
.LBB809_45:
	s_or_b64 exec, exec, s[0:1]
	s_and_saveexec_b64 s[0:1], s[22:23]
	s_cbranch_execnz .LBB809_63
.LBB809_46:
	s_or_b64 exec, exec, s[0:1]
	s_and_saveexec_b64 s[0:1], s[24:25]
	s_cbranch_execnz .LBB809_64
.LBB809_47:
	s_or_b64 exec, exec, s[0:1]
	s_and_saveexec_b64 s[0:1], s[26:27]
	s_cbranch_execnz .LBB809_65
.LBB809_48:
	s_or_b64 exec, exec, s[0:1]
	s_and_b64 exec, exec, s[28:29]
	s_cbranch_execz .LBB809_50
.LBB809_49:
	v_fma_f32 v2, -v2, v6, v37
	v_cndmask_b32_e64 v2, v2, 0, s[4:5]
	global_store_dword v[0:1], v2, off offset:1920
.LBB809_50:
	s_endpgm
.LBB809_51:
	v_fma_f32 v3, -v2, v12, v11
	v_cndmask_b32_e64 v3, v3, 0, s[62:63]
	global_store_dword v[0:1], v3, off
	s_or_b64 exec, exec, s[64:65]
	s_and_saveexec_b64 s[62:63], s[0:1]
	s_cbranch_execz .LBB809_35
.LBB809_52:
	v_fma_f32 v3, -v2, v14, v7
	v_cndmask_b32_e64 v3, v3, 0, s[60:61]
	global_store_dword v[0:1], v3, off offset:128
	s_or_b64 exec, exec, s[62:63]
	s_and_saveexec_b64 s[0:1], s[2:3]
	s_cbranch_execz .LBB809_36
.LBB809_53:
	v_fma_f32 v3, -v2, v16, v15
	v_cndmask_b32_e64 v3, v3, 0, s[58:59]
	global_store_dword v[0:1], v3, off offset:256
	s_or_b64 exec, exec, s[0:1]
	s_and_saveexec_b64 s[0:1], s[30:31]
	s_cbranch_execz .LBB809_37
.LBB809_54:
	v_fma_f32 v3, -v2, v18, v13
	v_cndmask_b32_e64 v3, v3, 0, s[56:57]
	global_store_dword v[0:1], v3, off offset:384
	s_or_b64 exec, exec, s[0:1]
	s_and_saveexec_b64 s[0:1], s[6:7]
	s_cbranch_execz .LBB809_38
.LBB809_55:
	v_fma_f32 v3, -v2, v20, v19
	v_cndmask_b32_e64 v3, v3, 0, s[54:55]
	global_store_dword v[0:1], v3, off offset:512
	s_or_b64 exec, exec, s[0:1]
	s_and_saveexec_b64 s[0:1], s[8:9]
	s_cbranch_execz .LBB809_39
.LBB809_56:
	v_fma_f32 v3, -v2, v22, v17
	v_cndmask_b32_e64 v3, v3, 0, s[52:53]
	global_store_dword v[0:1], v3, off offset:640
	s_or_b64 exec, exec, s[0:1]
	s_and_saveexec_b64 s[0:1], s[10:11]
	s_cbranch_execz .LBB809_40
.LBB809_57:
	v_fma_f32 v3, -v2, v24, v23
	v_cndmask_b32_e64 v3, v3, 0, s[50:51]
	global_store_dword v[0:1], v3, off offset:768
	s_or_b64 exec, exec, s[0:1]
	s_and_saveexec_b64 s[0:1], s[12:13]
	s_cbranch_execz .LBB809_41
.LBB809_58:
	v_fma_f32 v3, -v2, v26, v21
	v_cndmask_b32_e64 v3, v3, 0, s[48:49]
	global_store_dword v[0:1], v3, off offset:896
	s_or_b64 exec, exec, s[0:1]
	s_and_saveexec_b64 s[0:1], s[14:15]
	s_cbranch_execz .LBB809_42
.LBB809_59:
	v_fma_f32 v3, -v2, v28, v27
	v_cndmask_b32_e64 v3, v3, 0, s[46:47]
	global_store_dword v[0:1], v3, off offset:1024
	s_or_b64 exec, exec, s[0:1]
	s_and_saveexec_b64 s[0:1], s[16:17]
	s_cbranch_execz .LBB809_43
.LBB809_60:
	v_fma_f32 v3, -v2, v30, v25
	v_cndmask_b32_e64 v3, v3, 0, s[44:45]
	global_store_dword v[0:1], v3, off offset:1152
	s_or_b64 exec, exec, s[0:1]
	s_and_saveexec_b64 s[0:1], s[18:19]
	s_cbranch_execz .LBB809_44
.LBB809_61:
	v_fma_f32 v3, -v2, v32, v31
	v_cndmask_b32_e64 v3, v3, 0, s[42:43]
	global_store_dword v[0:1], v3, off offset:1280
	s_or_b64 exec, exec, s[0:1]
	s_and_saveexec_b64 s[0:1], s[20:21]
	s_cbranch_execz .LBB809_45
.LBB809_62:
	v_fma_f32 v3, -v2, v34, v29
	v_cndmask_b32_e64 v3, v3, 0, s[40:41]
	global_store_dword v[0:1], v3, off offset:1408
	s_or_b64 exec, exec, s[0:1]
	s_and_saveexec_b64 s[0:1], s[22:23]
	s_cbranch_execz .LBB809_46
.LBB809_63:
	v_fma_f32 v3, -v2, v36, v35
	v_cndmask_b32_e64 v3, v3, 0, s[38:39]
	global_store_dword v[0:1], v3, off offset:1536
	s_or_b64 exec, exec, s[0:1]
	s_and_saveexec_b64 s[0:1], s[24:25]
	s_cbranch_execz .LBB809_47
.LBB809_64:
	v_fma_f32 v3, -v2, v38, v33
	v_cndmask_b32_e64 v3, v3, 0, s[36:37]
	global_store_dword v[0:1], v3, off offset:1664
	s_or_b64 exec, exec, s[0:1]
	s_and_saveexec_b64 s[0:1], s[26:27]
	s_cbranch_execz .LBB809_48
.LBB809_65:
	v_fma_f32 v3, -v2, v40, v39
	v_cndmask_b32_e64 v3, v3, 0, s[34:35]
	global_store_dword v[0:1], v3, off offset:1792
	s_or_b64 exec, exec, s[0:1]
	s_and_b64 exec, exec, s[28:29]
	s_cbranch_execnz .LBB809_49
	s_branch .LBB809_50
	.section	.rodata,"a",@progbits
	.p2align	6, 0x0
	.amdhsa_kernel _ZN12_GLOBAL__N_121softmax_warp_backwardIfffLi9ELb0ELb1ELi32EEEvPT0_PKT_S5_iiiPKb
		.amdhsa_group_segment_fixed_size 0
		.amdhsa_private_segment_fixed_size 0
		.amdhsa_kernarg_size 304
		.amdhsa_user_sgpr_count 6
		.amdhsa_user_sgpr_private_segment_buffer 1
		.amdhsa_user_sgpr_dispatch_ptr 0
		.amdhsa_user_sgpr_queue_ptr 0
		.amdhsa_user_sgpr_kernarg_segment_ptr 1
		.amdhsa_user_sgpr_dispatch_id 0
		.amdhsa_user_sgpr_flat_scratch_init 0
		.amdhsa_user_sgpr_kernarg_preload_length 0
		.amdhsa_user_sgpr_kernarg_preload_offset 0
		.amdhsa_user_sgpr_private_segment_size 0
		.amdhsa_uses_dynamic_stack 0
		.amdhsa_system_sgpr_private_segment_wavefront_offset 0
		.amdhsa_system_sgpr_workgroup_id_x 1
		.amdhsa_system_sgpr_workgroup_id_y 0
		.amdhsa_system_sgpr_workgroup_id_z 0
		.amdhsa_system_sgpr_workgroup_info 0
		.amdhsa_system_vgpr_workitem_id 1
		.amdhsa_next_free_vgpr 55
		.amdhsa_next_free_sgpr 72
		.amdhsa_accum_offset 56
		.amdhsa_reserve_vcc 1
		.amdhsa_reserve_flat_scratch 0
		.amdhsa_float_round_mode_32 0
		.amdhsa_float_round_mode_16_64 0
		.amdhsa_float_denorm_mode_32 3
		.amdhsa_float_denorm_mode_16_64 3
		.amdhsa_dx10_clamp 1
		.amdhsa_ieee_mode 1
		.amdhsa_fp16_overflow 0
		.amdhsa_tg_split 0
		.amdhsa_exception_fp_ieee_invalid_op 0
		.amdhsa_exception_fp_denorm_src 0
		.amdhsa_exception_fp_ieee_div_zero 0
		.amdhsa_exception_fp_ieee_overflow 0
		.amdhsa_exception_fp_ieee_underflow 0
		.amdhsa_exception_fp_ieee_inexact 0
		.amdhsa_exception_int_div_zero 0
	.end_amdhsa_kernel
	.section	.text._ZN12_GLOBAL__N_121softmax_warp_backwardIfffLi9ELb0ELb1ELi32EEEvPT0_PKT_S5_iiiPKb,"axG",@progbits,_ZN12_GLOBAL__N_121softmax_warp_backwardIfffLi9ELb0ELb1ELi32EEEvPT0_PKT_S5_iiiPKb,comdat
.Lfunc_end809:
	.size	_ZN12_GLOBAL__N_121softmax_warp_backwardIfffLi9ELb0ELb1ELi32EEEvPT0_PKT_S5_iiiPKb, .Lfunc_end809-_ZN12_GLOBAL__N_121softmax_warp_backwardIfffLi9ELb0ELb1ELi32EEEvPT0_PKT_S5_iiiPKb
                                        ; -- End function
	.section	.AMDGPU.csdata,"",@progbits
; Kernel info:
; codeLenInByte = 2632
; NumSgprs: 76
; NumVgprs: 55
; NumAgprs: 0
; TotalNumVgprs: 55
; ScratchSize: 0
; MemoryBound: 0
; FloatMode: 240
; IeeeMode: 1
; LDSByteSize: 0 bytes/workgroup (compile time only)
; SGPRBlocks: 9
; VGPRBlocks: 6
; NumSGPRsForWavesPerEU: 76
; NumVGPRsForWavesPerEU: 55
; AccumOffset: 56
; Occupancy: 8
; WaveLimiterHint : 0
; COMPUTE_PGM_RSRC2:SCRATCH_EN: 0
; COMPUTE_PGM_RSRC2:USER_SGPR: 6
; COMPUTE_PGM_RSRC2:TRAP_HANDLER: 0
; COMPUTE_PGM_RSRC2:TGID_X_EN: 1
; COMPUTE_PGM_RSRC2:TGID_Y_EN: 0
; COMPUTE_PGM_RSRC2:TGID_Z_EN: 0
; COMPUTE_PGM_RSRC2:TIDIG_COMP_CNT: 1
; COMPUTE_PGM_RSRC3_GFX90A:ACCUM_OFFSET: 13
; COMPUTE_PGM_RSRC3_GFX90A:TG_SPLIT: 0
	.section	.text._ZN12_GLOBAL__N_121softmax_warp_backwardIfffLi10ELb0ELb1ELi64EEEvPT0_PKT_S5_iiiPKb,"axG",@progbits,_ZN12_GLOBAL__N_121softmax_warp_backwardIfffLi10ELb0ELb1ELi64EEEvPT0_PKT_S5_iiiPKb,comdat
	.globl	_ZN12_GLOBAL__N_121softmax_warp_backwardIfffLi10ELb0ELb1ELi64EEEvPT0_PKT_S5_iiiPKb ; -- Begin function _ZN12_GLOBAL__N_121softmax_warp_backwardIfffLi10ELb0ELb1ELi64EEEvPT0_PKT_S5_iiiPKb
	.p2align	8
	.type	_ZN12_GLOBAL__N_121softmax_warp_backwardIfffLi10ELb0ELb1ELi64EEEvPT0_PKT_S5_iiiPKb,@function
_ZN12_GLOBAL__N_121softmax_warp_backwardIfffLi10ELb0ELb1ELi64EEEvPT0_PKT_S5_iiiPKb: ; @_ZN12_GLOBAL__N_121softmax_warp_backwardIfffLi10ELb0ELb1ELi64EEEvPT0_PKT_S5_iiiPKb
; %bb.0:
	s_load_dword s2, s[4:5], 0x3c
	s_load_dwordx4 s[36:39], s[4:5], 0x18
	s_load_dwordx4 s[68:71], s[4:5], 0x0
	s_load_dwordx2 s[0:1], s[4:5], 0x10
	v_bfe_u32 v1, v0, 10, 10
	s_waitcnt lgkmcnt(0)
	s_lshr_b32 s2, s2, 16
	s_mul_i32 s6, s6, s2
	v_and_b32_e32 v40, 0x3ff, v0
	v_add_u32_e32 v1, s6, v1
	v_and_b32_e32 v8, 63, v40
	v_mad_u64_u32 v[2:3], s[2:3], v1, s37, v[8:9]
	v_ashrrev_i32_e32 v3, 31, v2
	v_sub_u32_e32 v10, s36, v1
	v_lshlrev_b64 v[0:1], 2, v[2:3]
	v_mov_b32_e32 v5, s71
	v_add_co_u32_e32 v4, vcc, s70, v0
	v_addc_co_u32_e32 v5, vcc, v5, v1, vcc
	v_mov_b32_e32 v7, s1
	v_add_co_u32_e32 v6, vcc, s0, v0
	v_addc_co_u32_e32 v7, vcc, v7, v1, vcc
	v_cmp_lt_i32_e64 s[34:35], 0, v10
	v_cmp_gt_i32_e32 vcc, s38, v8
	s_and_b64 s[2:3], s[34:35], vcc
	v_mov_b32_e32 v9, 0
	v_mov_b32_e32 v11, 0
	;; [unrolled: 1-line block ×3, first 2 shown]
	s_and_saveexec_b64 s[0:1], s[2:3]
	s_cbranch_execz .LBB810_2
; %bb.1:
	global_load_dword v11, v[4:5], off
	global_load_dword v12, v[6:7], off
.LBB810_2:
	s_or_b64 exec, exec, s[0:1]
	v_or_b32_e32 v13, 64, v8
	v_cmp_gt_i32_e64 s[0:1], s38, v13
	s_and_b64 s[6:7], s[34:35], s[0:1]
	v_mov_b32_e32 v14, 0
	s_and_saveexec_b64 s[2:3], s[6:7]
	s_cbranch_execz .LBB810_4
; %bb.3:
	global_load_dword v9, v[4:5], off offset:256
	global_load_dword v14, v[6:7], off offset:256
.LBB810_4:
	s_or_b64 exec, exec, s[2:3]
	v_or_b32_e32 v13, 0x80, v8
	v_cmp_gt_i32_e64 s[2:3], s38, v13
	s_and_b64 s[8:9], s[34:35], s[2:3]
	v_mov_b32_e32 v13, 0
	v_mov_b32_e32 v15, 0
	v_mov_b32_e32 v16, 0
	s_and_saveexec_b64 s[6:7], s[8:9]
	s_cbranch_execz .LBB810_6
; %bb.5:
	global_load_dword v15, v[4:5], off offset:512
	global_load_dword v16, v[6:7], off offset:512
.LBB810_6:
	s_or_b64 exec, exec, s[6:7]
	v_or_b32_e32 v17, 0xc0, v8
	v_cmp_gt_i32_e64 s[30:31], s38, v17
	s_and_b64 s[8:9], s[34:35], s[30:31]
	v_mov_b32_e32 v18, 0
	s_and_saveexec_b64 s[6:7], s[8:9]
	s_cbranch_execz .LBB810_8
; %bb.7:
	global_load_dword v13, v[4:5], off offset:768
	global_load_dword v18, v[6:7], off offset:768
.LBB810_8:
	s_or_b64 exec, exec, s[6:7]
	v_or_b32_e32 v17, 0x100, v8
	v_cmp_gt_i32_e64 s[6:7], s38, v17
	s_and_b64 s[10:11], s[34:35], s[6:7]
	v_mov_b32_e32 v17, 0
	v_mov_b32_e32 v19, 0
	v_mov_b32_e32 v20, 0
	s_and_saveexec_b64 s[8:9], s[10:11]
	s_cbranch_execz .LBB810_10
; %bb.9:
	global_load_dword v19, v[4:5], off offset:1024
	global_load_dword v20, v[6:7], off offset:1024
.LBB810_10:
	;; [unrolled: 24-line block ×7, first 2 shown]
	s_or_b64 exec, exec, s[28:29]
	v_or_b32_e32 v40, 0x3c0, v40
	v_cmp_gt_i32_e64 s[28:29], s38, v40
	s_and_b64 s[36:37], s[34:35], s[28:29]
	v_mov_b32_e32 v40, 0
	s_and_saveexec_b64 s[34:35], s[36:37]
	s_cbranch_execz .LBB810_32
; %bb.31:
	global_load_dword v8, v[4:5], off offset:3840
	global_load_dword v40, v[6:7], off offset:3840
.LBB810_32:
	s_or_b64 exec, exec, s[34:35]
	s_load_dwordx2 s[4:5], s[4:5], 0x28
	v_mbcnt_lo_u32_b32 v52, -1, 0
	v_mbcnt_hi_u32_b32 v52, -1, v52
	v_and_b32_e32 v53, 64, v52
	v_xor_b32_e32 v54, 32, v52
	s_waitcnt lgkmcnt(0)
	v_mov_b32_e32 v4, s5
	v_add_co_u32_e64 v2, s[4:5], s4, v2
	v_addc_co_u32_e64 v3, s[4:5], v4, v3, s[4:5]
	global_load_ubyte v4, v[2:3], off
	global_load_ubyte v5, v[2:3], off offset:64
	global_load_ubyte v6, v[2:3], off offset:128
	;; [unrolled: 1-line block ×14, first 2 shown]
	s_nop 0
	global_load_ubyte v2, v[2:3], off offset:960
	s_waitcnt vmcnt(17)
	v_add_f32_e32 v3, 0, v11
	v_add_u32_e32 v53, 64, v53
	v_cmp_lt_i32_e64 s[4:5], v54, v53
	v_cndmask_b32_e64 v54, v52, v54, s[4:5]
	v_lshlrev_b32_e32 v54, 2, v54
	s_waitcnt vmcnt(15)
	v_and_b32_e32 v4, 1, v4
	v_cmp_eq_u32_e64 s[62:63], 1, v4
	s_waitcnt vmcnt(14)
	v_and_b32_e32 v5, 1, v5
	v_cndmask_b32_e64 v3, v3, 0, s[62:63]
	v_add_f32_e32 v4, v3, v9
	v_cmp_eq_u32_e64 s[60:61], 1, v5
	s_waitcnt vmcnt(13)
	v_and_b32_e32 v6, 1, v6
	v_cndmask_b32_e64 v3, v4, v3, s[60:61]
	v_add_f32_e32 v4, v3, v15
	;; [unrolled: 5-line block ×15, first 2 shown]
	v_cmp_eq_u32_e64 s[4:5], 1, v2
	v_cndmask_b32_e64 v2, v4, v3, s[4:5]
	ds_bpermute_b32 v3, v54, v2
	v_xor_b32_e32 v4, 16, v52
	v_cmp_lt_i32_e64 s[64:65], v4, v53
	v_cndmask_b32_e64 v4, v52, v4, s[64:65]
	v_lshlrev_b32_e32 v4, 2, v4
	s_waitcnt lgkmcnt(0)
	v_add_f32_e32 v2, v2, v3
	ds_bpermute_b32 v3, v4, v2
	v_xor_b32_e32 v4, 8, v52
	v_cmp_lt_i32_e64 s[64:65], v4, v53
	v_cndmask_b32_e64 v4, v52, v4, s[64:65]
	v_lshlrev_b32_e32 v4, 2, v4
	s_waitcnt lgkmcnt(0)
	v_add_f32_e32 v2, v2, v3
	;; [unrolled: 7-line block ×4, first 2 shown]
	ds_bpermute_b32 v3, v4, v2
	v_xor_b32_e32 v4, 1, v52
	v_cmp_lt_i32_e64 s[64:65], v4, v53
	v_cndmask_b32_e64 v4, v52, v4, s[64:65]
	v_cmp_lt_i32_e64 s[64:65], 0, v10
	s_waitcnt lgkmcnt(0)
	v_add_f32_e32 v2, v2, v3
	v_lshlrev_b32_e32 v3, 2, v4
	ds_bpermute_b32 v3, v3, v2
	s_and_saveexec_b64 s[66:67], s[64:65]
	s_cbranch_execz .LBB810_50
; %bb.33:
	s_waitcnt lgkmcnt(0)
	v_add_f32_e32 v2, v2, v3
	v_mov_b32_e32 v3, s69
	v_add_co_u32_e64 v0, s[64:65], s68, v0
	v_addc_co_u32_e64 v1, s[64:65], v3, v1, s[64:65]
	s_and_saveexec_b64 s[64:65], vcc
	s_cbranch_execnz .LBB810_51
; %bb.34:
	s_or_b64 exec, exec, s[64:65]
	s_and_saveexec_b64 s[62:63], s[0:1]
	s_cbranch_execnz .LBB810_52
.LBB810_35:
	s_or_b64 exec, exec, s[62:63]
	s_and_saveexec_b64 s[0:1], s[2:3]
	s_cbranch_execnz .LBB810_53
.LBB810_36:
	s_or_b64 exec, exec, s[0:1]
	s_and_saveexec_b64 s[0:1], s[30:31]
	s_cbranch_execnz .LBB810_54
.LBB810_37:
	s_or_b64 exec, exec, s[0:1]
	s_and_saveexec_b64 s[0:1], s[6:7]
	s_cbranch_execnz .LBB810_55
.LBB810_38:
	s_or_b64 exec, exec, s[0:1]
	s_and_saveexec_b64 s[0:1], s[8:9]
	s_cbranch_execnz .LBB810_56
.LBB810_39:
	s_or_b64 exec, exec, s[0:1]
	s_and_saveexec_b64 s[0:1], s[10:11]
	s_cbranch_execnz .LBB810_57
.LBB810_40:
	s_or_b64 exec, exec, s[0:1]
	s_and_saveexec_b64 s[0:1], s[12:13]
	s_cbranch_execnz .LBB810_58
.LBB810_41:
	s_or_b64 exec, exec, s[0:1]
	s_and_saveexec_b64 s[0:1], s[14:15]
	s_cbranch_execnz .LBB810_59
.LBB810_42:
	s_or_b64 exec, exec, s[0:1]
	s_and_saveexec_b64 s[0:1], s[16:17]
	s_cbranch_execnz .LBB810_60
.LBB810_43:
	s_or_b64 exec, exec, s[0:1]
	s_and_saveexec_b64 s[0:1], s[18:19]
	s_cbranch_execnz .LBB810_61
.LBB810_44:
	s_or_b64 exec, exec, s[0:1]
	s_and_saveexec_b64 s[0:1], s[20:21]
	s_cbranch_execnz .LBB810_62
.LBB810_45:
	s_or_b64 exec, exec, s[0:1]
	s_and_saveexec_b64 s[0:1], s[22:23]
	s_cbranch_execnz .LBB810_63
.LBB810_46:
	s_or_b64 exec, exec, s[0:1]
	s_and_saveexec_b64 s[0:1], s[24:25]
	s_cbranch_execnz .LBB810_64
.LBB810_47:
	s_or_b64 exec, exec, s[0:1]
	s_and_saveexec_b64 s[0:1], s[26:27]
	s_cbranch_execnz .LBB810_65
.LBB810_48:
	s_or_b64 exec, exec, s[0:1]
	s_and_b64 exec, exec, s[28:29]
	s_cbranch_execz .LBB810_50
.LBB810_49:
	v_fma_f32 v2, -v2, v40, v8
	v_cndmask_b32_e64 v2, v2, 0, s[4:5]
	global_store_dword v[0:1], v2, off offset:3840
.LBB810_50:
	s_endpgm
.LBB810_51:
	v_fma_f32 v3, -v2, v12, v11
	v_cndmask_b32_e64 v3, v3, 0, s[62:63]
	global_store_dword v[0:1], v3, off
	s_or_b64 exec, exec, s[64:65]
	s_and_saveexec_b64 s[62:63], s[0:1]
	s_cbranch_execz .LBB810_35
.LBB810_52:
	v_fma_f32 v3, -v2, v14, v9
	v_cndmask_b32_e64 v3, v3, 0, s[60:61]
	global_store_dword v[0:1], v3, off offset:256
	s_or_b64 exec, exec, s[62:63]
	s_and_saveexec_b64 s[0:1], s[2:3]
	s_cbranch_execz .LBB810_36
.LBB810_53:
	v_fma_f32 v3, -v2, v16, v15
	v_cndmask_b32_e64 v3, v3, 0, s[58:59]
	global_store_dword v[0:1], v3, off offset:512
	s_or_b64 exec, exec, s[0:1]
	s_and_saveexec_b64 s[0:1], s[30:31]
	s_cbranch_execz .LBB810_37
.LBB810_54:
	v_fma_f32 v3, -v2, v18, v13
	v_cndmask_b32_e64 v3, v3, 0, s[56:57]
	global_store_dword v[0:1], v3, off offset:768
	s_or_b64 exec, exec, s[0:1]
	s_and_saveexec_b64 s[0:1], s[6:7]
	s_cbranch_execz .LBB810_38
.LBB810_55:
	v_fma_f32 v3, -v2, v20, v19
	v_cndmask_b32_e64 v3, v3, 0, s[54:55]
	global_store_dword v[0:1], v3, off offset:1024
	s_or_b64 exec, exec, s[0:1]
	s_and_saveexec_b64 s[0:1], s[8:9]
	s_cbranch_execz .LBB810_39
.LBB810_56:
	v_fma_f32 v3, -v2, v22, v17
	v_cndmask_b32_e64 v3, v3, 0, s[52:53]
	global_store_dword v[0:1], v3, off offset:1280
	s_or_b64 exec, exec, s[0:1]
	s_and_saveexec_b64 s[0:1], s[10:11]
	s_cbranch_execz .LBB810_40
.LBB810_57:
	v_fma_f32 v3, -v2, v24, v23
	v_cndmask_b32_e64 v3, v3, 0, s[50:51]
	global_store_dword v[0:1], v3, off offset:1536
	s_or_b64 exec, exec, s[0:1]
	s_and_saveexec_b64 s[0:1], s[12:13]
	s_cbranch_execz .LBB810_41
.LBB810_58:
	v_fma_f32 v3, -v2, v26, v21
	v_cndmask_b32_e64 v3, v3, 0, s[48:49]
	global_store_dword v[0:1], v3, off offset:1792
	s_or_b64 exec, exec, s[0:1]
	s_and_saveexec_b64 s[0:1], s[14:15]
	s_cbranch_execz .LBB810_42
.LBB810_59:
	v_fma_f32 v3, -v2, v28, v27
	v_cndmask_b32_e64 v3, v3, 0, s[46:47]
	global_store_dword v[0:1], v3, off offset:2048
	s_or_b64 exec, exec, s[0:1]
	s_and_saveexec_b64 s[0:1], s[16:17]
	s_cbranch_execz .LBB810_43
.LBB810_60:
	v_fma_f32 v3, -v2, v30, v25
	v_cndmask_b32_e64 v3, v3, 0, s[44:45]
	global_store_dword v[0:1], v3, off offset:2304
	s_or_b64 exec, exec, s[0:1]
	s_and_saveexec_b64 s[0:1], s[18:19]
	s_cbranch_execz .LBB810_44
.LBB810_61:
	v_fma_f32 v3, -v2, v32, v31
	v_cndmask_b32_e64 v3, v3, 0, s[42:43]
	global_store_dword v[0:1], v3, off offset:2560
	s_or_b64 exec, exec, s[0:1]
	s_and_saveexec_b64 s[0:1], s[20:21]
	s_cbranch_execz .LBB810_45
.LBB810_62:
	v_fma_f32 v3, -v2, v34, v29
	v_cndmask_b32_e64 v3, v3, 0, s[40:41]
	global_store_dword v[0:1], v3, off offset:2816
	s_or_b64 exec, exec, s[0:1]
	s_and_saveexec_b64 s[0:1], s[22:23]
	s_cbranch_execz .LBB810_46
.LBB810_63:
	v_fma_f32 v3, -v2, v36, v35
	v_cndmask_b32_e64 v3, v3, 0, s[38:39]
	global_store_dword v[0:1], v3, off offset:3072
	s_or_b64 exec, exec, s[0:1]
	s_and_saveexec_b64 s[0:1], s[24:25]
	s_cbranch_execz .LBB810_47
.LBB810_64:
	v_fma_f32 v3, -v2, v37, v33
	v_cndmask_b32_e64 v3, v3, 0, s[36:37]
	global_store_dword v[0:1], v3, off offset:3328
	s_or_b64 exec, exec, s[0:1]
	s_and_saveexec_b64 s[0:1], s[26:27]
	s_cbranch_execz .LBB810_48
.LBB810_65:
	v_fma_f32 v3, -v2, v39, v38
	v_cndmask_b32_e64 v3, v3, 0, s[34:35]
	global_store_dword v[0:1], v3, off offset:3584
	s_or_b64 exec, exec, s[0:1]
	s_and_b64 exec, exec, s[28:29]
	s_cbranch_execnz .LBB810_49
	s_branch .LBB810_50
	.section	.rodata,"a",@progbits
	.p2align	6, 0x0
	.amdhsa_kernel _ZN12_GLOBAL__N_121softmax_warp_backwardIfffLi10ELb0ELb1ELi64EEEvPT0_PKT_S5_iiiPKb
		.amdhsa_group_segment_fixed_size 0
		.amdhsa_private_segment_fixed_size 0
		.amdhsa_kernarg_size 304
		.amdhsa_user_sgpr_count 6
		.amdhsa_user_sgpr_private_segment_buffer 1
		.amdhsa_user_sgpr_dispatch_ptr 0
		.amdhsa_user_sgpr_queue_ptr 0
		.amdhsa_user_sgpr_kernarg_segment_ptr 1
		.amdhsa_user_sgpr_dispatch_id 0
		.amdhsa_user_sgpr_flat_scratch_init 0
		.amdhsa_user_sgpr_kernarg_preload_length 0
		.amdhsa_user_sgpr_kernarg_preload_offset 0
		.amdhsa_user_sgpr_private_segment_size 0
		.amdhsa_uses_dynamic_stack 0
		.amdhsa_system_sgpr_private_segment_wavefront_offset 0
		.amdhsa_system_sgpr_workgroup_id_x 1
		.amdhsa_system_sgpr_workgroup_id_y 0
		.amdhsa_system_sgpr_workgroup_id_z 0
		.amdhsa_system_sgpr_workgroup_info 0
		.amdhsa_system_vgpr_workitem_id 1
		.amdhsa_next_free_vgpr 55
		.amdhsa_next_free_sgpr 72
		.amdhsa_accum_offset 56
		.amdhsa_reserve_vcc 1
		.amdhsa_reserve_flat_scratch 0
		.amdhsa_float_round_mode_32 0
		.amdhsa_float_round_mode_16_64 0
		.amdhsa_float_denorm_mode_32 3
		.amdhsa_float_denorm_mode_16_64 3
		.amdhsa_dx10_clamp 1
		.amdhsa_ieee_mode 1
		.amdhsa_fp16_overflow 0
		.amdhsa_tg_split 0
		.amdhsa_exception_fp_ieee_invalid_op 0
		.amdhsa_exception_fp_denorm_src 0
		.amdhsa_exception_fp_ieee_div_zero 0
		.amdhsa_exception_fp_ieee_overflow 0
		.amdhsa_exception_fp_ieee_underflow 0
		.amdhsa_exception_fp_ieee_inexact 0
		.amdhsa_exception_int_div_zero 0
	.end_amdhsa_kernel
	.section	.text._ZN12_GLOBAL__N_121softmax_warp_backwardIfffLi10ELb0ELb1ELi64EEEvPT0_PKT_S5_iiiPKb,"axG",@progbits,_ZN12_GLOBAL__N_121softmax_warp_backwardIfffLi10ELb0ELb1ELi64EEEvPT0_PKT_S5_iiiPKb,comdat
.Lfunc_end810:
	.size	_ZN12_GLOBAL__N_121softmax_warp_backwardIfffLi10ELb0ELb1ELi64EEEvPT0_PKT_S5_iiiPKb, .Lfunc_end810-_ZN12_GLOBAL__N_121softmax_warp_backwardIfffLi10ELb0ELb1ELi64EEEvPT0_PKT_S5_iiiPKb
                                        ; -- End function
	.section	.AMDGPU.csdata,"",@progbits
; Kernel info:
; codeLenInByte = 2680
; NumSgprs: 76
; NumVgprs: 55
; NumAgprs: 0
; TotalNumVgprs: 55
; ScratchSize: 0
; MemoryBound: 0
; FloatMode: 240
; IeeeMode: 1
; LDSByteSize: 0 bytes/workgroup (compile time only)
; SGPRBlocks: 9
; VGPRBlocks: 6
; NumSGPRsForWavesPerEU: 76
; NumVGPRsForWavesPerEU: 55
; AccumOffset: 56
; Occupancy: 8
; WaveLimiterHint : 0
; COMPUTE_PGM_RSRC2:SCRATCH_EN: 0
; COMPUTE_PGM_RSRC2:USER_SGPR: 6
; COMPUTE_PGM_RSRC2:TRAP_HANDLER: 0
; COMPUTE_PGM_RSRC2:TGID_X_EN: 1
; COMPUTE_PGM_RSRC2:TGID_Y_EN: 0
; COMPUTE_PGM_RSRC2:TGID_Z_EN: 0
; COMPUTE_PGM_RSRC2:TIDIG_COMP_CNT: 1
; COMPUTE_PGM_RSRC3_GFX90A:ACCUM_OFFSET: 13
; COMPUTE_PGM_RSRC3_GFX90A:TG_SPLIT: 0
	.section	.text._ZN12_GLOBAL__N_121softmax_warp_backwardIfffLi10ELb0ELb1ELi32EEEvPT0_PKT_S5_iiiPKb,"axG",@progbits,_ZN12_GLOBAL__N_121softmax_warp_backwardIfffLi10ELb0ELb1ELi32EEEvPT0_PKT_S5_iiiPKb,comdat
	.globl	_ZN12_GLOBAL__N_121softmax_warp_backwardIfffLi10ELb0ELb1ELi32EEEvPT0_PKT_S5_iiiPKb ; -- Begin function _ZN12_GLOBAL__N_121softmax_warp_backwardIfffLi10ELb0ELb1ELi32EEEvPT0_PKT_S5_iiiPKb
	.p2align	8
	.type	_ZN12_GLOBAL__N_121softmax_warp_backwardIfffLi10ELb0ELb1ELi32EEEvPT0_PKT_S5_iiiPKb,@function
_ZN12_GLOBAL__N_121softmax_warp_backwardIfffLi10ELb0ELb1ELi32EEEvPT0_PKT_S5_iiiPKb: ; @_ZN12_GLOBAL__N_121softmax_warp_backwardIfffLi10ELb0ELb1ELi32EEEvPT0_PKT_S5_iiiPKb
; %bb.0:
	s_load_dword s7, s[4:5], 0x3c
	s_load_dwordx4 s[0:3], s[4:5], 0x18
	s_load_dwordx4 s[12:15], s[4:5], 0x0
	s_load_dwordx2 s[8:9], s[4:5], 0x10
	v_bfe_u32 v1, v0, 10, 10
	s_waitcnt lgkmcnt(0)
	s_lshr_b32 s3, s7, 16
	s_mul_i32 s6, s6, s3
	v_and_b32_e32 v72, 0x3ff, v0
	v_add_u32_e32 v1, s6, v1
	v_and_b32_e32 v8, 31, v72
	v_sub_u32_e32 v10, s0, v1
	v_mad_u64_u32 v[2:3], s[0:1], v1, s1, v[8:9]
	v_ashrrev_i32_e32 v3, 31, v2
	v_lshlrev_b64 v[0:1], 2, v[2:3]
	v_mov_b32_e32 v5, s15
	v_add_co_u32_e32 v4, vcc, s14, v0
	v_addc_co_u32_e32 v5, vcc, v5, v1, vcc
	s_mov_b64 s[0:1], s[12:13]
                                        ; implicit-def: $vgpr73 : SGPR spill to VGPR lane
	v_mov_b32_e32 v7, s9
	v_add_co_u32_e32 v6, vcc, s8, v0
	v_writelane_b32 v73, s0, 0
	v_addc_co_u32_e32 v7, vcc, v7, v1, vcc
	v_writelane_b32 v73, s1, 1
	v_cmp_lt_i32_e32 vcc, 0, v10
	v_cmp_gt_i32_e64 s[36:37], s2, v8
	v_writelane_b32 v73, s2, 2
	s_and_b64 s[6:7], vcc, s[36:37]
	v_mov_b32_e32 v9, 0
	v_mov_b32_e32 v11, 0
	v_mov_b32_e32 v12, 0
	v_writelane_b32 v73, s3, 3
	s_and_saveexec_b64 s[0:1], s[6:7]
	s_cbranch_execz .LBB811_2
; %bb.1:
	global_load_dword v11, v[4:5], off
	global_load_dword v12, v[6:7], off
.LBB811_2:
	s_or_b64 exec, exec, s[0:1]
	v_or_b32_e32 v13, 32, v8
	v_cmp_gt_i32_e64 s[40:41], s2, v13
	s_and_b64 s[6:7], vcc, s[40:41]
	v_mov_b32_e32 v14, 0
	s_and_saveexec_b64 s[0:1], s[6:7]
	s_cbranch_execz .LBB811_4
; %bb.3:
	global_load_dword v9, v[4:5], off offset:128
	global_load_dword v14, v[6:7], off offset:128
.LBB811_4:
	s_or_b64 exec, exec, s[0:1]
	v_or_b32_e32 v13, 64, v8
	v_cmp_gt_i32_e64 s[0:1], s2, v13
	v_writelane_b32 v73, s0, 4
	s_and_b64 s[6:7], vcc, s[0:1]
	v_mov_b32_e32 v13, 0
	v_mov_b32_e32 v15, 0
	v_mov_b32_e32 v16, 0
	v_writelane_b32 v73, s1, 5
	s_and_saveexec_b64 s[0:1], s[6:7]
	s_cbranch_execz .LBB811_6
; %bb.5:
	global_load_dword v15, v[4:5], off offset:256
	global_load_dword v16, v[6:7], off offset:256
.LBB811_6:
	s_or_b64 exec, exec, s[0:1]
	v_or_b32_e32 v17, 0x60, v8
	v_cmp_gt_i32_e64 s[0:1], s2, v17
	v_writelane_b32 v73, s0, 6
	s_and_b64 s[6:7], vcc, s[0:1]
	v_mov_b32_e32 v18, 0
	v_writelane_b32 v73, s1, 7
	s_and_saveexec_b64 s[0:1], s[6:7]
	s_cbranch_execz .LBB811_8
; %bb.7:
	global_load_dword v13, v[4:5], off offset:384
	global_load_dword v18, v[6:7], off offset:384
.LBB811_8:
	s_or_b64 exec, exec, s[0:1]
	v_or_b32_e32 v17, 0x80, v8
	v_cmp_gt_i32_e64 s[0:1], s2, v17
	v_writelane_b32 v73, s0, 8
	s_and_b64 s[6:7], vcc, s[0:1]
	v_mov_b32_e32 v17, 0
	v_mov_b32_e32 v19, 0
	v_mov_b32_e32 v20, 0
	v_writelane_b32 v73, s1, 9
	s_and_saveexec_b64 s[0:1], s[6:7]
	s_cbranch_execz .LBB811_10
; %bb.9:
	global_load_dword v19, v[4:5], off offset:512
	global_load_dword v20, v[6:7], off offset:512
.LBB811_10:
	s_or_b64 exec, exec, s[0:1]
	v_or_b32_e32 v21, 0xa0, v8
	v_cmp_gt_i32_e64 s[0:1], s2, v21
	v_writelane_b32 v73, s0, 10
	s_and_b64 s[6:7], vcc, s[0:1]
	v_mov_b32_e32 v22, 0
	v_writelane_b32 v73, s1, 11
	;; [unrolled: 28-line block ×9, first 2 shown]
	s_and_saveexec_b64 s[0:1], s[6:7]
	s_cbranch_execz .LBB811_40
; %bb.39:
	global_load_dword v45, v[4:5], off offset:2432
	global_load_dword v50, v[6:7], off offset:2432
.LBB811_40:
	s_or_b64 exec, exec, s[0:1]
	v_or_b32_e32 v49, 0x280, v8
	v_cmp_gt_i32_e64 s[0:1], s2, v49
	v_writelane_b32 v73, s0, 40
	s_and_b64 s[6:7], vcc, s[0:1]
	v_mov_b32_e32 v49, 0
	v_mov_b32_e32 v51, 0
	;; [unrolled: 1-line block ×3, first 2 shown]
	v_writelane_b32 v73, s1, 41
	s_and_saveexec_b64 s[0:1], s[6:7]
	s_cbranch_execz .LBB811_42
; %bb.41:
	global_load_dword v51, v[4:5], off offset:2560
	global_load_dword v52, v[6:7], off offset:2560
.LBB811_42:
	s_or_b64 exec, exec, s[0:1]
	v_or_b32_e32 v53, 0x2a0, v8
	v_cmp_gt_i32_e64 s[42:43], s2, v53
	s_and_b64 s[6:7], vcc, s[42:43]
	v_mov_b32_e32 v54, 0
	s_and_saveexec_b64 s[0:1], s[6:7]
	s_cbranch_execz .LBB811_44
; %bb.43:
	global_load_dword v49, v[4:5], off offset:2688
	global_load_dword v54, v[6:7], off offset:2688
.LBB811_44:
	s_or_b64 exec, exec, s[0:1]
	v_or_b32_e32 v53, 0x2c0, v8
	v_cmp_gt_i32_e64 s[44:45], s2, v53
	s_and_b64 s[6:7], vcc, s[44:45]
	v_mov_b32_e32 v53, 0
	v_mov_b32_e32 v55, 0
	v_mov_b32_e32 v56, 0
	s_and_saveexec_b64 s[0:1], s[6:7]
	s_cbranch_execz .LBB811_46
; %bb.45:
	global_load_dword v55, v[4:5], off offset:2816
	global_load_dword v56, v[6:7], off offset:2816
.LBB811_46:
	s_or_b64 exec, exec, s[0:1]
	v_or_b32_e32 v57, 0x2e0, v8
	v_cmp_gt_i32_e64 s[46:47], s2, v57
	s_and_b64 s[6:7], vcc, s[46:47]
	v_mov_b32_e32 v58, 0
	s_and_saveexec_b64 s[0:1], s[6:7]
	s_cbranch_execz .LBB811_48
; %bb.47:
	global_load_dword v53, v[4:5], off offset:2944
	global_load_dword v58, v[6:7], off offset:2944
.LBB811_48:
	s_or_b64 exec, exec, s[0:1]
	v_or_b32_e32 v57, 0x300, v8
	v_cmp_gt_i32_e64 s[48:49], s2, v57
	s_and_b64 s[6:7], vcc, s[48:49]
	v_mov_b32_e32 v57, 0
	v_mov_b32_e32 v59, 0
	v_mov_b32_e32 v60, 0
	;; [unrolled: 24-line block ×5, first 2 shown]
	s_and_saveexec_b64 s[0:1], s[6:7]
	s_cbranch_execz .LBB811_62
; %bb.61:
	global_load_dword v70, v[4:5], off offset:3840
	global_load_dword v71, v[6:7], off offset:3840
.LBB811_62:
	s_or_b64 exec, exec, s[0:1]
	v_or_b32_e32 v72, 0x3e0, v72
	v_cmp_gt_i32_e64 s[62:63], s2, v72
	s_and_b64 s[2:3], vcc, s[62:63]
	v_mov_b32_e32 v72, 0
	s_and_saveexec_b64 s[0:1], s[2:3]
	s_cbranch_execz .LBB811_64
; %bb.63:
	global_load_dword v8, v[4:5], off offset:3968
	global_load_dword v72, v[6:7], off offset:3968
.LBB811_64:
	s_or_b64 exec, exec, s[0:1]
	s_load_dwordx2 s[0:1], s[4:5], 0x28
	s_waitcnt lgkmcnt(0)
	v_add_co_u32_e32 v2, vcc, s0, v2
	v_mov_b32_e32 v4, s1
	v_addc_co_u32_e32 v3, vcc, v4, v3, vcc
	global_load_ubyte v4, v[2:3], off
	global_load_ubyte v5, v[2:3], off offset:32
	s_waitcnt vmcnt(1)
	v_and_b32_e32 v4, 1, v4
	v_cmp_eq_u32_e64 s[64:65], 1, v4
	v_add_f32_e32 v4, 0, v11
	v_cndmask_b32_e64 v4, v4, 0, s[64:65]
	s_waitcnt vmcnt(0)
	v_and_b32_e32 v5, 1, v5
	v_cmp_eq_u32_e64 s[66:67], 1, v5
	v_add_f32_e32 v5, v4, v9
	v_cndmask_b32_e64 v4, v5, v4, s[66:67]
	global_load_ubyte v5, v[2:3], off offset:64
	s_waitcnt vmcnt(0)
	v_and_b32_e32 v5, 1, v5
	v_cmp_eq_u32_e64 s[68:69], 1, v5
	v_add_f32_e32 v5, v4, v15
	v_cndmask_b32_e64 v4, v5, v4, s[68:69]
	global_load_ubyte v5, v[2:3], off offset:96
	;; [unrolled: 6-line block ×29, first 2 shown]
	s_waitcnt vmcnt(0)
	v_and_b32_e32 v5, 1, v5
	global_load_ubyte v2, v[2:3], off offset:992
	v_cmp_eq_u32_e64 s[28:29], 1, v5
	v_add_f32_e32 v5, v4, v70
	v_cndmask_b32_e64 v4, v5, v4, s[28:29]
	v_mbcnt_lo_u32_b32 v3, -1, 0
	v_mbcnt_hi_u32_b32 v3, -1, v3
	v_xor_b32_e32 v5, 16, v3
	s_waitcnt vmcnt(0)
	v_and_b32_e32 v2, 1, v2
	v_cmp_eq_u32_e64 s[30:31], 1, v2
	v_add_f32_e32 v2, v4, v8
	v_cndmask_b32_e64 v2, v2, v4, s[30:31]
	v_and_b32_e32 v4, 0x60, v3
	v_add_u32_e32 v4, 32, v4
	v_cmp_lt_i32_e32 vcc, v5, v4
	v_cndmask_b32_e32 v5, v3, v5, vcc
	v_lshlrev_b32_e32 v5, 2, v5
	ds_bpermute_b32 v5, v5, v2
	s_waitcnt lgkmcnt(0)
	v_add_f32_e32 v2, v2, v5
	v_xor_b32_e32 v5, 8, v3
	v_cmp_lt_i32_e32 vcc, v5, v4
	v_cndmask_b32_e32 v5, v3, v5, vcc
	v_lshlrev_b32_e32 v5, 2, v5
	ds_bpermute_b32 v5, v5, v2
	s_waitcnt lgkmcnt(0)
	v_add_f32_e32 v2, v2, v5
	v_xor_b32_e32 v5, 4, v3
	;; [unrolled: 7-line block ×4, first 2 shown]
	v_cmp_lt_i32_e32 vcc, v5, v4
	v_cndmask_b32_e32 v3, v3, v5, vcc
	v_lshlrev_b32_e32 v3, 2, v3
	ds_bpermute_b32 v3, v3, v2
	v_cmp_lt_i32_e32 vcc, 0, v10
	s_and_saveexec_b64 s[34:35], vcc
	s_cbranch_execz .LBB811_118
; %bb.65:
	s_mov_b64 s[34:35], s[36:37]
	v_readlane_b32 s36, v73, 0
	v_readlane_b32 s37, v73, 1
	s_waitcnt lgkmcnt(0)
	v_add_f32_e32 v2, v2, v3
	v_mov_b32_e32 v3, s37
	v_add_co_u32_e32 v0, vcc, s36, v0
	v_addc_co_u32_e32 v1, vcc, v3, v1, vcc
	v_readlane_b32 s38, v73, 2
	v_readlane_b32 s39, v73, 3
	s_and_saveexec_b64 vcc, s[34:35]
	s_cbranch_execz .LBB811_67
; %bb.66:
	v_fma_f32 v3, -v2, v12, v11
	v_cndmask_b32_e64 v3, v3, 0, s[64:65]
	global_store_dword v[0:1], v3, off
.LBB811_67:
	s_or_b64 exec, exec, vcc
	s_and_saveexec_b64 s[64:65], s[40:41]
	s_cbranch_execz .LBB811_69
; %bb.68:
	v_fma_f32 v3, -v2, v14, v9
	v_cndmask_b32_e64 v3, v3, 0, s[66:67]
	global_store_dword v[0:1], v3, off offset:128
.LBB811_69:
	s_or_b64 exec, exec, s[64:65]
	s_mov_b64 s[64:65], exec
	v_readlane_b32 s34, v73, 4
	v_readlane_b32 s35, v73, 5
	s_and_b64 s[34:35], s[64:65], s[34:35]
	s_mov_b64 exec, s[34:35]
	s_cbranch_execz .LBB811_71
; %bb.70:
	v_fma_f32 v3, -v2, v16, v15
	v_cndmask_b32_e64 v3, v3, 0, s[68:69]
	global_store_dword v[0:1], v3, off offset:256
.LBB811_71:
	s_or_b64 exec, exec, s[64:65]
	s_mov_b64 s[64:65], exec
	v_readlane_b32 s34, v73, 6
	v_readlane_b32 s35, v73, 7
	s_and_b64 s[34:35], s[64:65], s[34:35]
	s_mov_b64 exec, s[34:35]
	;; [unrolled: 12-line block ×19, first 2 shown]
	s_cbranch_execnz .LBB811_119
; %bb.106:
	s_or_b64 exec, exec, s[0:1]
	s_and_saveexec_b64 s[0:1], s[42:43]
	s_cbranch_execnz .LBB811_120
.LBB811_107:
	s_or_b64 exec, exec, s[0:1]
	s_and_saveexec_b64 s[0:1], s[44:45]
	s_cbranch_execnz .LBB811_121
.LBB811_108:
	s_or_b64 exec, exec, s[0:1]
	s_and_saveexec_b64 s[0:1], s[46:47]
	s_cbranch_execnz .LBB811_122
.LBB811_109:
	s_or_b64 exec, exec, s[0:1]
	s_and_saveexec_b64 s[0:1], s[48:49]
	s_cbranch_execnz .LBB811_123
.LBB811_110:
	s_or_b64 exec, exec, s[0:1]
	s_and_saveexec_b64 s[0:1], s[50:51]
	s_cbranch_execnz .LBB811_124
.LBB811_111:
	s_or_b64 exec, exec, s[0:1]
	s_and_saveexec_b64 s[0:1], s[52:53]
	s_cbranch_execnz .LBB811_125
.LBB811_112:
	s_or_b64 exec, exec, s[0:1]
	s_and_saveexec_b64 s[0:1], s[54:55]
	s_cbranch_execnz .LBB811_126
.LBB811_113:
	s_or_b64 exec, exec, s[0:1]
	s_and_saveexec_b64 s[0:1], s[56:57]
	s_cbranch_execnz .LBB811_127
.LBB811_114:
	s_or_b64 exec, exec, s[0:1]
	s_and_saveexec_b64 s[0:1], s[58:59]
	s_cbranch_execnz .LBB811_128
.LBB811_115:
	s_or_b64 exec, exec, s[0:1]
	s_and_saveexec_b64 s[0:1], s[60:61]
	s_cbranch_execnz .LBB811_129
.LBB811_116:
	s_or_b64 exec, exec, s[0:1]
	s_and_b64 exec, exec, s[62:63]
	s_cbranch_execz .LBB811_118
.LBB811_117:
	v_fma_f32 v2, -v2, v72, v8
	v_cndmask_b32_e64 v2, v2, 0, s[30:31]
	global_store_dword v[0:1], v2, off offset:3968
.LBB811_118:
	s_endpgm
.LBB811_119:
	v_fma_f32 v3, -v2, v52, v51
	v_cndmask_b32_e64 v3, v3, 0, s[8:9]
	global_store_dword v[0:1], v3, off offset:2560
	s_or_b64 exec, exec, s[0:1]
	s_and_saveexec_b64 s[0:1], s[42:43]
	s_cbranch_execz .LBB811_107
.LBB811_120:
	v_fma_f32 v3, -v2, v54, v49
	v_cndmask_b32_e64 v3, v3, 0, s[10:11]
	global_store_dword v[0:1], v3, off offset:2688
	s_or_b64 exec, exec, s[0:1]
	s_and_saveexec_b64 s[0:1], s[44:45]
	s_cbranch_execz .LBB811_108
.LBB811_121:
	v_fma_f32 v3, -v2, v56, v55
	v_cndmask_b32_e64 v3, v3, 0, s[12:13]
	global_store_dword v[0:1], v3, off offset:2816
	s_or_b64 exec, exec, s[0:1]
	s_and_saveexec_b64 s[0:1], s[46:47]
	s_cbranch_execz .LBB811_109
.LBB811_122:
	v_fma_f32 v3, -v2, v58, v53
	v_cndmask_b32_e64 v3, v3, 0, s[14:15]
	global_store_dword v[0:1], v3, off offset:2944
	s_or_b64 exec, exec, s[0:1]
	s_and_saveexec_b64 s[0:1], s[48:49]
	s_cbranch_execz .LBB811_110
.LBB811_123:
	v_fma_f32 v3, -v2, v60, v59
	v_cndmask_b32_e64 v3, v3, 0, s[16:17]
	global_store_dword v[0:1], v3, off offset:3072
	s_or_b64 exec, exec, s[0:1]
	s_and_saveexec_b64 s[0:1], s[50:51]
	s_cbranch_execz .LBB811_111
.LBB811_124:
	v_fma_f32 v3, -v2, v62, v57
	v_cndmask_b32_e64 v3, v3, 0, s[18:19]
	global_store_dword v[0:1], v3, off offset:3200
	s_or_b64 exec, exec, s[0:1]
	s_and_saveexec_b64 s[0:1], s[52:53]
	s_cbranch_execz .LBB811_112
.LBB811_125:
	v_fma_f32 v3, -v2, v64, v63
	v_cndmask_b32_e64 v3, v3, 0, s[20:21]
	global_store_dword v[0:1], v3, off offset:3328
	s_or_b64 exec, exec, s[0:1]
	s_and_saveexec_b64 s[0:1], s[54:55]
	s_cbranch_execz .LBB811_113
.LBB811_126:
	v_fma_f32 v3, -v2, v66, v61
	v_cndmask_b32_e64 v3, v3, 0, s[22:23]
	global_store_dword v[0:1], v3, off offset:3456
	s_or_b64 exec, exec, s[0:1]
	s_and_saveexec_b64 s[0:1], s[56:57]
	s_cbranch_execz .LBB811_114
.LBB811_127:
	v_fma_f32 v3, -v2, v68, v67
	v_cndmask_b32_e64 v3, v3, 0, s[24:25]
	global_store_dword v[0:1], v3, off offset:3584
	s_or_b64 exec, exec, s[0:1]
	s_and_saveexec_b64 s[0:1], s[58:59]
	s_cbranch_execz .LBB811_115
.LBB811_128:
	v_fma_f32 v3, -v2, v69, v65
	v_cndmask_b32_e64 v3, v3, 0, s[26:27]
	global_store_dword v[0:1], v3, off offset:3712
	s_or_b64 exec, exec, s[0:1]
	s_and_saveexec_b64 s[0:1], s[60:61]
	s_cbranch_execz .LBB811_116
.LBB811_129:
	v_fma_f32 v3, -v2, v71, v70
	v_cndmask_b32_e64 v3, v3, 0, s[28:29]
	global_store_dword v[0:1], v3, off offset:3840
	s_or_b64 exec, exec, s[0:1]
	s_and_b64 exec, exec, s[62:63]
	s_cbranch_execnz .LBB811_117
	s_branch .LBB811_118
	.section	.rodata,"a",@progbits
	.p2align	6, 0x0
	.amdhsa_kernel _ZN12_GLOBAL__N_121softmax_warp_backwardIfffLi10ELb0ELb1ELi32EEEvPT0_PKT_S5_iiiPKb
		.amdhsa_group_segment_fixed_size 0
		.amdhsa_private_segment_fixed_size 0
		.amdhsa_kernarg_size 304
		.amdhsa_user_sgpr_count 6
		.amdhsa_user_sgpr_private_segment_buffer 1
		.amdhsa_user_sgpr_dispatch_ptr 0
		.amdhsa_user_sgpr_queue_ptr 0
		.amdhsa_user_sgpr_kernarg_segment_ptr 1
		.amdhsa_user_sgpr_dispatch_id 0
		.amdhsa_user_sgpr_flat_scratch_init 0
		.amdhsa_user_sgpr_kernarg_preload_length 0
		.amdhsa_user_sgpr_kernarg_preload_offset 0
		.amdhsa_user_sgpr_private_segment_size 0
		.amdhsa_uses_dynamic_stack 0
		.amdhsa_system_sgpr_private_segment_wavefront_offset 0
		.amdhsa_system_sgpr_workgroup_id_x 1
		.amdhsa_system_sgpr_workgroup_id_y 0
		.amdhsa_system_sgpr_workgroup_id_z 0
		.amdhsa_system_sgpr_workgroup_info 0
		.amdhsa_system_vgpr_workitem_id 1
		.amdhsa_next_free_vgpr 74
		.amdhsa_next_free_sgpr 96
		.amdhsa_accum_offset 76
		.amdhsa_reserve_vcc 1
		.amdhsa_reserve_flat_scratch 0
		.amdhsa_float_round_mode_32 0
		.amdhsa_float_round_mode_16_64 0
		.amdhsa_float_denorm_mode_32 3
		.amdhsa_float_denorm_mode_16_64 3
		.amdhsa_dx10_clamp 1
		.amdhsa_ieee_mode 1
		.amdhsa_fp16_overflow 0
		.amdhsa_tg_split 0
		.amdhsa_exception_fp_ieee_invalid_op 0
		.amdhsa_exception_fp_denorm_src 0
		.amdhsa_exception_fp_ieee_div_zero 0
		.amdhsa_exception_fp_ieee_overflow 0
		.amdhsa_exception_fp_ieee_underflow 0
		.amdhsa_exception_fp_ieee_inexact 0
		.amdhsa_exception_int_div_zero 0
	.end_amdhsa_kernel
	.section	.text._ZN12_GLOBAL__N_121softmax_warp_backwardIfffLi10ELb0ELb1ELi32EEEvPT0_PKT_S5_iiiPKb,"axG",@progbits,_ZN12_GLOBAL__N_121softmax_warp_backwardIfffLi10ELb0ELb1ELi32EEEvPT0_PKT_S5_iiiPKb,comdat
.Lfunc_end811:
	.size	_ZN12_GLOBAL__N_121softmax_warp_backwardIfffLi10ELb0ELb1ELi32EEEvPT0_PKT_S5_iiiPKb, .Lfunc_end811-_ZN12_GLOBAL__N_121softmax_warp_backwardIfffLi10ELb0ELb1ELi32EEEvPT0_PKT_S5_iiiPKb
                                        ; -- End function
	.section	.AMDGPU.csdata,"",@progbits
; Kernel info:
; codeLenInByte = 5404
; NumSgprs: 100
; NumVgprs: 74
; NumAgprs: 0
; TotalNumVgprs: 74
; ScratchSize: 0
; MemoryBound: 0
; FloatMode: 240
; IeeeMode: 1
; LDSByteSize: 0 bytes/workgroup (compile time only)
; SGPRBlocks: 12
; VGPRBlocks: 9
; NumSGPRsForWavesPerEU: 100
; NumVGPRsForWavesPerEU: 74
; AccumOffset: 76
; Occupancy: 6
; WaveLimiterHint : 0
; COMPUTE_PGM_RSRC2:SCRATCH_EN: 0
; COMPUTE_PGM_RSRC2:USER_SGPR: 6
; COMPUTE_PGM_RSRC2:TRAP_HANDLER: 0
; COMPUTE_PGM_RSRC2:TGID_X_EN: 1
; COMPUTE_PGM_RSRC2:TGID_Y_EN: 0
; COMPUTE_PGM_RSRC2:TGID_Z_EN: 0
; COMPUTE_PGM_RSRC2:TIDIG_COMP_CNT: 1
; COMPUTE_PGM_RSRC3_GFX90A:ACCUM_OFFSET: 18
; COMPUTE_PGM_RSRC3_GFX90A:TG_SPLIT: 0
	.section	.text._ZN12_GLOBAL__N_121softmax_warp_backwardIN3c104HalfES2_fLi0ELb0ELb1ELi64EEEvPT0_PKT_S7_iiiPKb,"axG",@progbits,_ZN12_GLOBAL__N_121softmax_warp_backwardIN3c104HalfES2_fLi0ELb0ELb1ELi64EEEvPT0_PKT_S7_iiiPKb,comdat
	.globl	_ZN12_GLOBAL__N_121softmax_warp_backwardIN3c104HalfES2_fLi0ELb0ELb1ELi64EEEvPT0_PKT_S7_iiiPKb ; -- Begin function _ZN12_GLOBAL__N_121softmax_warp_backwardIN3c104HalfES2_fLi0ELb0ELb1ELi64EEEvPT0_PKT_S7_iiiPKb
	.p2align	8
	.type	_ZN12_GLOBAL__N_121softmax_warp_backwardIN3c104HalfES2_fLi0ELb0ELb1ELi64EEEvPT0_PKT_S7_iiiPKb,@function
_ZN12_GLOBAL__N_121softmax_warp_backwardIN3c104HalfES2_fLi0ELb0ELb1ELi64EEEvPT0_PKT_S7_iiiPKb: ; @_ZN12_GLOBAL__N_121softmax_warp_backwardIN3c104HalfES2_fLi0ELb0ELb1ELi64EEEvPT0_PKT_S7_iiiPKb
; %bb.0:
	s_load_dword s2, s[4:5], 0x3c
	s_load_dwordx4 s[8:11], s[4:5], 0x18
	s_load_dwordx4 s[12:15], s[4:5], 0x0
	s_load_dwordx2 s[0:1], s[4:5], 0x10
	v_bfe_u32 v0, v0, 10, 10
	s_waitcnt lgkmcnt(0)
	s_lshr_b32 s2, s2, 16
	s_mul_i32 s6, s6, s2
	v_add_lshl_u32 v0, s6, v0, 1
	v_mul_lo_u32 v2, v0, s9
	v_ashrrev_i32_e32 v3, 31, v2
	v_sub_u32_e32 v8, s8, v0
	v_lshlrev_b64 v[0:1], 1, v[2:3]
	v_mov_b32_e32 v5, s15
	v_add_co_u32_e32 v4, vcc, s14, v0
	v_addc_co_u32_e32 v5, vcc, v5, v1, vcc
	v_mov_b32_e32 v7, s1
	v_add_co_u32_e32 v6, vcc, s0, v0
	v_addc_co_u32_e32 v7, vcc, v7, v1, vcc
	s_cmp_gt_i32 s10, 0
	s_cselect_b64 s[2:3], -1, 0
	v_cmp_lt_i32_e32 vcc, 0, v8
	s_and_b64 s[6:7], s[2:3], vcc
	v_mov_b32_e32 v9, 0
	v_mov_b32_e32 v11, 0
	;; [unrolled: 1-line block ×3, first 2 shown]
	s_and_saveexec_b64 s[0:1], s[6:7]
	s_cbranch_execz .LBB812_2
; %bb.1:
	global_load_ushort v10, v[4:5], off
	global_load_ushort v12, v[6:7], off
	s_waitcnt vmcnt(1)
	v_cvt_f32_f16_e32 v11, v10
	s_waitcnt vmcnt(0)
	v_cvt_f32_f16_e32 v12, v12
.LBB812_2:
	s_or_b64 exec, exec, s[0:1]
	v_cmp_lt_i32_e64 s[0:1], 1, v8
	s_and_b64 s[0:1], s[2:3], s[0:1]
	s_mov_b32 s11, 0
	v_mov_b32_e32 v10, 0
	s_and_saveexec_b64 s[6:7], s[0:1]
	s_cbranch_execz .LBB812_4
; %bb.3:
	s_lshl_b64 s[8:9], s[10:11], 1
	v_mov_b32_e32 v9, s9
	v_add_co_u32_e64 v4, s[0:1], s8, v4
	v_addc_co_u32_e64 v5, s[0:1], v5, v9, s[0:1]
	global_load_ushort v10, v[4:5], off
	v_add_co_u32_e64 v4, s[0:1], s8, v6
	v_addc_co_u32_e64 v5, s[0:1], v7, v9, s[0:1]
	global_load_ushort v4, v[4:5], off
	s_waitcnt vmcnt(1)
	v_cvt_f32_f16_e32 v9, v10
	s_waitcnt vmcnt(0)
	v_cvt_f32_f16_e32 v10, v4
.LBB812_4:
	s_or_b64 exec, exec, s[6:7]
	s_and_saveexec_b64 s[0:1], vcc
	s_cbranch_execz .LBB812_17
; %bb.5:
	s_load_dwordx2 s[0:1], s[4:5], 0x28
	s_ashr_i32 s4, s10, 31
	v_mov_b32_e32 v5, s4
	v_mov_b32_e32 v6, s13
	v_cndmask_b32_e64 v7, 0, 1, s[2:3]
	s_waitcnt lgkmcnt(0)
	v_mov_b32_e32 v4, s1
	v_add_co_u32_e32 v2, vcc, s0, v2
	v_addc_co_u32_e32 v3, vcc, v4, v3, vcc
	global_load_ubyte v4, v[2:3], off
	v_add_co_u32_e32 v2, vcc, s10, v2
	v_addc_co_u32_e32 v3, vcc, v3, v5, vcc
	global_load_ubyte v2, v[2:3], off
	v_add_f32_e32 v3, 0, v11
	v_add_f32_e32 v5, 0, v9
	s_andn2_b64 vcc, exec, s[2:3]
	v_add_co_u32_e64 v0, s[6:7], s12, v0
	v_cmp_ne_u32_e64 s[0:1], 1, v7
	v_addc_co_u32_e64 v1, s[6:7], v6, v1, s[6:7]
	s_waitcnt vmcnt(1)
	v_and_b32_e32 v4, 1, v4
	v_cmp_eq_u32_e64 s[4:5], 1, v4
	v_cndmask_b32_e64 v3, v3, 0, s[4:5]
	s_waitcnt vmcnt(0)
	v_and_b32_e32 v2, 1, v2
	v_cmp_eq_u32_e64 s[2:3], 1, v2
	v_cndmask_b32_e64 v2, v5, 0, s[2:3]
	s_cbranch_vccnz .LBB812_11
; %bb.6:
	s_xor_b64 s[4:5], s[4:5], -1
	s_and_saveexec_b64 s[6:7], s[4:5]
	s_xor_b64 s[4:5], exec, s[6:7]
	s_cbranch_execz .LBB812_8
; %bb.7:
	v_fma_mixlo_f16 v3, -v3, v12, v11
	global_store_short v[0:1], v3, off
.LBB812_8:
	s_andn2_saveexec_b64 s[4:5], s[4:5]
	s_cbranch_execz .LBB812_10
; %bb.9:
	v_mov_b32_e32 v3, 0
	global_store_short v[0:1], v3, off
.LBB812_10:
	s_or_b64 exec, exec, s[4:5]
.LBB812_11:
	v_cmp_ne_u32_e32 vcc, 1, v8
	s_and_b64 exec, exec, vcc
	s_cbranch_execz .LBB812_17
; %bb.12:
	s_and_b64 vcc, exec, s[0:1]
	s_cbranch_vccnz .LBB812_17
; %bb.13:
	s_xor_b64 s[0:1], s[2:3], -1
	s_lshl_b64 s[2:3], s[10:11], 1
	v_mov_b32_e32 v3, s3
	v_add_co_u32_e32 v0, vcc, s2, v0
	v_addc_co_u32_e32 v1, vcc, v1, v3, vcc
	s_and_saveexec_b64 s[2:3], s[0:1]
	s_xor_b64 s[0:1], exec, s[2:3]
	s_cbranch_execz .LBB812_15
; %bb.14:
	v_fma_mixlo_f16 v2, -v2, v10, v9
	global_store_short v[0:1], v2, off
                                        ; implicit-def: $vgpr0_vgpr1
.LBB812_15:
	s_andn2_saveexec_b64 s[0:1], s[0:1]
	s_cbranch_execz .LBB812_17
; %bb.16:
	v_mov_b32_e32 v2, 0
	global_store_short v[0:1], v2, off
.LBB812_17:
	s_endpgm
	.section	.rodata,"a",@progbits
	.p2align	6, 0x0
	.amdhsa_kernel _ZN12_GLOBAL__N_121softmax_warp_backwardIN3c104HalfES2_fLi0ELb0ELb1ELi64EEEvPT0_PKT_S7_iiiPKb
		.amdhsa_group_segment_fixed_size 0
		.amdhsa_private_segment_fixed_size 0
		.amdhsa_kernarg_size 304
		.amdhsa_user_sgpr_count 6
		.amdhsa_user_sgpr_private_segment_buffer 1
		.amdhsa_user_sgpr_dispatch_ptr 0
		.amdhsa_user_sgpr_queue_ptr 0
		.amdhsa_user_sgpr_kernarg_segment_ptr 1
		.amdhsa_user_sgpr_dispatch_id 0
		.amdhsa_user_sgpr_flat_scratch_init 0
		.amdhsa_user_sgpr_kernarg_preload_length 0
		.amdhsa_user_sgpr_kernarg_preload_offset 0
		.amdhsa_user_sgpr_private_segment_size 0
		.amdhsa_uses_dynamic_stack 0
		.amdhsa_system_sgpr_private_segment_wavefront_offset 0
		.amdhsa_system_sgpr_workgroup_id_x 1
		.amdhsa_system_sgpr_workgroup_id_y 0
		.amdhsa_system_sgpr_workgroup_id_z 0
		.amdhsa_system_sgpr_workgroup_info 0
		.amdhsa_system_vgpr_workitem_id 1
		.amdhsa_next_free_vgpr 13
		.amdhsa_next_free_sgpr 16
		.amdhsa_accum_offset 16
		.amdhsa_reserve_vcc 1
		.amdhsa_reserve_flat_scratch 0
		.amdhsa_float_round_mode_32 0
		.amdhsa_float_round_mode_16_64 0
		.amdhsa_float_denorm_mode_32 3
		.amdhsa_float_denorm_mode_16_64 3
		.amdhsa_dx10_clamp 1
		.amdhsa_ieee_mode 1
		.amdhsa_fp16_overflow 0
		.amdhsa_tg_split 0
		.amdhsa_exception_fp_ieee_invalid_op 0
		.amdhsa_exception_fp_denorm_src 0
		.amdhsa_exception_fp_ieee_div_zero 0
		.amdhsa_exception_fp_ieee_overflow 0
		.amdhsa_exception_fp_ieee_underflow 0
		.amdhsa_exception_fp_ieee_inexact 0
		.amdhsa_exception_int_div_zero 0
	.end_amdhsa_kernel
	.section	.text._ZN12_GLOBAL__N_121softmax_warp_backwardIN3c104HalfES2_fLi0ELb0ELb1ELi64EEEvPT0_PKT_S7_iiiPKb,"axG",@progbits,_ZN12_GLOBAL__N_121softmax_warp_backwardIN3c104HalfES2_fLi0ELb0ELb1ELi64EEEvPT0_PKT_S7_iiiPKb,comdat
.Lfunc_end812:
	.size	_ZN12_GLOBAL__N_121softmax_warp_backwardIN3c104HalfES2_fLi0ELb0ELb1ELi64EEEvPT0_PKT_S7_iiiPKb, .Lfunc_end812-_ZN12_GLOBAL__N_121softmax_warp_backwardIN3c104HalfES2_fLi0ELb0ELb1ELi64EEEvPT0_PKT_S7_iiiPKb
                                        ; -- End function
	.section	.AMDGPU.csdata,"",@progbits
; Kernel info:
; codeLenInByte = 596
; NumSgprs: 20
; NumVgprs: 13
; NumAgprs: 0
; TotalNumVgprs: 13
; ScratchSize: 0
; MemoryBound: 0
; FloatMode: 240
; IeeeMode: 1
; LDSByteSize: 0 bytes/workgroup (compile time only)
; SGPRBlocks: 2
; VGPRBlocks: 1
; NumSGPRsForWavesPerEU: 20
; NumVGPRsForWavesPerEU: 13
; AccumOffset: 16
; Occupancy: 8
; WaveLimiterHint : 0
; COMPUTE_PGM_RSRC2:SCRATCH_EN: 0
; COMPUTE_PGM_RSRC2:USER_SGPR: 6
; COMPUTE_PGM_RSRC2:TRAP_HANDLER: 0
; COMPUTE_PGM_RSRC2:TGID_X_EN: 1
; COMPUTE_PGM_RSRC2:TGID_Y_EN: 0
; COMPUTE_PGM_RSRC2:TGID_Z_EN: 0
; COMPUTE_PGM_RSRC2:TIDIG_COMP_CNT: 1
; COMPUTE_PGM_RSRC3_GFX90A:ACCUM_OFFSET: 3
; COMPUTE_PGM_RSRC3_GFX90A:TG_SPLIT: 0
	.section	.text._ZN12_GLOBAL__N_121softmax_warp_backwardIN3c104HalfES2_fLi0ELb0ELb1ELi32EEEvPT0_PKT_S7_iiiPKb,"axG",@progbits,_ZN12_GLOBAL__N_121softmax_warp_backwardIN3c104HalfES2_fLi0ELb0ELb1ELi32EEEvPT0_PKT_S7_iiiPKb,comdat
	.globl	_ZN12_GLOBAL__N_121softmax_warp_backwardIN3c104HalfES2_fLi0ELb0ELb1ELi32EEEvPT0_PKT_S7_iiiPKb ; -- Begin function _ZN12_GLOBAL__N_121softmax_warp_backwardIN3c104HalfES2_fLi0ELb0ELb1ELi32EEEvPT0_PKT_S7_iiiPKb
	.p2align	8
	.type	_ZN12_GLOBAL__N_121softmax_warp_backwardIN3c104HalfES2_fLi0ELb0ELb1ELi32EEEvPT0_PKT_S7_iiiPKb,@function
_ZN12_GLOBAL__N_121softmax_warp_backwardIN3c104HalfES2_fLi0ELb0ELb1ELi32EEEvPT0_PKT_S7_iiiPKb: ; @_ZN12_GLOBAL__N_121softmax_warp_backwardIN3c104HalfES2_fLi0ELb0ELb1ELi32EEEvPT0_PKT_S7_iiiPKb
; %bb.0:
	s_load_dword s2, s[4:5], 0x3c
	s_load_dwordx4 s[8:11], s[4:5], 0x18
	s_load_dwordx4 s[12:15], s[4:5], 0x0
	s_load_dwordx2 s[0:1], s[4:5], 0x10
	v_bfe_u32 v0, v0, 10, 10
	s_waitcnt lgkmcnt(0)
	s_lshr_b32 s2, s2, 16
	s_mul_i32 s6, s6, s2
	v_add_lshl_u32 v0, s6, v0, 1
	v_mul_lo_u32 v2, v0, s9
	v_ashrrev_i32_e32 v3, 31, v2
	v_sub_u32_e32 v8, s8, v0
	v_lshlrev_b64 v[0:1], 1, v[2:3]
	v_mov_b32_e32 v5, s15
	v_add_co_u32_e32 v4, vcc, s14, v0
	v_addc_co_u32_e32 v5, vcc, v5, v1, vcc
	v_mov_b32_e32 v7, s1
	v_add_co_u32_e32 v6, vcc, s0, v0
	v_addc_co_u32_e32 v7, vcc, v7, v1, vcc
	s_cmp_gt_i32 s10, 0
	s_cselect_b64 s[2:3], -1, 0
	v_cmp_lt_i32_e32 vcc, 0, v8
	s_and_b64 s[6:7], s[2:3], vcc
	v_mov_b32_e32 v9, 0
	v_mov_b32_e32 v11, 0
	;; [unrolled: 1-line block ×3, first 2 shown]
	s_and_saveexec_b64 s[0:1], s[6:7]
	s_cbranch_execz .LBB813_2
; %bb.1:
	global_load_ushort v10, v[4:5], off
	global_load_ushort v12, v[6:7], off
	s_waitcnt vmcnt(1)
	v_cvt_f32_f16_e32 v11, v10
	s_waitcnt vmcnt(0)
	v_cvt_f32_f16_e32 v12, v12
.LBB813_2:
	s_or_b64 exec, exec, s[0:1]
	v_cmp_lt_i32_e64 s[0:1], 1, v8
	s_and_b64 s[0:1], s[2:3], s[0:1]
	s_mov_b32 s11, 0
	v_mov_b32_e32 v10, 0
	s_and_saveexec_b64 s[6:7], s[0:1]
	s_cbranch_execz .LBB813_4
; %bb.3:
	s_lshl_b64 s[8:9], s[10:11], 1
	v_mov_b32_e32 v9, s9
	v_add_co_u32_e64 v4, s[0:1], s8, v4
	v_addc_co_u32_e64 v5, s[0:1], v5, v9, s[0:1]
	global_load_ushort v10, v[4:5], off
	v_add_co_u32_e64 v4, s[0:1], s8, v6
	v_addc_co_u32_e64 v5, s[0:1], v7, v9, s[0:1]
	global_load_ushort v4, v[4:5], off
	s_waitcnt vmcnt(1)
	v_cvt_f32_f16_e32 v9, v10
	s_waitcnt vmcnt(0)
	v_cvt_f32_f16_e32 v10, v4
.LBB813_4:
	s_or_b64 exec, exec, s[6:7]
	s_and_saveexec_b64 s[0:1], vcc
	s_cbranch_execz .LBB813_17
; %bb.5:
	s_load_dwordx2 s[0:1], s[4:5], 0x28
	s_ashr_i32 s4, s10, 31
	v_mov_b32_e32 v5, s4
	v_mov_b32_e32 v6, s13
	v_cndmask_b32_e64 v7, 0, 1, s[2:3]
	s_waitcnt lgkmcnt(0)
	v_mov_b32_e32 v4, s1
	v_add_co_u32_e32 v2, vcc, s0, v2
	v_addc_co_u32_e32 v3, vcc, v4, v3, vcc
	global_load_ubyte v4, v[2:3], off
	v_add_co_u32_e32 v2, vcc, s10, v2
	v_addc_co_u32_e32 v3, vcc, v3, v5, vcc
	global_load_ubyte v2, v[2:3], off
	v_add_f32_e32 v3, 0, v11
	v_add_f32_e32 v5, 0, v9
	s_andn2_b64 vcc, exec, s[2:3]
	v_add_co_u32_e64 v0, s[6:7], s12, v0
	v_cmp_ne_u32_e64 s[0:1], 1, v7
	v_addc_co_u32_e64 v1, s[6:7], v6, v1, s[6:7]
	s_waitcnt vmcnt(1)
	v_and_b32_e32 v4, 1, v4
	v_cmp_eq_u32_e64 s[4:5], 1, v4
	v_cndmask_b32_e64 v3, v3, 0, s[4:5]
	s_waitcnt vmcnt(0)
	v_and_b32_e32 v2, 1, v2
	v_cmp_eq_u32_e64 s[2:3], 1, v2
	v_cndmask_b32_e64 v2, v5, 0, s[2:3]
	s_cbranch_vccnz .LBB813_11
; %bb.6:
	s_xor_b64 s[4:5], s[4:5], -1
	s_and_saveexec_b64 s[6:7], s[4:5]
	s_xor_b64 s[4:5], exec, s[6:7]
	s_cbranch_execz .LBB813_8
; %bb.7:
	v_fma_mixlo_f16 v3, -v3, v12, v11
	global_store_short v[0:1], v3, off
.LBB813_8:
	s_andn2_saveexec_b64 s[4:5], s[4:5]
	s_cbranch_execz .LBB813_10
; %bb.9:
	v_mov_b32_e32 v3, 0
	global_store_short v[0:1], v3, off
.LBB813_10:
	s_or_b64 exec, exec, s[4:5]
.LBB813_11:
	v_cmp_ne_u32_e32 vcc, 1, v8
	s_and_b64 exec, exec, vcc
	s_cbranch_execz .LBB813_17
; %bb.12:
	s_and_b64 vcc, exec, s[0:1]
	s_cbranch_vccnz .LBB813_17
; %bb.13:
	s_xor_b64 s[0:1], s[2:3], -1
	s_lshl_b64 s[2:3], s[10:11], 1
	v_mov_b32_e32 v3, s3
	v_add_co_u32_e32 v0, vcc, s2, v0
	v_addc_co_u32_e32 v1, vcc, v1, v3, vcc
	s_and_saveexec_b64 s[2:3], s[0:1]
	s_xor_b64 s[0:1], exec, s[2:3]
	s_cbranch_execz .LBB813_15
; %bb.14:
	v_fma_mixlo_f16 v2, -v2, v10, v9
	global_store_short v[0:1], v2, off
                                        ; implicit-def: $vgpr0_vgpr1
.LBB813_15:
	s_andn2_saveexec_b64 s[0:1], s[0:1]
	s_cbranch_execz .LBB813_17
; %bb.16:
	v_mov_b32_e32 v2, 0
	global_store_short v[0:1], v2, off
.LBB813_17:
	s_endpgm
	.section	.rodata,"a",@progbits
	.p2align	6, 0x0
	.amdhsa_kernel _ZN12_GLOBAL__N_121softmax_warp_backwardIN3c104HalfES2_fLi0ELb0ELb1ELi32EEEvPT0_PKT_S7_iiiPKb
		.amdhsa_group_segment_fixed_size 0
		.amdhsa_private_segment_fixed_size 0
		.amdhsa_kernarg_size 304
		.amdhsa_user_sgpr_count 6
		.amdhsa_user_sgpr_private_segment_buffer 1
		.amdhsa_user_sgpr_dispatch_ptr 0
		.amdhsa_user_sgpr_queue_ptr 0
		.amdhsa_user_sgpr_kernarg_segment_ptr 1
		.amdhsa_user_sgpr_dispatch_id 0
		.amdhsa_user_sgpr_flat_scratch_init 0
		.amdhsa_user_sgpr_kernarg_preload_length 0
		.amdhsa_user_sgpr_kernarg_preload_offset 0
		.amdhsa_user_sgpr_private_segment_size 0
		.amdhsa_uses_dynamic_stack 0
		.amdhsa_system_sgpr_private_segment_wavefront_offset 0
		.amdhsa_system_sgpr_workgroup_id_x 1
		.amdhsa_system_sgpr_workgroup_id_y 0
		.amdhsa_system_sgpr_workgroup_id_z 0
		.amdhsa_system_sgpr_workgroup_info 0
		.amdhsa_system_vgpr_workitem_id 1
		.amdhsa_next_free_vgpr 13
		.amdhsa_next_free_sgpr 16
		.amdhsa_accum_offset 16
		.amdhsa_reserve_vcc 1
		.amdhsa_reserve_flat_scratch 0
		.amdhsa_float_round_mode_32 0
		.amdhsa_float_round_mode_16_64 0
		.amdhsa_float_denorm_mode_32 3
		.amdhsa_float_denorm_mode_16_64 3
		.amdhsa_dx10_clamp 1
		.amdhsa_ieee_mode 1
		.amdhsa_fp16_overflow 0
		.amdhsa_tg_split 0
		.amdhsa_exception_fp_ieee_invalid_op 0
		.amdhsa_exception_fp_denorm_src 0
		.amdhsa_exception_fp_ieee_div_zero 0
		.amdhsa_exception_fp_ieee_overflow 0
		.amdhsa_exception_fp_ieee_underflow 0
		.amdhsa_exception_fp_ieee_inexact 0
		.amdhsa_exception_int_div_zero 0
	.end_amdhsa_kernel
	.section	.text._ZN12_GLOBAL__N_121softmax_warp_backwardIN3c104HalfES2_fLi0ELb0ELb1ELi32EEEvPT0_PKT_S7_iiiPKb,"axG",@progbits,_ZN12_GLOBAL__N_121softmax_warp_backwardIN3c104HalfES2_fLi0ELb0ELb1ELi32EEEvPT0_PKT_S7_iiiPKb,comdat
.Lfunc_end813:
	.size	_ZN12_GLOBAL__N_121softmax_warp_backwardIN3c104HalfES2_fLi0ELb0ELb1ELi32EEEvPT0_PKT_S7_iiiPKb, .Lfunc_end813-_ZN12_GLOBAL__N_121softmax_warp_backwardIN3c104HalfES2_fLi0ELb0ELb1ELi32EEEvPT0_PKT_S7_iiiPKb
                                        ; -- End function
	.section	.AMDGPU.csdata,"",@progbits
; Kernel info:
; codeLenInByte = 596
; NumSgprs: 20
; NumVgprs: 13
; NumAgprs: 0
; TotalNumVgprs: 13
; ScratchSize: 0
; MemoryBound: 0
; FloatMode: 240
; IeeeMode: 1
; LDSByteSize: 0 bytes/workgroup (compile time only)
; SGPRBlocks: 2
; VGPRBlocks: 1
; NumSGPRsForWavesPerEU: 20
; NumVGPRsForWavesPerEU: 13
; AccumOffset: 16
; Occupancy: 8
; WaveLimiterHint : 0
; COMPUTE_PGM_RSRC2:SCRATCH_EN: 0
; COMPUTE_PGM_RSRC2:USER_SGPR: 6
; COMPUTE_PGM_RSRC2:TRAP_HANDLER: 0
; COMPUTE_PGM_RSRC2:TGID_X_EN: 1
; COMPUTE_PGM_RSRC2:TGID_Y_EN: 0
; COMPUTE_PGM_RSRC2:TGID_Z_EN: 0
; COMPUTE_PGM_RSRC2:TIDIG_COMP_CNT: 1
; COMPUTE_PGM_RSRC3_GFX90A:ACCUM_OFFSET: 3
; COMPUTE_PGM_RSRC3_GFX90A:TG_SPLIT: 0
	.section	.text._ZN12_GLOBAL__N_121softmax_warp_backwardIN3c104HalfES2_fLi1ELb0ELb1ELi64EEEvPT0_PKT_S7_iiiPKb,"axG",@progbits,_ZN12_GLOBAL__N_121softmax_warp_backwardIN3c104HalfES2_fLi1ELb0ELb1ELi64EEEvPT0_PKT_S7_iiiPKb,comdat
	.globl	_ZN12_GLOBAL__N_121softmax_warp_backwardIN3c104HalfES2_fLi1ELb0ELb1ELi64EEEvPT0_PKT_S7_iiiPKb ; -- Begin function _ZN12_GLOBAL__N_121softmax_warp_backwardIN3c104HalfES2_fLi1ELb0ELb1ELi64EEEvPT0_PKT_S7_iiiPKb
	.p2align	8
	.type	_ZN12_GLOBAL__N_121softmax_warp_backwardIN3c104HalfES2_fLi1ELb0ELb1ELi64EEEvPT0_PKT_S7_iiiPKb,@function
_ZN12_GLOBAL__N_121softmax_warp_backwardIN3c104HalfES2_fLi1ELb0ELb1ELi64EEEvPT0_PKT_S7_iiiPKb: ; @_ZN12_GLOBAL__N_121softmax_warp_backwardIN3c104HalfES2_fLi1ELb0ELb1ELi64EEEvPT0_PKT_S7_iiiPKb
; %bb.0:
	s_load_dword s2, s[4:5], 0x3c
	s_load_dwordx4 s[8:11], s[4:5], 0x18
	s_load_dwordx4 s[12:15], s[4:5], 0x0
	s_load_dwordx2 s[0:1], s[4:5], 0x10
	v_bfe_u32 v1, v0, 10, 10
	s_waitcnt lgkmcnt(0)
	s_lshr_b32 s2, s2, 16
	s_mul_i32 s6, s6, s2
	v_add_lshl_u32 v1, s6, v1, 1
	v_sub_u32_e32 v8, s8, v1
	v_mul_lo_u32 v1, v1, s9
	v_and_b32_e32 v9, 1, v0
	v_or_b32_e32 v2, v1, v9
	v_ashrrev_i32_e32 v3, 31, v2
	v_lshlrev_b64 v[0:1], 1, v[2:3]
	v_mov_b32_e32 v5, s15
	v_add_co_u32_e32 v4, vcc, s14, v0
	v_addc_co_u32_e32 v5, vcc, v5, v1, vcc
	v_mov_b32_e32 v7, s1
	v_add_co_u32_e32 v6, vcc, s0, v0
	v_addc_co_u32_e32 v7, vcc, v7, v1, vcc
	v_cmp_gt_i32_e32 vcc, s10, v9
	v_cmp_lt_i32_e64 s[0:1], 0, v8
	s_and_b64 s[6:7], vcc, s[0:1]
	v_mov_b32_e32 v9, 0
	v_mov_b32_e32 v11, 0
	;; [unrolled: 1-line block ×3, first 2 shown]
	s_and_saveexec_b64 s[2:3], s[6:7]
	s_cbranch_execz .LBB814_2
; %bb.1:
	global_load_ushort v10, v[4:5], off
	global_load_ushort v12, v[6:7], off
	s_waitcnt vmcnt(1)
	v_cvt_f32_f16_e32 v11, v10
	s_waitcnt vmcnt(0)
	v_cvt_f32_f16_e32 v12, v12
.LBB814_2:
	s_or_b64 exec, exec, s[2:3]
	v_cmp_lt_i32_e64 s[2:3], 1, v8
	s_and_b64 s[2:3], vcc, s[2:3]
	s_mov_b32 s11, 0
	v_mov_b32_e32 v10, 0
	s_and_saveexec_b64 s[6:7], s[2:3]
	s_cbranch_execz .LBB814_4
; %bb.3:
	s_lshl_b64 s[8:9], s[10:11], 1
	v_mov_b32_e32 v9, s9
	v_add_co_u32_e64 v4, s[2:3], s8, v4
	v_addc_co_u32_e64 v5, s[2:3], v5, v9, s[2:3]
	global_load_ushort v10, v[4:5], off
	v_add_co_u32_e64 v4, s[2:3], s8, v6
	v_addc_co_u32_e64 v5, s[2:3], v7, v9, s[2:3]
	global_load_ushort v4, v[4:5], off
	s_waitcnt vmcnt(1)
	v_cvt_f32_f16_e32 v9, v10
	s_waitcnt vmcnt(0)
	v_cvt_f32_f16_e32 v10, v4
.LBB814_4:
	s_or_b64 exec, exec, s[6:7]
	s_load_dwordx2 s[2:3], s[4:5], 0x28
	s_ashr_i32 s4, s10, 31
	v_mov_b32_e32 v5, s4
	v_mbcnt_lo_u32_b32 v6, -1, 0
	v_mbcnt_hi_u32_b32 v6, -1, v6
	s_waitcnt lgkmcnt(0)
	v_mov_b32_e32 v4, s3
	v_add_co_u32_e64 v2, s[2:3], s2, v2
	v_addc_co_u32_e64 v3, s[2:3], v4, v3, s[2:3]
	global_load_ubyte v4, v[2:3], off
	v_add_co_u32_e64 v2, s[2:3], s10, v2
	v_addc_co_u32_e64 v3, s[2:3], v3, v5, s[2:3]
	global_load_ubyte v3, v[2:3], off
	v_and_b32_e32 v13, 0x7e, v6
	v_xor_b32_e32 v7, 1, v6
	v_add_u32_e32 v13, 2, v13
	v_cmp_lt_i32_e64 s[2:3], v7, v13
	v_add_f32_e32 v2, 0, v11
	v_add_f32_e32 v5, 0, v9
	v_cndmask_b32_e64 v6, v6, v7, s[2:3]
	v_lshlrev_b32_e32 v6, 2, v6
	s_waitcnt vmcnt(1)
	v_and_b32_e32 v4, 1, v4
	v_cmp_eq_u32_e64 s[4:5], 1, v4
	v_cndmask_b32_e64 v2, v2, 0, s[4:5]
	ds_bpermute_b32 v4, v6, v2
	s_waitcnt vmcnt(0)
	v_and_b32_e32 v3, 1, v3
	v_cmp_eq_u32_e64 s[2:3], 1, v3
	v_cndmask_b32_e64 v3, v5, 0, s[2:3]
	ds_bpermute_b32 v5, v6, v3
	s_and_saveexec_b64 s[6:7], s[0:1]
	s_cbranch_execz .LBB814_16
; %bb.5:
	s_waitcnt lgkmcnt(0)
	v_pk_add_f32 v[2:3], v[2:3], v[4:5]
	v_mov_b32_e32 v4, s13
	v_add_co_u32_e64 v0, s[0:1], s12, v0
	v_addc_co_u32_e64 v1, s[0:1], v4, v1, s[0:1]
	s_and_saveexec_b64 s[0:1], vcc
	s_cbranch_execz .LBB814_10
; %bb.6:
	s_xor_b64 s[4:5], s[4:5], -1
	s_and_saveexec_b64 s[6:7], s[4:5]
	s_xor_b64 s[4:5], exec, s[6:7]
	s_cbranch_execz .LBB814_8
; %bb.7:
	v_fma_mixlo_f16 v2, -v2, v12, v11
	global_store_short v[0:1], v2, off
.LBB814_8:
	s_andn2_saveexec_b64 s[4:5], s[4:5]
	s_cbranch_execz .LBB814_10
; %bb.9:
	v_mov_b32_e32 v2, 0
	global_store_short v[0:1], v2, off
.LBB814_10:
	s_or_b64 exec, exec, s[0:1]
	v_cmp_ne_u32_e64 s[0:1], 1, v8
	s_and_b64 exec, exec, s[0:1]
	s_cbranch_execz .LBB814_16
; %bb.11:
	s_and_b64 exec, exec, vcc
	s_cbranch_execz .LBB814_16
; %bb.12:
	s_xor_b64 s[0:1], s[2:3], -1
	s_lshl_b64 s[2:3], s[10:11], 1
	v_mov_b32_e32 v2, s3
	v_add_co_u32_e32 v0, vcc, s2, v0
	v_addc_co_u32_e32 v1, vcc, v1, v2, vcc
	s_and_saveexec_b64 s[2:3], s[0:1]
	s_xor_b64 s[0:1], exec, s[2:3]
	s_cbranch_execz .LBB814_14
; %bb.13:
	v_fma_mixlo_f16 v2, -v3, v10, v9
	global_store_short v[0:1], v2, off
                                        ; implicit-def: $vgpr0_vgpr1
.LBB814_14:
	s_andn2_saveexec_b64 s[0:1], s[0:1]
	s_cbranch_execz .LBB814_16
; %bb.15:
	v_mov_b32_e32 v2, 0
	global_store_short v[0:1], v2, off
.LBB814_16:
	s_endpgm
	.section	.rodata,"a",@progbits
	.p2align	6, 0x0
	.amdhsa_kernel _ZN12_GLOBAL__N_121softmax_warp_backwardIN3c104HalfES2_fLi1ELb0ELb1ELi64EEEvPT0_PKT_S7_iiiPKb
		.amdhsa_group_segment_fixed_size 0
		.amdhsa_private_segment_fixed_size 0
		.amdhsa_kernarg_size 304
		.amdhsa_user_sgpr_count 6
		.amdhsa_user_sgpr_private_segment_buffer 1
		.amdhsa_user_sgpr_dispatch_ptr 0
		.amdhsa_user_sgpr_queue_ptr 0
		.amdhsa_user_sgpr_kernarg_segment_ptr 1
		.amdhsa_user_sgpr_dispatch_id 0
		.amdhsa_user_sgpr_flat_scratch_init 0
		.amdhsa_user_sgpr_kernarg_preload_length 0
		.amdhsa_user_sgpr_kernarg_preload_offset 0
		.amdhsa_user_sgpr_private_segment_size 0
		.amdhsa_uses_dynamic_stack 0
		.amdhsa_system_sgpr_private_segment_wavefront_offset 0
		.amdhsa_system_sgpr_workgroup_id_x 1
		.amdhsa_system_sgpr_workgroup_id_y 0
		.amdhsa_system_sgpr_workgroup_id_z 0
		.amdhsa_system_sgpr_workgroup_info 0
		.amdhsa_system_vgpr_workitem_id 1
		.amdhsa_next_free_vgpr 14
		.amdhsa_next_free_sgpr 16
		.amdhsa_accum_offset 16
		.amdhsa_reserve_vcc 1
		.amdhsa_reserve_flat_scratch 0
		.amdhsa_float_round_mode_32 0
		.amdhsa_float_round_mode_16_64 0
		.amdhsa_float_denorm_mode_32 3
		.amdhsa_float_denorm_mode_16_64 3
		.amdhsa_dx10_clamp 1
		.amdhsa_ieee_mode 1
		.amdhsa_fp16_overflow 0
		.amdhsa_tg_split 0
		.amdhsa_exception_fp_ieee_invalid_op 0
		.amdhsa_exception_fp_denorm_src 0
		.amdhsa_exception_fp_ieee_div_zero 0
		.amdhsa_exception_fp_ieee_overflow 0
		.amdhsa_exception_fp_ieee_underflow 0
		.amdhsa_exception_fp_ieee_inexact 0
		.amdhsa_exception_int_div_zero 0
	.end_amdhsa_kernel
	.section	.text._ZN12_GLOBAL__N_121softmax_warp_backwardIN3c104HalfES2_fLi1ELb0ELb1ELi64EEEvPT0_PKT_S7_iiiPKb,"axG",@progbits,_ZN12_GLOBAL__N_121softmax_warp_backwardIN3c104HalfES2_fLi1ELb0ELb1ELi64EEEvPT0_PKT_S7_iiiPKb,comdat
.Lfunc_end814:
	.size	_ZN12_GLOBAL__N_121softmax_warp_backwardIN3c104HalfES2_fLi1ELb0ELb1ELi64EEEvPT0_PKT_S7_iiiPKb, .Lfunc_end814-_ZN12_GLOBAL__N_121softmax_warp_backwardIN3c104HalfES2_fLi1ELb0ELb1ELi64EEEvPT0_PKT_S7_iiiPKb
                                        ; -- End function
	.section	.AMDGPU.csdata,"",@progbits
; Kernel info:
; codeLenInByte = 688
; NumSgprs: 20
; NumVgprs: 14
; NumAgprs: 0
; TotalNumVgprs: 14
; ScratchSize: 0
; MemoryBound: 0
; FloatMode: 240
; IeeeMode: 1
; LDSByteSize: 0 bytes/workgroup (compile time only)
; SGPRBlocks: 2
; VGPRBlocks: 1
; NumSGPRsForWavesPerEU: 20
; NumVGPRsForWavesPerEU: 14
; AccumOffset: 16
; Occupancy: 8
; WaveLimiterHint : 0
; COMPUTE_PGM_RSRC2:SCRATCH_EN: 0
; COMPUTE_PGM_RSRC2:USER_SGPR: 6
; COMPUTE_PGM_RSRC2:TRAP_HANDLER: 0
; COMPUTE_PGM_RSRC2:TGID_X_EN: 1
; COMPUTE_PGM_RSRC2:TGID_Y_EN: 0
; COMPUTE_PGM_RSRC2:TGID_Z_EN: 0
; COMPUTE_PGM_RSRC2:TIDIG_COMP_CNT: 1
; COMPUTE_PGM_RSRC3_GFX90A:ACCUM_OFFSET: 3
; COMPUTE_PGM_RSRC3_GFX90A:TG_SPLIT: 0
	.section	.text._ZN12_GLOBAL__N_121softmax_warp_backwardIN3c104HalfES2_fLi1ELb0ELb1ELi32EEEvPT0_PKT_S7_iiiPKb,"axG",@progbits,_ZN12_GLOBAL__N_121softmax_warp_backwardIN3c104HalfES2_fLi1ELb0ELb1ELi32EEEvPT0_PKT_S7_iiiPKb,comdat
	.globl	_ZN12_GLOBAL__N_121softmax_warp_backwardIN3c104HalfES2_fLi1ELb0ELb1ELi32EEEvPT0_PKT_S7_iiiPKb ; -- Begin function _ZN12_GLOBAL__N_121softmax_warp_backwardIN3c104HalfES2_fLi1ELb0ELb1ELi32EEEvPT0_PKT_S7_iiiPKb
	.p2align	8
	.type	_ZN12_GLOBAL__N_121softmax_warp_backwardIN3c104HalfES2_fLi1ELb0ELb1ELi32EEEvPT0_PKT_S7_iiiPKb,@function
_ZN12_GLOBAL__N_121softmax_warp_backwardIN3c104HalfES2_fLi1ELb0ELb1ELi32EEEvPT0_PKT_S7_iiiPKb: ; @_ZN12_GLOBAL__N_121softmax_warp_backwardIN3c104HalfES2_fLi1ELb0ELb1ELi32EEEvPT0_PKT_S7_iiiPKb
; %bb.0:
	s_load_dword s2, s[4:5], 0x3c
	s_load_dwordx4 s[8:11], s[4:5], 0x18
	s_load_dwordx4 s[12:15], s[4:5], 0x0
	s_load_dwordx2 s[0:1], s[4:5], 0x10
	v_bfe_u32 v1, v0, 10, 10
	s_waitcnt lgkmcnt(0)
	s_lshr_b32 s2, s2, 16
	s_mul_i32 s6, s6, s2
	v_add_lshl_u32 v1, s6, v1, 1
	v_sub_u32_e32 v8, s8, v1
	v_mul_lo_u32 v1, v1, s9
	v_and_b32_e32 v9, 1, v0
	v_or_b32_e32 v2, v1, v9
	v_ashrrev_i32_e32 v3, 31, v2
	v_lshlrev_b64 v[0:1], 1, v[2:3]
	v_mov_b32_e32 v5, s15
	v_add_co_u32_e32 v4, vcc, s14, v0
	v_addc_co_u32_e32 v5, vcc, v5, v1, vcc
	v_mov_b32_e32 v7, s1
	v_add_co_u32_e32 v6, vcc, s0, v0
	v_addc_co_u32_e32 v7, vcc, v7, v1, vcc
	v_cmp_gt_i32_e32 vcc, s10, v9
	v_cmp_lt_i32_e64 s[0:1], 0, v8
	s_and_b64 s[6:7], vcc, s[0:1]
	v_mov_b32_e32 v9, 0
	v_mov_b32_e32 v11, 0
	v_mov_b32_e32 v12, 0
	s_and_saveexec_b64 s[2:3], s[6:7]
	s_cbranch_execz .LBB815_2
; %bb.1:
	global_load_ushort v10, v[4:5], off
	global_load_ushort v12, v[6:7], off
	s_waitcnt vmcnt(1)
	v_cvt_f32_f16_e32 v11, v10
	s_waitcnt vmcnt(0)
	v_cvt_f32_f16_e32 v12, v12
.LBB815_2:
	s_or_b64 exec, exec, s[2:3]
	v_cmp_lt_i32_e64 s[2:3], 1, v8
	s_and_b64 s[2:3], vcc, s[2:3]
	s_mov_b32 s11, 0
	v_mov_b32_e32 v10, 0
	s_and_saveexec_b64 s[6:7], s[2:3]
	s_cbranch_execz .LBB815_4
; %bb.3:
	s_lshl_b64 s[8:9], s[10:11], 1
	v_mov_b32_e32 v9, s9
	v_add_co_u32_e64 v4, s[2:3], s8, v4
	v_addc_co_u32_e64 v5, s[2:3], v5, v9, s[2:3]
	global_load_ushort v10, v[4:5], off
	v_add_co_u32_e64 v4, s[2:3], s8, v6
	v_addc_co_u32_e64 v5, s[2:3], v7, v9, s[2:3]
	global_load_ushort v4, v[4:5], off
	s_waitcnt vmcnt(1)
	v_cvt_f32_f16_e32 v9, v10
	s_waitcnt vmcnt(0)
	v_cvt_f32_f16_e32 v10, v4
.LBB815_4:
	s_or_b64 exec, exec, s[6:7]
	s_load_dwordx2 s[2:3], s[4:5], 0x28
	s_ashr_i32 s4, s10, 31
	v_mov_b32_e32 v5, s4
	v_mbcnt_lo_u32_b32 v6, -1, 0
	v_mbcnt_hi_u32_b32 v6, -1, v6
	s_waitcnt lgkmcnt(0)
	v_mov_b32_e32 v4, s3
	v_add_co_u32_e64 v2, s[2:3], s2, v2
	v_addc_co_u32_e64 v3, s[2:3], v4, v3, s[2:3]
	global_load_ubyte v4, v[2:3], off
	v_add_co_u32_e64 v2, s[2:3], s10, v2
	v_addc_co_u32_e64 v3, s[2:3], v3, v5, s[2:3]
	global_load_ubyte v3, v[2:3], off
	v_and_b32_e32 v13, 0x7e, v6
	v_xor_b32_e32 v7, 1, v6
	v_add_u32_e32 v13, 2, v13
	v_cmp_lt_i32_e64 s[2:3], v7, v13
	v_add_f32_e32 v2, 0, v11
	v_add_f32_e32 v5, 0, v9
	v_cndmask_b32_e64 v6, v6, v7, s[2:3]
	v_lshlrev_b32_e32 v6, 2, v6
	s_waitcnt vmcnt(1)
	v_and_b32_e32 v4, 1, v4
	v_cmp_eq_u32_e64 s[4:5], 1, v4
	v_cndmask_b32_e64 v2, v2, 0, s[4:5]
	ds_bpermute_b32 v4, v6, v2
	s_waitcnt vmcnt(0)
	v_and_b32_e32 v3, 1, v3
	v_cmp_eq_u32_e64 s[2:3], 1, v3
	v_cndmask_b32_e64 v3, v5, 0, s[2:3]
	ds_bpermute_b32 v5, v6, v3
	s_and_saveexec_b64 s[6:7], s[0:1]
	s_cbranch_execz .LBB815_16
; %bb.5:
	s_waitcnt lgkmcnt(0)
	v_pk_add_f32 v[2:3], v[2:3], v[4:5]
	v_mov_b32_e32 v4, s13
	v_add_co_u32_e64 v0, s[0:1], s12, v0
	v_addc_co_u32_e64 v1, s[0:1], v4, v1, s[0:1]
	s_and_saveexec_b64 s[0:1], vcc
	s_cbranch_execz .LBB815_10
; %bb.6:
	s_xor_b64 s[4:5], s[4:5], -1
	s_and_saveexec_b64 s[6:7], s[4:5]
	s_xor_b64 s[4:5], exec, s[6:7]
	s_cbranch_execz .LBB815_8
; %bb.7:
	v_fma_mixlo_f16 v2, -v2, v12, v11
	global_store_short v[0:1], v2, off
.LBB815_8:
	s_andn2_saveexec_b64 s[4:5], s[4:5]
	s_cbranch_execz .LBB815_10
; %bb.9:
	v_mov_b32_e32 v2, 0
	global_store_short v[0:1], v2, off
.LBB815_10:
	s_or_b64 exec, exec, s[0:1]
	v_cmp_ne_u32_e64 s[0:1], 1, v8
	s_and_b64 exec, exec, s[0:1]
	s_cbranch_execz .LBB815_16
; %bb.11:
	s_and_b64 exec, exec, vcc
	s_cbranch_execz .LBB815_16
; %bb.12:
	s_xor_b64 s[0:1], s[2:3], -1
	s_lshl_b64 s[2:3], s[10:11], 1
	v_mov_b32_e32 v2, s3
	v_add_co_u32_e32 v0, vcc, s2, v0
	v_addc_co_u32_e32 v1, vcc, v1, v2, vcc
	s_and_saveexec_b64 s[2:3], s[0:1]
	s_xor_b64 s[0:1], exec, s[2:3]
	s_cbranch_execz .LBB815_14
; %bb.13:
	v_fma_mixlo_f16 v2, -v3, v10, v9
	global_store_short v[0:1], v2, off
                                        ; implicit-def: $vgpr0_vgpr1
.LBB815_14:
	s_andn2_saveexec_b64 s[0:1], s[0:1]
	s_cbranch_execz .LBB815_16
; %bb.15:
	v_mov_b32_e32 v2, 0
	global_store_short v[0:1], v2, off
.LBB815_16:
	s_endpgm
	.section	.rodata,"a",@progbits
	.p2align	6, 0x0
	.amdhsa_kernel _ZN12_GLOBAL__N_121softmax_warp_backwardIN3c104HalfES2_fLi1ELb0ELb1ELi32EEEvPT0_PKT_S7_iiiPKb
		.amdhsa_group_segment_fixed_size 0
		.amdhsa_private_segment_fixed_size 0
		.amdhsa_kernarg_size 304
		.amdhsa_user_sgpr_count 6
		.amdhsa_user_sgpr_private_segment_buffer 1
		.amdhsa_user_sgpr_dispatch_ptr 0
		.amdhsa_user_sgpr_queue_ptr 0
		.amdhsa_user_sgpr_kernarg_segment_ptr 1
		.amdhsa_user_sgpr_dispatch_id 0
		.amdhsa_user_sgpr_flat_scratch_init 0
		.amdhsa_user_sgpr_kernarg_preload_length 0
		.amdhsa_user_sgpr_kernarg_preload_offset 0
		.amdhsa_user_sgpr_private_segment_size 0
		.amdhsa_uses_dynamic_stack 0
		.amdhsa_system_sgpr_private_segment_wavefront_offset 0
		.amdhsa_system_sgpr_workgroup_id_x 1
		.amdhsa_system_sgpr_workgroup_id_y 0
		.amdhsa_system_sgpr_workgroup_id_z 0
		.amdhsa_system_sgpr_workgroup_info 0
		.amdhsa_system_vgpr_workitem_id 1
		.amdhsa_next_free_vgpr 14
		.amdhsa_next_free_sgpr 16
		.amdhsa_accum_offset 16
		.amdhsa_reserve_vcc 1
		.amdhsa_reserve_flat_scratch 0
		.amdhsa_float_round_mode_32 0
		.amdhsa_float_round_mode_16_64 0
		.amdhsa_float_denorm_mode_32 3
		.amdhsa_float_denorm_mode_16_64 3
		.amdhsa_dx10_clamp 1
		.amdhsa_ieee_mode 1
		.amdhsa_fp16_overflow 0
		.amdhsa_tg_split 0
		.amdhsa_exception_fp_ieee_invalid_op 0
		.amdhsa_exception_fp_denorm_src 0
		.amdhsa_exception_fp_ieee_div_zero 0
		.amdhsa_exception_fp_ieee_overflow 0
		.amdhsa_exception_fp_ieee_underflow 0
		.amdhsa_exception_fp_ieee_inexact 0
		.amdhsa_exception_int_div_zero 0
	.end_amdhsa_kernel
	.section	.text._ZN12_GLOBAL__N_121softmax_warp_backwardIN3c104HalfES2_fLi1ELb0ELb1ELi32EEEvPT0_PKT_S7_iiiPKb,"axG",@progbits,_ZN12_GLOBAL__N_121softmax_warp_backwardIN3c104HalfES2_fLi1ELb0ELb1ELi32EEEvPT0_PKT_S7_iiiPKb,comdat
.Lfunc_end815:
	.size	_ZN12_GLOBAL__N_121softmax_warp_backwardIN3c104HalfES2_fLi1ELb0ELb1ELi32EEEvPT0_PKT_S7_iiiPKb, .Lfunc_end815-_ZN12_GLOBAL__N_121softmax_warp_backwardIN3c104HalfES2_fLi1ELb0ELb1ELi32EEEvPT0_PKT_S7_iiiPKb
                                        ; -- End function
	.section	.AMDGPU.csdata,"",@progbits
; Kernel info:
; codeLenInByte = 688
; NumSgprs: 20
; NumVgprs: 14
; NumAgprs: 0
; TotalNumVgprs: 14
; ScratchSize: 0
; MemoryBound: 0
; FloatMode: 240
; IeeeMode: 1
; LDSByteSize: 0 bytes/workgroup (compile time only)
; SGPRBlocks: 2
; VGPRBlocks: 1
; NumSGPRsForWavesPerEU: 20
; NumVGPRsForWavesPerEU: 14
; AccumOffset: 16
; Occupancy: 8
; WaveLimiterHint : 0
; COMPUTE_PGM_RSRC2:SCRATCH_EN: 0
; COMPUTE_PGM_RSRC2:USER_SGPR: 6
; COMPUTE_PGM_RSRC2:TRAP_HANDLER: 0
; COMPUTE_PGM_RSRC2:TGID_X_EN: 1
; COMPUTE_PGM_RSRC2:TGID_Y_EN: 0
; COMPUTE_PGM_RSRC2:TGID_Z_EN: 0
; COMPUTE_PGM_RSRC2:TIDIG_COMP_CNT: 1
; COMPUTE_PGM_RSRC3_GFX90A:ACCUM_OFFSET: 3
; COMPUTE_PGM_RSRC3_GFX90A:TG_SPLIT: 0
	.section	.text._ZN12_GLOBAL__N_121softmax_warp_backwardIN3c104HalfES2_fLi2ELb0ELb1ELi64EEEvPT0_PKT_S7_iiiPKb,"axG",@progbits,_ZN12_GLOBAL__N_121softmax_warp_backwardIN3c104HalfES2_fLi2ELb0ELb1ELi64EEEvPT0_PKT_S7_iiiPKb,comdat
	.globl	_ZN12_GLOBAL__N_121softmax_warp_backwardIN3c104HalfES2_fLi2ELb0ELb1ELi64EEEvPT0_PKT_S7_iiiPKb ; -- Begin function _ZN12_GLOBAL__N_121softmax_warp_backwardIN3c104HalfES2_fLi2ELb0ELb1ELi64EEEvPT0_PKT_S7_iiiPKb
	.p2align	8
	.type	_ZN12_GLOBAL__N_121softmax_warp_backwardIN3c104HalfES2_fLi2ELb0ELb1ELi64EEEvPT0_PKT_S7_iiiPKb,@function
_ZN12_GLOBAL__N_121softmax_warp_backwardIN3c104HalfES2_fLi2ELb0ELb1ELi64EEEvPT0_PKT_S7_iiiPKb: ; @_ZN12_GLOBAL__N_121softmax_warp_backwardIN3c104HalfES2_fLi2ELb0ELb1ELi64EEEvPT0_PKT_S7_iiiPKb
; %bb.0:
	s_load_dword s2, s[4:5], 0x3c
	s_load_dwordx4 s[8:11], s[4:5], 0x18
	s_load_dwordx4 s[12:15], s[4:5], 0x0
	s_load_dwordx2 s[0:1], s[4:5], 0x10
	v_bfe_u32 v1, v0, 10, 10
	s_waitcnt lgkmcnt(0)
	s_lshr_b32 s2, s2, 16
	s_mul_i32 s6, s6, s2
	v_add_lshl_u32 v1, s6, v1, 1
	v_and_b32_e32 v10, 3, v0
	v_mad_u64_u32 v[2:3], s[2:3], v1, s9, v[10:11]
	v_ashrrev_i32_e32 v3, 31, v2
	v_sub_u32_e32 v8, s8, v1
	v_lshlrev_b64 v[0:1], 1, v[2:3]
	v_mov_b32_e32 v5, s15
	v_add_co_u32_e32 v4, vcc, s14, v0
	v_addc_co_u32_e32 v5, vcc, v5, v1, vcc
	v_mov_b32_e32 v7, s1
	v_add_co_u32_e32 v6, vcc, s0, v0
	v_addc_co_u32_e32 v7, vcc, v7, v1, vcc
	v_cmp_gt_i32_e32 vcc, s10, v10
	v_cmp_lt_i32_e64 s[0:1], 0, v8
	s_and_b64 s[6:7], vcc, s[0:1]
	v_mov_b32_e32 v9, 0
	v_mov_b32_e32 v11, 0
	;; [unrolled: 1-line block ×3, first 2 shown]
	s_and_saveexec_b64 s[2:3], s[6:7]
	s_cbranch_execz .LBB816_2
; %bb.1:
	global_load_ushort v10, v[4:5], off
	global_load_ushort v12, v[6:7], off
	s_waitcnt vmcnt(1)
	v_cvt_f32_f16_e32 v11, v10
	s_waitcnt vmcnt(0)
	v_cvt_f32_f16_e32 v12, v12
.LBB816_2:
	s_or_b64 exec, exec, s[2:3]
	v_cmp_lt_i32_e64 s[2:3], 1, v8
	s_and_b64 s[2:3], vcc, s[2:3]
	s_mov_b32 s11, 0
	v_mov_b32_e32 v10, 0
	s_and_saveexec_b64 s[6:7], s[2:3]
	s_cbranch_execz .LBB816_4
; %bb.3:
	s_lshl_b64 s[8:9], s[10:11], 1
	v_mov_b32_e32 v9, s9
	v_add_co_u32_e64 v4, s[2:3], s8, v4
	v_addc_co_u32_e64 v5, s[2:3], v5, v9, s[2:3]
	global_load_ushort v10, v[4:5], off
	v_add_co_u32_e64 v4, s[2:3], s8, v6
	v_addc_co_u32_e64 v5, s[2:3], v7, v9, s[2:3]
	global_load_ushort v4, v[4:5], off
	s_waitcnt vmcnt(1)
	v_cvt_f32_f16_e32 v9, v10
	s_waitcnt vmcnt(0)
	v_cvt_f32_f16_e32 v10, v4
.LBB816_4:
	s_or_b64 exec, exec, s[6:7]
	s_load_dwordx2 s[2:3], s[4:5], 0x28
	s_ashr_i32 s4, s10, 31
	v_mov_b32_e32 v5, s4
	v_mbcnt_lo_u32_b32 v6, -1, 0
	v_mbcnt_hi_u32_b32 v6, -1, v6
	s_waitcnt lgkmcnt(0)
	v_mov_b32_e32 v4, s3
	v_add_co_u32_e64 v2, s[2:3], s2, v2
	v_addc_co_u32_e64 v3, s[2:3], v4, v3, s[2:3]
	global_load_ubyte v4, v[2:3], off
	v_add_co_u32_e64 v2, s[2:3], s10, v2
	v_addc_co_u32_e64 v3, s[2:3], v3, v5, s[2:3]
	global_load_ubyte v3, v[2:3], off
	v_and_b32_e32 v7, 0x7c, v6
	v_xor_b32_e32 v13, 2, v6
	v_add_u32_e32 v7, 4, v7
	v_cmp_lt_i32_e64 s[2:3], v13, v7
	v_add_f32_e32 v2, 0, v11
	v_add_f32_e32 v5, 0, v9
	v_cndmask_b32_e64 v13, v6, v13, s[2:3]
	v_lshlrev_b32_e32 v13, 2, v13
	s_waitcnt vmcnt(1)
	v_and_b32_e32 v4, 1, v4
	v_cmp_eq_u32_e64 s[4:5], 1, v4
	v_cndmask_b32_e64 v2, v2, 0, s[4:5]
	ds_bpermute_b32 v4, v13, v2
	s_waitcnt vmcnt(0)
	v_and_b32_e32 v3, 1, v3
	v_cmp_eq_u32_e64 s[2:3], 1, v3
	v_cndmask_b32_e64 v3, v5, 0, s[2:3]
	ds_bpermute_b32 v5, v13, v3
	v_xor_b32_e32 v13, 1, v6
	v_cmp_lt_i32_e64 s[6:7], v13, v7
	v_cndmask_b32_e64 v6, v6, v13, s[6:7]
	v_lshlrev_b32_e32 v6, 2, v6
	s_waitcnt lgkmcnt(0)
	v_pk_add_f32 v[2:3], v[2:3], v[4:5]
	ds_bpermute_b32 v4, v6, v2
	ds_bpermute_b32 v5, v6, v3
	s_and_saveexec_b64 s[6:7], s[0:1]
	s_cbranch_execz .LBB816_16
; %bb.5:
	s_waitcnt lgkmcnt(0)
	v_pk_add_f32 v[2:3], v[2:3], v[4:5]
	v_mov_b32_e32 v4, s13
	v_add_co_u32_e64 v0, s[0:1], s12, v0
	v_addc_co_u32_e64 v1, s[0:1], v4, v1, s[0:1]
	s_and_saveexec_b64 s[0:1], vcc
	s_cbranch_execz .LBB816_10
; %bb.6:
	s_xor_b64 s[4:5], s[4:5], -1
	s_and_saveexec_b64 s[6:7], s[4:5]
	s_xor_b64 s[4:5], exec, s[6:7]
	s_cbranch_execz .LBB816_8
; %bb.7:
	v_fma_mixlo_f16 v2, -v2, v12, v11
	global_store_short v[0:1], v2, off
.LBB816_8:
	s_andn2_saveexec_b64 s[4:5], s[4:5]
	s_cbranch_execz .LBB816_10
; %bb.9:
	v_mov_b32_e32 v2, 0
	global_store_short v[0:1], v2, off
.LBB816_10:
	s_or_b64 exec, exec, s[0:1]
	v_cmp_ne_u32_e64 s[0:1], 1, v8
	s_and_b64 exec, exec, s[0:1]
	s_cbranch_execz .LBB816_16
; %bb.11:
	s_and_b64 exec, exec, vcc
	s_cbranch_execz .LBB816_16
; %bb.12:
	s_xor_b64 s[0:1], s[2:3], -1
	s_lshl_b64 s[2:3], s[10:11], 1
	v_mov_b32_e32 v2, s3
	v_add_co_u32_e32 v0, vcc, s2, v0
	v_addc_co_u32_e32 v1, vcc, v1, v2, vcc
	s_and_saveexec_b64 s[2:3], s[0:1]
	s_xor_b64 s[0:1], exec, s[2:3]
	s_cbranch_execz .LBB816_14
; %bb.13:
	v_fma_mixlo_f16 v2, -v3, v10, v9
	global_store_short v[0:1], v2, off
                                        ; implicit-def: $vgpr0_vgpr1
.LBB816_14:
	s_andn2_saveexec_b64 s[0:1], s[0:1]
	s_cbranch_execz .LBB816_16
; %bb.15:
	v_mov_b32_e32 v2, 0
	global_store_short v[0:1], v2, off
.LBB816_16:
	s_endpgm
	.section	.rodata,"a",@progbits
	.p2align	6, 0x0
	.amdhsa_kernel _ZN12_GLOBAL__N_121softmax_warp_backwardIN3c104HalfES2_fLi2ELb0ELb1ELi64EEEvPT0_PKT_S7_iiiPKb
		.amdhsa_group_segment_fixed_size 0
		.amdhsa_private_segment_fixed_size 0
		.amdhsa_kernarg_size 304
		.amdhsa_user_sgpr_count 6
		.amdhsa_user_sgpr_private_segment_buffer 1
		.amdhsa_user_sgpr_dispatch_ptr 0
		.amdhsa_user_sgpr_queue_ptr 0
		.amdhsa_user_sgpr_kernarg_segment_ptr 1
		.amdhsa_user_sgpr_dispatch_id 0
		.amdhsa_user_sgpr_flat_scratch_init 0
		.amdhsa_user_sgpr_kernarg_preload_length 0
		.amdhsa_user_sgpr_kernarg_preload_offset 0
		.amdhsa_user_sgpr_private_segment_size 0
		.amdhsa_uses_dynamic_stack 0
		.amdhsa_system_sgpr_private_segment_wavefront_offset 0
		.amdhsa_system_sgpr_workgroup_id_x 1
		.amdhsa_system_sgpr_workgroup_id_y 0
		.amdhsa_system_sgpr_workgroup_id_z 0
		.amdhsa_system_sgpr_workgroup_info 0
		.amdhsa_system_vgpr_workitem_id 1
		.amdhsa_next_free_vgpr 14
		.amdhsa_next_free_sgpr 16
		.amdhsa_accum_offset 16
		.amdhsa_reserve_vcc 1
		.amdhsa_reserve_flat_scratch 0
		.amdhsa_float_round_mode_32 0
		.amdhsa_float_round_mode_16_64 0
		.amdhsa_float_denorm_mode_32 3
		.amdhsa_float_denorm_mode_16_64 3
		.amdhsa_dx10_clamp 1
		.amdhsa_ieee_mode 1
		.amdhsa_fp16_overflow 0
		.amdhsa_tg_split 0
		.amdhsa_exception_fp_ieee_invalid_op 0
		.amdhsa_exception_fp_denorm_src 0
		.amdhsa_exception_fp_ieee_div_zero 0
		.amdhsa_exception_fp_ieee_overflow 0
		.amdhsa_exception_fp_ieee_underflow 0
		.amdhsa_exception_fp_ieee_inexact 0
		.amdhsa_exception_int_div_zero 0
	.end_amdhsa_kernel
	.section	.text._ZN12_GLOBAL__N_121softmax_warp_backwardIN3c104HalfES2_fLi2ELb0ELb1ELi64EEEvPT0_PKT_S7_iiiPKb,"axG",@progbits,_ZN12_GLOBAL__N_121softmax_warp_backwardIN3c104HalfES2_fLi2ELb0ELb1ELi64EEEvPT0_PKT_S7_iiiPKb,comdat
.Lfunc_end816:
	.size	_ZN12_GLOBAL__N_121softmax_warp_backwardIN3c104HalfES2_fLi2ELb0ELb1ELi64EEEvPT0_PKT_S7_iiiPKb, .Lfunc_end816-_ZN12_GLOBAL__N_121softmax_warp_backwardIN3c104HalfES2_fLi2ELb0ELb1ELi64EEEvPT0_PKT_S7_iiiPKb
                                        ; -- End function
	.section	.AMDGPU.csdata,"",@progbits
; Kernel info:
; codeLenInByte = 736
; NumSgprs: 20
; NumVgprs: 14
; NumAgprs: 0
; TotalNumVgprs: 14
; ScratchSize: 0
; MemoryBound: 0
; FloatMode: 240
; IeeeMode: 1
; LDSByteSize: 0 bytes/workgroup (compile time only)
; SGPRBlocks: 2
; VGPRBlocks: 1
; NumSGPRsForWavesPerEU: 20
; NumVGPRsForWavesPerEU: 14
; AccumOffset: 16
; Occupancy: 8
; WaveLimiterHint : 0
; COMPUTE_PGM_RSRC2:SCRATCH_EN: 0
; COMPUTE_PGM_RSRC2:USER_SGPR: 6
; COMPUTE_PGM_RSRC2:TRAP_HANDLER: 0
; COMPUTE_PGM_RSRC2:TGID_X_EN: 1
; COMPUTE_PGM_RSRC2:TGID_Y_EN: 0
; COMPUTE_PGM_RSRC2:TGID_Z_EN: 0
; COMPUTE_PGM_RSRC2:TIDIG_COMP_CNT: 1
; COMPUTE_PGM_RSRC3_GFX90A:ACCUM_OFFSET: 3
; COMPUTE_PGM_RSRC3_GFX90A:TG_SPLIT: 0
	.section	.text._ZN12_GLOBAL__N_121softmax_warp_backwardIN3c104HalfES2_fLi2ELb0ELb1ELi32EEEvPT0_PKT_S7_iiiPKb,"axG",@progbits,_ZN12_GLOBAL__N_121softmax_warp_backwardIN3c104HalfES2_fLi2ELb0ELb1ELi32EEEvPT0_PKT_S7_iiiPKb,comdat
	.globl	_ZN12_GLOBAL__N_121softmax_warp_backwardIN3c104HalfES2_fLi2ELb0ELb1ELi32EEEvPT0_PKT_S7_iiiPKb ; -- Begin function _ZN12_GLOBAL__N_121softmax_warp_backwardIN3c104HalfES2_fLi2ELb0ELb1ELi32EEEvPT0_PKT_S7_iiiPKb
	.p2align	8
	.type	_ZN12_GLOBAL__N_121softmax_warp_backwardIN3c104HalfES2_fLi2ELb0ELb1ELi32EEEvPT0_PKT_S7_iiiPKb,@function
_ZN12_GLOBAL__N_121softmax_warp_backwardIN3c104HalfES2_fLi2ELb0ELb1ELi32EEEvPT0_PKT_S7_iiiPKb: ; @_ZN12_GLOBAL__N_121softmax_warp_backwardIN3c104HalfES2_fLi2ELb0ELb1ELi32EEEvPT0_PKT_S7_iiiPKb
; %bb.0:
	s_load_dword s2, s[4:5], 0x3c
	s_load_dwordx4 s[8:11], s[4:5], 0x18
	s_load_dwordx4 s[12:15], s[4:5], 0x0
	s_load_dwordx2 s[0:1], s[4:5], 0x10
	v_bfe_u32 v1, v0, 10, 10
	s_waitcnt lgkmcnt(0)
	s_lshr_b32 s2, s2, 16
	s_mul_i32 s6, s6, s2
	v_add_lshl_u32 v1, s6, v1, 1
	v_and_b32_e32 v10, 3, v0
	v_mad_u64_u32 v[2:3], s[2:3], v1, s9, v[10:11]
	v_ashrrev_i32_e32 v3, 31, v2
	v_sub_u32_e32 v8, s8, v1
	v_lshlrev_b64 v[0:1], 1, v[2:3]
	v_mov_b32_e32 v5, s15
	v_add_co_u32_e32 v4, vcc, s14, v0
	v_addc_co_u32_e32 v5, vcc, v5, v1, vcc
	v_mov_b32_e32 v7, s1
	v_add_co_u32_e32 v6, vcc, s0, v0
	v_addc_co_u32_e32 v7, vcc, v7, v1, vcc
	v_cmp_gt_i32_e32 vcc, s10, v10
	v_cmp_lt_i32_e64 s[0:1], 0, v8
	s_and_b64 s[6:7], vcc, s[0:1]
	v_mov_b32_e32 v9, 0
	v_mov_b32_e32 v11, 0
	v_mov_b32_e32 v12, 0
	s_and_saveexec_b64 s[2:3], s[6:7]
	s_cbranch_execz .LBB817_2
; %bb.1:
	global_load_ushort v10, v[4:5], off
	global_load_ushort v12, v[6:7], off
	s_waitcnt vmcnt(1)
	v_cvt_f32_f16_e32 v11, v10
	s_waitcnt vmcnt(0)
	v_cvt_f32_f16_e32 v12, v12
.LBB817_2:
	s_or_b64 exec, exec, s[2:3]
	v_cmp_lt_i32_e64 s[2:3], 1, v8
	s_and_b64 s[2:3], vcc, s[2:3]
	s_mov_b32 s11, 0
	v_mov_b32_e32 v10, 0
	s_and_saveexec_b64 s[6:7], s[2:3]
	s_cbranch_execz .LBB817_4
; %bb.3:
	s_lshl_b64 s[8:9], s[10:11], 1
	v_mov_b32_e32 v9, s9
	v_add_co_u32_e64 v4, s[2:3], s8, v4
	v_addc_co_u32_e64 v5, s[2:3], v5, v9, s[2:3]
	global_load_ushort v10, v[4:5], off
	v_add_co_u32_e64 v4, s[2:3], s8, v6
	v_addc_co_u32_e64 v5, s[2:3], v7, v9, s[2:3]
	global_load_ushort v4, v[4:5], off
	s_waitcnt vmcnt(1)
	v_cvt_f32_f16_e32 v9, v10
	s_waitcnt vmcnt(0)
	v_cvt_f32_f16_e32 v10, v4
.LBB817_4:
	s_or_b64 exec, exec, s[6:7]
	s_load_dwordx2 s[2:3], s[4:5], 0x28
	s_ashr_i32 s4, s10, 31
	v_mov_b32_e32 v5, s4
	v_mbcnt_lo_u32_b32 v6, -1, 0
	v_mbcnt_hi_u32_b32 v6, -1, v6
	s_waitcnt lgkmcnt(0)
	v_mov_b32_e32 v4, s3
	v_add_co_u32_e64 v2, s[2:3], s2, v2
	v_addc_co_u32_e64 v3, s[2:3], v4, v3, s[2:3]
	global_load_ubyte v4, v[2:3], off
	v_add_co_u32_e64 v2, s[2:3], s10, v2
	v_addc_co_u32_e64 v3, s[2:3], v3, v5, s[2:3]
	global_load_ubyte v3, v[2:3], off
	v_and_b32_e32 v7, 0x7c, v6
	v_xor_b32_e32 v13, 2, v6
	v_add_u32_e32 v7, 4, v7
	v_cmp_lt_i32_e64 s[2:3], v13, v7
	v_add_f32_e32 v2, 0, v11
	v_add_f32_e32 v5, 0, v9
	v_cndmask_b32_e64 v13, v6, v13, s[2:3]
	v_lshlrev_b32_e32 v13, 2, v13
	s_waitcnt vmcnt(1)
	v_and_b32_e32 v4, 1, v4
	v_cmp_eq_u32_e64 s[4:5], 1, v4
	v_cndmask_b32_e64 v2, v2, 0, s[4:5]
	ds_bpermute_b32 v4, v13, v2
	s_waitcnt vmcnt(0)
	v_and_b32_e32 v3, 1, v3
	v_cmp_eq_u32_e64 s[2:3], 1, v3
	v_cndmask_b32_e64 v3, v5, 0, s[2:3]
	ds_bpermute_b32 v5, v13, v3
	v_xor_b32_e32 v13, 1, v6
	v_cmp_lt_i32_e64 s[6:7], v13, v7
	v_cndmask_b32_e64 v6, v6, v13, s[6:7]
	v_lshlrev_b32_e32 v6, 2, v6
	s_waitcnt lgkmcnt(0)
	v_pk_add_f32 v[2:3], v[2:3], v[4:5]
	ds_bpermute_b32 v4, v6, v2
	ds_bpermute_b32 v5, v6, v3
	s_and_saveexec_b64 s[6:7], s[0:1]
	s_cbranch_execz .LBB817_16
; %bb.5:
	s_waitcnt lgkmcnt(0)
	v_pk_add_f32 v[2:3], v[2:3], v[4:5]
	v_mov_b32_e32 v4, s13
	v_add_co_u32_e64 v0, s[0:1], s12, v0
	v_addc_co_u32_e64 v1, s[0:1], v4, v1, s[0:1]
	s_and_saveexec_b64 s[0:1], vcc
	s_cbranch_execz .LBB817_10
; %bb.6:
	s_xor_b64 s[4:5], s[4:5], -1
	s_and_saveexec_b64 s[6:7], s[4:5]
	s_xor_b64 s[4:5], exec, s[6:7]
	s_cbranch_execz .LBB817_8
; %bb.7:
	v_fma_mixlo_f16 v2, -v2, v12, v11
	global_store_short v[0:1], v2, off
.LBB817_8:
	s_andn2_saveexec_b64 s[4:5], s[4:5]
	s_cbranch_execz .LBB817_10
; %bb.9:
	v_mov_b32_e32 v2, 0
	global_store_short v[0:1], v2, off
.LBB817_10:
	s_or_b64 exec, exec, s[0:1]
	v_cmp_ne_u32_e64 s[0:1], 1, v8
	s_and_b64 exec, exec, s[0:1]
	s_cbranch_execz .LBB817_16
; %bb.11:
	s_and_b64 exec, exec, vcc
	s_cbranch_execz .LBB817_16
; %bb.12:
	s_xor_b64 s[0:1], s[2:3], -1
	s_lshl_b64 s[2:3], s[10:11], 1
	v_mov_b32_e32 v2, s3
	v_add_co_u32_e32 v0, vcc, s2, v0
	v_addc_co_u32_e32 v1, vcc, v1, v2, vcc
	s_and_saveexec_b64 s[2:3], s[0:1]
	s_xor_b64 s[0:1], exec, s[2:3]
	s_cbranch_execz .LBB817_14
; %bb.13:
	v_fma_mixlo_f16 v2, -v3, v10, v9
	global_store_short v[0:1], v2, off
                                        ; implicit-def: $vgpr0_vgpr1
.LBB817_14:
	s_andn2_saveexec_b64 s[0:1], s[0:1]
	s_cbranch_execz .LBB817_16
; %bb.15:
	v_mov_b32_e32 v2, 0
	global_store_short v[0:1], v2, off
.LBB817_16:
	s_endpgm
	.section	.rodata,"a",@progbits
	.p2align	6, 0x0
	.amdhsa_kernel _ZN12_GLOBAL__N_121softmax_warp_backwardIN3c104HalfES2_fLi2ELb0ELb1ELi32EEEvPT0_PKT_S7_iiiPKb
		.amdhsa_group_segment_fixed_size 0
		.amdhsa_private_segment_fixed_size 0
		.amdhsa_kernarg_size 304
		.amdhsa_user_sgpr_count 6
		.amdhsa_user_sgpr_private_segment_buffer 1
		.amdhsa_user_sgpr_dispatch_ptr 0
		.amdhsa_user_sgpr_queue_ptr 0
		.amdhsa_user_sgpr_kernarg_segment_ptr 1
		.amdhsa_user_sgpr_dispatch_id 0
		.amdhsa_user_sgpr_flat_scratch_init 0
		.amdhsa_user_sgpr_kernarg_preload_length 0
		.amdhsa_user_sgpr_kernarg_preload_offset 0
		.amdhsa_user_sgpr_private_segment_size 0
		.amdhsa_uses_dynamic_stack 0
		.amdhsa_system_sgpr_private_segment_wavefront_offset 0
		.amdhsa_system_sgpr_workgroup_id_x 1
		.amdhsa_system_sgpr_workgroup_id_y 0
		.amdhsa_system_sgpr_workgroup_id_z 0
		.amdhsa_system_sgpr_workgroup_info 0
		.amdhsa_system_vgpr_workitem_id 1
		.amdhsa_next_free_vgpr 14
		.amdhsa_next_free_sgpr 16
		.amdhsa_accum_offset 16
		.amdhsa_reserve_vcc 1
		.amdhsa_reserve_flat_scratch 0
		.amdhsa_float_round_mode_32 0
		.amdhsa_float_round_mode_16_64 0
		.amdhsa_float_denorm_mode_32 3
		.amdhsa_float_denorm_mode_16_64 3
		.amdhsa_dx10_clamp 1
		.amdhsa_ieee_mode 1
		.amdhsa_fp16_overflow 0
		.amdhsa_tg_split 0
		.amdhsa_exception_fp_ieee_invalid_op 0
		.amdhsa_exception_fp_denorm_src 0
		.amdhsa_exception_fp_ieee_div_zero 0
		.amdhsa_exception_fp_ieee_overflow 0
		.amdhsa_exception_fp_ieee_underflow 0
		.amdhsa_exception_fp_ieee_inexact 0
		.amdhsa_exception_int_div_zero 0
	.end_amdhsa_kernel
	.section	.text._ZN12_GLOBAL__N_121softmax_warp_backwardIN3c104HalfES2_fLi2ELb0ELb1ELi32EEEvPT0_PKT_S7_iiiPKb,"axG",@progbits,_ZN12_GLOBAL__N_121softmax_warp_backwardIN3c104HalfES2_fLi2ELb0ELb1ELi32EEEvPT0_PKT_S7_iiiPKb,comdat
.Lfunc_end817:
	.size	_ZN12_GLOBAL__N_121softmax_warp_backwardIN3c104HalfES2_fLi2ELb0ELb1ELi32EEEvPT0_PKT_S7_iiiPKb, .Lfunc_end817-_ZN12_GLOBAL__N_121softmax_warp_backwardIN3c104HalfES2_fLi2ELb0ELb1ELi32EEEvPT0_PKT_S7_iiiPKb
                                        ; -- End function
	.section	.AMDGPU.csdata,"",@progbits
; Kernel info:
; codeLenInByte = 736
; NumSgprs: 20
; NumVgprs: 14
; NumAgprs: 0
; TotalNumVgprs: 14
; ScratchSize: 0
; MemoryBound: 0
; FloatMode: 240
; IeeeMode: 1
; LDSByteSize: 0 bytes/workgroup (compile time only)
; SGPRBlocks: 2
; VGPRBlocks: 1
; NumSGPRsForWavesPerEU: 20
; NumVGPRsForWavesPerEU: 14
; AccumOffset: 16
; Occupancy: 8
; WaveLimiterHint : 0
; COMPUTE_PGM_RSRC2:SCRATCH_EN: 0
; COMPUTE_PGM_RSRC2:USER_SGPR: 6
; COMPUTE_PGM_RSRC2:TRAP_HANDLER: 0
; COMPUTE_PGM_RSRC2:TGID_X_EN: 1
; COMPUTE_PGM_RSRC2:TGID_Y_EN: 0
; COMPUTE_PGM_RSRC2:TGID_Z_EN: 0
; COMPUTE_PGM_RSRC2:TIDIG_COMP_CNT: 1
; COMPUTE_PGM_RSRC3_GFX90A:ACCUM_OFFSET: 3
; COMPUTE_PGM_RSRC3_GFX90A:TG_SPLIT: 0
	.section	.text._ZN12_GLOBAL__N_121softmax_warp_backwardIN3c104HalfES2_fLi3ELb0ELb1ELi64EEEvPT0_PKT_S7_iiiPKb,"axG",@progbits,_ZN12_GLOBAL__N_121softmax_warp_backwardIN3c104HalfES2_fLi3ELb0ELb1ELi64EEEvPT0_PKT_S7_iiiPKb,comdat
	.globl	_ZN12_GLOBAL__N_121softmax_warp_backwardIN3c104HalfES2_fLi3ELb0ELb1ELi64EEEvPT0_PKT_S7_iiiPKb ; -- Begin function _ZN12_GLOBAL__N_121softmax_warp_backwardIN3c104HalfES2_fLi3ELb0ELb1ELi64EEEvPT0_PKT_S7_iiiPKb
	.p2align	8
	.type	_ZN12_GLOBAL__N_121softmax_warp_backwardIN3c104HalfES2_fLi3ELb0ELb1ELi64EEEvPT0_PKT_S7_iiiPKb,@function
_ZN12_GLOBAL__N_121softmax_warp_backwardIN3c104HalfES2_fLi3ELb0ELb1ELi64EEEvPT0_PKT_S7_iiiPKb: ; @_ZN12_GLOBAL__N_121softmax_warp_backwardIN3c104HalfES2_fLi3ELb0ELb1ELi64EEEvPT0_PKT_S7_iiiPKb
; %bb.0:
	s_load_dword s2, s[4:5], 0x3c
	s_load_dwordx4 s[8:11], s[4:5], 0x18
	s_load_dwordx4 s[12:15], s[4:5], 0x0
	s_load_dwordx2 s[0:1], s[4:5], 0x10
	v_bfe_u32 v1, v0, 10, 10
	s_waitcnt lgkmcnt(0)
	s_lshr_b32 s2, s2, 16
	s_mul_i32 s6, s6, s2
	v_add_lshl_u32 v1, s6, v1, 1
	v_and_b32_e32 v10, 7, v0
	v_mad_u64_u32 v[2:3], s[2:3], v1, s9, v[10:11]
	v_ashrrev_i32_e32 v3, 31, v2
	v_sub_u32_e32 v8, s8, v1
	v_lshlrev_b64 v[0:1], 1, v[2:3]
	v_mov_b32_e32 v5, s15
	v_add_co_u32_e32 v4, vcc, s14, v0
	v_addc_co_u32_e32 v5, vcc, v5, v1, vcc
	v_mov_b32_e32 v7, s1
	v_add_co_u32_e32 v6, vcc, s0, v0
	v_addc_co_u32_e32 v7, vcc, v7, v1, vcc
	v_cmp_gt_i32_e32 vcc, s10, v10
	v_cmp_lt_i32_e64 s[0:1], 0, v8
	s_and_b64 s[6:7], vcc, s[0:1]
	v_mov_b32_e32 v9, 0
	v_mov_b32_e32 v11, 0
	;; [unrolled: 1-line block ×3, first 2 shown]
	s_and_saveexec_b64 s[2:3], s[6:7]
	s_cbranch_execz .LBB818_2
; %bb.1:
	global_load_ushort v10, v[4:5], off
	global_load_ushort v12, v[6:7], off
	s_waitcnt vmcnt(1)
	v_cvt_f32_f16_e32 v11, v10
	s_waitcnt vmcnt(0)
	v_cvt_f32_f16_e32 v12, v12
.LBB818_2:
	s_or_b64 exec, exec, s[2:3]
	v_cmp_lt_i32_e64 s[2:3], 1, v8
	s_and_b64 s[2:3], vcc, s[2:3]
	s_mov_b32 s11, 0
	v_mov_b32_e32 v10, 0
	s_and_saveexec_b64 s[6:7], s[2:3]
	s_cbranch_execz .LBB818_4
; %bb.3:
	s_lshl_b64 s[8:9], s[10:11], 1
	v_mov_b32_e32 v9, s9
	v_add_co_u32_e64 v4, s[2:3], s8, v4
	v_addc_co_u32_e64 v5, s[2:3], v5, v9, s[2:3]
	global_load_ushort v10, v[4:5], off
	v_add_co_u32_e64 v4, s[2:3], s8, v6
	v_addc_co_u32_e64 v5, s[2:3], v7, v9, s[2:3]
	global_load_ushort v4, v[4:5], off
	s_waitcnt vmcnt(1)
	v_cvt_f32_f16_e32 v9, v10
	s_waitcnt vmcnt(0)
	v_cvt_f32_f16_e32 v10, v4
.LBB818_4:
	s_or_b64 exec, exec, s[6:7]
	s_load_dwordx2 s[2:3], s[4:5], 0x28
	s_ashr_i32 s4, s10, 31
	v_mov_b32_e32 v5, s4
	v_mbcnt_lo_u32_b32 v6, -1, 0
	v_mbcnt_hi_u32_b32 v6, -1, v6
	s_waitcnt lgkmcnt(0)
	v_mov_b32_e32 v4, s3
	v_add_co_u32_e64 v2, s[2:3], s2, v2
	v_addc_co_u32_e64 v3, s[2:3], v4, v3, s[2:3]
	global_load_ubyte v4, v[2:3], off
	v_add_co_u32_e64 v2, s[2:3], s10, v2
	v_addc_co_u32_e64 v3, s[2:3], v3, v5, s[2:3]
	global_load_ubyte v3, v[2:3], off
	v_and_b32_e32 v7, 0x78, v6
	v_xor_b32_e32 v13, 4, v6
	v_add_u32_e32 v7, 8, v7
	v_cmp_lt_i32_e64 s[2:3], v13, v7
	v_add_f32_e32 v2, 0, v11
	v_add_f32_e32 v5, 0, v9
	v_cndmask_b32_e64 v13, v6, v13, s[2:3]
	v_lshlrev_b32_e32 v13, 2, v13
	s_waitcnt vmcnt(1)
	v_and_b32_e32 v4, 1, v4
	v_cmp_eq_u32_e64 s[4:5], 1, v4
	v_cndmask_b32_e64 v2, v2, 0, s[4:5]
	ds_bpermute_b32 v4, v13, v2
	s_waitcnt vmcnt(0)
	v_and_b32_e32 v3, 1, v3
	v_cmp_eq_u32_e64 s[2:3], 1, v3
	v_cndmask_b32_e64 v3, v5, 0, s[2:3]
	ds_bpermute_b32 v5, v13, v3
	v_xor_b32_e32 v13, 2, v6
	v_cmp_lt_i32_e64 s[6:7], v13, v7
	v_cndmask_b32_e64 v13, v6, v13, s[6:7]
	v_lshlrev_b32_e32 v13, 2, v13
	s_waitcnt lgkmcnt(0)
	v_pk_add_f32 v[2:3], v[2:3], v[4:5]
	ds_bpermute_b32 v4, v13, v2
	ds_bpermute_b32 v5, v13, v3
	v_xor_b32_e32 v13, 1, v6
	v_cmp_lt_i32_e64 s[6:7], v13, v7
	v_cndmask_b32_e64 v6, v6, v13, s[6:7]
	v_lshlrev_b32_e32 v6, 2, v6
	s_waitcnt lgkmcnt(0)
	v_pk_add_f32 v[2:3], v[2:3], v[4:5]
	ds_bpermute_b32 v4, v6, v2
	ds_bpermute_b32 v5, v6, v3
	s_and_saveexec_b64 s[6:7], s[0:1]
	s_cbranch_execz .LBB818_16
; %bb.5:
	s_waitcnt lgkmcnt(0)
	v_pk_add_f32 v[2:3], v[2:3], v[4:5]
	v_mov_b32_e32 v4, s13
	v_add_co_u32_e64 v0, s[0:1], s12, v0
	v_addc_co_u32_e64 v1, s[0:1], v4, v1, s[0:1]
	s_and_saveexec_b64 s[0:1], vcc
	s_cbranch_execz .LBB818_10
; %bb.6:
	s_xor_b64 s[4:5], s[4:5], -1
	s_and_saveexec_b64 s[6:7], s[4:5]
	s_xor_b64 s[4:5], exec, s[6:7]
	s_cbranch_execz .LBB818_8
; %bb.7:
	v_fma_mixlo_f16 v2, -v2, v12, v11
	global_store_short v[0:1], v2, off
.LBB818_8:
	s_andn2_saveexec_b64 s[4:5], s[4:5]
	s_cbranch_execz .LBB818_10
; %bb.9:
	v_mov_b32_e32 v2, 0
	global_store_short v[0:1], v2, off
.LBB818_10:
	s_or_b64 exec, exec, s[0:1]
	v_cmp_ne_u32_e64 s[0:1], 1, v8
	s_and_b64 exec, exec, s[0:1]
	s_cbranch_execz .LBB818_16
; %bb.11:
	s_and_b64 exec, exec, vcc
	s_cbranch_execz .LBB818_16
; %bb.12:
	s_xor_b64 s[0:1], s[2:3], -1
	s_lshl_b64 s[2:3], s[10:11], 1
	v_mov_b32_e32 v2, s3
	v_add_co_u32_e32 v0, vcc, s2, v0
	v_addc_co_u32_e32 v1, vcc, v1, v2, vcc
	s_and_saveexec_b64 s[2:3], s[0:1]
	s_xor_b64 s[0:1], exec, s[2:3]
	s_cbranch_execz .LBB818_14
; %bb.13:
	v_fma_mixlo_f16 v2, -v3, v10, v9
	global_store_short v[0:1], v2, off
                                        ; implicit-def: $vgpr0_vgpr1
.LBB818_14:
	s_andn2_saveexec_b64 s[0:1], s[0:1]
	s_cbranch_execz .LBB818_16
; %bb.15:
	v_mov_b32_e32 v2, 0
	global_store_short v[0:1], v2, off
.LBB818_16:
	s_endpgm
	.section	.rodata,"a",@progbits
	.p2align	6, 0x0
	.amdhsa_kernel _ZN12_GLOBAL__N_121softmax_warp_backwardIN3c104HalfES2_fLi3ELb0ELb1ELi64EEEvPT0_PKT_S7_iiiPKb
		.amdhsa_group_segment_fixed_size 0
		.amdhsa_private_segment_fixed_size 0
		.amdhsa_kernarg_size 304
		.amdhsa_user_sgpr_count 6
		.amdhsa_user_sgpr_private_segment_buffer 1
		.amdhsa_user_sgpr_dispatch_ptr 0
		.amdhsa_user_sgpr_queue_ptr 0
		.amdhsa_user_sgpr_kernarg_segment_ptr 1
		.amdhsa_user_sgpr_dispatch_id 0
		.amdhsa_user_sgpr_flat_scratch_init 0
		.amdhsa_user_sgpr_kernarg_preload_length 0
		.amdhsa_user_sgpr_kernarg_preload_offset 0
		.amdhsa_user_sgpr_private_segment_size 0
		.amdhsa_uses_dynamic_stack 0
		.amdhsa_system_sgpr_private_segment_wavefront_offset 0
		.amdhsa_system_sgpr_workgroup_id_x 1
		.amdhsa_system_sgpr_workgroup_id_y 0
		.amdhsa_system_sgpr_workgroup_id_z 0
		.amdhsa_system_sgpr_workgroup_info 0
		.amdhsa_system_vgpr_workitem_id 1
		.amdhsa_next_free_vgpr 14
		.amdhsa_next_free_sgpr 16
		.amdhsa_accum_offset 16
		.amdhsa_reserve_vcc 1
		.amdhsa_reserve_flat_scratch 0
		.amdhsa_float_round_mode_32 0
		.amdhsa_float_round_mode_16_64 0
		.amdhsa_float_denorm_mode_32 3
		.amdhsa_float_denorm_mode_16_64 3
		.amdhsa_dx10_clamp 1
		.amdhsa_ieee_mode 1
		.amdhsa_fp16_overflow 0
		.amdhsa_tg_split 0
		.amdhsa_exception_fp_ieee_invalid_op 0
		.amdhsa_exception_fp_denorm_src 0
		.amdhsa_exception_fp_ieee_div_zero 0
		.amdhsa_exception_fp_ieee_overflow 0
		.amdhsa_exception_fp_ieee_underflow 0
		.amdhsa_exception_fp_ieee_inexact 0
		.amdhsa_exception_int_div_zero 0
	.end_amdhsa_kernel
	.section	.text._ZN12_GLOBAL__N_121softmax_warp_backwardIN3c104HalfES2_fLi3ELb0ELb1ELi64EEEvPT0_PKT_S7_iiiPKb,"axG",@progbits,_ZN12_GLOBAL__N_121softmax_warp_backwardIN3c104HalfES2_fLi3ELb0ELb1ELi64EEEvPT0_PKT_S7_iiiPKb,comdat
.Lfunc_end818:
	.size	_ZN12_GLOBAL__N_121softmax_warp_backwardIN3c104HalfES2_fLi3ELb0ELb1ELi64EEEvPT0_PKT_S7_iiiPKb, .Lfunc_end818-_ZN12_GLOBAL__N_121softmax_warp_backwardIN3c104HalfES2_fLi3ELb0ELb1ELi64EEEvPT0_PKT_S7_iiiPKb
                                        ; -- End function
	.section	.AMDGPU.csdata,"",@progbits
; Kernel info:
; codeLenInByte = 788
; NumSgprs: 20
; NumVgprs: 14
; NumAgprs: 0
; TotalNumVgprs: 14
; ScratchSize: 0
; MemoryBound: 0
; FloatMode: 240
; IeeeMode: 1
; LDSByteSize: 0 bytes/workgroup (compile time only)
; SGPRBlocks: 2
; VGPRBlocks: 1
; NumSGPRsForWavesPerEU: 20
; NumVGPRsForWavesPerEU: 14
; AccumOffset: 16
; Occupancy: 8
; WaveLimiterHint : 0
; COMPUTE_PGM_RSRC2:SCRATCH_EN: 0
; COMPUTE_PGM_RSRC2:USER_SGPR: 6
; COMPUTE_PGM_RSRC2:TRAP_HANDLER: 0
; COMPUTE_PGM_RSRC2:TGID_X_EN: 1
; COMPUTE_PGM_RSRC2:TGID_Y_EN: 0
; COMPUTE_PGM_RSRC2:TGID_Z_EN: 0
; COMPUTE_PGM_RSRC2:TIDIG_COMP_CNT: 1
; COMPUTE_PGM_RSRC3_GFX90A:ACCUM_OFFSET: 3
; COMPUTE_PGM_RSRC3_GFX90A:TG_SPLIT: 0
	.section	.text._ZN12_GLOBAL__N_121softmax_warp_backwardIN3c104HalfES2_fLi3ELb0ELb1ELi32EEEvPT0_PKT_S7_iiiPKb,"axG",@progbits,_ZN12_GLOBAL__N_121softmax_warp_backwardIN3c104HalfES2_fLi3ELb0ELb1ELi32EEEvPT0_PKT_S7_iiiPKb,comdat
	.globl	_ZN12_GLOBAL__N_121softmax_warp_backwardIN3c104HalfES2_fLi3ELb0ELb1ELi32EEEvPT0_PKT_S7_iiiPKb ; -- Begin function _ZN12_GLOBAL__N_121softmax_warp_backwardIN3c104HalfES2_fLi3ELb0ELb1ELi32EEEvPT0_PKT_S7_iiiPKb
	.p2align	8
	.type	_ZN12_GLOBAL__N_121softmax_warp_backwardIN3c104HalfES2_fLi3ELb0ELb1ELi32EEEvPT0_PKT_S7_iiiPKb,@function
_ZN12_GLOBAL__N_121softmax_warp_backwardIN3c104HalfES2_fLi3ELb0ELb1ELi32EEEvPT0_PKT_S7_iiiPKb: ; @_ZN12_GLOBAL__N_121softmax_warp_backwardIN3c104HalfES2_fLi3ELb0ELb1ELi32EEEvPT0_PKT_S7_iiiPKb
; %bb.0:
	s_load_dword s2, s[4:5], 0x3c
	s_load_dwordx4 s[8:11], s[4:5], 0x18
	s_load_dwordx4 s[12:15], s[4:5], 0x0
	s_load_dwordx2 s[0:1], s[4:5], 0x10
	v_bfe_u32 v1, v0, 10, 10
	s_waitcnt lgkmcnt(0)
	s_lshr_b32 s2, s2, 16
	s_mul_i32 s6, s6, s2
	v_add_lshl_u32 v1, s6, v1, 1
	v_and_b32_e32 v10, 7, v0
	v_mad_u64_u32 v[2:3], s[2:3], v1, s9, v[10:11]
	v_ashrrev_i32_e32 v3, 31, v2
	v_sub_u32_e32 v8, s8, v1
	v_lshlrev_b64 v[0:1], 1, v[2:3]
	v_mov_b32_e32 v5, s15
	v_add_co_u32_e32 v4, vcc, s14, v0
	v_addc_co_u32_e32 v5, vcc, v5, v1, vcc
	v_mov_b32_e32 v7, s1
	v_add_co_u32_e32 v6, vcc, s0, v0
	v_addc_co_u32_e32 v7, vcc, v7, v1, vcc
	v_cmp_gt_i32_e32 vcc, s10, v10
	v_cmp_lt_i32_e64 s[0:1], 0, v8
	s_and_b64 s[6:7], vcc, s[0:1]
	v_mov_b32_e32 v9, 0
	v_mov_b32_e32 v11, 0
	;; [unrolled: 1-line block ×3, first 2 shown]
	s_and_saveexec_b64 s[2:3], s[6:7]
	s_cbranch_execz .LBB819_2
; %bb.1:
	global_load_ushort v10, v[4:5], off
	global_load_ushort v12, v[6:7], off
	s_waitcnt vmcnt(1)
	v_cvt_f32_f16_e32 v11, v10
	s_waitcnt vmcnt(0)
	v_cvt_f32_f16_e32 v12, v12
.LBB819_2:
	s_or_b64 exec, exec, s[2:3]
	v_cmp_lt_i32_e64 s[2:3], 1, v8
	s_and_b64 s[2:3], vcc, s[2:3]
	s_mov_b32 s11, 0
	v_mov_b32_e32 v10, 0
	s_and_saveexec_b64 s[6:7], s[2:3]
	s_cbranch_execz .LBB819_4
; %bb.3:
	s_lshl_b64 s[8:9], s[10:11], 1
	v_mov_b32_e32 v9, s9
	v_add_co_u32_e64 v4, s[2:3], s8, v4
	v_addc_co_u32_e64 v5, s[2:3], v5, v9, s[2:3]
	global_load_ushort v10, v[4:5], off
	v_add_co_u32_e64 v4, s[2:3], s8, v6
	v_addc_co_u32_e64 v5, s[2:3], v7, v9, s[2:3]
	global_load_ushort v4, v[4:5], off
	s_waitcnt vmcnt(1)
	v_cvt_f32_f16_e32 v9, v10
	s_waitcnt vmcnt(0)
	v_cvt_f32_f16_e32 v10, v4
.LBB819_4:
	s_or_b64 exec, exec, s[6:7]
	s_load_dwordx2 s[2:3], s[4:5], 0x28
	s_ashr_i32 s4, s10, 31
	v_mov_b32_e32 v5, s4
	v_mbcnt_lo_u32_b32 v6, -1, 0
	v_mbcnt_hi_u32_b32 v6, -1, v6
	s_waitcnt lgkmcnt(0)
	v_mov_b32_e32 v4, s3
	v_add_co_u32_e64 v2, s[2:3], s2, v2
	v_addc_co_u32_e64 v3, s[2:3], v4, v3, s[2:3]
	global_load_ubyte v4, v[2:3], off
	v_add_co_u32_e64 v2, s[2:3], s10, v2
	v_addc_co_u32_e64 v3, s[2:3], v3, v5, s[2:3]
	global_load_ubyte v3, v[2:3], off
	v_and_b32_e32 v7, 0x78, v6
	v_xor_b32_e32 v13, 4, v6
	v_add_u32_e32 v7, 8, v7
	v_cmp_lt_i32_e64 s[2:3], v13, v7
	v_add_f32_e32 v2, 0, v11
	v_add_f32_e32 v5, 0, v9
	v_cndmask_b32_e64 v13, v6, v13, s[2:3]
	v_lshlrev_b32_e32 v13, 2, v13
	s_waitcnt vmcnt(1)
	v_and_b32_e32 v4, 1, v4
	v_cmp_eq_u32_e64 s[4:5], 1, v4
	v_cndmask_b32_e64 v2, v2, 0, s[4:5]
	ds_bpermute_b32 v4, v13, v2
	s_waitcnt vmcnt(0)
	v_and_b32_e32 v3, 1, v3
	v_cmp_eq_u32_e64 s[2:3], 1, v3
	v_cndmask_b32_e64 v3, v5, 0, s[2:3]
	ds_bpermute_b32 v5, v13, v3
	v_xor_b32_e32 v13, 2, v6
	v_cmp_lt_i32_e64 s[6:7], v13, v7
	v_cndmask_b32_e64 v13, v6, v13, s[6:7]
	v_lshlrev_b32_e32 v13, 2, v13
	s_waitcnt lgkmcnt(0)
	v_pk_add_f32 v[2:3], v[2:3], v[4:5]
	ds_bpermute_b32 v4, v13, v2
	ds_bpermute_b32 v5, v13, v3
	v_xor_b32_e32 v13, 1, v6
	v_cmp_lt_i32_e64 s[6:7], v13, v7
	v_cndmask_b32_e64 v6, v6, v13, s[6:7]
	v_lshlrev_b32_e32 v6, 2, v6
	s_waitcnt lgkmcnt(0)
	v_pk_add_f32 v[2:3], v[2:3], v[4:5]
	ds_bpermute_b32 v4, v6, v2
	ds_bpermute_b32 v5, v6, v3
	s_and_saveexec_b64 s[6:7], s[0:1]
	s_cbranch_execz .LBB819_16
; %bb.5:
	s_waitcnt lgkmcnt(0)
	v_pk_add_f32 v[2:3], v[2:3], v[4:5]
	v_mov_b32_e32 v4, s13
	v_add_co_u32_e64 v0, s[0:1], s12, v0
	v_addc_co_u32_e64 v1, s[0:1], v4, v1, s[0:1]
	s_and_saveexec_b64 s[0:1], vcc
	s_cbranch_execz .LBB819_10
; %bb.6:
	s_xor_b64 s[4:5], s[4:5], -1
	s_and_saveexec_b64 s[6:7], s[4:5]
	s_xor_b64 s[4:5], exec, s[6:7]
	s_cbranch_execz .LBB819_8
; %bb.7:
	v_fma_mixlo_f16 v2, -v2, v12, v11
	global_store_short v[0:1], v2, off
.LBB819_8:
	s_andn2_saveexec_b64 s[4:5], s[4:5]
	s_cbranch_execz .LBB819_10
; %bb.9:
	v_mov_b32_e32 v2, 0
	global_store_short v[0:1], v2, off
.LBB819_10:
	s_or_b64 exec, exec, s[0:1]
	v_cmp_ne_u32_e64 s[0:1], 1, v8
	s_and_b64 exec, exec, s[0:1]
	s_cbranch_execz .LBB819_16
; %bb.11:
	s_and_b64 exec, exec, vcc
	s_cbranch_execz .LBB819_16
; %bb.12:
	s_xor_b64 s[0:1], s[2:3], -1
	s_lshl_b64 s[2:3], s[10:11], 1
	v_mov_b32_e32 v2, s3
	v_add_co_u32_e32 v0, vcc, s2, v0
	v_addc_co_u32_e32 v1, vcc, v1, v2, vcc
	s_and_saveexec_b64 s[2:3], s[0:1]
	s_xor_b64 s[0:1], exec, s[2:3]
	s_cbranch_execz .LBB819_14
; %bb.13:
	v_fma_mixlo_f16 v2, -v3, v10, v9
	global_store_short v[0:1], v2, off
                                        ; implicit-def: $vgpr0_vgpr1
.LBB819_14:
	s_andn2_saveexec_b64 s[0:1], s[0:1]
	s_cbranch_execz .LBB819_16
; %bb.15:
	v_mov_b32_e32 v2, 0
	global_store_short v[0:1], v2, off
.LBB819_16:
	s_endpgm
	.section	.rodata,"a",@progbits
	.p2align	6, 0x0
	.amdhsa_kernel _ZN12_GLOBAL__N_121softmax_warp_backwardIN3c104HalfES2_fLi3ELb0ELb1ELi32EEEvPT0_PKT_S7_iiiPKb
		.amdhsa_group_segment_fixed_size 0
		.amdhsa_private_segment_fixed_size 0
		.amdhsa_kernarg_size 304
		.amdhsa_user_sgpr_count 6
		.amdhsa_user_sgpr_private_segment_buffer 1
		.amdhsa_user_sgpr_dispatch_ptr 0
		.amdhsa_user_sgpr_queue_ptr 0
		.amdhsa_user_sgpr_kernarg_segment_ptr 1
		.amdhsa_user_sgpr_dispatch_id 0
		.amdhsa_user_sgpr_flat_scratch_init 0
		.amdhsa_user_sgpr_kernarg_preload_length 0
		.amdhsa_user_sgpr_kernarg_preload_offset 0
		.amdhsa_user_sgpr_private_segment_size 0
		.amdhsa_uses_dynamic_stack 0
		.amdhsa_system_sgpr_private_segment_wavefront_offset 0
		.amdhsa_system_sgpr_workgroup_id_x 1
		.amdhsa_system_sgpr_workgroup_id_y 0
		.amdhsa_system_sgpr_workgroup_id_z 0
		.amdhsa_system_sgpr_workgroup_info 0
		.amdhsa_system_vgpr_workitem_id 1
		.amdhsa_next_free_vgpr 14
		.amdhsa_next_free_sgpr 16
		.amdhsa_accum_offset 16
		.amdhsa_reserve_vcc 1
		.amdhsa_reserve_flat_scratch 0
		.amdhsa_float_round_mode_32 0
		.amdhsa_float_round_mode_16_64 0
		.amdhsa_float_denorm_mode_32 3
		.amdhsa_float_denorm_mode_16_64 3
		.amdhsa_dx10_clamp 1
		.amdhsa_ieee_mode 1
		.amdhsa_fp16_overflow 0
		.amdhsa_tg_split 0
		.amdhsa_exception_fp_ieee_invalid_op 0
		.amdhsa_exception_fp_denorm_src 0
		.amdhsa_exception_fp_ieee_div_zero 0
		.amdhsa_exception_fp_ieee_overflow 0
		.amdhsa_exception_fp_ieee_underflow 0
		.amdhsa_exception_fp_ieee_inexact 0
		.amdhsa_exception_int_div_zero 0
	.end_amdhsa_kernel
	.section	.text._ZN12_GLOBAL__N_121softmax_warp_backwardIN3c104HalfES2_fLi3ELb0ELb1ELi32EEEvPT0_PKT_S7_iiiPKb,"axG",@progbits,_ZN12_GLOBAL__N_121softmax_warp_backwardIN3c104HalfES2_fLi3ELb0ELb1ELi32EEEvPT0_PKT_S7_iiiPKb,comdat
.Lfunc_end819:
	.size	_ZN12_GLOBAL__N_121softmax_warp_backwardIN3c104HalfES2_fLi3ELb0ELb1ELi32EEEvPT0_PKT_S7_iiiPKb, .Lfunc_end819-_ZN12_GLOBAL__N_121softmax_warp_backwardIN3c104HalfES2_fLi3ELb0ELb1ELi32EEEvPT0_PKT_S7_iiiPKb
                                        ; -- End function
	.section	.AMDGPU.csdata,"",@progbits
; Kernel info:
; codeLenInByte = 788
; NumSgprs: 20
; NumVgprs: 14
; NumAgprs: 0
; TotalNumVgprs: 14
; ScratchSize: 0
; MemoryBound: 0
; FloatMode: 240
; IeeeMode: 1
; LDSByteSize: 0 bytes/workgroup (compile time only)
; SGPRBlocks: 2
; VGPRBlocks: 1
; NumSGPRsForWavesPerEU: 20
; NumVGPRsForWavesPerEU: 14
; AccumOffset: 16
; Occupancy: 8
; WaveLimiterHint : 0
; COMPUTE_PGM_RSRC2:SCRATCH_EN: 0
; COMPUTE_PGM_RSRC2:USER_SGPR: 6
; COMPUTE_PGM_RSRC2:TRAP_HANDLER: 0
; COMPUTE_PGM_RSRC2:TGID_X_EN: 1
; COMPUTE_PGM_RSRC2:TGID_Y_EN: 0
; COMPUTE_PGM_RSRC2:TGID_Z_EN: 0
; COMPUTE_PGM_RSRC2:TIDIG_COMP_CNT: 1
; COMPUTE_PGM_RSRC3_GFX90A:ACCUM_OFFSET: 3
; COMPUTE_PGM_RSRC3_GFX90A:TG_SPLIT: 0
	.section	.text._ZN12_GLOBAL__N_121softmax_warp_backwardIN3c104HalfES2_fLi4ELb0ELb1ELi64EEEvPT0_PKT_S7_iiiPKb,"axG",@progbits,_ZN12_GLOBAL__N_121softmax_warp_backwardIN3c104HalfES2_fLi4ELb0ELb1ELi64EEEvPT0_PKT_S7_iiiPKb,comdat
	.globl	_ZN12_GLOBAL__N_121softmax_warp_backwardIN3c104HalfES2_fLi4ELb0ELb1ELi64EEEvPT0_PKT_S7_iiiPKb ; -- Begin function _ZN12_GLOBAL__N_121softmax_warp_backwardIN3c104HalfES2_fLi4ELb0ELb1ELi64EEEvPT0_PKT_S7_iiiPKb
	.p2align	8
	.type	_ZN12_GLOBAL__N_121softmax_warp_backwardIN3c104HalfES2_fLi4ELb0ELb1ELi64EEEvPT0_PKT_S7_iiiPKb,@function
_ZN12_GLOBAL__N_121softmax_warp_backwardIN3c104HalfES2_fLi4ELb0ELb1ELi64EEEvPT0_PKT_S7_iiiPKb: ; @_ZN12_GLOBAL__N_121softmax_warp_backwardIN3c104HalfES2_fLi4ELb0ELb1ELi64EEEvPT0_PKT_S7_iiiPKb
; %bb.0:
	s_load_dword s2, s[4:5], 0x3c
	s_load_dwordx4 s[8:11], s[4:5], 0x18
	s_load_dwordx4 s[12:15], s[4:5], 0x0
	s_load_dwordx2 s[0:1], s[4:5], 0x10
	v_bfe_u32 v1, v0, 10, 10
	s_waitcnt lgkmcnt(0)
	s_lshr_b32 s2, s2, 16
	s_mul_i32 s6, s6, s2
	v_add_lshl_u32 v1, s6, v1, 1
	v_and_b32_e32 v10, 15, v0
	v_mad_u64_u32 v[2:3], s[2:3], v1, s9, v[10:11]
	v_ashrrev_i32_e32 v3, 31, v2
	v_sub_u32_e32 v8, s8, v1
	v_lshlrev_b64 v[0:1], 1, v[2:3]
	v_mov_b32_e32 v5, s15
	v_add_co_u32_e32 v4, vcc, s14, v0
	v_addc_co_u32_e32 v5, vcc, v5, v1, vcc
	v_mov_b32_e32 v7, s1
	v_add_co_u32_e32 v6, vcc, s0, v0
	v_addc_co_u32_e32 v7, vcc, v7, v1, vcc
	v_cmp_gt_i32_e32 vcc, s10, v10
	v_cmp_lt_i32_e64 s[0:1], 0, v8
	s_and_b64 s[6:7], vcc, s[0:1]
	v_mov_b32_e32 v9, 0
	v_mov_b32_e32 v11, 0
	;; [unrolled: 1-line block ×3, first 2 shown]
	s_and_saveexec_b64 s[2:3], s[6:7]
	s_cbranch_execz .LBB820_2
; %bb.1:
	global_load_ushort v10, v[4:5], off
	global_load_ushort v12, v[6:7], off
	s_waitcnt vmcnt(1)
	v_cvt_f32_f16_e32 v11, v10
	s_waitcnt vmcnt(0)
	v_cvt_f32_f16_e32 v12, v12
.LBB820_2:
	s_or_b64 exec, exec, s[2:3]
	v_cmp_lt_i32_e64 s[2:3], 1, v8
	s_and_b64 s[2:3], vcc, s[2:3]
	s_mov_b32 s11, 0
	v_mov_b32_e32 v10, 0
	s_and_saveexec_b64 s[6:7], s[2:3]
	s_cbranch_execz .LBB820_4
; %bb.3:
	s_lshl_b64 s[8:9], s[10:11], 1
	v_mov_b32_e32 v9, s9
	v_add_co_u32_e64 v4, s[2:3], s8, v4
	v_addc_co_u32_e64 v5, s[2:3], v5, v9, s[2:3]
	global_load_ushort v10, v[4:5], off
	v_add_co_u32_e64 v4, s[2:3], s8, v6
	v_addc_co_u32_e64 v5, s[2:3], v7, v9, s[2:3]
	global_load_ushort v4, v[4:5], off
	s_waitcnt vmcnt(1)
	v_cvt_f32_f16_e32 v9, v10
	s_waitcnt vmcnt(0)
	v_cvt_f32_f16_e32 v10, v4
.LBB820_4:
	s_or_b64 exec, exec, s[6:7]
	s_load_dwordx2 s[2:3], s[4:5], 0x28
	s_ashr_i32 s4, s10, 31
	v_mov_b32_e32 v5, s4
	v_mbcnt_lo_u32_b32 v6, -1, 0
	v_mbcnt_hi_u32_b32 v6, -1, v6
	s_waitcnt lgkmcnt(0)
	v_mov_b32_e32 v4, s3
	v_add_co_u32_e64 v2, s[2:3], s2, v2
	v_addc_co_u32_e64 v3, s[2:3], v4, v3, s[2:3]
	global_load_ubyte v4, v[2:3], off
	v_add_co_u32_e64 v2, s[2:3], s10, v2
	v_addc_co_u32_e64 v3, s[2:3], v3, v5, s[2:3]
	global_load_ubyte v3, v[2:3], off
	v_and_b32_e32 v7, 0x70, v6
	v_xor_b32_e32 v13, 8, v6
	v_add_u32_e32 v7, 16, v7
	v_cmp_lt_i32_e64 s[2:3], v13, v7
	v_add_f32_e32 v2, 0, v11
	v_add_f32_e32 v5, 0, v9
	v_cndmask_b32_e64 v13, v6, v13, s[2:3]
	v_lshlrev_b32_e32 v13, 2, v13
	s_waitcnt vmcnt(1)
	v_and_b32_e32 v4, 1, v4
	v_cmp_eq_u32_e64 s[4:5], 1, v4
	v_cndmask_b32_e64 v2, v2, 0, s[4:5]
	ds_bpermute_b32 v4, v13, v2
	s_waitcnt vmcnt(0)
	v_and_b32_e32 v3, 1, v3
	v_cmp_eq_u32_e64 s[2:3], 1, v3
	v_cndmask_b32_e64 v3, v5, 0, s[2:3]
	ds_bpermute_b32 v5, v13, v3
	v_xor_b32_e32 v13, 4, v6
	v_cmp_lt_i32_e64 s[6:7], v13, v7
	v_cndmask_b32_e64 v13, v6, v13, s[6:7]
	v_lshlrev_b32_e32 v13, 2, v13
	s_waitcnt lgkmcnt(0)
	v_pk_add_f32 v[2:3], v[2:3], v[4:5]
	ds_bpermute_b32 v4, v13, v2
	ds_bpermute_b32 v5, v13, v3
	v_xor_b32_e32 v13, 2, v6
	v_cmp_lt_i32_e64 s[6:7], v13, v7
	v_cndmask_b32_e64 v13, v6, v13, s[6:7]
	v_lshlrev_b32_e32 v13, 2, v13
	s_waitcnt lgkmcnt(0)
	v_pk_add_f32 v[2:3], v[2:3], v[4:5]
	ds_bpermute_b32 v4, v13, v2
	;; [unrolled: 8-line block ×3, first 2 shown]
	ds_bpermute_b32 v5, v6, v3
	s_and_saveexec_b64 s[6:7], s[0:1]
	s_cbranch_execz .LBB820_16
; %bb.5:
	s_waitcnt lgkmcnt(0)
	v_pk_add_f32 v[2:3], v[2:3], v[4:5]
	v_mov_b32_e32 v4, s13
	v_add_co_u32_e64 v0, s[0:1], s12, v0
	v_addc_co_u32_e64 v1, s[0:1], v4, v1, s[0:1]
	s_and_saveexec_b64 s[0:1], vcc
	s_cbranch_execz .LBB820_10
; %bb.6:
	s_xor_b64 s[4:5], s[4:5], -1
	s_and_saveexec_b64 s[6:7], s[4:5]
	s_xor_b64 s[4:5], exec, s[6:7]
	s_cbranch_execz .LBB820_8
; %bb.7:
	v_fma_mixlo_f16 v2, -v2, v12, v11
	global_store_short v[0:1], v2, off
.LBB820_8:
	s_andn2_saveexec_b64 s[4:5], s[4:5]
	s_cbranch_execz .LBB820_10
; %bb.9:
	v_mov_b32_e32 v2, 0
	global_store_short v[0:1], v2, off
.LBB820_10:
	s_or_b64 exec, exec, s[0:1]
	v_cmp_ne_u32_e64 s[0:1], 1, v8
	s_and_b64 exec, exec, s[0:1]
	s_cbranch_execz .LBB820_16
; %bb.11:
	s_and_b64 exec, exec, vcc
	s_cbranch_execz .LBB820_16
; %bb.12:
	s_xor_b64 s[0:1], s[2:3], -1
	s_lshl_b64 s[2:3], s[10:11], 1
	v_mov_b32_e32 v2, s3
	v_add_co_u32_e32 v0, vcc, s2, v0
	v_addc_co_u32_e32 v1, vcc, v1, v2, vcc
	s_and_saveexec_b64 s[2:3], s[0:1]
	s_xor_b64 s[0:1], exec, s[2:3]
	s_cbranch_execz .LBB820_14
; %bb.13:
	v_fma_mixlo_f16 v2, -v3, v10, v9
	global_store_short v[0:1], v2, off
                                        ; implicit-def: $vgpr0_vgpr1
.LBB820_14:
	s_andn2_saveexec_b64 s[0:1], s[0:1]
	s_cbranch_execz .LBB820_16
; %bb.15:
	v_mov_b32_e32 v2, 0
	global_store_short v[0:1], v2, off
.LBB820_16:
	s_endpgm
	.section	.rodata,"a",@progbits
	.p2align	6, 0x0
	.amdhsa_kernel _ZN12_GLOBAL__N_121softmax_warp_backwardIN3c104HalfES2_fLi4ELb0ELb1ELi64EEEvPT0_PKT_S7_iiiPKb
		.amdhsa_group_segment_fixed_size 0
		.amdhsa_private_segment_fixed_size 0
		.amdhsa_kernarg_size 304
		.amdhsa_user_sgpr_count 6
		.amdhsa_user_sgpr_private_segment_buffer 1
		.amdhsa_user_sgpr_dispatch_ptr 0
		.amdhsa_user_sgpr_queue_ptr 0
		.amdhsa_user_sgpr_kernarg_segment_ptr 1
		.amdhsa_user_sgpr_dispatch_id 0
		.amdhsa_user_sgpr_flat_scratch_init 0
		.amdhsa_user_sgpr_kernarg_preload_length 0
		.amdhsa_user_sgpr_kernarg_preload_offset 0
		.amdhsa_user_sgpr_private_segment_size 0
		.amdhsa_uses_dynamic_stack 0
		.amdhsa_system_sgpr_private_segment_wavefront_offset 0
		.amdhsa_system_sgpr_workgroup_id_x 1
		.amdhsa_system_sgpr_workgroup_id_y 0
		.amdhsa_system_sgpr_workgroup_id_z 0
		.amdhsa_system_sgpr_workgroup_info 0
		.amdhsa_system_vgpr_workitem_id 1
		.amdhsa_next_free_vgpr 14
		.amdhsa_next_free_sgpr 16
		.amdhsa_accum_offset 16
		.amdhsa_reserve_vcc 1
		.amdhsa_reserve_flat_scratch 0
		.amdhsa_float_round_mode_32 0
		.amdhsa_float_round_mode_16_64 0
		.amdhsa_float_denorm_mode_32 3
		.amdhsa_float_denorm_mode_16_64 3
		.amdhsa_dx10_clamp 1
		.amdhsa_ieee_mode 1
		.amdhsa_fp16_overflow 0
		.amdhsa_tg_split 0
		.amdhsa_exception_fp_ieee_invalid_op 0
		.amdhsa_exception_fp_denorm_src 0
		.amdhsa_exception_fp_ieee_div_zero 0
		.amdhsa_exception_fp_ieee_overflow 0
		.amdhsa_exception_fp_ieee_underflow 0
		.amdhsa_exception_fp_ieee_inexact 0
		.amdhsa_exception_int_div_zero 0
	.end_amdhsa_kernel
	.section	.text._ZN12_GLOBAL__N_121softmax_warp_backwardIN3c104HalfES2_fLi4ELb0ELb1ELi64EEEvPT0_PKT_S7_iiiPKb,"axG",@progbits,_ZN12_GLOBAL__N_121softmax_warp_backwardIN3c104HalfES2_fLi4ELb0ELb1ELi64EEEvPT0_PKT_S7_iiiPKb,comdat
.Lfunc_end820:
	.size	_ZN12_GLOBAL__N_121softmax_warp_backwardIN3c104HalfES2_fLi4ELb0ELb1ELi64EEEvPT0_PKT_S7_iiiPKb, .Lfunc_end820-_ZN12_GLOBAL__N_121softmax_warp_backwardIN3c104HalfES2_fLi4ELb0ELb1ELi64EEEvPT0_PKT_S7_iiiPKb
                                        ; -- End function
	.section	.AMDGPU.csdata,"",@progbits
; Kernel info:
; codeLenInByte = 840
; NumSgprs: 20
; NumVgprs: 14
; NumAgprs: 0
; TotalNumVgprs: 14
; ScratchSize: 0
; MemoryBound: 0
; FloatMode: 240
; IeeeMode: 1
; LDSByteSize: 0 bytes/workgroup (compile time only)
; SGPRBlocks: 2
; VGPRBlocks: 1
; NumSGPRsForWavesPerEU: 20
; NumVGPRsForWavesPerEU: 14
; AccumOffset: 16
; Occupancy: 8
; WaveLimiterHint : 0
; COMPUTE_PGM_RSRC2:SCRATCH_EN: 0
; COMPUTE_PGM_RSRC2:USER_SGPR: 6
; COMPUTE_PGM_RSRC2:TRAP_HANDLER: 0
; COMPUTE_PGM_RSRC2:TGID_X_EN: 1
; COMPUTE_PGM_RSRC2:TGID_Y_EN: 0
; COMPUTE_PGM_RSRC2:TGID_Z_EN: 0
; COMPUTE_PGM_RSRC2:TIDIG_COMP_CNT: 1
; COMPUTE_PGM_RSRC3_GFX90A:ACCUM_OFFSET: 3
; COMPUTE_PGM_RSRC3_GFX90A:TG_SPLIT: 0
	.section	.text._ZN12_GLOBAL__N_121softmax_warp_backwardIN3c104HalfES2_fLi4ELb0ELb1ELi32EEEvPT0_PKT_S7_iiiPKb,"axG",@progbits,_ZN12_GLOBAL__N_121softmax_warp_backwardIN3c104HalfES2_fLi4ELb0ELb1ELi32EEEvPT0_PKT_S7_iiiPKb,comdat
	.globl	_ZN12_GLOBAL__N_121softmax_warp_backwardIN3c104HalfES2_fLi4ELb0ELb1ELi32EEEvPT0_PKT_S7_iiiPKb ; -- Begin function _ZN12_GLOBAL__N_121softmax_warp_backwardIN3c104HalfES2_fLi4ELb0ELb1ELi32EEEvPT0_PKT_S7_iiiPKb
	.p2align	8
	.type	_ZN12_GLOBAL__N_121softmax_warp_backwardIN3c104HalfES2_fLi4ELb0ELb1ELi32EEEvPT0_PKT_S7_iiiPKb,@function
_ZN12_GLOBAL__N_121softmax_warp_backwardIN3c104HalfES2_fLi4ELb0ELb1ELi32EEEvPT0_PKT_S7_iiiPKb: ; @_ZN12_GLOBAL__N_121softmax_warp_backwardIN3c104HalfES2_fLi4ELb0ELb1ELi32EEEvPT0_PKT_S7_iiiPKb
; %bb.0:
	s_load_dword s2, s[4:5], 0x3c
	s_load_dwordx4 s[8:11], s[4:5], 0x18
	s_load_dwordx4 s[12:15], s[4:5], 0x0
	s_load_dwordx2 s[0:1], s[4:5], 0x10
	v_bfe_u32 v1, v0, 10, 10
	s_waitcnt lgkmcnt(0)
	s_lshr_b32 s2, s2, 16
	s_mul_i32 s6, s6, s2
	v_add_lshl_u32 v1, s6, v1, 1
	v_and_b32_e32 v10, 15, v0
	v_mad_u64_u32 v[2:3], s[2:3], v1, s9, v[10:11]
	v_ashrrev_i32_e32 v3, 31, v2
	v_sub_u32_e32 v8, s8, v1
	v_lshlrev_b64 v[0:1], 1, v[2:3]
	v_mov_b32_e32 v5, s15
	v_add_co_u32_e32 v4, vcc, s14, v0
	v_addc_co_u32_e32 v5, vcc, v5, v1, vcc
	v_mov_b32_e32 v7, s1
	v_add_co_u32_e32 v6, vcc, s0, v0
	v_addc_co_u32_e32 v7, vcc, v7, v1, vcc
	v_cmp_gt_i32_e32 vcc, s10, v10
	v_cmp_lt_i32_e64 s[0:1], 0, v8
	s_and_b64 s[6:7], vcc, s[0:1]
	v_mov_b32_e32 v9, 0
	v_mov_b32_e32 v11, 0
	v_mov_b32_e32 v12, 0
	s_and_saveexec_b64 s[2:3], s[6:7]
	s_cbranch_execz .LBB821_2
; %bb.1:
	global_load_ushort v10, v[4:5], off
	global_load_ushort v12, v[6:7], off
	s_waitcnt vmcnt(1)
	v_cvt_f32_f16_e32 v11, v10
	s_waitcnt vmcnt(0)
	v_cvt_f32_f16_e32 v12, v12
.LBB821_2:
	s_or_b64 exec, exec, s[2:3]
	v_cmp_lt_i32_e64 s[2:3], 1, v8
	s_and_b64 s[2:3], vcc, s[2:3]
	s_mov_b32 s11, 0
	v_mov_b32_e32 v10, 0
	s_and_saveexec_b64 s[6:7], s[2:3]
	s_cbranch_execz .LBB821_4
; %bb.3:
	s_lshl_b64 s[8:9], s[10:11], 1
	v_mov_b32_e32 v9, s9
	v_add_co_u32_e64 v4, s[2:3], s8, v4
	v_addc_co_u32_e64 v5, s[2:3], v5, v9, s[2:3]
	global_load_ushort v10, v[4:5], off
	v_add_co_u32_e64 v4, s[2:3], s8, v6
	v_addc_co_u32_e64 v5, s[2:3], v7, v9, s[2:3]
	global_load_ushort v4, v[4:5], off
	s_waitcnt vmcnt(1)
	v_cvt_f32_f16_e32 v9, v10
	s_waitcnt vmcnt(0)
	v_cvt_f32_f16_e32 v10, v4
.LBB821_4:
	s_or_b64 exec, exec, s[6:7]
	s_load_dwordx2 s[2:3], s[4:5], 0x28
	s_ashr_i32 s4, s10, 31
	v_mov_b32_e32 v5, s4
	v_mbcnt_lo_u32_b32 v6, -1, 0
	v_mbcnt_hi_u32_b32 v6, -1, v6
	s_waitcnt lgkmcnt(0)
	v_mov_b32_e32 v4, s3
	v_add_co_u32_e64 v2, s[2:3], s2, v2
	v_addc_co_u32_e64 v3, s[2:3], v4, v3, s[2:3]
	global_load_ubyte v4, v[2:3], off
	v_add_co_u32_e64 v2, s[2:3], s10, v2
	v_addc_co_u32_e64 v3, s[2:3], v3, v5, s[2:3]
	global_load_ubyte v3, v[2:3], off
	v_and_b32_e32 v7, 0x70, v6
	v_xor_b32_e32 v13, 8, v6
	v_add_u32_e32 v7, 16, v7
	v_cmp_lt_i32_e64 s[2:3], v13, v7
	v_add_f32_e32 v2, 0, v11
	v_add_f32_e32 v5, 0, v9
	v_cndmask_b32_e64 v13, v6, v13, s[2:3]
	v_lshlrev_b32_e32 v13, 2, v13
	s_waitcnt vmcnt(1)
	v_and_b32_e32 v4, 1, v4
	v_cmp_eq_u32_e64 s[4:5], 1, v4
	v_cndmask_b32_e64 v2, v2, 0, s[4:5]
	ds_bpermute_b32 v4, v13, v2
	s_waitcnt vmcnt(0)
	v_and_b32_e32 v3, 1, v3
	v_cmp_eq_u32_e64 s[2:3], 1, v3
	v_cndmask_b32_e64 v3, v5, 0, s[2:3]
	ds_bpermute_b32 v5, v13, v3
	v_xor_b32_e32 v13, 4, v6
	v_cmp_lt_i32_e64 s[6:7], v13, v7
	v_cndmask_b32_e64 v13, v6, v13, s[6:7]
	v_lshlrev_b32_e32 v13, 2, v13
	s_waitcnt lgkmcnt(0)
	v_pk_add_f32 v[2:3], v[2:3], v[4:5]
	ds_bpermute_b32 v4, v13, v2
	ds_bpermute_b32 v5, v13, v3
	v_xor_b32_e32 v13, 2, v6
	v_cmp_lt_i32_e64 s[6:7], v13, v7
	v_cndmask_b32_e64 v13, v6, v13, s[6:7]
	v_lshlrev_b32_e32 v13, 2, v13
	s_waitcnt lgkmcnt(0)
	v_pk_add_f32 v[2:3], v[2:3], v[4:5]
	ds_bpermute_b32 v4, v13, v2
	;; [unrolled: 8-line block ×3, first 2 shown]
	ds_bpermute_b32 v5, v6, v3
	s_and_saveexec_b64 s[6:7], s[0:1]
	s_cbranch_execz .LBB821_16
; %bb.5:
	s_waitcnt lgkmcnt(0)
	v_pk_add_f32 v[2:3], v[2:3], v[4:5]
	v_mov_b32_e32 v4, s13
	v_add_co_u32_e64 v0, s[0:1], s12, v0
	v_addc_co_u32_e64 v1, s[0:1], v4, v1, s[0:1]
	s_and_saveexec_b64 s[0:1], vcc
	s_cbranch_execz .LBB821_10
; %bb.6:
	s_xor_b64 s[4:5], s[4:5], -1
	s_and_saveexec_b64 s[6:7], s[4:5]
	s_xor_b64 s[4:5], exec, s[6:7]
	s_cbranch_execz .LBB821_8
; %bb.7:
	v_fma_mixlo_f16 v2, -v2, v12, v11
	global_store_short v[0:1], v2, off
.LBB821_8:
	s_andn2_saveexec_b64 s[4:5], s[4:5]
	s_cbranch_execz .LBB821_10
; %bb.9:
	v_mov_b32_e32 v2, 0
	global_store_short v[0:1], v2, off
.LBB821_10:
	s_or_b64 exec, exec, s[0:1]
	v_cmp_ne_u32_e64 s[0:1], 1, v8
	s_and_b64 exec, exec, s[0:1]
	s_cbranch_execz .LBB821_16
; %bb.11:
	s_and_b64 exec, exec, vcc
	s_cbranch_execz .LBB821_16
; %bb.12:
	s_xor_b64 s[0:1], s[2:3], -1
	s_lshl_b64 s[2:3], s[10:11], 1
	v_mov_b32_e32 v2, s3
	v_add_co_u32_e32 v0, vcc, s2, v0
	v_addc_co_u32_e32 v1, vcc, v1, v2, vcc
	s_and_saveexec_b64 s[2:3], s[0:1]
	s_xor_b64 s[0:1], exec, s[2:3]
	s_cbranch_execz .LBB821_14
; %bb.13:
	v_fma_mixlo_f16 v2, -v3, v10, v9
	global_store_short v[0:1], v2, off
                                        ; implicit-def: $vgpr0_vgpr1
.LBB821_14:
	s_andn2_saveexec_b64 s[0:1], s[0:1]
	s_cbranch_execz .LBB821_16
; %bb.15:
	v_mov_b32_e32 v2, 0
	global_store_short v[0:1], v2, off
.LBB821_16:
	s_endpgm
	.section	.rodata,"a",@progbits
	.p2align	6, 0x0
	.amdhsa_kernel _ZN12_GLOBAL__N_121softmax_warp_backwardIN3c104HalfES2_fLi4ELb0ELb1ELi32EEEvPT0_PKT_S7_iiiPKb
		.amdhsa_group_segment_fixed_size 0
		.amdhsa_private_segment_fixed_size 0
		.amdhsa_kernarg_size 304
		.amdhsa_user_sgpr_count 6
		.amdhsa_user_sgpr_private_segment_buffer 1
		.amdhsa_user_sgpr_dispatch_ptr 0
		.amdhsa_user_sgpr_queue_ptr 0
		.amdhsa_user_sgpr_kernarg_segment_ptr 1
		.amdhsa_user_sgpr_dispatch_id 0
		.amdhsa_user_sgpr_flat_scratch_init 0
		.amdhsa_user_sgpr_kernarg_preload_length 0
		.amdhsa_user_sgpr_kernarg_preload_offset 0
		.amdhsa_user_sgpr_private_segment_size 0
		.amdhsa_uses_dynamic_stack 0
		.amdhsa_system_sgpr_private_segment_wavefront_offset 0
		.amdhsa_system_sgpr_workgroup_id_x 1
		.amdhsa_system_sgpr_workgroup_id_y 0
		.amdhsa_system_sgpr_workgroup_id_z 0
		.amdhsa_system_sgpr_workgroup_info 0
		.amdhsa_system_vgpr_workitem_id 1
		.amdhsa_next_free_vgpr 14
		.amdhsa_next_free_sgpr 16
		.amdhsa_accum_offset 16
		.amdhsa_reserve_vcc 1
		.amdhsa_reserve_flat_scratch 0
		.amdhsa_float_round_mode_32 0
		.amdhsa_float_round_mode_16_64 0
		.amdhsa_float_denorm_mode_32 3
		.amdhsa_float_denorm_mode_16_64 3
		.amdhsa_dx10_clamp 1
		.amdhsa_ieee_mode 1
		.amdhsa_fp16_overflow 0
		.amdhsa_tg_split 0
		.amdhsa_exception_fp_ieee_invalid_op 0
		.amdhsa_exception_fp_denorm_src 0
		.amdhsa_exception_fp_ieee_div_zero 0
		.amdhsa_exception_fp_ieee_overflow 0
		.amdhsa_exception_fp_ieee_underflow 0
		.amdhsa_exception_fp_ieee_inexact 0
		.amdhsa_exception_int_div_zero 0
	.end_amdhsa_kernel
	.section	.text._ZN12_GLOBAL__N_121softmax_warp_backwardIN3c104HalfES2_fLi4ELb0ELb1ELi32EEEvPT0_PKT_S7_iiiPKb,"axG",@progbits,_ZN12_GLOBAL__N_121softmax_warp_backwardIN3c104HalfES2_fLi4ELb0ELb1ELi32EEEvPT0_PKT_S7_iiiPKb,comdat
.Lfunc_end821:
	.size	_ZN12_GLOBAL__N_121softmax_warp_backwardIN3c104HalfES2_fLi4ELb0ELb1ELi32EEEvPT0_PKT_S7_iiiPKb, .Lfunc_end821-_ZN12_GLOBAL__N_121softmax_warp_backwardIN3c104HalfES2_fLi4ELb0ELb1ELi32EEEvPT0_PKT_S7_iiiPKb
                                        ; -- End function
	.section	.AMDGPU.csdata,"",@progbits
; Kernel info:
; codeLenInByte = 840
; NumSgprs: 20
; NumVgprs: 14
; NumAgprs: 0
; TotalNumVgprs: 14
; ScratchSize: 0
; MemoryBound: 0
; FloatMode: 240
; IeeeMode: 1
; LDSByteSize: 0 bytes/workgroup (compile time only)
; SGPRBlocks: 2
; VGPRBlocks: 1
; NumSGPRsForWavesPerEU: 20
; NumVGPRsForWavesPerEU: 14
; AccumOffset: 16
; Occupancy: 8
; WaveLimiterHint : 0
; COMPUTE_PGM_RSRC2:SCRATCH_EN: 0
; COMPUTE_PGM_RSRC2:USER_SGPR: 6
; COMPUTE_PGM_RSRC2:TRAP_HANDLER: 0
; COMPUTE_PGM_RSRC2:TGID_X_EN: 1
; COMPUTE_PGM_RSRC2:TGID_Y_EN: 0
; COMPUTE_PGM_RSRC2:TGID_Z_EN: 0
; COMPUTE_PGM_RSRC2:TIDIG_COMP_CNT: 1
; COMPUTE_PGM_RSRC3_GFX90A:ACCUM_OFFSET: 3
; COMPUTE_PGM_RSRC3_GFX90A:TG_SPLIT: 0
	.section	.text._ZN12_GLOBAL__N_121softmax_warp_backwardIN3c104HalfES2_fLi5ELb0ELb1ELi64EEEvPT0_PKT_S7_iiiPKb,"axG",@progbits,_ZN12_GLOBAL__N_121softmax_warp_backwardIN3c104HalfES2_fLi5ELb0ELb1ELi64EEEvPT0_PKT_S7_iiiPKb,comdat
	.globl	_ZN12_GLOBAL__N_121softmax_warp_backwardIN3c104HalfES2_fLi5ELb0ELb1ELi64EEEvPT0_PKT_S7_iiiPKb ; -- Begin function _ZN12_GLOBAL__N_121softmax_warp_backwardIN3c104HalfES2_fLi5ELb0ELb1ELi64EEEvPT0_PKT_S7_iiiPKb
	.p2align	8
	.type	_ZN12_GLOBAL__N_121softmax_warp_backwardIN3c104HalfES2_fLi5ELb0ELb1ELi64EEEvPT0_PKT_S7_iiiPKb,@function
_ZN12_GLOBAL__N_121softmax_warp_backwardIN3c104HalfES2_fLi5ELb0ELb1ELi64EEEvPT0_PKT_S7_iiiPKb: ; @_ZN12_GLOBAL__N_121softmax_warp_backwardIN3c104HalfES2_fLi5ELb0ELb1ELi64EEEvPT0_PKT_S7_iiiPKb
; %bb.0:
	s_load_dword s2, s[4:5], 0x3c
	s_load_dwordx4 s[8:11], s[4:5], 0x18
	s_load_dwordx4 s[12:15], s[4:5], 0x0
	s_load_dwordx2 s[0:1], s[4:5], 0x10
	v_bfe_u32 v1, v0, 10, 10
	s_waitcnt lgkmcnt(0)
	s_lshr_b32 s2, s2, 16
	s_mul_i32 s6, s6, s2
	v_add_lshl_u32 v1, s6, v1, 1
	v_and_b32_e32 v10, 31, v0
	v_mad_u64_u32 v[2:3], s[2:3], v1, s9, v[10:11]
	v_ashrrev_i32_e32 v3, 31, v2
	v_sub_u32_e32 v8, s8, v1
	v_lshlrev_b64 v[0:1], 1, v[2:3]
	v_mov_b32_e32 v5, s15
	v_add_co_u32_e32 v4, vcc, s14, v0
	v_addc_co_u32_e32 v5, vcc, v5, v1, vcc
	v_mov_b32_e32 v7, s1
	v_add_co_u32_e32 v6, vcc, s0, v0
	v_addc_co_u32_e32 v7, vcc, v7, v1, vcc
	v_cmp_gt_i32_e32 vcc, s10, v10
	v_cmp_lt_i32_e64 s[0:1], 0, v8
	s_and_b64 s[6:7], vcc, s[0:1]
	v_mov_b32_e32 v9, 0
	v_mov_b32_e32 v11, 0
	v_mov_b32_e32 v12, 0
	s_and_saveexec_b64 s[2:3], s[6:7]
	s_cbranch_execz .LBB822_2
; %bb.1:
	global_load_ushort v10, v[4:5], off
	global_load_ushort v12, v[6:7], off
	s_waitcnt vmcnt(1)
	v_cvt_f32_f16_e32 v11, v10
	s_waitcnt vmcnt(0)
	v_cvt_f32_f16_e32 v12, v12
.LBB822_2:
	s_or_b64 exec, exec, s[2:3]
	v_cmp_lt_i32_e64 s[2:3], 1, v8
	s_and_b64 s[2:3], vcc, s[2:3]
	s_mov_b32 s11, 0
	v_mov_b32_e32 v10, 0
	s_and_saveexec_b64 s[6:7], s[2:3]
	s_cbranch_execz .LBB822_4
; %bb.3:
	s_lshl_b64 s[8:9], s[10:11], 1
	v_mov_b32_e32 v9, s9
	v_add_co_u32_e64 v4, s[2:3], s8, v4
	v_addc_co_u32_e64 v5, s[2:3], v5, v9, s[2:3]
	global_load_ushort v10, v[4:5], off
	v_add_co_u32_e64 v4, s[2:3], s8, v6
	v_addc_co_u32_e64 v5, s[2:3], v7, v9, s[2:3]
	global_load_ushort v4, v[4:5], off
	s_waitcnt vmcnt(1)
	v_cvt_f32_f16_e32 v9, v10
	s_waitcnt vmcnt(0)
	v_cvt_f32_f16_e32 v10, v4
.LBB822_4:
	s_or_b64 exec, exec, s[6:7]
	s_load_dwordx2 s[2:3], s[4:5], 0x28
	s_ashr_i32 s4, s10, 31
	v_mov_b32_e32 v5, s4
	v_mbcnt_lo_u32_b32 v6, -1, 0
	v_mbcnt_hi_u32_b32 v6, -1, v6
	s_waitcnt lgkmcnt(0)
	v_mov_b32_e32 v4, s3
	v_add_co_u32_e64 v2, s[2:3], s2, v2
	v_addc_co_u32_e64 v3, s[2:3], v4, v3, s[2:3]
	global_load_ubyte v4, v[2:3], off
	v_add_co_u32_e64 v2, s[2:3], s10, v2
	v_addc_co_u32_e64 v3, s[2:3], v3, v5, s[2:3]
	global_load_ubyte v3, v[2:3], off
	v_and_b32_e32 v7, 0x60, v6
	v_xor_b32_e32 v13, 16, v6
	v_add_u32_e32 v7, 32, v7
	v_cmp_lt_i32_e64 s[2:3], v13, v7
	v_add_f32_e32 v2, 0, v11
	v_add_f32_e32 v5, 0, v9
	v_cndmask_b32_e64 v13, v6, v13, s[2:3]
	v_lshlrev_b32_e32 v13, 2, v13
	s_waitcnt vmcnt(1)
	v_and_b32_e32 v4, 1, v4
	v_cmp_eq_u32_e64 s[4:5], 1, v4
	v_cndmask_b32_e64 v2, v2, 0, s[4:5]
	ds_bpermute_b32 v4, v13, v2
	s_waitcnt vmcnt(0)
	v_and_b32_e32 v3, 1, v3
	v_cmp_eq_u32_e64 s[2:3], 1, v3
	v_cndmask_b32_e64 v3, v5, 0, s[2:3]
	ds_bpermute_b32 v5, v13, v3
	v_xor_b32_e32 v13, 8, v6
	v_cmp_lt_i32_e64 s[6:7], v13, v7
	v_cndmask_b32_e64 v13, v6, v13, s[6:7]
	v_lshlrev_b32_e32 v13, 2, v13
	s_waitcnt lgkmcnt(0)
	v_pk_add_f32 v[2:3], v[2:3], v[4:5]
	ds_bpermute_b32 v4, v13, v2
	ds_bpermute_b32 v5, v13, v3
	v_xor_b32_e32 v13, 4, v6
	v_cmp_lt_i32_e64 s[6:7], v13, v7
	v_cndmask_b32_e64 v13, v6, v13, s[6:7]
	v_lshlrev_b32_e32 v13, 2, v13
	s_waitcnt lgkmcnt(0)
	v_pk_add_f32 v[2:3], v[2:3], v[4:5]
	ds_bpermute_b32 v4, v13, v2
	;; [unrolled: 8-line block ×4, first 2 shown]
	ds_bpermute_b32 v5, v6, v3
	s_and_saveexec_b64 s[6:7], s[0:1]
	s_cbranch_execz .LBB822_16
; %bb.5:
	s_waitcnt lgkmcnt(0)
	v_pk_add_f32 v[2:3], v[2:3], v[4:5]
	v_mov_b32_e32 v4, s13
	v_add_co_u32_e64 v0, s[0:1], s12, v0
	v_addc_co_u32_e64 v1, s[0:1], v4, v1, s[0:1]
	s_and_saveexec_b64 s[0:1], vcc
	s_cbranch_execz .LBB822_10
; %bb.6:
	s_xor_b64 s[4:5], s[4:5], -1
	s_and_saveexec_b64 s[6:7], s[4:5]
	s_xor_b64 s[4:5], exec, s[6:7]
	s_cbranch_execz .LBB822_8
; %bb.7:
	v_fma_mixlo_f16 v2, -v2, v12, v11
	global_store_short v[0:1], v2, off
.LBB822_8:
	s_andn2_saveexec_b64 s[4:5], s[4:5]
	s_cbranch_execz .LBB822_10
; %bb.9:
	v_mov_b32_e32 v2, 0
	global_store_short v[0:1], v2, off
.LBB822_10:
	s_or_b64 exec, exec, s[0:1]
	v_cmp_ne_u32_e64 s[0:1], 1, v8
	s_and_b64 exec, exec, s[0:1]
	s_cbranch_execz .LBB822_16
; %bb.11:
	s_and_b64 exec, exec, vcc
	s_cbranch_execz .LBB822_16
; %bb.12:
	s_xor_b64 s[0:1], s[2:3], -1
	s_lshl_b64 s[2:3], s[10:11], 1
	v_mov_b32_e32 v2, s3
	v_add_co_u32_e32 v0, vcc, s2, v0
	v_addc_co_u32_e32 v1, vcc, v1, v2, vcc
	s_and_saveexec_b64 s[2:3], s[0:1]
	s_xor_b64 s[0:1], exec, s[2:3]
	s_cbranch_execz .LBB822_14
; %bb.13:
	v_fma_mixlo_f16 v2, -v3, v10, v9
	global_store_short v[0:1], v2, off
                                        ; implicit-def: $vgpr0_vgpr1
.LBB822_14:
	s_andn2_saveexec_b64 s[0:1], s[0:1]
	s_cbranch_execz .LBB822_16
; %bb.15:
	v_mov_b32_e32 v2, 0
	global_store_short v[0:1], v2, off
.LBB822_16:
	s_endpgm
	.section	.rodata,"a",@progbits
	.p2align	6, 0x0
	.amdhsa_kernel _ZN12_GLOBAL__N_121softmax_warp_backwardIN3c104HalfES2_fLi5ELb0ELb1ELi64EEEvPT0_PKT_S7_iiiPKb
		.amdhsa_group_segment_fixed_size 0
		.amdhsa_private_segment_fixed_size 0
		.amdhsa_kernarg_size 304
		.amdhsa_user_sgpr_count 6
		.amdhsa_user_sgpr_private_segment_buffer 1
		.amdhsa_user_sgpr_dispatch_ptr 0
		.amdhsa_user_sgpr_queue_ptr 0
		.amdhsa_user_sgpr_kernarg_segment_ptr 1
		.amdhsa_user_sgpr_dispatch_id 0
		.amdhsa_user_sgpr_flat_scratch_init 0
		.amdhsa_user_sgpr_kernarg_preload_length 0
		.amdhsa_user_sgpr_kernarg_preload_offset 0
		.amdhsa_user_sgpr_private_segment_size 0
		.amdhsa_uses_dynamic_stack 0
		.amdhsa_system_sgpr_private_segment_wavefront_offset 0
		.amdhsa_system_sgpr_workgroup_id_x 1
		.amdhsa_system_sgpr_workgroup_id_y 0
		.amdhsa_system_sgpr_workgroup_id_z 0
		.amdhsa_system_sgpr_workgroup_info 0
		.amdhsa_system_vgpr_workitem_id 1
		.amdhsa_next_free_vgpr 14
		.amdhsa_next_free_sgpr 16
		.amdhsa_accum_offset 16
		.amdhsa_reserve_vcc 1
		.amdhsa_reserve_flat_scratch 0
		.amdhsa_float_round_mode_32 0
		.amdhsa_float_round_mode_16_64 0
		.amdhsa_float_denorm_mode_32 3
		.amdhsa_float_denorm_mode_16_64 3
		.amdhsa_dx10_clamp 1
		.amdhsa_ieee_mode 1
		.amdhsa_fp16_overflow 0
		.amdhsa_tg_split 0
		.amdhsa_exception_fp_ieee_invalid_op 0
		.amdhsa_exception_fp_denorm_src 0
		.amdhsa_exception_fp_ieee_div_zero 0
		.amdhsa_exception_fp_ieee_overflow 0
		.amdhsa_exception_fp_ieee_underflow 0
		.amdhsa_exception_fp_ieee_inexact 0
		.amdhsa_exception_int_div_zero 0
	.end_amdhsa_kernel
	.section	.text._ZN12_GLOBAL__N_121softmax_warp_backwardIN3c104HalfES2_fLi5ELb0ELb1ELi64EEEvPT0_PKT_S7_iiiPKb,"axG",@progbits,_ZN12_GLOBAL__N_121softmax_warp_backwardIN3c104HalfES2_fLi5ELb0ELb1ELi64EEEvPT0_PKT_S7_iiiPKb,comdat
.Lfunc_end822:
	.size	_ZN12_GLOBAL__N_121softmax_warp_backwardIN3c104HalfES2_fLi5ELb0ELb1ELi64EEEvPT0_PKT_S7_iiiPKb, .Lfunc_end822-_ZN12_GLOBAL__N_121softmax_warp_backwardIN3c104HalfES2_fLi5ELb0ELb1ELi64EEEvPT0_PKT_S7_iiiPKb
                                        ; -- End function
	.section	.AMDGPU.csdata,"",@progbits
; Kernel info:
; codeLenInByte = 892
; NumSgprs: 20
; NumVgprs: 14
; NumAgprs: 0
; TotalNumVgprs: 14
; ScratchSize: 0
; MemoryBound: 0
; FloatMode: 240
; IeeeMode: 1
; LDSByteSize: 0 bytes/workgroup (compile time only)
; SGPRBlocks: 2
; VGPRBlocks: 1
; NumSGPRsForWavesPerEU: 20
; NumVGPRsForWavesPerEU: 14
; AccumOffset: 16
; Occupancy: 8
; WaveLimiterHint : 0
; COMPUTE_PGM_RSRC2:SCRATCH_EN: 0
; COMPUTE_PGM_RSRC2:USER_SGPR: 6
; COMPUTE_PGM_RSRC2:TRAP_HANDLER: 0
; COMPUTE_PGM_RSRC2:TGID_X_EN: 1
; COMPUTE_PGM_RSRC2:TGID_Y_EN: 0
; COMPUTE_PGM_RSRC2:TGID_Z_EN: 0
; COMPUTE_PGM_RSRC2:TIDIG_COMP_CNT: 1
; COMPUTE_PGM_RSRC3_GFX90A:ACCUM_OFFSET: 3
; COMPUTE_PGM_RSRC3_GFX90A:TG_SPLIT: 0
	.section	.text._ZN12_GLOBAL__N_121softmax_warp_backwardIN3c104HalfES2_fLi5ELb0ELb1ELi32EEEvPT0_PKT_S7_iiiPKb,"axG",@progbits,_ZN12_GLOBAL__N_121softmax_warp_backwardIN3c104HalfES2_fLi5ELb0ELb1ELi32EEEvPT0_PKT_S7_iiiPKb,comdat
	.globl	_ZN12_GLOBAL__N_121softmax_warp_backwardIN3c104HalfES2_fLi5ELb0ELb1ELi32EEEvPT0_PKT_S7_iiiPKb ; -- Begin function _ZN12_GLOBAL__N_121softmax_warp_backwardIN3c104HalfES2_fLi5ELb0ELb1ELi32EEEvPT0_PKT_S7_iiiPKb
	.p2align	8
	.type	_ZN12_GLOBAL__N_121softmax_warp_backwardIN3c104HalfES2_fLi5ELb0ELb1ELi32EEEvPT0_PKT_S7_iiiPKb,@function
_ZN12_GLOBAL__N_121softmax_warp_backwardIN3c104HalfES2_fLi5ELb0ELb1ELi32EEEvPT0_PKT_S7_iiiPKb: ; @_ZN12_GLOBAL__N_121softmax_warp_backwardIN3c104HalfES2_fLi5ELb0ELb1ELi32EEEvPT0_PKT_S7_iiiPKb
; %bb.0:
	s_load_dword s2, s[4:5], 0x3c
	s_load_dwordx4 s[8:11], s[4:5], 0x18
	s_load_dwordx4 s[12:15], s[4:5], 0x0
	s_load_dwordx2 s[0:1], s[4:5], 0x10
	v_bfe_u32 v1, v0, 10, 10
	s_waitcnt lgkmcnt(0)
	s_lshr_b32 s2, s2, 16
	s_mul_i32 s6, s6, s2
	v_add_lshl_u32 v1, s6, v1, 1
	v_and_b32_e32 v10, 31, v0
	v_mad_u64_u32 v[2:3], s[2:3], v1, s9, v[10:11]
	v_ashrrev_i32_e32 v3, 31, v2
	v_sub_u32_e32 v8, s8, v1
	v_lshlrev_b64 v[0:1], 1, v[2:3]
	v_mov_b32_e32 v5, s15
	v_add_co_u32_e32 v4, vcc, s14, v0
	v_addc_co_u32_e32 v5, vcc, v5, v1, vcc
	v_mov_b32_e32 v7, s1
	v_add_co_u32_e32 v6, vcc, s0, v0
	v_addc_co_u32_e32 v7, vcc, v7, v1, vcc
	v_cmp_gt_i32_e32 vcc, s10, v10
	v_cmp_lt_i32_e64 s[0:1], 0, v8
	s_and_b64 s[6:7], vcc, s[0:1]
	v_mov_b32_e32 v9, 0
	v_mov_b32_e32 v11, 0
	;; [unrolled: 1-line block ×3, first 2 shown]
	s_and_saveexec_b64 s[2:3], s[6:7]
	s_cbranch_execz .LBB823_2
; %bb.1:
	global_load_ushort v10, v[4:5], off
	global_load_ushort v12, v[6:7], off
	s_waitcnt vmcnt(1)
	v_cvt_f32_f16_e32 v11, v10
	s_waitcnt vmcnt(0)
	v_cvt_f32_f16_e32 v12, v12
.LBB823_2:
	s_or_b64 exec, exec, s[2:3]
	v_cmp_lt_i32_e64 s[2:3], 1, v8
	s_and_b64 s[2:3], vcc, s[2:3]
	s_mov_b32 s11, 0
	v_mov_b32_e32 v10, 0
	s_and_saveexec_b64 s[6:7], s[2:3]
	s_cbranch_execz .LBB823_4
; %bb.3:
	s_lshl_b64 s[8:9], s[10:11], 1
	v_mov_b32_e32 v9, s9
	v_add_co_u32_e64 v4, s[2:3], s8, v4
	v_addc_co_u32_e64 v5, s[2:3], v5, v9, s[2:3]
	global_load_ushort v10, v[4:5], off
	v_add_co_u32_e64 v4, s[2:3], s8, v6
	v_addc_co_u32_e64 v5, s[2:3], v7, v9, s[2:3]
	global_load_ushort v4, v[4:5], off
	s_waitcnt vmcnt(1)
	v_cvt_f32_f16_e32 v9, v10
	s_waitcnt vmcnt(0)
	v_cvt_f32_f16_e32 v10, v4
.LBB823_4:
	s_or_b64 exec, exec, s[6:7]
	s_load_dwordx2 s[2:3], s[4:5], 0x28
	s_ashr_i32 s4, s10, 31
	v_mov_b32_e32 v5, s4
	v_mbcnt_lo_u32_b32 v6, -1, 0
	v_mbcnt_hi_u32_b32 v6, -1, v6
	s_waitcnt lgkmcnt(0)
	v_mov_b32_e32 v4, s3
	v_add_co_u32_e64 v2, s[2:3], s2, v2
	v_addc_co_u32_e64 v3, s[2:3], v4, v3, s[2:3]
	global_load_ubyte v4, v[2:3], off
	v_add_co_u32_e64 v2, s[2:3], s10, v2
	v_addc_co_u32_e64 v3, s[2:3], v3, v5, s[2:3]
	global_load_ubyte v3, v[2:3], off
	v_and_b32_e32 v7, 0x60, v6
	v_xor_b32_e32 v13, 16, v6
	v_add_u32_e32 v7, 32, v7
	v_cmp_lt_i32_e64 s[2:3], v13, v7
	v_add_f32_e32 v2, 0, v11
	v_add_f32_e32 v5, 0, v9
	v_cndmask_b32_e64 v13, v6, v13, s[2:3]
	v_lshlrev_b32_e32 v13, 2, v13
	s_waitcnt vmcnt(1)
	v_and_b32_e32 v4, 1, v4
	v_cmp_eq_u32_e64 s[4:5], 1, v4
	v_cndmask_b32_e64 v2, v2, 0, s[4:5]
	ds_bpermute_b32 v4, v13, v2
	s_waitcnt vmcnt(0)
	v_and_b32_e32 v3, 1, v3
	v_cmp_eq_u32_e64 s[2:3], 1, v3
	v_cndmask_b32_e64 v3, v5, 0, s[2:3]
	ds_bpermute_b32 v5, v13, v3
	v_xor_b32_e32 v13, 8, v6
	v_cmp_lt_i32_e64 s[6:7], v13, v7
	v_cndmask_b32_e64 v13, v6, v13, s[6:7]
	v_lshlrev_b32_e32 v13, 2, v13
	s_waitcnt lgkmcnt(0)
	v_pk_add_f32 v[2:3], v[2:3], v[4:5]
	ds_bpermute_b32 v4, v13, v2
	ds_bpermute_b32 v5, v13, v3
	v_xor_b32_e32 v13, 4, v6
	v_cmp_lt_i32_e64 s[6:7], v13, v7
	v_cndmask_b32_e64 v13, v6, v13, s[6:7]
	v_lshlrev_b32_e32 v13, 2, v13
	s_waitcnt lgkmcnt(0)
	v_pk_add_f32 v[2:3], v[2:3], v[4:5]
	ds_bpermute_b32 v4, v13, v2
	;; [unrolled: 8-line block ×4, first 2 shown]
	ds_bpermute_b32 v5, v6, v3
	s_and_saveexec_b64 s[6:7], s[0:1]
	s_cbranch_execz .LBB823_16
; %bb.5:
	s_waitcnt lgkmcnt(0)
	v_pk_add_f32 v[2:3], v[2:3], v[4:5]
	v_mov_b32_e32 v4, s13
	v_add_co_u32_e64 v0, s[0:1], s12, v0
	v_addc_co_u32_e64 v1, s[0:1], v4, v1, s[0:1]
	s_and_saveexec_b64 s[0:1], vcc
	s_cbranch_execz .LBB823_10
; %bb.6:
	s_xor_b64 s[4:5], s[4:5], -1
	s_and_saveexec_b64 s[6:7], s[4:5]
	s_xor_b64 s[4:5], exec, s[6:7]
	s_cbranch_execz .LBB823_8
; %bb.7:
	v_fma_mixlo_f16 v2, -v2, v12, v11
	global_store_short v[0:1], v2, off
.LBB823_8:
	s_andn2_saveexec_b64 s[4:5], s[4:5]
	s_cbranch_execz .LBB823_10
; %bb.9:
	v_mov_b32_e32 v2, 0
	global_store_short v[0:1], v2, off
.LBB823_10:
	s_or_b64 exec, exec, s[0:1]
	v_cmp_ne_u32_e64 s[0:1], 1, v8
	s_and_b64 exec, exec, s[0:1]
	s_cbranch_execz .LBB823_16
; %bb.11:
	s_and_b64 exec, exec, vcc
	s_cbranch_execz .LBB823_16
; %bb.12:
	s_xor_b64 s[0:1], s[2:3], -1
	s_lshl_b64 s[2:3], s[10:11], 1
	v_mov_b32_e32 v2, s3
	v_add_co_u32_e32 v0, vcc, s2, v0
	v_addc_co_u32_e32 v1, vcc, v1, v2, vcc
	s_and_saveexec_b64 s[2:3], s[0:1]
	s_xor_b64 s[0:1], exec, s[2:3]
	s_cbranch_execz .LBB823_14
; %bb.13:
	v_fma_mixlo_f16 v2, -v3, v10, v9
	global_store_short v[0:1], v2, off
                                        ; implicit-def: $vgpr0_vgpr1
.LBB823_14:
	s_andn2_saveexec_b64 s[0:1], s[0:1]
	s_cbranch_execz .LBB823_16
; %bb.15:
	v_mov_b32_e32 v2, 0
	global_store_short v[0:1], v2, off
.LBB823_16:
	s_endpgm
	.section	.rodata,"a",@progbits
	.p2align	6, 0x0
	.amdhsa_kernel _ZN12_GLOBAL__N_121softmax_warp_backwardIN3c104HalfES2_fLi5ELb0ELb1ELi32EEEvPT0_PKT_S7_iiiPKb
		.amdhsa_group_segment_fixed_size 0
		.amdhsa_private_segment_fixed_size 0
		.amdhsa_kernarg_size 304
		.amdhsa_user_sgpr_count 6
		.amdhsa_user_sgpr_private_segment_buffer 1
		.amdhsa_user_sgpr_dispatch_ptr 0
		.amdhsa_user_sgpr_queue_ptr 0
		.amdhsa_user_sgpr_kernarg_segment_ptr 1
		.amdhsa_user_sgpr_dispatch_id 0
		.amdhsa_user_sgpr_flat_scratch_init 0
		.amdhsa_user_sgpr_kernarg_preload_length 0
		.amdhsa_user_sgpr_kernarg_preload_offset 0
		.amdhsa_user_sgpr_private_segment_size 0
		.amdhsa_uses_dynamic_stack 0
		.amdhsa_system_sgpr_private_segment_wavefront_offset 0
		.amdhsa_system_sgpr_workgroup_id_x 1
		.amdhsa_system_sgpr_workgroup_id_y 0
		.amdhsa_system_sgpr_workgroup_id_z 0
		.amdhsa_system_sgpr_workgroup_info 0
		.amdhsa_system_vgpr_workitem_id 1
		.amdhsa_next_free_vgpr 14
		.amdhsa_next_free_sgpr 16
		.amdhsa_accum_offset 16
		.amdhsa_reserve_vcc 1
		.amdhsa_reserve_flat_scratch 0
		.amdhsa_float_round_mode_32 0
		.amdhsa_float_round_mode_16_64 0
		.amdhsa_float_denorm_mode_32 3
		.amdhsa_float_denorm_mode_16_64 3
		.amdhsa_dx10_clamp 1
		.amdhsa_ieee_mode 1
		.amdhsa_fp16_overflow 0
		.amdhsa_tg_split 0
		.amdhsa_exception_fp_ieee_invalid_op 0
		.amdhsa_exception_fp_denorm_src 0
		.amdhsa_exception_fp_ieee_div_zero 0
		.amdhsa_exception_fp_ieee_overflow 0
		.amdhsa_exception_fp_ieee_underflow 0
		.amdhsa_exception_fp_ieee_inexact 0
		.amdhsa_exception_int_div_zero 0
	.end_amdhsa_kernel
	.section	.text._ZN12_GLOBAL__N_121softmax_warp_backwardIN3c104HalfES2_fLi5ELb0ELb1ELi32EEEvPT0_PKT_S7_iiiPKb,"axG",@progbits,_ZN12_GLOBAL__N_121softmax_warp_backwardIN3c104HalfES2_fLi5ELb0ELb1ELi32EEEvPT0_PKT_S7_iiiPKb,comdat
.Lfunc_end823:
	.size	_ZN12_GLOBAL__N_121softmax_warp_backwardIN3c104HalfES2_fLi5ELb0ELb1ELi32EEEvPT0_PKT_S7_iiiPKb, .Lfunc_end823-_ZN12_GLOBAL__N_121softmax_warp_backwardIN3c104HalfES2_fLi5ELb0ELb1ELi32EEEvPT0_PKT_S7_iiiPKb
                                        ; -- End function
	.section	.AMDGPU.csdata,"",@progbits
; Kernel info:
; codeLenInByte = 892
; NumSgprs: 20
; NumVgprs: 14
; NumAgprs: 0
; TotalNumVgprs: 14
; ScratchSize: 0
; MemoryBound: 0
; FloatMode: 240
; IeeeMode: 1
; LDSByteSize: 0 bytes/workgroup (compile time only)
; SGPRBlocks: 2
; VGPRBlocks: 1
; NumSGPRsForWavesPerEU: 20
; NumVGPRsForWavesPerEU: 14
; AccumOffset: 16
; Occupancy: 8
; WaveLimiterHint : 0
; COMPUTE_PGM_RSRC2:SCRATCH_EN: 0
; COMPUTE_PGM_RSRC2:USER_SGPR: 6
; COMPUTE_PGM_RSRC2:TRAP_HANDLER: 0
; COMPUTE_PGM_RSRC2:TGID_X_EN: 1
; COMPUTE_PGM_RSRC2:TGID_Y_EN: 0
; COMPUTE_PGM_RSRC2:TGID_Z_EN: 0
; COMPUTE_PGM_RSRC2:TIDIG_COMP_CNT: 1
; COMPUTE_PGM_RSRC3_GFX90A:ACCUM_OFFSET: 3
; COMPUTE_PGM_RSRC3_GFX90A:TG_SPLIT: 0
	.section	.text._ZN12_GLOBAL__N_121softmax_warp_backwardIN3c104HalfES2_fLi6ELb0ELb1ELi64EEEvPT0_PKT_S7_iiiPKb,"axG",@progbits,_ZN12_GLOBAL__N_121softmax_warp_backwardIN3c104HalfES2_fLi6ELb0ELb1ELi64EEEvPT0_PKT_S7_iiiPKb,comdat
	.globl	_ZN12_GLOBAL__N_121softmax_warp_backwardIN3c104HalfES2_fLi6ELb0ELb1ELi64EEEvPT0_PKT_S7_iiiPKb ; -- Begin function _ZN12_GLOBAL__N_121softmax_warp_backwardIN3c104HalfES2_fLi6ELb0ELb1ELi64EEEvPT0_PKT_S7_iiiPKb
	.p2align	8
	.type	_ZN12_GLOBAL__N_121softmax_warp_backwardIN3c104HalfES2_fLi6ELb0ELb1ELi64EEEvPT0_PKT_S7_iiiPKb,@function
_ZN12_GLOBAL__N_121softmax_warp_backwardIN3c104HalfES2_fLi6ELb0ELb1ELi64EEEvPT0_PKT_S7_iiiPKb: ; @_ZN12_GLOBAL__N_121softmax_warp_backwardIN3c104HalfES2_fLi6ELb0ELb1ELi64EEEvPT0_PKT_S7_iiiPKb
; %bb.0:
	s_load_dword s2, s[4:5], 0x3c
	s_load_dwordx4 s[8:11], s[4:5], 0x18
	s_load_dwordx4 s[12:15], s[4:5], 0x0
	s_load_dwordx2 s[0:1], s[4:5], 0x10
	v_bfe_u32 v1, v0, 10, 10
	s_waitcnt lgkmcnt(0)
	s_lshr_b32 s2, s2, 16
	s_mul_i32 s6, s6, s2
	v_add_lshl_u32 v1, s6, v1, 1
	v_and_b32_e32 v10, 63, v0
	v_mad_u64_u32 v[2:3], s[2:3], v1, s9, v[10:11]
	v_ashrrev_i32_e32 v3, 31, v2
	v_sub_u32_e32 v8, s8, v1
	v_lshlrev_b64 v[0:1], 1, v[2:3]
	v_mov_b32_e32 v5, s15
	v_add_co_u32_e32 v4, vcc, s14, v0
	v_addc_co_u32_e32 v5, vcc, v5, v1, vcc
	v_mov_b32_e32 v7, s1
	v_add_co_u32_e32 v6, vcc, s0, v0
	v_addc_co_u32_e32 v7, vcc, v7, v1, vcc
	v_cmp_gt_i32_e32 vcc, s10, v10
	v_cmp_lt_i32_e64 s[0:1], 0, v8
	s_and_b64 s[6:7], vcc, s[0:1]
	v_mov_b32_e32 v9, 0
	v_mov_b32_e32 v11, 0
	;; [unrolled: 1-line block ×3, first 2 shown]
	s_and_saveexec_b64 s[2:3], s[6:7]
	s_cbranch_execz .LBB824_2
; %bb.1:
	global_load_ushort v10, v[4:5], off
	global_load_ushort v12, v[6:7], off
	s_waitcnt vmcnt(1)
	v_cvt_f32_f16_e32 v11, v10
	s_waitcnt vmcnt(0)
	v_cvt_f32_f16_e32 v12, v12
.LBB824_2:
	s_or_b64 exec, exec, s[2:3]
	v_cmp_lt_i32_e64 s[2:3], 1, v8
	s_and_b64 s[2:3], vcc, s[2:3]
	s_mov_b32 s11, 0
	v_mov_b32_e32 v10, 0
	s_and_saveexec_b64 s[6:7], s[2:3]
	s_cbranch_execz .LBB824_4
; %bb.3:
	s_lshl_b64 s[8:9], s[10:11], 1
	v_mov_b32_e32 v9, s9
	v_add_co_u32_e64 v4, s[2:3], s8, v4
	v_addc_co_u32_e64 v5, s[2:3], v5, v9, s[2:3]
	global_load_ushort v10, v[4:5], off
	v_add_co_u32_e64 v4, s[2:3], s8, v6
	v_addc_co_u32_e64 v5, s[2:3], v7, v9, s[2:3]
	global_load_ushort v4, v[4:5], off
	s_waitcnt vmcnt(1)
	v_cvt_f32_f16_e32 v9, v10
	s_waitcnt vmcnt(0)
	v_cvt_f32_f16_e32 v10, v4
.LBB824_4:
	s_or_b64 exec, exec, s[6:7]
	s_load_dwordx2 s[2:3], s[4:5], 0x28
	s_ashr_i32 s4, s10, 31
	v_mov_b32_e32 v5, s4
	v_mbcnt_lo_u32_b32 v6, -1, 0
	v_mbcnt_hi_u32_b32 v6, -1, v6
	s_waitcnt lgkmcnt(0)
	v_mov_b32_e32 v4, s3
	v_add_co_u32_e64 v2, s[2:3], s2, v2
	v_addc_co_u32_e64 v3, s[2:3], v4, v3, s[2:3]
	global_load_ubyte v4, v[2:3], off
	v_add_co_u32_e64 v2, s[2:3], s10, v2
	v_addc_co_u32_e64 v3, s[2:3], v3, v5, s[2:3]
	global_load_ubyte v3, v[2:3], off
	v_and_b32_e32 v7, 64, v6
	v_xor_b32_e32 v13, 32, v6
	v_add_u32_e32 v7, 64, v7
	v_cmp_lt_i32_e64 s[2:3], v13, v7
	v_add_f32_e32 v2, 0, v11
	v_add_f32_e32 v5, 0, v9
	v_cndmask_b32_e64 v13, v6, v13, s[2:3]
	v_lshlrev_b32_e32 v13, 2, v13
	s_waitcnt vmcnt(1)
	v_and_b32_e32 v4, 1, v4
	v_cmp_eq_u32_e64 s[4:5], 1, v4
	v_cndmask_b32_e64 v2, v2, 0, s[4:5]
	ds_bpermute_b32 v4, v13, v2
	s_waitcnt vmcnt(0)
	v_and_b32_e32 v3, 1, v3
	v_cmp_eq_u32_e64 s[2:3], 1, v3
	v_cndmask_b32_e64 v3, v5, 0, s[2:3]
	ds_bpermute_b32 v5, v13, v3
	v_xor_b32_e32 v13, 16, v6
	v_cmp_lt_i32_e64 s[6:7], v13, v7
	v_cndmask_b32_e64 v13, v6, v13, s[6:7]
	v_lshlrev_b32_e32 v13, 2, v13
	s_waitcnt lgkmcnt(0)
	v_pk_add_f32 v[2:3], v[2:3], v[4:5]
	ds_bpermute_b32 v4, v13, v2
	ds_bpermute_b32 v5, v13, v3
	v_xor_b32_e32 v13, 8, v6
	v_cmp_lt_i32_e64 s[6:7], v13, v7
	v_cndmask_b32_e64 v13, v6, v13, s[6:7]
	v_lshlrev_b32_e32 v13, 2, v13
	s_waitcnt lgkmcnt(0)
	v_pk_add_f32 v[2:3], v[2:3], v[4:5]
	ds_bpermute_b32 v4, v13, v2
	;; [unrolled: 8-line block ×5, first 2 shown]
	ds_bpermute_b32 v5, v6, v3
	s_and_saveexec_b64 s[6:7], s[0:1]
	s_cbranch_execz .LBB824_16
; %bb.5:
	s_waitcnt lgkmcnt(0)
	v_pk_add_f32 v[2:3], v[2:3], v[4:5]
	v_mov_b32_e32 v4, s13
	v_add_co_u32_e64 v0, s[0:1], s12, v0
	v_addc_co_u32_e64 v1, s[0:1], v4, v1, s[0:1]
	s_and_saveexec_b64 s[0:1], vcc
	s_cbranch_execz .LBB824_10
; %bb.6:
	s_xor_b64 s[4:5], s[4:5], -1
	s_and_saveexec_b64 s[6:7], s[4:5]
	s_xor_b64 s[4:5], exec, s[6:7]
	s_cbranch_execz .LBB824_8
; %bb.7:
	v_fma_mixlo_f16 v2, -v2, v12, v11
	global_store_short v[0:1], v2, off
.LBB824_8:
	s_andn2_saveexec_b64 s[4:5], s[4:5]
	s_cbranch_execz .LBB824_10
; %bb.9:
	v_mov_b32_e32 v2, 0
	global_store_short v[0:1], v2, off
.LBB824_10:
	s_or_b64 exec, exec, s[0:1]
	v_cmp_ne_u32_e64 s[0:1], 1, v8
	s_and_b64 exec, exec, s[0:1]
	s_cbranch_execz .LBB824_16
; %bb.11:
	s_and_b64 exec, exec, vcc
	s_cbranch_execz .LBB824_16
; %bb.12:
	s_xor_b64 s[0:1], s[2:3], -1
	s_lshl_b64 s[2:3], s[10:11], 1
	v_mov_b32_e32 v2, s3
	v_add_co_u32_e32 v0, vcc, s2, v0
	v_addc_co_u32_e32 v1, vcc, v1, v2, vcc
	s_and_saveexec_b64 s[2:3], s[0:1]
	s_xor_b64 s[0:1], exec, s[2:3]
	s_cbranch_execz .LBB824_14
; %bb.13:
	v_fma_mixlo_f16 v2, -v3, v10, v9
	global_store_short v[0:1], v2, off
                                        ; implicit-def: $vgpr0_vgpr1
.LBB824_14:
	s_andn2_saveexec_b64 s[0:1], s[0:1]
	s_cbranch_execz .LBB824_16
; %bb.15:
	v_mov_b32_e32 v2, 0
	global_store_short v[0:1], v2, off
.LBB824_16:
	s_endpgm
	.section	.rodata,"a",@progbits
	.p2align	6, 0x0
	.amdhsa_kernel _ZN12_GLOBAL__N_121softmax_warp_backwardIN3c104HalfES2_fLi6ELb0ELb1ELi64EEEvPT0_PKT_S7_iiiPKb
		.amdhsa_group_segment_fixed_size 0
		.amdhsa_private_segment_fixed_size 0
		.amdhsa_kernarg_size 304
		.amdhsa_user_sgpr_count 6
		.amdhsa_user_sgpr_private_segment_buffer 1
		.amdhsa_user_sgpr_dispatch_ptr 0
		.amdhsa_user_sgpr_queue_ptr 0
		.amdhsa_user_sgpr_kernarg_segment_ptr 1
		.amdhsa_user_sgpr_dispatch_id 0
		.amdhsa_user_sgpr_flat_scratch_init 0
		.amdhsa_user_sgpr_kernarg_preload_length 0
		.amdhsa_user_sgpr_kernarg_preload_offset 0
		.amdhsa_user_sgpr_private_segment_size 0
		.amdhsa_uses_dynamic_stack 0
		.amdhsa_system_sgpr_private_segment_wavefront_offset 0
		.amdhsa_system_sgpr_workgroup_id_x 1
		.amdhsa_system_sgpr_workgroup_id_y 0
		.amdhsa_system_sgpr_workgroup_id_z 0
		.amdhsa_system_sgpr_workgroup_info 0
		.amdhsa_system_vgpr_workitem_id 1
		.amdhsa_next_free_vgpr 14
		.amdhsa_next_free_sgpr 16
		.amdhsa_accum_offset 16
		.amdhsa_reserve_vcc 1
		.amdhsa_reserve_flat_scratch 0
		.amdhsa_float_round_mode_32 0
		.amdhsa_float_round_mode_16_64 0
		.amdhsa_float_denorm_mode_32 3
		.amdhsa_float_denorm_mode_16_64 3
		.amdhsa_dx10_clamp 1
		.amdhsa_ieee_mode 1
		.amdhsa_fp16_overflow 0
		.amdhsa_tg_split 0
		.amdhsa_exception_fp_ieee_invalid_op 0
		.amdhsa_exception_fp_denorm_src 0
		.amdhsa_exception_fp_ieee_div_zero 0
		.amdhsa_exception_fp_ieee_overflow 0
		.amdhsa_exception_fp_ieee_underflow 0
		.amdhsa_exception_fp_ieee_inexact 0
		.amdhsa_exception_int_div_zero 0
	.end_amdhsa_kernel
	.section	.text._ZN12_GLOBAL__N_121softmax_warp_backwardIN3c104HalfES2_fLi6ELb0ELb1ELi64EEEvPT0_PKT_S7_iiiPKb,"axG",@progbits,_ZN12_GLOBAL__N_121softmax_warp_backwardIN3c104HalfES2_fLi6ELb0ELb1ELi64EEEvPT0_PKT_S7_iiiPKb,comdat
.Lfunc_end824:
	.size	_ZN12_GLOBAL__N_121softmax_warp_backwardIN3c104HalfES2_fLi6ELb0ELb1ELi64EEEvPT0_PKT_S7_iiiPKb, .Lfunc_end824-_ZN12_GLOBAL__N_121softmax_warp_backwardIN3c104HalfES2_fLi6ELb0ELb1ELi64EEEvPT0_PKT_S7_iiiPKb
                                        ; -- End function
	.section	.AMDGPU.csdata,"",@progbits
; Kernel info:
; codeLenInByte = 940
; NumSgprs: 20
; NumVgprs: 14
; NumAgprs: 0
; TotalNumVgprs: 14
; ScratchSize: 0
; MemoryBound: 0
; FloatMode: 240
; IeeeMode: 1
; LDSByteSize: 0 bytes/workgroup (compile time only)
; SGPRBlocks: 2
; VGPRBlocks: 1
; NumSGPRsForWavesPerEU: 20
; NumVGPRsForWavesPerEU: 14
; AccumOffset: 16
; Occupancy: 8
; WaveLimiterHint : 0
; COMPUTE_PGM_RSRC2:SCRATCH_EN: 0
; COMPUTE_PGM_RSRC2:USER_SGPR: 6
; COMPUTE_PGM_RSRC2:TRAP_HANDLER: 0
; COMPUTE_PGM_RSRC2:TGID_X_EN: 1
; COMPUTE_PGM_RSRC2:TGID_Y_EN: 0
; COMPUTE_PGM_RSRC2:TGID_Z_EN: 0
; COMPUTE_PGM_RSRC2:TIDIG_COMP_CNT: 1
; COMPUTE_PGM_RSRC3_GFX90A:ACCUM_OFFSET: 3
; COMPUTE_PGM_RSRC3_GFX90A:TG_SPLIT: 0
	.section	.text._ZN12_GLOBAL__N_121softmax_warp_backwardIN3c104HalfES2_fLi6ELb0ELb1ELi32EEEvPT0_PKT_S7_iiiPKb,"axG",@progbits,_ZN12_GLOBAL__N_121softmax_warp_backwardIN3c104HalfES2_fLi6ELb0ELb1ELi32EEEvPT0_PKT_S7_iiiPKb,comdat
	.globl	_ZN12_GLOBAL__N_121softmax_warp_backwardIN3c104HalfES2_fLi6ELb0ELb1ELi32EEEvPT0_PKT_S7_iiiPKb ; -- Begin function _ZN12_GLOBAL__N_121softmax_warp_backwardIN3c104HalfES2_fLi6ELb0ELb1ELi32EEEvPT0_PKT_S7_iiiPKb
	.p2align	8
	.type	_ZN12_GLOBAL__N_121softmax_warp_backwardIN3c104HalfES2_fLi6ELb0ELb1ELi32EEEvPT0_PKT_S7_iiiPKb,@function
_ZN12_GLOBAL__N_121softmax_warp_backwardIN3c104HalfES2_fLi6ELb0ELb1ELi32EEEvPT0_PKT_S7_iiiPKb: ; @_ZN12_GLOBAL__N_121softmax_warp_backwardIN3c104HalfES2_fLi6ELb0ELb1ELi32EEEvPT0_PKT_S7_iiiPKb
; %bb.0:
	s_load_dword s2, s[4:5], 0x3c
	s_load_dwordx4 s[12:15], s[4:5], 0x18
	s_load_dwordx4 s[16:19], s[4:5], 0x0
	s_load_dwordx2 s[0:1], s[4:5], 0x10
	v_bfe_u32 v1, v0, 10, 10
	s_waitcnt lgkmcnt(0)
	s_lshr_b32 s2, s2, 16
	s_mul_i32 s6, s6, s2
	v_add_lshl_u32 v1, s6, v1, 1
	v_sub_u32_e32 v9, s12, v1
	v_and_b32_e32 v8, 31, v0
	v_mad_u64_u32 v[2:3], s[2:3], v1, s13, v[8:9]
	v_ashrrev_i32_e32 v3, 31, v2
	v_lshlrev_b64 v[0:1], 1, v[2:3]
	v_mov_b32_e32 v5, s19
	v_add_co_u32_e32 v4, vcc, s18, v0
	v_addc_co_u32_e32 v5, vcc, v5, v1, vcc
	v_mov_b32_e32 v7, s1
	v_add_co_u32_e32 v6, vcc, s0, v0
	v_cmp_lt_i32_e64 s[2:3], 0, v9
	v_cmp_gt_i32_e64 s[0:1], s14, v8
	v_addc_co_u32_e32 v7, vcc, v7, v1, vcc
	s_and_b64 s[8:9], s[2:3], s[0:1]
	v_mov_b32_e32 v10, 0
	v_mov_b32_e32 v15, 0
	;; [unrolled: 1-line block ×3, first 2 shown]
	s_and_saveexec_b64 s[6:7], s[8:9]
	s_cbranch_execz .LBB825_2
; %bb.1:
	global_load_ushort v11, v[4:5], off
	global_load_ushort v12, v[6:7], off
	s_waitcnt vmcnt(1)
	v_cvt_f32_f16_e32 v15, v11
	s_waitcnt vmcnt(0)
	v_cvt_f32_f16_e32 v16, v12
.LBB825_2:
	s_or_b64 exec, exec, s[6:7]
	v_or_b32_e32 v8, 32, v8
	v_cmp_gt_i32_e32 vcc, s14, v8
	s_and_b64 s[8:9], s[2:3], vcc
	v_mov_b32_e32 v14, 0
	s_and_saveexec_b64 s[6:7], s[8:9]
	s_cbranch_execz .LBB825_4
; %bb.3:
	global_load_ushort v8, v[4:5], off offset:64
	global_load_ushort v11, v[6:7], off offset:64
	s_waitcnt vmcnt(1)
	v_cvt_f32_f16_e32 v10, v8
	s_waitcnt vmcnt(0)
	v_cvt_f32_f16_e32 v14, v11
.LBB825_4:
	s_or_b64 exec, exec, s[6:7]
	v_cmp_lt_i32_e64 s[6:7], 1, v9
	s_and_b64 s[8:9], s[6:7], s[0:1]
	s_mov_b32 s15, 0
	v_mov_b32_e32 v8, 0
	v_mov_b32_e32 v11, 0
	;; [unrolled: 1-line block ×3, first 2 shown]
	s_and_saveexec_b64 s[10:11], s[8:9]
	s_cbranch_execz .LBB825_6
; %bb.5:
	s_lshl_b64 s[12:13], s[14:15], 1
	v_mov_b32_e32 v11, s13
	v_add_co_u32_e64 v12, s[8:9], s12, v4
	v_addc_co_u32_e64 v13, s[8:9], v5, v11, s[8:9]
	global_load_ushort v17, v[12:13], off
	v_add_co_u32_e64 v12, s[8:9], s12, v6
	v_addc_co_u32_e64 v13, s[8:9], v7, v11, s[8:9]
	global_load_ushort v12, v[12:13], off
	s_waitcnt vmcnt(1)
	v_cvt_f32_f16_e32 v11, v17
	s_waitcnt vmcnt(0)
	v_cvt_f32_f16_e32 v12, v12
.LBB825_6:
	s_or_b64 exec, exec, s[10:11]
	s_and_b64 s[6:7], s[6:7], vcc
	v_mov_b32_e32 v13, 0
	s_and_saveexec_b64 s[8:9], s[6:7]
	s_cbranch_execz .LBB825_8
; %bb.7:
	s_lshl_b64 s[10:11], s[14:15], 1
	v_mov_b32_e32 v8, s11
	v_add_co_u32_e64 v4, s[6:7], s10, v4
	v_addc_co_u32_e64 v5, s[6:7], v5, v8, s[6:7]
	global_load_ushort v13, v[4:5], off offset:64
	v_add_co_u32_e64 v4, s[6:7], s10, v6
	v_addc_co_u32_e64 v5, s[6:7], v7, v8, s[6:7]
	global_load_ushort v4, v[4:5], off offset:64
	s_waitcnt vmcnt(1)
	v_cvt_f32_f16_e32 v8, v13
	s_waitcnt vmcnt(0)
	v_cvt_f32_f16_e32 v13, v4
.LBB825_8:
	s_or_b64 exec, exec, s[8:9]
	s_load_dwordx2 s[4:5], s[4:5], 0x28
	v_mbcnt_lo_u32_b32 v17, -1, 0
	v_mbcnt_hi_u32_b32 v17, -1, v17
	v_and_b32_e32 v18, 0x60, v17
	v_xor_b32_e32 v19, 16, v17
	s_waitcnt lgkmcnt(0)
	v_mov_b32_e32 v4, s5
	v_add_co_u32_e64 v2, s[4:5], s4, v2
	v_addc_co_u32_e64 v3, s[4:5], v4, v3, s[4:5]
	s_ashr_i32 s4, s14, 31
	global_load_ubyte v4, v[2:3], off
	global_load_ubyte v5, v[2:3], off offset:32
	v_mov_b32_e32 v6, s4
	v_add_co_u32_e64 v2, s[4:5], s14, v2
	v_addc_co_u32_e64 v3, s[4:5], v3, v6, s[4:5]
	global_load_ubyte v6, v[2:3], off
	global_load_ubyte v7, v[2:3], off offset:32
	v_add_f32_e32 v2, 0, v15
	v_add_f32_e32 v3, 0, v11
	v_add_u32_e32 v18, 32, v18
	v_cmp_lt_i32_e64 s[4:5], v19, v18
	v_cndmask_b32_e64 v19, v17, v19, s[4:5]
	v_lshlrev_b32_e32 v19, 2, v19
	s_waitcnt vmcnt(3)
	v_and_b32_e32 v4, 1, v4
	v_cmp_eq_u32_e64 s[10:11], 1, v4
	s_waitcnt vmcnt(2)
	v_and_b32_e32 v5, 1, v5
	v_cndmask_b32_e64 v2, v2, 0, s[10:11]
	v_cmp_eq_u32_e64 s[8:9], 1, v5
	s_waitcnt vmcnt(1)
	v_and_b32_e32 v4, 1, v6
	v_cmp_eq_u32_e64 s[6:7], 1, v4
	s_waitcnt vmcnt(0)
	v_and_b32_e32 v6, 1, v7
	v_cndmask_b32_e64 v3, v3, 0, s[6:7]
	v_add_f32_e32 v7, v2, v10
	v_add_f32_e32 v4, v3, v8
	v_cmp_eq_u32_e64 s[4:5], 1, v6
	v_cndmask_b32_e64 v2, v7, v2, s[8:9]
	v_cndmask_b32_e64 v3, v4, v3, s[4:5]
	ds_bpermute_b32 v4, v19, v2
	ds_bpermute_b32 v5, v19, v3
	v_xor_b32_e32 v6, 8, v17
	v_cmp_lt_i32_e64 s[12:13], v6, v18
	v_cndmask_b32_e64 v6, v17, v6, s[12:13]
	v_lshlrev_b32_e32 v6, 2, v6
	s_waitcnt lgkmcnt(0)
	v_pk_add_f32 v[2:3], v[2:3], v[4:5]
	ds_bpermute_b32 v4, v6, v2
	ds_bpermute_b32 v5, v6, v3
	v_xor_b32_e32 v6, 4, v17
	v_cmp_lt_i32_e64 s[12:13], v6, v18
	v_cndmask_b32_e64 v6, v17, v6, s[12:13]
	v_lshlrev_b32_e32 v6, 2, v6
	s_waitcnt lgkmcnt(0)
	v_pk_add_f32 v[2:3], v[2:3], v[4:5]
	;; [unrolled: 8-line block ×4, first 2 shown]
	ds_bpermute_b32 v4, v6, v2
	ds_bpermute_b32 v5, v6, v3
	s_and_saveexec_b64 s[12:13], s[2:3]
	s_cbranch_execz .LBB825_30
; %bb.9:
	s_waitcnt lgkmcnt(0)
	v_pk_add_f32 v[2:3], v[2:3], v[4:5]
	v_mov_b32_e32 v4, s17
	v_add_co_u32_e64 v0, s[2:3], s16, v0
	v_addc_co_u32_e64 v1, s[2:3], v4, v1, s[2:3]
	s_and_saveexec_b64 s[2:3], s[0:1]
	s_cbranch_execz .LBB825_14
; %bb.10:
	s_xor_b64 s[10:11], s[10:11], -1
	s_and_saveexec_b64 s[12:13], s[10:11]
	s_xor_b64 s[10:11], exec, s[12:13]
	s_cbranch_execz .LBB825_12
; %bb.11:
	v_fma_mixlo_f16 v4, -v2, v16, v15
	global_store_short v[0:1], v4, off
.LBB825_12:
	s_andn2_saveexec_b64 s[10:11], s[10:11]
	s_cbranch_execz .LBB825_14
; %bb.13:
	v_mov_b32_e32 v4, 0
	global_store_short v[0:1], v4, off
.LBB825_14:
	s_or_b64 exec, exec, s[2:3]
	s_and_saveexec_b64 s[2:3], vcc
	s_cbranch_execz .LBB825_19
; %bb.15:
	s_xor_b64 s[8:9], s[8:9], -1
	s_and_saveexec_b64 s[10:11], s[8:9]
	s_xor_b64 s[8:9], exec, s[10:11]
	s_cbranch_execz .LBB825_17
; %bb.16:
	v_fma_mixlo_f16 v2, -v2, v14, v10
	global_store_short v[0:1], v2, off offset:64
.LBB825_17:
	s_andn2_saveexec_b64 s[8:9], s[8:9]
	s_cbranch_execz .LBB825_19
; %bb.18:
	v_mov_b32_e32 v2, 0
	global_store_short v[0:1], v2, off offset:64
.LBB825_19:
	s_or_b64 exec, exec, s[2:3]
	v_cmp_ne_u32_e64 s[2:3], 1, v9
	s_and_b64 exec, exec, s[2:3]
	s_cbranch_execz .LBB825_30
; %bb.20:
	s_lshl_b64 s[2:3], s[14:15], 1
	v_mov_b32_e32 v2, s3
	v_add_co_u32_e64 v0, s[2:3], s2, v0
	v_addc_co_u32_e64 v1, s[2:3], v1, v2, s[2:3]
	s_and_saveexec_b64 s[2:3], s[0:1]
	s_cbranch_execz .LBB825_25
; %bb.21:
	s_xor_b64 s[0:1], s[6:7], -1
	s_and_saveexec_b64 s[6:7], s[0:1]
	s_xor_b64 s[0:1], exec, s[6:7]
	s_cbranch_execz .LBB825_23
; %bb.22:
	v_fma_mixlo_f16 v2, -v3, v12, v11
	global_store_short v[0:1], v2, off
.LBB825_23:
	s_andn2_saveexec_b64 s[0:1], s[0:1]
	s_cbranch_execz .LBB825_25
; %bb.24:
	v_mov_b32_e32 v2, 0
	global_store_short v[0:1], v2, off
.LBB825_25:
	s_or_b64 exec, exec, s[2:3]
	s_and_b64 exec, exec, vcc
	s_cbranch_execz .LBB825_30
; %bb.26:
	s_xor_b64 s[0:1], s[4:5], -1
	s_and_saveexec_b64 s[2:3], s[0:1]
	s_xor_b64 s[0:1], exec, s[2:3]
	s_cbranch_execz .LBB825_28
; %bb.27:
	v_fma_mixlo_f16 v2, -v3, v13, v8
	global_store_short v[0:1], v2, off offset:64
                                        ; implicit-def: $vgpr0_vgpr1
.LBB825_28:
	s_andn2_saveexec_b64 s[0:1], s[0:1]
	s_cbranch_execz .LBB825_30
; %bb.29:
	v_mov_b32_e32 v2, 0
	global_store_short v[0:1], v2, off offset:64
.LBB825_30:
	s_endpgm
	.section	.rodata,"a",@progbits
	.p2align	6, 0x0
	.amdhsa_kernel _ZN12_GLOBAL__N_121softmax_warp_backwardIN3c104HalfES2_fLi6ELb0ELb1ELi32EEEvPT0_PKT_S7_iiiPKb
		.amdhsa_group_segment_fixed_size 0
		.amdhsa_private_segment_fixed_size 0
		.amdhsa_kernarg_size 304
		.amdhsa_user_sgpr_count 6
		.amdhsa_user_sgpr_private_segment_buffer 1
		.amdhsa_user_sgpr_dispatch_ptr 0
		.amdhsa_user_sgpr_queue_ptr 0
		.amdhsa_user_sgpr_kernarg_segment_ptr 1
		.amdhsa_user_sgpr_dispatch_id 0
		.amdhsa_user_sgpr_flat_scratch_init 0
		.amdhsa_user_sgpr_kernarg_preload_length 0
		.amdhsa_user_sgpr_kernarg_preload_offset 0
		.amdhsa_user_sgpr_private_segment_size 0
		.amdhsa_uses_dynamic_stack 0
		.amdhsa_system_sgpr_private_segment_wavefront_offset 0
		.amdhsa_system_sgpr_workgroup_id_x 1
		.amdhsa_system_sgpr_workgroup_id_y 0
		.amdhsa_system_sgpr_workgroup_id_z 0
		.amdhsa_system_sgpr_workgroup_info 0
		.amdhsa_system_vgpr_workitem_id 1
		.amdhsa_next_free_vgpr 20
		.amdhsa_next_free_sgpr 20
		.amdhsa_accum_offset 20
		.amdhsa_reserve_vcc 1
		.amdhsa_reserve_flat_scratch 0
		.amdhsa_float_round_mode_32 0
		.amdhsa_float_round_mode_16_64 0
		.amdhsa_float_denorm_mode_32 3
		.amdhsa_float_denorm_mode_16_64 3
		.amdhsa_dx10_clamp 1
		.amdhsa_ieee_mode 1
		.amdhsa_fp16_overflow 0
		.amdhsa_tg_split 0
		.amdhsa_exception_fp_ieee_invalid_op 0
		.amdhsa_exception_fp_denorm_src 0
		.amdhsa_exception_fp_ieee_div_zero 0
		.amdhsa_exception_fp_ieee_overflow 0
		.amdhsa_exception_fp_ieee_underflow 0
		.amdhsa_exception_fp_ieee_inexact 0
		.amdhsa_exception_int_div_zero 0
	.end_amdhsa_kernel
	.section	.text._ZN12_GLOBAL__N_121softmax_warp_backwardIN3c104HalfES2_fLi6ELb0ELb1ELi32EEEvPT0_PKT_S7_iiiPKb,"axG",@progbits,_ZN12_GLOBAL__N_121softmax_warp_backwardIN3c104HalfES2_fLi6ELb0ELb1ELi32EEEvPT0_PKT_S7_iiiPKb,comdat
.Lfunc_end825:
	.size	_ZN12_GLOBAL__N_121softmax_warp_backwardIN3c104HalfES2_fLi6ELb0ELb1ELi32EEEvPT0_PKT_S7_iiiPKb, .Lfunc_end825-_ZN12_GLOBAL__N_121softmax_warp_backwardIN3c104HalfES2_fLi6ELb0ELb1ELi32EEEvPT0_PKT_S7_iiiPKb
                                        ; -- End function
	.section	.AMDGPU.csdata,"",@progbits
; Kernel info:
; codeLenInByte = 1264
; NumSgprs: 24
; NumVgprs: 20
; NumAgprs: 0
; TotalNumVgprs: 20
; ScratchSize: 0
; MemoryBound: 0
; FloatMode: 240
; IeeeMode: 1
; LDSByteSize: 0 bytes/workgroup (compile time only)
; SGPRBlocks: 2
; VGPRBlocks: 2
; NumSGPRsForWavesPerEU: 24
; NumVGPRsForWavesPerEU: 20
; AccumOffset: 20
; Occupancy: 8
; WaveLimiterHint : 0
; COMPUTE_PGM_RSRC2:SCRATCH_EN: 0
; COMPUTE_PGM_RSRC2:USER_SGPR: 6
; COMPUTE_PGM_RSRC2:TRAP_HANDLER: 0
; COMPUTE_PGM_RSRC2:TGID_X_EN: 1
; COMPUTE_PGM_RSRC2:TGID_Y_EN: 0
; COMPUTE_PGM_RSRC2:TGID_Z_EN: 0
; COMPUTE_PGM_RSRC2:TIDIG_COMP_CNT: 1
; COMPUTE_PGM_RSRC3_GFX90A:ACCUM_OFFSET: 4
; COMPUTE_PGM_RSRC3_GFX90A:TG_SPLIT: 0
	.section	.text._ZN12_GLOBAL__N_121softmax_warp_backwardIN3c104HalfES2_fLi7ELb0ELb1ELi64EEEvPT0_PKT_S7_iiiPKb,"axG",@progbits,_ZN12_GLOBAL__N_121softmax_warp_backwardIN3c104HalfES2_fLi7ELb0ELb1ELi64EEEvPT0_PKT_S7_iiiPKb,comdat
	.globl	_ZN12_GLOBAL__N_121softmax_warp_backwardIN3c104HalfES2_fLi7ELb0ELb1ELi64EEEvPT0_PKT_S7_iiiPKb ; -- Begin function _ZN12_GLOBAL__N_121softmax_warp_backwardIN3c104HalfES2_fLi7ELb0ELb1ELi64EEEvPT0_PKT_S7_iiiPKb
	.p2align	8
	.type	_ZN12_GLOBAL__N_121softmax_warp_backwardIN3c104HalfES2_fLi7ELb0ELb1ELi64EEEvPT0_PKT_S7_iiiPKb,@function
_ZN12_GLOBAL__N_121softmax_warp_backwardIN3c104HalfES2_fLi7ELb0ELb1ELi64EEEvPT0_PKT_S7_iiiPKb: ; @_ZN12_GLOBAL__N_121softmax_warp_backwardIN3c104HalfES2_fLi7ELb0ELb1ELi64EEEvPT0_PKT_S7_iiiPKb
; %bb.0:
	s_load_dword s2, s[4:5], 0x3c
	s_load_dwordx4 s[12:15], s[4:5], 0x18
	s_load_dwordx4 s[16:19], s[4:5], 0x0
	s_load_dwordx2 s[0:1], s[4:5], 0x10
	v_bfe_u32 v1, v0, 10, 10
	s_waitcnt lgkmcnt(0)
	s_lshr_b32 s2, s2, 16
	s_mul_i32 s6, s6, s2
	v_add_lshl_u32 v1, s6, v1, 1
	v_sub_u32_e32 v9, s12, v1
	v_and_b32_e32 v8, 63, v0
	v_mad_u64_u32 v[2:3], s[2:3], v1, s13, v[8:9]
	v_ashrrev_i32_e32 v3, 31, v2
	v_lshlrev_b64 v[0:1], 1, v[2:3]
	v_mov_b32_e32 v5, s19
	v_add_co_u32_e32 v4, vcc, s18, v0
	v_addc_co_u32_e32 v5, vcc, v5, v1, vcc
	v_mov_b32_e32 v7, s1
	v_add_co_u32_e32 v6, vcc, s0, v0
	v_cmp_lt_i32_e64 s[2:3], 0, v9
	v_cmp_gt_i32_e64 s[0:1], s14, v8
	v_addc_co_u32_e32 v7, vcc, v7, v1, vcc
	s_and_b64 s[8:9], s[2:3], s[0:1]
	v_mov_b32_e32 v10, 0
	v_mov_b32_e32 v15, 0
	;; [unrolled: 1-line block ×3, first 2 shown]
	s_and_saveexec_b64 s[6:7], s[8:9]
	s_cbranch_execz .LBB826_2
; %bb.1:
	global_load_ushort v11, v[4:5], off
	global_load_ushort v12, v[6:7], off
	s_waitcnt vmcnt(1)
	v_cvt_f32_f16_e32 v15, v11
	s_waitcnt vmcnt(0)
	v_cvt_f32_f16_e32 v16, v12
.LBB826_2:
	s_or_b64 exec, exec, s[6:7]
	v_or_b32_e32 v8, 64, v8
	v_cmp_gt_i32_e32 vcc, s14, v8
	s_and_b64 s[8:9], s[2:3], vcc
	v_mov_b32_e32 v14, 0
	s_and_saveexec_b64 s[6:7], s[8:9]
	s_cbranch_execz .LBB826_4
; %bb.3:
	global_load_ushort v8, v[4:5], off offset:128
	global_load_ushort v11, v[6:7], off offset:128
	s_waitcnt vmcnt(1)
	v_cvt_f32_f16_e32 v10, v8
	s_waitcnt vmcnt(0)
	v_cvt_f32_f16_e32 v14, v11
.LBB826_4:
	s_or_b64 exec, exec, s[6:7]
	v_cmp_lt_i32_e64 s[6:7], 1, v9
	s_and_b64 s[8:9], s[6:7], s[0:1]
	s_mov_b32 s15, 0
	v_mov_b32_e32 v8, 0
	v_mov_b32_e32 v11, 0
	;; [unrolled: 1-line block ×3, first 2 shown]
	s_and_saveexec_b64 s[10:11], s[8:9]
	s_cbranch_execz .LBB826_6
; %bb.5:
	s_lshl_b64 s[12:13], s[14:15], 1
	v_mov_b32_e32 v11, s13
	v_add_co_u32_e64 v12, s[8:9], s12, v4
	v_addc_co_u32_e64 v13, s[8:9], v5, v11, s[8:9]
	global_load_ushort v17, v[12:13], off
	v_add_co_u32_e64 v12, s[8:9], s12, v6
	v_addc_co_u32_e64 v13, s[8:9], v7, v11, s[8:9]
	global_load_ushort v12, v[12:13], off
	s_waitcnt vmcnt(1)
	v_cvt_f32_f16_e32 v11, v17
	s_waitcnt vmcnt(0)
	v_cvt_f32_f16_e32 v12, v12
.LBB826_6:
	s_or_b64 exec, exec, s[10:11]
	s_and_b64 s[6:7], s[6:7], vcc
	v_mov_b32_e32 v13, 0
	s_and_saveexec_b64 s[8:9], s[6:7]
	s_cbranch_execz .LBB826_8
; %bb.7:
	s_lshl_b64 s[10:11], s[14:15], 1
	v_mov_b32_e32 v8, s11
	v_add_co_u32_e64 v4, s[6:7], s10, v4
	v_addc_co_u32_e64 v5, s[6:7], v5, v8, s[6:7]
	global_load_ushort v13, v[4:5], off offset:128
	v_add_co_u32_e64 v4, s[6:7], s10, v6
	v_addc_co_u32_e64 v5, s[6:7], v7, v8, s[6:7]
	global_load_ushort v4, v[4:5], off offset:128
	s_waitcnt vmcnt(1)
	v_cvt_f32_f16_e32 v8, v13
	s_waitcnt vmcnt(0)
	v_cvt_f32_f16_e32 v13, v4
.LBB826_8:
	s_or_b64 exec, exec, s[8:9]
	s_load_dwordx2 s[4:5], s[4:5], 0x28
	v_mbcnt_lo_u32_b32 v19, -1, 0
	v_mbcnt_hi_u32_b32 v19, -1, v19
	v_and_b32_e32 v20, 64, v19
	v_xor_b32_e32 v21, 32, v19
	s_waitcnt lgkmcnt(0)
	v_mov_b32_e32 v4, s5
	v_add_co_u32_e64 v2, s[4:5], s4, v2
	v_addc_co_u32_e64 v3, s[4:5], v4, v3, s[4:5]
	s_ashr_i32 s4, s14, 31
	v_mov_b32_e32 v5, s4
	v_add_co_u32_e64 v4, s[4:5], s14, v2
	global_load_ubyte v6, v[2:3], off
	global_load_ubyte v7, v[2:3], off offset:64
	v_addc_co_u32_e64 v5, s[4:5], v3, v5, s[4:5]
	global_load_ubyte v17, v[4:5], off
	global_load_ubyte v18, v[4:5], off offset:64
	v_add_f32_e32 v4, 0, v15
	v_add_u32_e32 v20, 64, v20
	v_add_f32_e32 v5, 0, v11
	v_cmp_lt_i32_e64 s[4:5], v21, v20
	v_cndmask_b32_e64 v21, v19, v21, s[4:5]
	v_lshlrev_b32_e32 v21, 2, v21
	s_waitcnt vmcnt(3)
	v_and_b32_e32 v6, 1, v6
	v_cmp_eq_u32_e64 s[8:9], 1, v6
	s_waitcnt vmcnt(2)
	v_and_b32_e32 v7, 1, v7
	s_waitcnt vmcnt(1)
	v_and_b32_e32 v6, 1, v17
	v_cndmask_b32_e64 v4, v4, 0, s[8:9]
	v_cmp_eq_u32_e64 s[6:7], 1, v6
	s_waitcnt vmcnt(0)
	v_and_b32_e32 v17, 1, v18
	v_add_f32_e32 v18, v4, v10
	v_cndmask_b32_e64 v5, v5, 0, s[6:7]
	v_cmp_eq_u32_e64 s[4:5], 1, v7
	v_cndmask_b32_e64 v4, v18, v4, s[4:5]
	v_add_f32_e32 v6, v5, v8
	v_cmp_eq_u32_e64 s[4:5], 1, v17
	v_cndmask_b32_e64 v5, v6, v5, s[4:5]
	ds_bpermute_b32 v6, v21, v4
	ds_bpermute_b32 v7, v21, v5
	v_xor_b32_e32 v17, 16, v19
	v_cmp_lt_i32_e64 s[10:11], v17, v20
	v_cndmask_b32_e64 v17, v19, v17, s[10:11]
	v_lshlrev_b32_e32 v17, 2, v17
	s_waitcnt lgkmcnt(0)
	v_pk_add_f32 v[4:5], v[4:5], v[6:7]
	ds_bpermute_b32 v6, v17, v4
	ds_bpermute_b32 v7, v17, v5
	v_xor_b32_e32 v17, 8, v19
	v_cmp_lt_i32_e64 s[10:11], v17, v20
	v_cndmask_b32_e64 v17, v19, v17, s[10:11]
	v_lshlrev_b32_e32 v17, 2, v17
	s_waitcnt lgkmcnt(0)
	v_pk_add_f32 v[4:5], v[4:5], v[6:7]
	;; [unrolled: 8-line block ×5, first 2 shown]
	ds_bpermute_b32 v6, v17, v4
	ds_bpermute_b32 v7, v17, v5
	s_and_saveexec_b64 s[10:11], s[2:3]
	s_cbranch_execz .LBB826_30
; %bb.9:
	s_waitcnt lgkmcnt(0)
	v_pk_add_f32 v[4:5], v[4:5], v[6:7]
	v_mov_b32_e32 v6, s17
	v_add_co_u32_e64 v0, s[2:3], s16, v0
	v_addc_co_u32_e64 v1, s[2:3], v6, v1, s[2:3]
	s_and_saveexec_b64 s[2:3], s[0:1]
	s_cbranch_execz .LBB826_14
; %bb.10:
	s_xor_b64 s[8:9], s[8:9], -1
	s_and_saveexec_b64 s[10:11], s[8:9]
	s_xor_b64 s[8:9], exec, s[10:11]
	s_cbranch_execz .LBB826_12
; %bb.11:
	v_fma_mixlo_f16 v6, -v4, v16, v15
	global_store_short v[0:1], v6, off
.LBB826_12:
	s_andn2_saveexec_b64 s[8:9], s[8:9]
	s_cbranch_execz .LBB826_14
; %bb.13:
	v_mov_b32_e32 v6, 0
	global_store_short v[0:1], v6, off
.LBB826_14:
	s_or_b64 exec, exec, s[2:3]
	s_and_saveexec_b64 s[8:9], vcc
	s_cbranch_execz .LBB826_19
; %bb.15:
	global_load_ubyte v2, v[2:3], off offset:64
	s_waitcnt vmcnt(0)
	v_and_b32_e32 v2, 1, v2
	v_cmp_eq_u32_e64 s[2:3], 1, v2
	s_xor_b64 s[2:3], s[2:3], -1
	s_and_saveexec_b64 s[10:11], s[2:3]
	s_xor_b64 s[2:3], exec, s[10:11]
	s_cbranch_execz .LBB826_17
; %bb.16:
	v_fma_mixlo_f16 v2, -v4, v14, v10
	global_store_short v[0:1], v2, off offset:128
.LBB826_17:
	s_andn2_saveexec_b64 s[2:3], s[2:3]
	s_cbranch_execz .LBB826_19
; %bb.18:
	v_mov_b32_e32 v2, 0
	global_store_short v[0:1], v2, off offset:128
.LBB826_19:
	s_or_b64 exec, exec, s[8:9]
	v_cmp_ne_u32_e64 s[2:3], 1, v9
	s_and_b64 exec, exec, s[2:3]
	s_cbranch_execz .LBB826_30
; %bb.20:
	s_lshl_b64 s[2:3], s[14:15], 1
	v_mov_b32_e32 v2, s3
	v_add_co_u32_e64 v0, s[2:3], s2, v0
	v_addc_co_u32_e64 v1, s[2:3], v1, v2, s[2:3]
	s_and_saveexec_b64 s[2:3], s[0:1]
	s_cbranch_execz .LBB826_25
; %bb.21:
	s_xor_b64 s[0:1], s[6:7], -1
	s_and_saveexec_b64 s[6:7], s[0:1]
	s_xor_b64 s[0:1], exec, s[6:7]
	s_cbranch_execz .LBB826_23
; %bb.22:
	v_fma_mixlo_f16 v2, -v5, v12, v11
	global_store_short v[0:1], v2, off
.LBB826_23:
	s_andn2_saveexec_b64 s[0:1], s[0:1]
	s_cbranch_execz .LBB826_25
; %bb.24:
	v_mov_b32_e32 v2, 0
	global_store_short v[0:1], v2, off
.LBB826_25:
	s_or_b64 exec, exec, s[2:3]
	s_and_b64 exec, exec, vcc
	s_cbranch_execz .LBB826_30
; %bb.26:
	s_xor_b64 s[0:1], s[4:5], -1
	s_and_saveexec_b64 s[2:3], s[0:1]
	s_xor_b64 s[0:1], exec, s[2:3]
	s_cbranch_execz .LBB826_28
; %bb.27:
	v_fma_mixlo_f16 v2, -v5, v13, v8
	global_store_short v[0:1], v2, off offset:128
                                        ; implicit-def: $vgpr0_vgpr1
.LBB826_28:
	s_andn2_saveexec_b64 s[0:1], s[0:1]
	s_cbranch_execz .LBB826_30
; %bb.29:
	v_mov_b32_e32 v2, 0
	global_store_short v[0:1], v2, off offset:128
.LBB826_30:
	s_endpgm
	.section	.rodata,"a",@progbits
	.p2align	6, 0x0
	.amdhsa_kernel _ZN12_GLOBAL__N_121softmax_warp_backwardIN3c104HalfES2_fLi7ELb0ELb1ELi64EEEvPT0_PKT_S7_iiiPKb
		.amdhsa_group_segment_fixed_size 0
		.amdhsa_private_segment_fixed_size 0
		.amdhsa_kernarg_size 304
		.amdhsa_user_sgpr_count 6
		.amdhsa_user_sgpr_private_segment_buffer 1
		.amdhsa_user_sgpr_dispatch_ptr 0
		.amdhsa_user_sgpr_queue_ptr 0
		.amdhsa_user_sgpr_kernarg_segment_ptr 1
		.amdhsa_user_sgpr_dispatch_id 0
		.amdhsa_user_sgpr_flat_scratch_init 0
		.amdhsa_user_sgpr_kernarg_preload_length 0
		.amdhsa_user_sgpr_kernarg_preload_offset 0
		.amdhsa_user_sgpr_private_segment_size 0
		.amdhsa_uses_dynamic_stack 0
		.amdhsa_system_sgpr_private_segment_wavefront_offset 0
		.amdhsa_system_sgpr_workgroup_id_x 1
		.amdhsa_system_sgpr_workgroup_id_y 0
		.amdhsa_system_sgpr_workgroup_id_z 0
		.amdhsa_system_sgpr_workgroup_info 0
		.amdhsa_system_vgpr_workitem_id 1
		.amdhsa_next_free_vgpr 22
		.amdhsa_next_free_sgpr 20
		.amdhsa_accum_offset 24
		.amdhsa_reserve_vcc 1
		.amdhsa_reserve_flat_scratch 0
		.amdhsa_float_round_mode_32 0
		.amdhsa_float_round_mode_16_64 0
		.amdhsa_float_denorm_mode_32 3
		.amdhsa_float_denorm_mode_16_64 3
		.amdhsa_dx10_clamp 1
		.amdhsa_ieee_mode 1
		.amdhsa_fp16_overflow 0
		.amdhsa_tg_split 0
		.amdhsa_exception_fp_ieee_invalid_op 0
		.amdhsa_exception_fp_denorm_src 0
		.amdhsa_exception_fp_ieee_div_zero 0
		.amdhsa_exception_fp_ieee_overflow 0
		.amdhsa_exception_fp_ieee_underflow 0
		.amdhsa_exception_fp_ieee_inexact 0
		.amdhsa_exception_int_div_zero 0
	.end_amdhsa_kernel
	.section	.text._ZN12_GLOBAL__N_121softmax_warp_backwardIN3c104HalfES2_fLi7ELb0ELb1ELi64EEEvPT0_PKT_S7_iiiPKb,"axG",@progbits,_ZN12_GLOBAL__N_121softmax_warp_backwardIN3c104HalfES2_fLi7ELb0ELb1ELi64EEEvPT0_PKT_S7_iiiPKb,comdat
.Lfunc_end826:
	.size	_ZN12_GLOBAL__N_121softmax_warp_backwardIN3c104HalfES2_fLi7ELb0ELb1ELi64EEEvPT0_PKT_S7_iiiPKb, .Lfunc_end826-_ZN12_GLOBAL__N_121softmax_warp_backwardIN3c104HalfES2_fLi7ELb0ELb1ELi64EEEvPT0_PKT_S7_iiiPKb
                                        ; -- End function
	.section	.AMDGPU.csdata,"",@progbits
; Kernel info:
; codeLenInByte = 1336
; NumSgprs: 24
; NumVgprs: 22
; NumAgprs: 0
; TotalNumVgprs: 22
; ScratchSize: 0
; MemoryBound: 0
; FloatMode: 240
; IeeeMode: 1
; LDSByteSize: 0 bytes/workgroup (compile time only)
; SGPRBlocks: 2
; VGPRBlocks: 2
; NumSGPRsForWavesPerEU: 24
; NumVGPRsForWavesPerEU: 22
; AccumOffset: 24
; Occupancy: 8
; WaveLimiterHint : 0
; COMPUTE_PGM_RSRC2:SCRATCH_EN: 0
; COMPUTE_PGM_RSRC2:USER_SGPR: 6
; COMPUTE_PGM_RSRC2:TRAP_HANDLER: 0
; COMPUTE_PGM_RSRC2:TGID_X_EN: 1
; COMPUTE_PGM_RSRC2:TGID_Y_EN: 0
; COMPUTE_PGM_RSRC2:TGID_Z_EN: 0
; COMPUTE_PGM_RSRC2:TIDIG_COMP_CNT: 1
; COMPUTE_PGM_RSRC3_GFX90A:ACCUM_OFFSET: 5
; COMPUTE_PGM_RSRC3_GFX90A:TG_SPLIT: 0
	.section	.text._ZN12_GLOBAL__N_121softmax_warp_backwardIN3c104HalfES2_fLi7ELb0ELb1ELi32EEEvPT0_PKT_S7_iiiPKb,"axG",@progbits,_ZN12_GLOBAL__N_121softmax_warp_backwardIN3c104HalfES2_fLi7ELb0ELb1ELi32EEEvPT0_PKT_S7_iiiPKb,comdat
	.globl	_ZN12_GLOBAL__N_121softmax_warp_backwardIN3c104HalfES2_fLi7ELb0ELb1ELi32EEEvPT0_PKT_S7_iiiPKb ; -- Begin function _ZN12_GLOBAL__N_121softmax_warp_backwardIN3c104HalfES2_fLi7ELb0ELb1ELi32EEEvPT0_PKT_S7_iiiPKb
	.p2align	8
	.type	_ZN12_GLOBAL__N_121softmax_warp_backwardIN3c104HalfES2_fLi7ELb0ELb1ELi32EEEvPT0_PKT_S7_iiiPKb,@function
_ZN12_GLOBAL__N_121softmax_warp_backwardIN3c104HalfES2_fLi7ELb0ELb1ELi32EEEvPT0_PKT_S7_iiiPKb: ; @_ZN12_GLOBAL__N_121softmax_warp_backwardIN3c104HalfES2_fLi7ELb0ELb1ELi32EEEvPT0_PKT_S7_iiiPKb
; %bb.0:
	s_load_dword s2, s[4:5], 0x3c
	s_load_dwordx4 s[20:23], s[4:5], 0x18
	s_load_dwordx4 s[24:27], s[4:5], 0x0
	s_load_dwordx2 s[0:1], s[4:5], 0x10
	v_bfe_u32 v1, v0, 10, 10
	s_waitcnt lgkmcnt(0)
	s_lshr_b32 s2, s2, 16
	s_mul_i32 s6, s6, s2
	v_add_lshl_u32 v1, s6, v1, 1
	v_sub_u32_e32 v9, s20, v1
	v_and_b32_e32 v8, 31, v0
	v_mad_u64_u32 v[2:3], s[2:3], v1, s21, v[8:9]
	v_ashrrev_i32_e32 v3, 31, v2
	v_lshlrev_b64 v[0:1], 1, v[2:3]
	v_mov_b32_e32 v5, s27
	v_add_co_u32_e32 v4, vcc, s26, v0
	v_addc_co_u32_e32 v5, vcc, v5, v1, vcc
	v_mov_b32_e32 v7, s1
	v_add_co_u32_e32 v6, vcc, s0, v0
	v_cmp_lt_i32_e64 s[6:7], 0, v9
	v_cmp_gt_i32_e64 s[12:13], s22, v8
	v_addc_co_u32_e32 v7, vcc, v7, v1, vcc
	s_and_b64 s[2:3], s[6:7], s[12:13]
	v_mov_b32_e32 v13, 0
	v_mov_b32_e32 v23, 0
	;; [unrolled: 1-line block ×3, first 2 shown]
	s_and_saveexec_b64 s[0:1], s[2:3]
	s_cbranch_execz .LBB827_2
; %bb.1:
	global_load_ushort v10, v[4:5], off
	global_load_ushort v11, v[6:7], off
	s_waitcnt vmcnt(1)
	v_cvt_f32_f16_e32 v23, v10
	s_waitcnt vmcnt(0)
	v_cvt_f32_f16_e32 v24, v11
.LBB827_2:
	s_or_b64 exec, exec, s[0:1]
	v_or_b32_e32 v10, 32, v8
	v_cmp_gt_i32_e64 s[2:3], s22, v10
	s_and_b64 s[8:9], s[6:7], s[2:3]
	v_mov_b32_e32 v22, 0
	s_and_saveexec_b64 s[0:1], s[8:9]
	s_cbranch_execz .LBB827_4
; %bb.3:
	global_load_ushort v10, v[4:5], off offset:64
	global_load_ushort v11, v[6:7], off offset:64
	s_waitcnt vmcnt(1)
	v_cvt_f32_f16_e32 v13, v10
	s_waitcnt vmcnt(0)
	v_cvt_f32_f16_e32 v22, v11
.LBB827_4:
	s_or_b64 exec, exec, s[0:1]
	v_or_b32_e32 v10, 64, v8
	v_cmp_gt_i32_e64 s[0:1], s22, v10
	s_and_b64 s[10:11], s[6:7], s[0:1]
	v_mov_b32_e32 v11, 0
	v_mov_b32_e32 v19, 0
	;; [unrolled: 1-line block ×3, first 2 shown]
	s_and_saveexec_b64 s[8:9], s[10:11]
	s_cbranch_execz .LBB827_6
; %bb.5:
	global_load_ushort v10, v[4:5], off offset:128
	global_load_ushort v12, v[6:7], off offset:128
	s_waitcnt vmcnt(1)
	v_cvt_f32_f16_e32 v19, v10
	s_waitcnt vmcnt(0)
	v_cvt_f32_f16_e32 v20, v12
.LBB827_6:
	s_or_b64 exec, exec, s[8:9]
	v_or_b32_e32 v8, 0x60, v8
	v_cmp_gt_i32_e32 vcc, s22, v8
	s_and_b64 s[10:11], s[6:7], vcc
	v_mov_b32_e32 v16, 0
	s_and_saveexec_b64 s[8:9], s[10:11]
	s_cbranch_execz .LBB827_8
; %bb.7:
	global_load_ushort v8, v[4:5], off offset:192
	global_load_ushort v10, v[6:7], off offset:192
	s_waitcnt vmcnt(1)
	v_cvt_f32_f16_e32 v11, v8
	s_waitcnt vmcnt(0)
	v_cvt_f32_f16_e32 v16, v10
.LBB827_8:
	s_or_b64 exec, exec, s[8:9]
	v_cmp_lt_i32_e64 s[8:9], 1, v9
	s_and_b64 s[10:11], s[8:9], s[12:13]
	s_mov_b32 s23, 0
	v_mov_b32_e32 v8, 0
	v_mov_b32_e32 v12, 0
	;; [unrolled: 1-line block ×3, first 2 shown]
	s_and_saveexec_b64 s[14:15], s[10:11]
	s_cbranch_execz .LBB827_10
; %bb.9:
	s_lshl_b64 s[16:17], s[22:23], 1
	v_mov_b32_e32 v10, s17
	v_add_co_u32_e64 v14, s[10:11], s16, v4
	v_addc_co_u32_e64 v15, s[10:11], v5, v10, s[10:11]
	global_load_ushort v12, v[14:15], off
	v_add_co_u32_e64 v14, s[10:11], s16, v6
	v_addc_co_u32_e64 v15, s[10:11], v7, v10, s[10:11]
	global_load_ushort v10, v[14:15], off
	s_waitcnt vmcnt(1)
	v_cvt_f32_f16_e32 v12, v12
	s_waitcnt vmcnt(0)
	v_cvt_f32_f16_e32 v14, v10
.LBB827_10:
	s_or_b64 exec, exec, s[14:15]
	s_and_b64 s[10:11], s[8:9], s[2:3]
	v_mov_b32_e32 v15, 0
	s_and_saveexec_b64 s[14:15], s[10:11]
	s_cbranch_execz .LBB827_12
; %bb.11:
	s_lshl_b64 s[16:17], s[22:23], 1
	v_mov_b32_e32 v8, s17
	v_add_co_u32_e64 v26, s[10:11], s16, v4
	v_addc_co_u32_e64 v27, s[10:11], v5, v8, s[10:11]
	global_load_ushort v10, v[26:27], off offset:64
	v_add_co_u32_e64 v26, s[10:11], s16, v6
	v_addc_co_u32_e64 v27, s[10:11], v7, v8, s[10:11]
	global_load_ushort v15, v[26:27], off offset:64
	s_waitcnt vmcnt(1)
	v_cvt_f32_f16_e32 v8, v10
	s_waitcnt vmcnt(0)
	v_cvt_f32_f16_e32 v15, v15
.LBB827_12:
	s_or_b64 exec, exec, s[14:15]
	s_and_b64 s[10:11], s[8:9], s[0:1]
	v_mov_b32_e32 v10, 0
	v_mov_b32_e32 v17, 0
	;; [unrolled: 1-line block ×3, first 2 shown]
	s_and_saveexec_b64 s[14:15], s[10:11]
	s_cbranch_execz .LBB827_14
; %bb.13:
	s_lshl_b64 s[16:17], s[22:23], 1
	v_mov_b32_e32 v17, s17
	v_add_co_u32_e64 v26, s[10:11], s16, v4
	v_addc_co_u32_e64 v27, s[10:11], v5, v17, s[10:11]
	global_load_ushort v18, v[26:27], off offset:128
	v_add_co_u32_e64 v26, s[10:11], s16, v6
	v_addc_co_u32_e64 v27, s[10:11], v7, v17, s[10:11]
	global_load_ushort v21, v[26:27], off offset:128
	s_waitcnt vmcnt(1)
	v_cvt_f32_f16_e32 v17, v18
	s_waitcnt vmcnt(0)
	v_cvt_f32_f16_e32 v18, v21
.LBB827_14:
	s_or_b64 exec, exec, s[14:15]
	s_and_b64 s[8:9], s[8:9], vcc
	v_mov_b32_e32 v21, 0
	s_and_saveexec_b64 s[10:11], s[8:9]
	s_cbranch_execz .LBB827_16
; %bb.15:
	s_lshl_b64 s[14:15], s[22:23], 1
	v_mov_b32_e32 v10, s15
	v_add_co_u32_e64 v4, s[8:9], s14, v4
	v_addc_co_u32_e64 v5, s[8:9], v5, v10, s[8:9]
	global_load_ushort v21, v[4:5], off offset:192
	v_add_co_u32_e64 v4, s[8:9], s14, v6
	v_addc_co_u32_e64 v5, s[8:9], v7, v10, s[8:9]
	global_load_ushort v4, v[4:5], off offset:192
	s_waitcnt vmcnt(1)
	v_cvt_f32_f16_e32 v10, v21
	s_waitcnt vmcnt(0)
	v_cvt_f32_f16_e32 v21, v4
.LBB827_16:
	s_or_b64 exec, exec, s[10:11]
	s_load_dwordx2 s[4:5], s[4:5], 0x28
	s_ashr_i32 s23, s22, 31
	v_mov_b32_e32 v5, s23
	v_mbcnt_lo_u32_b32 v31, -1, 0
	v_mbcnt_hi_u32_b32 v31, -1, v31
	s_waitcnt lgkmcnt(0)
	v_mov_b32_e32 v4, s5
	v_add_co_u32_e64 v2, s[4:5], s4, v2
	v_addc_co_u32_e64 v3, s[4:5], v4, v3, s[4:5]
	v_add_co_u32_e64 v4, s[4:5], s22, v2
	v_addc_co_u32_e64 v5, s[4:5], v3, v5, s[4:5]
	global_load_ubyte v6, v[2:3], off
	global_load_ubyte v7, v[2:3], off offset:32
	global_load_ubyte v25, v[2:3], off offset:64
	;; [unrolled: 1-line block ×3, first 2 shown]
	global_load_ubyte v27, v[4:5], off
	global_load_ubyte v28, v[4:5], off offset:32
	global_load_ubyte v29, v[4:5], off offset:64
	;; [unrolled: 1-line block ×3, first 2 shown]
	v_and_b32_e32 v32, 0x60, v31
	v_add_f32_e32 v4, 0, v23
	v_xor_b32_e32 v33, 16, v31
	v_add_u32_e32 v32, 32, v32
	v_add_f32_e32 v5, 0, v12
	v_cmp_lt_i32_e64 s[4:5], v33, v32
	v_cndmask_b32_e64 v33, v31, v33, s[4:5]
	v_lshlrev_b32_e32 v33, 2, v33
	s_waitcnt vmcnt(7)
	v_and_b32_e32 v6, 1, v6
	v_cmp_eq_u32_e64 s[16:17], 1, v6
	s_waitcnt vmcnt(3)
	v_and_b32_e32 v6, 1, v27
	v_and_b32_e32 v7, 1, v7
	v_cndmask_b32_e64 v4, v4, 0, s[16:17]
	v_cmp_eq_u32_e64 s[14:15], 1, v6
	s_waitcnt vmcnt(2)
	v_and_b32_e32 v27, 1, v28
	s_waitcnt vmcnt(1)
	v_and_b32_e32 v28, 1, v29
	;; [unrolled: 2-line block ×3, first 2 shown]
	v_add_f32_e32 v30, v4, v13
	v_cndmask_b32_e64 v5, v5, 0, s[14:15]
	v_cmp_eq_u32_e64 s[4:5], 1, v7
	v_and_b32_e32 v25, 1, v25
	v_cndmask_b32_e64 v4, v30, v4, s[4:5]
	v_add_f32_e32 v6, v5, v8
	v_cmp_eq_u32_e64 s[4:5], 1, v27
	v_add_f32_e32 v7, v4, v19
	v_cndmask_b32_e64 v5, v6, v5, s[4:5]
	v_cmp_eq_u32_e64 s[8:9], 1, v25
	v_and_b32_e32 v26, 1, v26
	v_cndmask_b32_e64 v4, v7, v4, s[8:9]
	v_add_f32_e32 v6, v5, v17
	v_cmp_eq_u32_e64 s[10:11], 1, v28
	v_add_f32_e32 v7, v4, v11
	v_cndmask_b32_e64 v5, v6, v5, s[10:11]
	v_cmp_eq_u32_e64 s[8:9], 1, v26
	v_cndmask_b32_e64 v4, v7, v4, s[8:9]
	v_add_f32_e32 v6, v5, v10
	v_cmp_eq_u32_e64 s[8:9], 1, v29
	v_cndmask_b32_e64 v5, v6, v5, s[8:9]
	ds_bpermute_b32 v6, v33, v4
	ds_bpermute_b32 v7, v33, v5
	v_xor_b32_e32 v25, 8, v31
	v_cmp_lt_i32_e64 s[18:19], v25, v32
	v_cndmask_b32_e64 v25, v31, v25, s[18:19]
	v_lshlrev_b32_e32 v25, 2, v25
	s_waitcnt lgkmcnt(0)
	v_pk_add_f32 v[4:5], v[4:5], v[6:7]
	ds_bpermute_b32 v6, v25, v4
	ds_bpermute_b32 v7, v25, v5
	v_xor_b32_e32 v25, 4, v31
	v_cmp_lt_i32_e64 s[18:19], v25, v32
	v_cndmask_b32_e64 v25, v31, v25, s[18:19]
	v_lshlrev_b32_e32 v25, 2, v25
	s_waitcnt lgkmcnt(0)
	v_pk_add_f32 v[4:5], v[4:5], v[6:7]
	;; [unrolled: 8-line block ×4, first 2 shown]
	ds_bpermute_b32 v6, v25, v4
	ds_bpermute_b32 v7, v25, v5
	s_and_saveexec_b64 s[18:19], s[6:7]
	s_cbranch_execz .LBB827_58
; %bb.17:
	s_waitcnt lgkmcnt(0)
	v_pk_add_f32 v[4:5], v[4:5], v[6:7]
	v_mov_b32_e32 v6, s25
	v_add_co_u32_e64 v0, s[6:7], s24, v0
	v_addc_co_u32_e64 v1, s[6:7], v6, v1, s[6:7]
	s_and_saveexec_b64 s[6:7], s[12:13]
	s_cbranch_execz .LBB827_22
; %bb.18:
	s_xor_b64 s[16:17], s[16:17], -1
	s_and_saveexec_b64 s[18:19], s[16:17]
	s_xor_b64 s[16:17], exec, s[18:19]
	s_cbranch_execz .LBB827_20
; %bb.19:
	v_fma_mixlo_f16 v6, -v4, v24, v23
	global_store_short v[0:1], v6, off
.LBB827_20:
	s_andn2_saveexec_b64 s[16:17], s[16:17]
	s_cbranch_execz .LBB827_22
; %bb.21:
	v_mov_b32_e32 v6, 0
	global_store_short v[0:1], v6, off
.LBB827_22:
	s_or_b64 exec, exec, s[6:7]
	s_and_saveexec_b64 s[16:17], s[2:3]
	s_cbranch_execz .LBB827_27
; %bb.23:
	global_load_ubyte v6, v[2:3], off offset:32
	s_waitcnt vmcnt(0)
	v_and_b32_e32 v6, 1, v6
	v_cmp_eq_u32_e64 s[6:7], 1, v6
	s_xor_b64 s[6:7], s[6:7], -1
	s_and_saveexec_b64 s[18:19], s[6:7]
	s_xor_b64 s[6:7], exec, s[18:19]
	s_cbranch_execz .LBB827_25
; %bb.24:
	v_fma_mixlo_f16 v6, -v4, v22, v13
	global_store_short v[0:1], v6, off offset:64
.LBB827_25:
	s_andn2_saveexec_b64 s[6:7], s[6:7]
	s_cbranch_execz .LBB827_27
; %bb.26:
	v_mov_b32_e32 v6, 0
	global_store_short v[0:1], v6, off offset:64
.LBB827_27:
	s_or_b64 exec, exec, s[16:17]
	s_and_saveexec_b64 s[16:17], s[0:1]
	s_cbranch_execz .LBB827_32
; %bb.28:
	global_load_ubyte v6, v[2:3], off offset:64
	s_waitcnt vmcnt(0)
	v_and_b32_e32 v6, 1, v6
	v_cmp_eq_u32_e64 s[6:7], 1, v6
	s_xor_b64 s[6:7], s[6:7], -1
	s_and_saveexec_b64 s[18:19], s[6:7]
	s_xor_b64 s[6:7], exec, s[18:19]
	s_cbranch_execz .LBB827_30
; %bb.29:
	v_fma_mixlo_f16 v6, -v4, v20, v19
	global_store_short v[0:1], v6, off offset:128
.LBB827_30:
	s_andn2_saveexec_b64 s[6:7], s[6:7]
	s_cbranch_execz .LBB827_32
; %bb.31:
	v_mov_b32_e32 v6, 0
	global_store_short v[0:1], v6, off offset:128
.LBB827_32:
	s_or_b64 exec, exec, s[16:17]
	s_and_saveexec_b64 s[16:17], vcc
	s_cbranch_execz .LBB827_37
; %bb.33:
	global_load_ubyte v2, v[2:3], off offset:96
	s_waitcnt vmcnt(0)
	v_and_b32_e32 v2, 1, v2
	v_cmp_eq_u32_e64 s[6:7], 1, v2
	s_xor_b64 s[6:7], s[6:7], -1
	s_and_saveexec_b64 s[18:19], s[6:7]
	s_xor_b64 s[6:7], exec, s[18:19]
	s_cbranch_execz .LBB827_35
; %bb.34:
	v_fma_mixlo_f16 v2, -v4, v16, v11
	global_store_short v[0:1], v2, off offset:192
.LBB827_35:
	s_andn2_saveexec_b64 s[6:7], s[6:7]
	s_cbranch_execz .LBB827_37
; %bb.36:
	v_mov_b32_e32 v2, 0
	global_store_short v[0:1], v2, off offset:192
.LBB827_37:
	s_or_b64 exec, exec, s[16:17]
	v_cmp_ne_u32_e64 s[6:7], 1, v9
	s_and_b64 exec, exec, s[6:7]
	s_cbranch_execz .LBB827_58
; %bb.38:
	s_lshl_b64 s[6:7], s[22:23], 1
	v_mov_b32_e32 v2, s7
	v_add_co_u32_e64 v0, s[6:7], s6, v0
	v_addc_co_u32_e64 v1, s[6:7], v1, v2, s[6:7]
	s_and_saveexec_b64 s[6:7], s[12:13]
	s_cbranch_execz .LBB827_43
; %bb.39:
	s_xor_b64 s[12:13], s[14:15], -1
	s_and_saveexec_b64 s[14:15], s[12:13]
	s_xor_b64 s[12:13], exec, s[14:15]
	s_cbranch_execz .LBB827_41
; %bb.40:
	v_fma_mixlo_f16 v2, -v5, v14, v12
	global_store_short v[0:1], v2, off
.LBB827_41:
	s_andn2_saveexec_b64 s[12:13], s[12:13]
	s_cbranch_execz .LBB827_43
; %bb.42:
	v_mov_b32_e32 v2, 0
	global_store_short v[0:1], v2, off
.LBB827_43:
	s_or_b64 exec, exec, s[6:7]
	s_and_saveexec_b64 s[6:7], s[2:3]
	s_cbranch_execz .LBB827_48
; %bb.44:
	s_xor_b64 s[2:3], s[4:5], -1
	s_and_saveexec_b64 s[4:5], s[2:3]
	s_xor_b64 s[2:3], exec, s[4:5]
	s_cbranch_execz .LBB827_46
; %bb.45:
	v_fma_mixlo_f16 v2, -v5, v15, v8
	global_store_short v[0:1], v2, off offset:64
.LBB827_46:
	s_andn2_saveexec_b64 s[2:3], s[2:3]
	s_cbranch_execz .LBB827_48
; %bb.47:
	v_mov_b32_e32 v2, 0
	global_store_short v[0:1], v2, off offset:64
.LBB827_48:
	s_or_b64 exec, exec, s[6:7]
	s_and_saveexec_b64 s[2:3], s[0:1]
	s_cbranch_execz .LBB827_53
; %bb.49:
	s_xor_b64 s[0:1], s[10:11], -1
	s_and_saveexec_b64 s[4:5], s[0:1]
	s_xor_b64 s[0:1], exec, s[4:5]
	s_cbranch_execz .LBB827_51
; %bb.50:
	v_fma_mixlo_f16 v2, -v5, v18, v17
	global_store_short v[0:1], v2, off offset:128
.LBB827_51:
	s_andn2_saveexec_b64 s[0:1], s[0:1]
	s_cbranch_execz .LBB827_53
; %bb.52:
	v_mov_b32_e32 v2, 0
	global_store_short v[0:1], v2, off offset:128
.LBB827_53:
	s_or_b64 exec, exec, s[2:3]
	s_and_b64 exec, exec, vcc
	s_cbranch_execz .LBB827_58
; %bb.54:
	s_xor_b64 s[0:1], s[8:9], -1
	s_and_saveexec_b64 s[2:3], s[0:1]
	s_xor_b64 s[0:1], exec, s[2:3]
	s_cbranch_execz .LBB827_56
; %bb.55:
	v_fma_mixlo_f16 v2, -v5, v21, v10
	global_store_short v[0:1], v2, off offset:192
                                        ; implicit-def: $vgpr0_vgpr1
.LBB827_56:
	s_andn2_saveexec_b64 s[0:1], s[0:1]
	s_cbranch_execz .LBB827_58
; %bb.57:
	v_mov_b32_e32 v2, 0
	global_store_short v[0:1], v2, off offset:192
.LBB827_58:
	s_endpgm
	.section	.rodata,"a",@progbits
	.p2align	6, 0x0
	.amdhsa_kernel _ZN12_GLOBAL__N_121softmax_warp_backwardIN3c104HalfES2_fLi7ELb0ELb1ELi32EEEvPT0_PKT_S7_iiiPKb
		.amdhsa_group_segment_fixed_size 0
		.amdhsa_private_segment_fixed_size 0
		.amdhsa_kernarg_size 304
		.amdhsa_user_sgpr_count 6
		.amdhsa_user_sgpr_private_segment_buffer 1
		.amdhsa_user_sgpr_dispatch_ptr 0
		.amdhsa_user_sgpr_queue_ptr 0
		.amdhsa_user_sgpr_kernarg_segment_ptr 1
		.amdhsa_user_sgpr_dispatch_id 0
		.amdhsa_user_sgpr_flat_scratch_init 0
		.amdhsa_user_sgpr_kernarg_preload_length 0
		.amdhsa_user_sgpr_kernarg_preload_offset 0
		.amdhsa_user_sgpr_private_segment_size 0
		.amdhsa_uses_dynamic_stack 0
		.amdhsa_system_sgpr_private_segment_wavefront_offset 0
		.amdhsa_system_sgpr_workgroup_id_x 1
		.amdhsa_system_sgpr_workgroup_id_y 0
		.amdhsa_system_sgpr_workgroup_id_z 0
		.amdhsa_system_sgpr_workgroup_info 0
		.amdhsa_system_vgpr_workitem_id 1
		.amdhsa_next_free_vgpr 34
		.amdhsa_next_free_sgpr 28
		.amdhsa_accum_offset 36
		.amdhsa_reserve_vcc 1
		.amdhsa_reserve_flat_scratch 0
		.amdhsa_float_round_mode_32 0
		.amdhsa_float_round_mode_16_64 0
		.amdhsa_float_denorm_mode_32 3
		.amdhsa_float_denorm_mode_16_64 3
		.amdhsa_dx10_clamp 1
		.amdhsa_ieee_mode 1
		.amdhsa_fp16_overflow 0
		.amdhsa_tg_split 0
		.amdhsa_exception_fp_ieee_invalid_op 0
		.amdhsa_exception_fp_denorm_src 0
		.amdhsa_exception_fp_ieee_div_zero 0
		.amdhsa_exception_fp_ieee_overflow 0
		.amdhsa_exception_fp_ieee_underflow 0
		.amdhsa_exception_fp_ieee_inexact 0
		.amdhsa_exception_int_div_zero 0
	.end_amdhsa_kernel
	.section	.text._ZN12_GLOBAL__N_121softmax_warp_backwardIN3c104HalfES2_fLi7ELb0ELb1ELi32EEEvPT0_PKT_S7_iiiPKb,"axG",@progbits,_ZN12_GLOBAL__N_121softmax_warp_backwardIN3c104HalfES2_fLi7ELb0ELb1ELi32EEEvPT0_PKT_S7_iiiPKb,comdat
.Lfunc_end827:
	.size	_ZN12_GLOBAL__N_121softmax_warp_backwardIN3c104HalfES2_fLi7ELb0ELb1ELi32EEEvPT0_PKT_S7_iiiPKb, .Lfunc_end827-_ZN12_GLOBAL__N_121softmax_warp_backwardIN3c104HalfES2_fLi7ELb0ELb1ELi32EEEvPT0_PKT_S7_iiiPKb
                                        ; -- End function
	.section	.AMDGPU.csdata,"",@progbits
; Kernel info:
; codeLenInByte = 2056
; NumSgprs: 32
; NumVgprs: 34
; NumAgprs: 0
; TotalNumVgprs: 34
; ScratchSize: 0
; MemoryBound: 0
; FloatMode: 240
; IeeeMode: 1
; LDSByteSize: 0 bytes/workgroup (compile time only)
; SGPRBlocks: 3
; VGPRBlocks: 4
; NumSGPRsForWavesPerEU: 32
; NumVGPRsForWavesPerEU: 34
; AccumOffset: 36
; Occupancy: 8
; WaveLimiterHint : 0
; COMPUTE_PGM_RSRC2:SCRATCH_EN: 0
; COMPUTE_PGM_RSRC2:USER_SGPR: 6
; COMPUTE_PGM_RSRC2:TRAP_HANDLER: 0
; COMPUTE_PGM_RSRC2:TGID_X_EN: 1
; COMPUTE_PGM_RSRC2:TGID_Y_EN: 0
; COMPUTE_PGM_RSRC2:TGID_Z_EN: 0
; COMPUTE_PGM_RSRC2:TIDIG_COMP_CNT: 1
; COMPUTE_PGM_RSRC3_GFX90A:ACCUM_OFFSET: 8
; COMPUTE_PGM_RSRC3_GFX90A:TG_SPLIT: 0
	.section	.text._ZN12_GLOBAL__N_121softmax_warp_backwardIN3c104HalfES2_fLi8ELb0ELb1ELi64EEEvPT0_PKT_S7_iiiPKb,"axG",@progbits,_ZN12_GLOBAL__N_121softmax_warp_backwardIN3c104HalfES2_fLi8ELb0ELb1ELi64EEEvPT0_PKT_S7_iiiPKb,comdat
	.globl	_ZN12_GLOBAL__N_121softmax_warp_backwardIN3c104HalfES2_fLi8ELb0ELb1ELi64EEEvPT0_PKT_S7_iiiPKb ; -- Begin function _ZN12_GLOBAL__N_121softmax_warp_backwardIN3c104HalfES2_fLi8ELb0ELb1ELi64EEEvPT0_PKT_S7_iiiPKb
	.p2align	8
	.type	_ZN12_GLOBAL__N_121softmax_warp_backwardIN3c104HalfES2_fLi8ELb0ELb1ELi64EEEvPT0_PKT_S7_iiiPKb,@function
_ZN12_GLOBAL__N_121softmax_warp_backwardIN3c104HalfES2_fLi8ELb0ELb1ELi64EEEvPT0_PKT_S7_iiiPKb: ; @_ZN12_GLOBAL__N_121softmax_warp_backwardIN3c104HalfES2_fLi8ELb0ELb1ELi64EEEvPT0_PKT_S7_iiiPKb
; %bb.0:
	s_load_dword s2, s[4:5], 0x3c
	s_load_dwordx4 s[8:11], s[4:5], 0x18
	s_load_dwordx4 s[16:19], s[4:5], 0x0
	s_load_dwordx2 s[0:1], s[4:5], 0x10
	v_bfe_u32 v1, v0, 10, 10
	s_waitcnt lgkmcnt(0)
	s_lshr_b32 s2, s2, 16
	s_mul_i32 s6, s6, s2
	v_add_u32_e32 v1, s6, v1
	v_and_b32_e32 v8, 63, v0
	v_mad_u64_u32 v[2:3], s[2:3], v1, s9, v[8:9]
	v_ashrrev_i32_e32 v3, 31, v2
	v_sub_u32_e32 v14, s8, v1
	v_lshlrev_b64 v[0:1], 1, v[2:3]
	v_mov_b32_e32 v5, s19
	v_add_co_u32_e32 v4, vcc, s18, v0
	v_addc_co_u32_e32 v5, vcc, v5, v1, vcc
	v_mov_b32_e32 v7, s1
	v_add_co_u32_e32 v6, vcc, s0, v0
	v_cmp_lt_i32_e64 s[6:7], 0, v14
	v_cmp_gt_i32_e64 s[8:9], s10, v8
	v_addc_co_u32_e32 v7, vcc, v7, v1, vcc
	s_and_b64 s[2:3], s[6:7], s[8:9]
	v_mov_b32_e32 v10, 0
	v_mov_b32_e32 v15, 0
	;; [unrolled: 1-line block ×3, first 2 shown]
	s_and_saveexec_b64 s[0:1], s[2:3]
	s_cbranch_execz .LBB828_2
; %bb.1:
	global_load_ushort v9, v[4:5], off
	global_load_ushort v11, v[6:7], off
	s_waitcnt vmcnt(1)
	v_cvt_f32_f16_e32 v15, v9
	s_waitcnt vmcnt(0)
	v_cvt_f32_f16_e32 v16, v11
.LBB828_2:
	s_or_b64 exec, exec, s[0:1]
	v_or_b32_e32 v9, 64, v8
	v_cmp_gt_i32_e64 s[2:3], s10, v9
	s_and_b64 s[12:13], s[6:7], s[2:3]
	v_mov_b32_e32 v13, 0
	s_and_saveexec_b64 s[0:1], s[12:13]
	s_cbranch_execz .LBB828_4
; %bb.3:
	global_load_ushort v9, v[4:5], off offset:128
	global_load_ushort v11, v[6:7], off offset:128
	s_waitcnt vmcnt(1)
	v_cvt_f32_f16_e32 v10, v9
	s_waitcnt vmcnt(0)
	v_cvt_f32_f16_e32 v13, v11
.LBB828_4:
	s_or_b64 exec, exec, s[0:1]
	v_or_b32_e32 v9, 0x80, v8
	v_cmp_gt_i32_e64 s[0:1], s10, v9
	s_and_b64 s[14:15], s[6:7], s[0:1]
	v_mov_b32_e32 v9, 0
	v_mov_b32_e32 v11, 0
	;; [unrolled: 1-line block ×3, first 2 shown]
	s_and_saveexec_b64 s[12:13], s[14:15]
	s_cbranch_execz .LBB828_6
; %bb.5:
	global_load_ushort v11, v[4:5], off offset:256
	global_load_ushort v12, v[6:7], off offset:256
	s_waitcnt vmcnt(1)
	v_cvt_f32_f16_e32 v11, v11
	s_waitcnt vmcnt(0)
	v_cvt_f32_f16_e32 v12, v12
.LBB828_6:
	s_or_b64 exec, exec, s[12:13]
	v_or_b32_e32 v8, 0xc0, v8
	v_cmp_gt_i32_e32 vcc, s10, v8
	s_and_b64 s[10:11], s[6:7], vcc
	v_mov_b32_e32 v8, 0
	s_and_saveexec_b64 s[6:7], s[10:11]
	s_cbranch_execz .LBB828_8
; %bb.7:
	global_load_ushort v8, v[4:5], off offset:384
	global_load_ushort v17, v[6:7], off offset:384
	s_waitcnt vmcnt(1)
	v_cvt_f32_f16_e32 v9, v8
	s_waitcnt vmcnt(0)
	v_cvt_f32_f16_e32 v8, v17
.LBB828_8:
	s_or_b64 exec, exec, s[6:7]
	s_load_dwordx2 s[4:5], s[4:5], 0x28
	s_waitcnt lgkmcnt(0)
	v_mov_b32_e32 v4, s5
	v_add_co_u32_e64 v2, s[4:5], s4, v2
	v_addc_co_u32_e64 v3, s[4:5], v4, v3, s[4:5]
	global_load_ubyte v4, v[2:3], off
	global_load_ubyte v5, v[2:3], off offset:64
	global_load_ubyte v6, v[2:3], off offset:128
	;; [unrolled: 1-line block ×3, first 2 shown]
	v_mbcnt_lo_u32_b32 v3, -1, 0
	v_add_f32_e32 v2, 0, v15
	v_mbcnt_hi_u32_b32 v3, -1, v3
	v_and_b32_e32 v17, 64, v3
	v_xor_b32_e32 v18, 32, v3
	v_add_u32_e32 v17, 64, v17
	v_cmp_lt_i32_e64 s[4:5], v18, v17
	v_cndmask_b32_e64 v18, v3, v18, s[4:5]
	v_lshlrev_b32_e32 v18, 2, v18
	s_waitcnt vmcnt(3)
	v_and_b32_e32 v4, 1, v4
	v_cmp_eq_u32_e64 s[12:13], 1, v4
	s_waitcnt vmcnt(2)
	v_and_b32_e32 v5, 1, v5
	v_cndmask_b32_e64 v2, v2, 0, s[12:13]
	v_add_f32_e32 v4, v2, v10
	v_cmp_eq_u32_e64 s[10:11], 1, v5
	s_waitcnt vmcnt(1)
	v_and_b32_e32 v6, 1, v6
	v_cndmask_b32_e64 v2, v4, v2, s[10:11]
	v_add_f32_e32 v4, v2, v11
	;; [unrolled: 5-line block ×3, first 2 shown]
	v_cmp_eq_u32_e64 s[6:7], 1, v7
	v_cndmask_b32_e64 v2, v4, v2, s[6:7]
	ds_bpermute_b32 v4, v18, v2
	v_xor_b32_e32 v5, 16, v3
	v_cmp_lt_i32_e64 s[14:15], v5, v17
	v_cndmask_b32_e64 v5, v3, v5, s[14:15]
	v_lshlrev_b32_e32 v5, 2, v5
	s_waitcnt lgkmcnt(0)
	v_add_f32_e32 v2, v2, v4
	ds_bpermute_b32 v4, v5, v2
	v_xor_b32_e32 v5, 8, v3
	v_cmp_lt_i32_e64 s[14:15], v5, v17
	v_cndmask_b32_e64 v5, v3, v5, s[14:15]
	v_lshlrev_b32_e32 v5, 2, v5
	s_waitcnt lgkmcnt(0)
	v_add_f32_e32 v2, v2, v4
	;; [unrolled: 7-line block ×5, first 2 shown]
	ds_bpermute_b32 v3, v3, v2
	v_cmp_lt_i32_e64 s[14:15], 0, v14
	s_and_saveexec_b64 s[18:19], s[14:15]
	s_cbranch_execz .LBB828_29
; %bb.9:
	s_waitcnt lgkmcnt(0)
	v_add_f32_e32 v2, v2, v3
	v_mov_b32_e32 v3, s17
	v_add_co_u32_e64 v0, s[14:15], s16, v0
	v_addc_co_u32_e64 v1, s[14:15], v3, v1, s[14:15]
	s_and_saveexec_b64 s[14:15], s[8:9]
	s_cbranch_execz .LBB828_14
; %bb.10:
	s_xor_b64 s[8:9], s[12:13], -1
	s_and_saveexec_b64 s[12:13], s[8:9]
	s_xor_b64 s[8:9], exec, s[12:13]
	s_cbranch_execz .LBB828_12
; %bb.11:
	v_fma_mixlo_f16 v3, -v2, v16, v15
	global_store_short v[0:1], v3, off
.LBB828_12:
	s_andn2_saveexec_b64 s[8:9], s[8:9]
	s_cbranch_execz .LBB828_14
; %bb.13:
	v_mov_b32_e32 v3, 0
	global_store_short v[0:1], v3, off
.LBB828_14:
	s_or_b64 exec, exec, s[14:15]
	s_and_saveexec_b64 s[8:9], s[2:3]
	s_cbranch_execz .LBB828_19
; %bb.15:
	s_xor_b64 s[2:3], s[10:11], -1
	s_and_saveexec_b64 s[10:11], s[2:3]
	s_xor_b64 s[2:3], exec, s[10:11]
	s_cbranch_execz .LBB828_17
; %bb.16:
	v_fma_mixlo_f16 v3, -v2, v13, v10
	global_store_short v[0:1], v3, off offset:128
.LBB828_17:
	s_andn2_saveexec_b64 s[2:3], s[2:3]
	s_cbranch_execz .LBB828_19
; %bb.18:
	v_mov_b32_e32 v3, 0
	global_store_short v[0:1], v3, off offset:128
.LBB828_19:
	s_or_b64 exec, exec, s[8:9]
	s_and_saveexec_b64 s[2:3], s[0:1]
	s_cbranch_execz .LBB828_24
; %bb.20:
	s_xor_b64 s[0:1], s[4:5], -1
	s_and_saveexec_b64 s[4:5], s[0:1]
	s_xor_b64 s[0:1], exec, s[4:5]
	s_cbranch_execz .LBB828_22
; %bb.21:
	v_fma_mixlo_f16 v3, -v2, v12, v11
	global_store_short v[0:1], v3, off offset:256
.LBB828_22:
	s_andn2_saveexec_b64 s[0:1], s[0:1]
	s_cbranch_execz .LBB828_24
; %bb.23:
	v_mov_b32_e32 v3, 0
	global_store_short v[0:1], v3, off offset:256
.LBB828_24:
	s_or_b64 exec, exec, s[2:3]
	s_and_b64 exec, exec, vcc
	s_cbranch_execz .LBB828_29
; %bb.25:
	s_xor_b64 s[0:1], s[6:7], -1
	s_and_saveexec_b64 s[2:3], s[0:1]
	s_xor_b64 s[0:1], exec, s[2:3]
	s_cbranch_execz .LBB828_27
; %bb.26:
	v_fma_mixlo_f16 v2, -v2, v8, v9
	global_store_short v[0:1], v2, off offset:384
                                        ; implicit-def: $vgpr0_vgpr1
.LBB828_27:
	s_andn2_saveexec_b64 s[0:1], s[0:1]
	s_cbranch_execz .LBB828_29
; %bb.28:
	v_mov_b32_e32 v2, 0
	global_store_short v[0:1], v2, off offset:384
.LBB828_29:
	s_endpgm
	.section	.rodata,"a",@progbits
	.p2align	6, 0x0
	.amdhsa_kernel _ZN12_GLOBAL__N_121softmax_warp_backwardIN3c104HalfES2_fLi8ELb0ELb1ELi64EEEvPT0_PKT_S7_iiiPKb
		.amdhsa_group_segment_fixed_size 0
		.amdhsa_private_segment_fixed_size 0
		.amdhsa_kernarg_size 304
		.amdhsa_user_sgpr_count 6
		.amdhsa_user_sgpr_private_segment_buffer 1
		.amdhsa_user_sgpr_dispatch_ptr 0
		.amdhsa_user_sgpr_queue_ptr 0
		.amdhsa_user_sgpr_kernarg_segment_ptr 1
		.amdhsa_user_sgpr_dispatch_id 0
		.amdhsa_user_sgpr_flat_scratch_init 0
		.amdhsa_user_sgpr_kernarg_preload_length 0
		.amdhsa_user_sgpr_kernarg_preload_offset 0
		.amdhsa_user_sgpr_private_segment_size 0
		.amdhsa_uses_dynamic_stack 0
		.amdhsa_system_sgpr_private_segment_wavefront_offset 0
		.amdhsa_system_sgpr_workgroup_id_x 1
		.amdhsa_system_sgpr_workgroup_id_y 0
		.amdhsa_system_sgpr_workgroup_id_z 0
		.amdhsa_system_sgpr_workgroup_info 0
		.amdhsa_system_vgpr_workitem_id 1
		.amdhsa_next_free_vgpr 19
		.amdhsa_next_free_sgpr 20
		.amdhsa_accum_offset 20
		.amdhsa_reserve_vcc 1
		.amdhsa_reserve_flat_scratch 0
		.amdhsa_float_round_mode_32 0
		.amdhsa_float_round_mode_16_64 0
		.amdhsa_float_denorm_mode_32 3
		.amdhsa_float_denorm_mode_16_64 3
		.amdhsa_dx10_clamp 1
		.amdhsa_ieee_mode 1
		.amdhsa_fp16_overflow 0
		.amdhsa_tg_split 0
		.amdhsa_exception_fp_ieee_invalid_op 0
		.amdhsa_exception_fp_denorm_src 0
		.amdhsa_exception_fp_ieee_div_zero 0
		.amdhsa_exception_fp_ieee_overflow 0
		.amdhsa_exception_fp_ieee_underflow 0
		.amdhsa_exception_fp_ieee_inexact 0
		.amdhsa_exception_int_div_zero 0
	.end_amdhsa_kernel
	.section	.text._ZN12_GLOBAL__N_121softmax_warp_backwardIN3c104HalfES2_fLi8ELb0ELb1ELi64EEEvPT0_PKT_S7_iiiPKb,"axG",@progbits,_ZN12_GLOBAL__N_121softmax_warp_backwardIN3c104HalfES2_fLi8ELb0ELb1ELi64EEEvPT0_PKT_S7_iiiPKb,comdat
.Lfunc_end828:
	.size	_ZN12_GLOBAL__N_121softmax_warp_backwardIN3c104HalfES2_fLi8ELb0ELb1ELi64EEEvPT0_PKT_S7_iiiPKb, .Lfunc_end828-_ZN12_GLOBAL__N_121softmax_warp_backwardIN3c104HalfES2_fLi8ELb0ELb1ELi64EEEvPT0_PKT_S7_iiiPKb
                                        ; -- End function
	.section	.AMDGPU.csdata,"",@progbits
; Kernel info:
; codeLenInByte = 1120
; NumSgprs: 24
; NumVgprs: 19
; NumAgprs: 0
; TotalNumVgprs: 19
; ScratchSize: 0
; MemoryBound: 0
; FloatMode: 240
; IeeeMode: 1
; LDSByteSize: 0 bytes/workgroup (compile time only)
; SGPRBlocks: 2
; VGPRBlocks: 2
; NumSGPRsForWavesPerEU: 24
; NumVGPRsForWavesPerEU: 19
; AccumOffset: 20
; Occupancy: 8
; WaveLimiterHint : 0
; COMPUTE_PGM_RSRC2:SCRATCH_EN: 0
; COMPUTE_PGM_RSRC2:USER_SGPR: 6
; COMPUTE_PGM_RSRC2:TRAP_HANDLER: 0
; COMPUTE_PGM_RSRC2:TGID_X_EN: 1
; COMPUTE_PGM_RSRC2:TGID_Y_EN: 0
; COMPUTE_PGM_RSRC2:TGID_Z_EN: 0
; COMPUTE_PGM_RSRC2:TIDIG_COMP_CNT: 1
; COMPUTE_PGM_RSRC3_GFX90A:ACCUM_OFFSET: 4
; COMPUTE_PGM_RSRC3_GFX90A:TG_SPLIT: 0
	.section	.text._ZN12_GLOBAL__N_121softmax_warp_backwardIN3c104HalfES2_fLi8ELb0ELb1ELi32EEEvPT0_PKT_S7_iiiPKb,"axG",@progbits,_ZN12_GLOBAL__N_121softmax_warp_backwardIN3c104HalfES2_fLi8ELb0ELb1ELi32EEEvPT0_PKT_S7_iiiPKb,comdat
	.globl	_ZN12_GLOBAL__N_121softmax_warp_backwardIN3c104HalfES2_fLi8ELb0ELb1ELi32EEEvPT0_PKT_S7_iiiPKb ; -- Begin function _ZN12_GLOBAL__N_121softmax_warp_backwardIN3c104HalfES2_fLi8ELb0ELb1ELi32EEEvPT0_PKT_S7_iiiPKb
	.p2align	8
	.type	_ZN12_GLOBAL__N_121softmax_warp_backwardIN3c104HalfES2_fLi8ELb0ELb1ELi32EEEvPT0_PKT_S7_iiiPKb,@function
_ZN12_GLOBAL__N_121softmax_warp_backwardIN3c104HalfES2_fLi8ELb0ELb1ELi32EEEvPT0_PKT_S7_iiiPKb: ; @_ZN12_GLOBAL__N_121softmax_warp_backwardIN3c104HalfES2_fLi8ELb0ELb1ELi32EEEvPT0_PKT_S7_iiiPKb
; %bb.0:
	s_load_dword s2, s[4:5], 0x3c
	s_load_dwordx4 s[20:23], s[4:5], 0x18
	s_load_dwordx4 s[36:39], s[4:5], 0x0
	s_load_dwordx2 s[0:1], s[4:5], 0x10
	v_bfe_u32 v1, v0, 10, 10
	s_waitcnt lgkmcnt(0)
	s_lshr_b32 s2, s2, 16
	s_mul_i32 s6, s6, s2
	v_add_u32_e32 v1, s6, v1
	v_and_b32_e32 v8, 31, v0
	v_mad_u64_u32 v[2:3], s[2:3], v1, s21, v[8:9]
	v_ashrrev_i32_e32 v3, 31, v2
	v_sub_u32_e32 v22, s20, v1
	v_lshlrev_b64 v[0:1], 1, v[2:3]
	v_mov_b32_e32 v5, s39
	v_add_co_u32_e32 v4, vcc, s38, v0
	v_addc_co_u32_e32 v5, vcc, v5, v1, vcc
	v_mov_b32_e32 v7, s1
	v_add_co_u32_e32 v6, vcc, s0, v0
	v_cmp_lt_i32_e64 s[14:15], 0, v22
	v_cmp_gt_i32_e64 s[12:13], s22, v8
	v_addc_co_u32_e32 v7, vcc, v7, v1, vcc
	s_and_b64 s[2:3], s[14:15], s[12:13]
	v_mov_b32_e32 v12, 0
	v_mov_b32_e32 v23, 0
	;; [unrolled: 1-line block ×3, first 2 shown]
	s_and_saveexec_b64 s[0:1], s[2:3]
	s_cbranch_execz .LBB829_2
; %bb.1:
	global_load_ushort v9, v[4:5], off
	global_load_ushort v10, v[6:7], off
	s_waitcnt vmcnt(1)
	v_cvt_f32_f16_e32 v23, v9
	s_waitcnt vmcnt(0)
	v_cvt_f32_f16_e32 v24, v10
.LBB829_2:
	s_or_b64 exec, exec, s[0:1]
	v_or_b32_e32 v9, 32, v8
	v_cmp_gt_i32_e64 s[10:11], s22, v9
	s_and_b64 s[2:3], s[14:15], s[10:11]
	v_mov_b32_e32 v21, 0
	s_and_saveexec_b64 s[0:1], s[2:3]
	s_cbranch_execz .LBB829_4
; %bb.3:
	global_load_ushort v9, v[4:5], off offset:64
	global_load_ushort v10, v[6:7], off offset:64
	s_waitcnt vmcnt(1)
	v_cvt_f32_f16_e32 v12, v9
	s_waitcnt vmcnt(0)
	v_cvt_f32_f16_e32 v21, v10
.LBB829_4:
	s_or_b64 exec, exec, s[0:1]
	v_or_b32_e32 v9, 64, v8
	v_cmp_gt_i32_e64 s[8:9], s22, v9
	s_and_b64 s[2:3], s[14:15], s[8:9]
	v_mov_b32_e32 v11, 0
	v_mov_b32_e32 v19, 0
	v_mov_b32_e32 v20, 0
	s_and_saveexec_b64 s[0:1], s[2:3]
	s_cbranch_execz .LBB829_6
; %bb.5:
	global_load_ushort v9, v[4:5], off offset:128
	global_load_ushort v10, v[6:7], off offset:128
	s_waitcnt vmcnt(1)
	v_cvt_f32_f16_e32 v19, v9
	s_waitcnt vmcnt(0)
	v_cvt_f32_f16_e32 v20, v10
.LBB829_6:
	s_or_b64 exec, exec, s[0:1]
	v_or_b32_e32 v9, 0x60, v8
	v_cmp_gt_i32_e64 s[6:7], s22, v9
	s_and_b64 s[2:3], s[14:15], s[6:7]
	v_mov_b32_e32 v18, 0
	s_and_saveexec_b64 s[0:1], s[2:3]
	s_cbranch_execz .LBB829_8
; %bb.7:
	global_load_ushort v9, v[4:5], off offset:192
	global_load_ushort v10, v[6:7], off offset:192
	s_waitcnt vmcnt(1)
	v_cvt_f32_f16_e32 v11, v9
	s_waitcnt vmcnt(0)
	v_cvt_f32_f16_e32 v18, v10
.LBB829_8:
	s_or_b64 exec, exec, s[0:1]
	v_or_b32_e32 v9, 0x80, v8
	v_cmp_gt_i32_e64 s[18:19], s22, v9
	s_and_b64 s[2:3], s[14:15], s[18:19]
	v_mov_b32_e32 v10, 0
	v_mov_b32_e32 v16, 0
	v_mov_b32_e32 v17, 0
	s_and_saveexec_b64 s[0:1], s[2:3]
	s_cbranch_execz .LBB829_10
; %bb.9:
	global_load_ushort v9, v[4:5], off offset:256
	global_load_ushort v13, v[6:7], off offset:256
	s_waitcnt vmcnt(1)
	v_cvt_f32_f16_e32 v16, v9
	s_waitcnt vmcnt(0)
	v_cvt_f32_f16_e32 v17, v13
.LBB829_10:
	;; [unrolled: 32-line block ×3, first 2 shown]
	s_or_b64 exec, exec, s[16:17]
	v_or_b32_e32 v8, 0xe0, v8
	v_cmp_gt_i32_e32 vcc, s22, v8
	s_and_b64 s[16:17], s[14:15], vcc
	v_mov_b32_e32 v8, 0
	s_and_saveexec_b64 s[14:15], s[16:17]
	s_cbranch_execz .LBB829_16
; %bb.15:
	global_load_ushort v8, v[4:5], off offset:448
	global_load_ushort v25, v[6:7], off offset:448
	s_waitcnt vmcnt(1)
	v_cvt_f32_f16_e32 v9, v8
	s_waitcnt vmcnt(0)
	v_cvt_f32_f16_e32 v8, v25
.LBB829_16:
	s_or_b64 exec, exec, s[14:15]
	s_load_dwordx2 s[4:5], s[4:5], 0x28
	s_waitcnt lgkmcnt(0)
	v_mov_b32_e32 v4, s5
	v_add_co_u32_e64 v2, s[4:5], s4, v2
	v_addc_co_u32_e64 v3, s[4:5], v4, v3, s[4:5]
	global_load_ubyte v4, v[2:3], off
	global_load_ubyte v5, v[2:3], off offset:32
	global_load_ubyte v6, v[2:3], off offset:64
	;; [unrolled: 1-line block ×7, first 2 shown]
	v_add_f32_e32 v2, 0, v23
	v_mbcnt_lo_u32_b32 v3, -1, 0
	v_mbcnt_hi_u32_b32 v3, -1, v3
	v_and_b32_e32 v29, 0x60, v3
	v_xor_b32_e32 v30, 16, v3
	v_add_u32_e32 v29, 32, v29
	v_cmp_lt_i32_e64 s[4:5], v30, v29
	v_cndmask_b32_e64 v30, v3, v30, s[4:5]
	v_lshlrev_b32_e32 v30, 2, v30
	s_waitcnt vmcnt(7)
	v_and_b32_e32 v4, 1, v4
	v_cmp_eq_u32_e64 s[28:29], 1, v4
	s_waitcnt vmcnt(6)
	v_and_b32_e32 v5, 1, v5
	v_cndmask_b32_e64 v2, v2, 0, s[28:29]
	v_add_f32_e32 v4, v2, v12
	v_cmp_eq_u32_e64 s[26:27], 1, v5
	s_waitcnt vmcnt(5)
	v_and_b32_e32 v6, 1, v6
	v_cndmask_b32_e64 v2, v4, v2, s[26:27]
	v_add_f32_e32 v4, v2, v19
	;; [unrolled: 5-line block ×7, first 2 shown]
	v_cmp_eq_u32_e64 s[14:15], 1, v28
	v_cndmask_b32_e64 v2, v4, v2, s[14:15]
	ds_bpermute_b32 v4, v30, v2
	v_xor_b32_e32 v5, 8, v3
	v_cmp_lt_i32_e64 s[30:31], v5, v29
	v_cndmask_b32_e64 v5, v3, v5, s[30:31]
	v_lshlrev_b32_e32 v5, 2, v5
	s_waitcnt lgkmcnt(0)
	v_add_f32_e32 v2, v2, v4
	ds_bpermute_b32 v4, v5, v2
	v_xor_b32_e32 v5, 4, v3
	v_cmp_lt_i32_e64 s[30:31], v5, v29
	v_cndmask_b32_e64 v5, v3, v5, s[30:31]
	v_lshlrev_b32_e32 v5, 2, v5
	s_waitcnt lgkmcnt(0)
	v_add_f32_e32 v2, v2, v4
	;; [unrolled: 7-line block ×4, first 2 shown]
	ds_bpermute_b32 v3, v3, v2
	v_cmp_lt_i32_e64 s[30:31], 0, v22
	s_and_saveexec_b64 s[34:35], s[30:31]
	s_cbranch_execz .LBB829_57
; %bb.17:
	s_waitcnt lgkmcnt(0)
	v_add_f32_e32 v2, v2, v3
	v_mov_b32_e32 v3, s37
	v_add_co_u32_e64 v0, s[30:31], s36, v0
	v_addc_co_u32_e64 v1, s[30:31], v3, v1, s[30:31]
	s_and_saveexec_b64 s[30:31], s[12:13]
	s_cbranch_execz .LBB829_22
; %bb.18:
	s_xor_b64 s[12:13], s[28:29], -1
	s_and_saveexec_b64 s[28:29], s[12:13]
	s_xor_b64 s[12:13], exec, s[28:29]
	s_cbranch_execz .LBB829_20
; %bb.19:
	v_fma_mixlo_f16 v3, -v2, v24, v23
	global_store_short v[0:1], v3, off
.LBB829_20:
	s_andn2_saveexec_b64 s[12:13], s[12:13]
	s_cbranch_execz .LBB829_22
; %bb.21:
	v_mov_b32_e32 v3, 0
	global_store_short v[0:1], v3, off
.LBB829_22:
	s_or_b64 exec, exec, s[30:31]
	s_and_saveexec_b64 s[12:13], s[10:11]
	s_cbranch_execz .LBB829_27
; %bb.23:
	s_xor_b64 s[10:11], s[26:27], -1
	s_and_saveexec_b64 s[26:27], s[10:11]
	s_xor_b64 s[10:11], exec, s[26:27]
	s_cbranch_execz .LBB829_25
; %bb.24:
	v_fma_mixlo_f16 v3, -v2, v21, v12
	global_store_short v[0:1], v3, off offset:64
.LBB829_25:
	s_andn2_saveexec_b64 s[10:11], s[10:11]
	s_cbranch_execz .LBB829_27
; %bb.26:
	v_mov_b32_e32 v3, 0
	global_store_short v[0:1], v3, off offset:64
.LBB829_27:
	s_or_b64 exec, exec, s[12:13]
	s_and_saveexec_b64 s[10:11], s[8:9]
	s_cbranch_execz .LBB829_32
; %bb.28:
	s_xor_b64 s[8:9], s[24:25], -1
	s_and_saveexec_b64 s[12:13], s[8:9]
	s_xor_b64 s[8:9], exec, s[12:13]
	s_cbranch_execz .LBB829_30
; %bb.29:
	v_fma_mixlo_f16 v3, -v2, v20, v19
	global_store_short v[0:1], v3, off offset:128
.LBB829_30:
	s_andn2_saveexec_b64 s[8:9], s[8:9]
	s_cbranch_execz .LBB829_32
; %bb.31:
	v_mov_b32_e32 v3, 0
	global_store_short v[0:1], v3, off offset:128
.LBB829_32:
	;; [unrolled: 18-line block ×6, first 2 shown]
	s_or_b64 exec, exec, s[2:3]
	s_and_b64 exec, exec, vcc
	s_cbranch_execz .LBB829_57
; %bb.53:
	s_xor_b64 s[0:1], s[14:15], -1
	s_and_saveexec_b64 s[2:3], s[0:1]
	s_xor_b64 s[0:1], exec, s[2:3]
	s_cbranch_execz .LBB829_55
; %bb.54:
	v_fma_mixlo_f16 v2, -v2, v8, v9
	global_store_short v[0:1], v2, off offset:448
                                        ; implicit-def: $vgpr0_vgpr1
.LBB829_55:
	s_andn2_saveexec_b64 s[0:1], s[0:1]
	s_cbranch_execz .LBB829_57
; %bb.56:
	v_mov_b32_e32 v2, 0
	global_store_short v[0:1], v2, off offset:448
.LBB829_57:
	s_endpgm
	.section	.rodata,"a",@progbits
	.p2align	6, 0x0
	.amdhsa_kernel _ZN12_GLOBAL__N_121softmax_warp_backwardIN3c104HalfES2_fLi8ELb0ELb1ELi32EEEvPT0_PKT_S7_iiiPKb
		.amdhsa_group_segment_fixed_size 0
		.amdhsa_private_segment_fixed_size 0
		.amdhsa_kernarg_size 304
		.amdhsa_user_sgpr_count 6
		.amdhsa_user_sgpr_private_segment_buffer 1
		.amdhsa_user_sgpr_dispatch_ptr 0
		.amdhsa_user_sgpr_queue_ptr 0
		.amdhsa_user_sgpr_kernarg_segment_ptr 1
		.amdhsa_user_sgpr_dispatch_id 0
		.amdhsa_user_sgpr_flat_scratch_init 0
		.amdhsa_user_sgpr_kernarg_preload_length 0
		.amdhsa_user_sgpr_kernarg_preload_offset 0
		.amdhsa_user_sgpr_private_segment_size 0
		.amdhsa_uses_dynamic_stack 0
		.amdhsa_system_sgpr_private_segment_wavefront_offset 0
		.amdhsa_system_sgpr_workgroup_id_x 1
		.amdhsa_system_sgpr_workgroup_id_y 0
		.amdhsa_system_sgpr_workgroup_id_z 0
		.amdhsa_system_sgpr_workgroup_info 0
		.amdhsa_system_vgpr_workitem_id 1
		.amdhsa_next_free_vgpr 31
		.amdhsa_next_free_sgpr 40
		.amdhsa_accum_offset 32
		.amdhsa_reserve_vcc 1
		.amdhsa_reserve_flat_scratch 0
		.amdhsa_float_round_mode_32 0
		.amdhsa_float_round_mode_16_64 0
		.amdhsa_float_denorm_mode_32 3
		.amdhsa_float_denorm_mode_16_64 3
		.amdhsa_dx10_clamp 1
		.amdhsa_ieee_mode 1
		.amdhsa_fp16_overflow 0
		.amdhsa_tg_split 0
		.amdhsa_exception_fp_ieee_invalid_op 0
		.amdhsa_exception_fp_denorm_src 0
		.amdhsa_exception_fp_ieee_div_zero 0
		.amdhsa_exception_fp_ieee_overflow 0
		.amdhsa_exception_fp_ieee_underflow 0
		.amdhsa_exception_fp_ieee_inexact 0
		.amdhsa_exception_int_div_zero 0
	.end_amdhsa_kernel
	.section	.text._ZN12_GLOBAL__N_121softmax_warp_backwardIN3c104HalfES2_fLi8ELb0ELb1ELi32EEEvPT0_PKT_S7_iiiPKb,"axG",@progbits,_ZN12_GLOBAL__N_121softmax_warp_backwardIN3c104HalfES2_fLi8ELb0ELb1ELi32EEEvPT0_PKT_S7_iiiPKb,comdat
.Lfunc_end829:
	.size	_ZN12_GLOBAL__N_121softmax_warp_backwardIN3c104HalfES2_fLi8ELb0ELb1ELi32EEEvPT0_PKT_S7_iiiPKb, .Lfunc_end829-_ZN12_GLOBAL__N_121softmax_warp_backwardIN3c104HalfES2_fLi8ELb0ELb1ELi32EEEvPT0_PKT_S7_iiiPKb
                                        ; -- End function
	.section	.AMDGPU.csdata,"",@progbits
; Kernel info:
; codeLenInByte = 1768
; NumSgprs: 44
; NumVgprs: 31
; NumAgprs: 0
; TotalNumVgprs: 31
; ScratchSize: 0
; MemoryBound: 0
; FloatMode: 240
; IeeeMode: 1
; LDSByteSize: 0 bytes/workgroup (compile time only)
; SGPRBlocks: 5
; VGPRBlocks: 3
; NumSGPRsForWavesPerEU: 44
; NumVGPRsForWavesPerEU: 31
; AccumOffset: 32
; Occupancy: 8
; WaveLimiterHint : 0
; COMPUTE_PGM_RSRC2:SCRATCH_EN: 0
; COMPUTE_PGM_RSRC2:USER_SGPR: 6
; COMPUTE_PGM_RSRC2:TRAP_HANDLER: 0
; COMPUTE_PGM_RSRC2:TGID_X_EN: 1
; COMPUTE_PGM_RSRC2:TGID_Y_EN: 0
; COMPUTE_PGM_RSRC2:TGID_Z_EN: 0
; COMPUTE_PGM_RSRC2:TIDIG_COMP_CNT: 1
; COMPUTE_PGM_RSRC3_GFX90A:ACCUM_OFFSET: 7
; COMPUTE_PGM_RSRC3_GFX90A:TG_SPLIT: 0
	.section	.text._ZN12_GLOBAL__N_121softmax_warp_backwardIN3c104HalfES2_fLi9ELb0ELb1ELi64EEEvPT0_PKT_S7_iiiPKb,"axG",@progbits,_ZN12_GLOBAL__N_121softmax_warp_backwardIN3c104HalfES2_fLi9ELb0ELb1ELi64EEEvPT0_PKT_S7_iiiPKb,comdat
	.globl	_ZN12_GLOBAL__N_121softmax_warp_backwardIN3c104HalfES2_fLi9ELb0ELb1ELi64EEEvPT0_PKT_S7_iiiPKb ; -- Begin function _ZN12_GLOBAL__N_121softmax_warp_backwardIN3c104HalfES2_fLi9ELb0ELb1ELi64EEEvPT0_PKT_S7_iiiPKb
	.p2align	8
	.type	_ZN12_GLOBAL__N_121softmax_warp_backwardIN3c104HalfES2_fLi9ELb0ELb1ELi64EEEvPT0_PKT_S7_iiiPKb,@function
_ZN12_GLOBAL__N_121softmax_warp_backwardIN3c104HalfES2_fLi9ELb0ELb1ELi64EEEvPT0_PKT_S7_iiiPKb: ; @_ZN12_GLOBAL__N_121softmax_warp_backwardIN3c104HalfES2_fLi9ELb0ELb1ELi64EEEvPT0_PKT_S7_iiiPKb
; %bb.0:
	s_load_dword s2, s[4:5], 0x3c
	s_load_dwordx4 s[20:23], s[4:5], 0x18
	s_load_dwordx4 s[36:39], s[4:5], 0x0
	s_load_dwordx2 s[0:1], s[4:5], 0x10
	v_bfe_u32 v1, v0, 10, 10
	s_waitcnt lgkmcnt(0)
	s_lshr_b32 s2, s2, 16
	s_mul_i32 s6, s6, s2
	v_add_u32_e32 v1, s6, v1
	v_and_b32_e32 v8, 63, v0
	v_mad_u64_u32 v[2:3], s[2:3], v1, s21, v[8:9]
	v_ashrrev_i32_e32 v3, 31, v2
	v_sub_u32_e32 v22, s20, v1
	v_lshlrev_b64 v[0:1], 1, v[2:3]
	v_mov_b32_e32 v5, s39
	v_add_co_u32_e32 v4, vcc, s38, v0
	v_addc_co_u32_e32 v5, vcc, v5, v1, vcc
	v_mov_b32_e32 v7, s1
	v_add_co_u32_e32 v6, vcc, s0, v0
	v_cmp_lt_i32_e64 s[14:15], 0, v22
	v_cmp_gt_i32_e64 s[12:13], s22, v8
	v_addc_co_u32_e32 v7, vcc, v7, v1, vcc
	s_and_b64 s[2:3], s[14:15], s[12:13]
	v_mov_b32_e32 v12, 0
	v_mov_b32_e32 v23, 0
	;; [unrolled: 1-line block ×3, first 2 shown]
	s_and_saveexec_b64 s[0:1], s[2:3]
	s_cbranch_execz .LBB830_2
; %bb.1:
	global_load_ushort v9, v[4:5], off
	global_load_ushort v10, v[6:7], off
	s_waitcnt vmcnt(1)
	v_cvt_f32_f16_e32 v23, v9
	s_waitcnt vmcnt(0)
	v_cvt_f32_f16_e32 v24, v10
.LBB830_2:
	s_or_b64 exec, exec, s[0:1]
	v_or_b32_e32 v9, 64, v8
	v_cmp_gt_i32_e64 s[10:11], s22, v9
	s_and_b64 s[2:3], s[14:15], s[10:11]
	v_mov_b32_e32 v21, 0
	s_and_saveexec_b64 s[0:1], s[2:3]
	s_cbranch_execz .LBB830_4
; %bb.3:
	global_load_ushort v9, v[4:5], off offset:128
	global_load_ushort v10, v[6:7], off offset:128
	s_waitcnt vmcnt(1)
	v_cvt_f32_f16_e32 v12, v9
	s_waitcnt vmcnt(0)
	v_cvt_f32_f16_e32 v21, v10
.LBB830_4:
	s_or_b64 exec, exec, s[0:1]
	v_or_b32_e32 v9, 0x80, v8
	v_cmp_gt_i32_e64 s[8:9], s22, v9
	s_and_b64 s[2:3], s[14:15], s[8:9]
	v_mov_b32_e32 v11, 0
	v_mov_b32_e32 v19, 0
	v_mov_b32_e32 v20, 0
	s_and_saveexec_b64 s[0:1], s[2:3]
	s_cbranch_execz .LBB830_6
; %bb.5:
	global_load_ushort v9, v[4:5], off offset:256
	global_load_ushort v10, v[6:7], off offset:256
	s_waitcnt vmcnt(1)
	v_cvt_f32_f16_e32 v19, v9
	s_waitcnt vmcnt(0)
	v_cvt_f32_f16_e32 v20, v10
.LBB830_6:
	s_or_b64 exec, exec, s[0:1]
	v_or_b32_e32 v9, 0xc0, v8
	v_cmp_gt_i32_e64 s[6:7], s22, v9
	s_and_b64 s[2:3], s[14:15], s[6:7]
	v_mov_b32_e32 v18, 0
	s_and_saveexec_b64 s[0:1], s[2:3]
	s_cbranch_execz .LBB830_8
; %bb.7:
	global_load_ushort v9, v[4:5], off offset:384
	global_load_ushort v10, v[6:7], off offset:384
	s_waitcnt vmcnt(1)
	v_cvt_f32_f16_e32 v11, v9
	s_waitcnt vmcnt(0)
	v_cvt_f32_f16_e32 v18, v10
.LBB830_8:
	s_or_b64 exec, exec, s[0:1]
	v_or_b32_e32 v9, 0x100, v8
	v_cmp_gt_i32_e64 s[18:19], s22, v9
	s_and_b64 s[2:3], s[14:15], s[18:19]
	v_mov_b32_e32 v10, 0
	v_mov_b32_e32 v16, 0
	v_mov_b32_e32 v17, 0
	s_and_saveexec_b64 s[0:1], s[2:3]
	s_cbranch_execz .LBB830_10
; %bb.9:
	global_load_ushort v9, v[4:5], off offset:512
	global_load_ushort v13, v[6:7], off offset:512
	s_waitcnt vmcnt(1)
	v_cvt_f32_f16_e32 v16, v9
	s_waitcnt vmcnt(0)
	v_cvt_f32_f16_e32 v17, v13
.LBB830_10:
	;; [unrolled: 32-line block ×3, first 2 shown]
	s_or_b64 exec, exec, s[16:17]
	v_or_b32_e32 v8, 0x1c0, v8
	v_cmp_gt_i32_e32 vcc, s22, v8
	s_and_b64 s[16:17], s[14:15], vcc
	v_mov_b32_e32 v8, 0
	s_and_saveexec_b64 s[14:15], s[16:17]
	s_cbranch_execz .LBB830_16
; %bb.15:
	global_load_ushort v8, v[4:5], off offset:896
	global_load_ushort v25, v[6:7], off offset:896
	s_waitcnt vmcnt(1)
	v_cvt_f32_f16_e32 v9, v8
	s_waitcnt vmcnt(0)
	v_cvt_f32_f16_e32 v8, v25
.LBB830_16:
	s_or_b64 exec, exec, s[14:15]
	s_load_dwordx2 s[4:5], s[4:5], 0x28
	s_waitcnt lgkmcnt(0)
	v_mov_b32_e32 v4, s5
	v_add_co_u32_e64 v2, s[4:5], s4, v2
	v_addc_co_u32_e64 v3, s[4:5], v4, v3, s[4:5]
	global_load_ubyte v4, v[2:3], off
	global_load_ubyte v5, v[2:3], off offset:64
	global_load_ubyte v6, v[2:3], off offset:128
	;; [unrolled: 1-line block ×7, first 2 shown]
	v_add_f32_e32 v2, 0, v23
	v_mbcnt_lo_u32_b32 v3, -1, 0
	v_mbcnt_hi_u32_b32 v3, -1, v3
	v_and_b32_e32 v29, 64, v3
	v_xor_b32_e32 v30, 32, v3
	v_add_u32_e32 v29, 64, v29
	v_cmp_lt_i32_e64 s[4:5], v30, v29
	v_cndmask_b32_e64 v30, v3, v30, s[4:5]
	v_lshlrev_b32_e32 v30, 2, v30
	s_waitcnt vmcnt(7)
	v_and_b32_e32 v4, 1, v4
	v_cmp_eq_u32_e64 s[28:29], 1, v4
	s_waitcnt vmcnt(6)
	v_and_b32_e32 v5, 1, v5
	v_cndmask_b32_e64 v2, v2, 0, s[28:29]
	v_add_f32_e32 v4, v2, v12
	v_cmp_eq_u32_e64 s[26:27], 1, v5
	s_waitcnt vmcnt(5)
	v_and_b32_e32 v6, 1, v6
	v_cndmask_b32_e64 v2, v4, v2, s[26:27]
	v_add_f32_e32 v4, v2, v19
	v_cmp_eq_u32_e64 s[24:25], 1, v6
	s_waitcnt vmcnt(4)
	v_and_b32_e32 v7, 1, v7
	v_cndmask_b32_e64 v2, v4, v2, s[24:25]
	v_add_f32_e32 v4, v2, v11
	v_cmp_eq_u32_e64 s[22:23], 1, v7
	s_waitcnt vmcnt(3)
	v_and_b32_e32 v25, 1, v25
	v_cndmask_b32_e64 v2, v4, v2, s[22:23]
	v_add_f32_e32 v4, v2, v16
	v_cmp_eq_u32_e64 s[20:21], 1, v25
	s_waitcnt vmcnt(2)
	v_and_b32_e32 v26, 1, v26
	v_cndmask_b32_e64 v2, v4, v2, s[20:21]
	v_add_f32_e32 v4, v2, v10
	v_cmp_eq_u32_e64 s[4:5], 1, v26
	s_waitcnt vmcnt(1)
	v_and_b32_e32 v27, 1, v27
	v_cndmask_b32_e64 v2, v4, v2, s[4:5]
	v_add_f32_e32 v4, v2, v13
	v_cmp_eq_u32_e64 s[16:17], 1, v27
	s_waitcnt vmcnt(0)
	v_and_b32_e32 v28, 1, v28
	v_cndmask_b32_e64 v2, v4, v2, s[16:17]
	v_add_f32_e32 v4, v2, v9
	v_cmp_eq_u32_e64 s[14:15], 1, v28
	v_cndmask_b32_e64 v2, v4, v2, s[14:15]
	ds_bpermute_b32 v4, v30, v2
	v_xor_b32_e32 v5, 16, v3
	v_cmp_lt_i32_e64 s[30:31], v5, v29
	v_cndmask_b32_e64 v5, v3, v5, s[30:31]
	v_lshlrev_b32_e32 v5, 2, v5
	s_waitcnt lgkmcnt(0)
	v_add_f32_e32 v2, v2, v4
	ds_bpermute_b32 v4, v5, v2
	v_xor_b32_e32 v5, 8, v3
	v_cmp_lt_i32_e64 s[30:31], v5, v29
	v_cndmask_b32_e64 v5, v3, v5, s[30:31]
	v_lshlrev_b32_e32 v5, 2, v5
	s_waitcnt lgkmcnt(0)
	v_add_f32_e32 v2, v2, v4
	;; [unrolled: 7-line block ×5, first 2 shown]
	ds_bpermute_b32 v3, v3, v2
	v_cmp_lt_i32_e64 s[30:31], 0, v22
	s_and_saveexec_b64 s[34:35], s[30:31]
	s_cbranch_execz .LBB830_57
; %bb.17:
	s_waitcnt lgkmcnt(0)
	v_add_f32_e32 v2, v2, v3
	v_mov_b32_e32 v3, s37
	v_add_co_u32_e64 v0, s[30:31], s36, v0
	v_addc_co_u32_e64 v1, s[30:31], v3, v1, s[30:31]
	s_and_saveexec_b64 s[30:31], s[12:13]
	s_cbranch_execz .LBB830_22
; %bb.18:
	s_xor_b64 s[12:13], s[28:29], -1
	s_and_saveexec_b64 s[28:29], s[12:13]
	s_xor_b64 s[12:13], exec, s[28:29]
	s_cbranch_execz .LBB830_20
; %bb.19:
	v_fma_mixlo_f16 v3, -v2, v24, v23
	global_store_short v[0:1], v3, off
.LBB830_20:
	s_andn2_saveexec_b64 s[12:13], s[12:13]
	s_cbranch_execz .LBB830_22
; %bb.21:
	v_mov_b32_e32 v3, 0
	global_store_short v[0:1], v3, off
.LBB830_22:
	s_or_b64 exec, exec, s[30:31]
	s_and_saveexec_b64 s[12:13], s[10:11]
	s_cbranch_execz .LBB830_27
; %bb.23:
	s_xor_b64 s[10:11], s[26:27], -1
	s_and_saveexec_b64 s[26:27], s[10:11]
	s_xor_b64 s[10:11], exec, s[26:27]
	s_cbranch_execz .LBB830_25
; %bb.24:
	v_fma_mixlo_f16 v3, -v2, v21, v12
	global_store_short v[0:1], v3, off offset:128
.LBB830_25:
	s_andn2_saveexec_b64 s[10:11], s[10:11]
	s_cbranch_execz .LBB830_27
; %bb.26:
	v_mov_b32_e32 v3, 0
	global_store_short v[0:1], v3, off offset:128
.LBB830_27:
	s_or_b64 exec, exec, s[12:13]
	s_and_saveexec_b64 s[10:11], s[8:9]
	s_cbranch_execz .LBB830_32
; %bb.28:
	s_xor_b64 s[8:9], s[24:25], -1
	s_and_saveexec_b64 s[12:13], s[8:9]
	s_xor_b64 s[8:9], exec, s[12:13]
	s_cbranch_execz .LBB830_30
; %bb.29:
	v_fma_mixlo_f16 v3, -v2, v20, v19
	global_store_short v[0:1], v3, off offset:256
.LBB830_30:
	s_andn2_saveexec_b64 s[8:9], s[8:9]
	s_cbranch_execz .LBB830_32
; %bb.31:
	v_mov_b32_e32 v3, 0
	global_store_short v[0:1], v3, off offset:256
.LBB830_32:
	;; [unrolled: 18-line block ×6, first 2 shown]
	s_or_b64 exec, exec, s[2:3]
	s_and_b64 exec, exec, vcc
	s_cbranch_execz .LBB830_57
; %bb.53:
	s_xor_b64 s[0:1], s[14:15], -1
	s_and_saveexec_b64 s[2:3], s[0:1]
	s_xor_b64 s[0:1], exec, s[2:3]
	s_cbranch_execz .LBB830_55
; %bb.54:
	v_fma_mixlo_f16 v2, -v2, v8, v9
	global_store_short v[0:1], v2, off offset:896
                                        ; implicit-def: $vgpr0_vgpr1
.LBB830_55:
	s_andn2_saveexec_b64 s[0:1], s[0:1]
	s_cbranch_execz .LBB830_57
; %bb.56:
	v_mov_b32_e32 v2, 0
	global_store_short v[0:1], v2, off offset:896
.LBB830_57:
	s_endpgm
	.section	.rodata,"a",@progbits
	.p2align	6, 0x0
	.amdhsa_kernel _ZN12_GLOBAL__N_121softmax_warp_backwardIN3c104HalfES2_fLi9ELb0ELb1ELi64EEEvPT0_PKT_S7_iiiPKb
		.amdhsa_group_segment_fixed_size 0
		.amdhsa_private_segment_fixed_size 0
		.amdhsa_kernarg_size 304
		.amdhsa_user_sgpr_count 6
		.amdhsa_user_sgpr_private_segment_buffer 1
		.amdhsa_user_sgpr_dispatch_ptr 0
		.amdhsa_user_sgpr_queue_ptr 0
		.amdhsa_user_sgpr_kernarg_segment_ptr 1
		.amdhsa_user_sgpr_dispatch_id 0
		.amdhsa_user_sgpr_flat_scratch_init 0
		.amdhsa_user_sgpr_kernarg_preload_length 0
		.amdhsa_user_sgpr_kernarg_preload_offset 0
		.amdhsa_user_sgpr_private_segment_size 0
		.amdhsa_uses_dynamic_stack 0
		.amdhsa_system_sgpr_private_segment_wavefront_offset 0
		.amdhsa_system_sgpr_workgroup_id_x 1
		.amdhsa_system_sgpr_workgroup_id_y 0
		.amdhsa_system_sgpr_workgroup_id_z 0
		.amdhsa_system_sgpr_workgroup_info 0
		.amdhsa_system_vgpr_workitem_id 1
		.amdhsa_next_free_vgpr 31
		.amdhsa_next_free_sgpr 40
		.amdhsa_accum_offset 32
		.amdhsa_reserve_vcc 1
		.amdhsa_reserve_flat_scratch 0
		.amdhsa_float_round_mode_32 0
		.amdhsa_float_round_mode_16_64 0
		.amdhsa_float_denorm_mode_32 3
		.amdhsa_float_denorm_mode_16_64 3
		.amdhsa_dx10_clamp 1
		.amdhsa_ieee_mode 1
		.amdhsa_fp16_overflow 0
		.amdhsa_tg_split 0
		.amdhsa_exception_fp_ieee_invalid_op 0
		.amdhsa_exception_fp_denorm_src 0
		.amdhsa_exception_fp_ieee_div_zero 0
		.amdhsa_exception_fp_ieee_overflow 0
		.amdhsa_exception_fp_ieee_underflow 0
		.amdhsa_exception_fp_ieee_inexact 0
		.amdhsa_exception_int_div_zero 0
	.end_amdhsa_kernel
	.section	.text._ZN12_GLOBAL__N_121softmax_warp_backwardIN3c104HalfES2_fLi9ELb0ELb1ELi64EEEvPT0_PKT_S7_iiiPKb,"axG",@progbits,_ZN12_GLOBAL__N_121softmax_warp_backwardIN3c104HalfES2_fLi9ELb0ELb1ELi64EEEvPT0_PKT_S7_iiiPKb,comdat
.Lfunc_end830:
	.size	_ZN12_GLOBAL__N_121softmax_warp_backwardIN3c104HalfES2_fLi9ELb0ELb1ELi64EEEvPT0_PKT_S7_iiiPKb, .Lfunc_end830-_ZN12_GLOBAL__N_121softmax_warp_backwardIN3c104HalfES2_fLi9ELb0ELb1ELi64EEEvPT0_PKT_S7_iiiPKb
                                        ; -- End function
	.section	.AMDGPU.csdata,"",@progbits
; Kernel info:
; codeLenInByte = 1808
; NumSgprs: 44
; NumVgprs: 31
; NumAgprs: 0
; TotalNumVgprs: 31
; ScratchSize: 0
; MemoryBound: 0
; FloatMode: 240
; IeeeMode: 1
; LDSByteSize: 0 bytes/workgroup (compile time only)
; SGPRBlocks: 5
; VGPRBlocks: 3
; NumSGPRsForWavesPerEU: 44
; NumVGPRsForWavesPerEU: 31
; AccumOffset: 32
; Occupancy: 8
; WaveLimiterHint : 0
; COMPUTE_PGM_RSRC2:SCRATCH_EN: 0
; COMPUTE_PGM_RSRC2:USER_SGPR: 6
; COMPUTE_PGM_RSRC2:TRAP_HANDLER: 0
; COMPUTE_PGM_RSRC2:TGID_X_EN: 1
; COMPUTE_PGM_RSRC2:TGID_Y_EN: 0
; COMPUTE_PGM_RSRC2:TGID_Z_EN: 0
; COMPUTE_PGM_RSRC2:TIDIG_COMP_CNT: 1
; COMPUTE_PGM_RSRC3_GFX90A:ACCUM_OFFSET: 7
; COMPUTE_PGM_RSRC3_GFX90A:TG_SPLIT: 0
	.section	.text._ZN12_GLOBAL__N_121softmax_warp_backwardIN3c104HalfES2_fLi9ELb0ELb1ELi32EEEvPT0_PKT_S7_iiiPKb,"axG",@progbits,_ZN12_GLOBAL__N_121softmax_warp_backwardIN3c104HalfES2_fLi9ELb0ELb1ELi32EEEvPT0_PKT_S7_iiiPKb,comdat
	.globl	_ZN12_GLOBAL__N_121softmax_warp_backwardIN3c104HalfES2_fLi9ELb0ELb1ELi32EEEvPT0_PKT_S7_iiiPKb ; -- Begin function _ZN12_GLOBAL__N_121softmax_warp_backwardIN3c104HalfES2_fLi9ELb0ELb1ELi32EEEvPT0_PKT_S7_iiiPKb
	.p2align	8
	.type	_ZN12_GLOBAL__N_121softmax_warp_backwardIN3c104HalfES2_fLi9ELb0ELb1ELi32EEEvPT0_PKT_S7_iiiPKb,@function
_ZN12_GLOBAL__N_121softmax_warp_backwardIN3c104HalfES2_fLi9ELb0ELb1ELi32EEEvPT0_PKT_S7_iiiPKb: ; @_ZN12_GLOBAL__N_121softmax_warp_backwardIN3c104HalfES2_fLi9ELb0ELb1ELi32EEEvPT0_PKT_S7_iiiPKb
; %bb.0:
	s_load_dword s2, s[4:5], 0x3c
	s_load_dwordx4 s[40:43], s[4:5], 0x18
	s_load_dwordx4 s[68:71], s[4:5], 0x0
	s_load_dwordx2 s[0:1], s[4:5], 0x10
	v_bfe_u32 v1, v0, 10, 10
	s_waitcnt lgkmcnt(0)
	s_lshr_b32 s2, s2, 16
	s_mul_i32 s6, s6, s2
	v_add_u32_e32 v1, s6, v1
	v_and_b32_e32 v8, 31, v0
	v_mad_u64_u32 v[2:3], s[2:3], v1, s41, v[8:9]
	v_ashrrev_i32_e32 v3, 31, v2
	v_sub_u32_e32 v38, s40, v1
	v_lshlrev_b64 v[0:1], 1, v[2:3]
	v_mov_b32_e32 v5, s71
	v_add_co_u32_e32 v4, vcc, s70, v0
	v_addc_co_u32_e32 v5, vcc, v5, v1, vcc
	v_mov_b32_e32 v7, s1
	v_add_co_u32_e32 v6, vcc, s0, v0
	v_cmp_lt_i32_e64 s[30:31], 0, v38
	v_cmp_gt_i32_e64 s[28:29], s42, v8
	v_addc_co_u32_e32 v7, vcc, v7, v1, vcc
	s_and_b64 s[2:3], s[30:31], s[28:29]
	v_mov_b32_e32 v28, 0
	v_mov_b32_e32 v39, 0
	;; [unrolled: 1-line block ×3, first 2 shown]
	s_and_saveexec_b64 s[0:1], s[2:3]
	s_cbranch_execz .LBB831_2
; %bb.1:
	global_load_ushort v9, v[4:5], off
	global_load_ushort v10, v[6:7], off
	s_waitcnt vmcnt(1)
	v_cvt_f32_f16_e32 v39, v9
	s_waitcnt vmcnt(0)
	v_cvt_f32_f16_e32 v40, v10
.LBB831_2:
	s_or_b64 exec, exec, s[0:1]
	v_or_b32_e32 v9, 32, v8
	v_cmp_gt_i32_e64 s[26:27], s42, v9
	s_and_b64 s[2:3], s[30:31], s[26:27]
	v_mov_b32_e32 v37, 0
	s_and_saveexec_b64 s[0:1], s[2:3]
	s_cbranch_execz .LBB831_4
; %bb.3:
	global_load_ushort v9, v[4:5], off offset:64
	global_load_ushort v10, v[6:7], off offset:64
	s_waitcnt vmcnt(1)
	v_cvt_f32_f16_e32 v28, v9
	s_waitcnt vmcnt(0)
	v_cvt_f32_f16_e32 v37, v10
.LBB831_4:
	s_or_b64 exec, exec, s[0:1]
	v_or_b32_e32 v9, 64, v8
	v_cmp_gt_i32_e64 s[24:25], s42, v9
	s_and_b64 s[2:3], s[30:31], s[24:25]
	v_mov_b32_e32 v24, 0
	v_mov_b32_e32 v35, 0
	v_mov_b32_e32 v36, 0
	s_and_saveexec_b64 s[0:1], s[2:3]
	s_cbranch_execz .LBB831_6
; %bb.5:
	global_load_ushort v9, v[4:5], off offset:128
	global_load_ushort v10, v[6:7], off offset:128
	s_waitcnt vmcnt(1)
	v_cvt_f32_f16_e32 v35, v9
	s_waitcnt vmcnt(0)
	v_cvt_f32_f16_e32 v36, v10
.LBB831_6:
	s_or_b64 exec, exec, s[0:1]
	v_or_b32_e32 v9, 0x60, v8
	v_cmp_gt_i32_e64 s[22:23], s42, v9
	s_and_b64 s[2:3], s[30:31], s[22:23]
	v_mov_b32_e32 v34, 0
	s_and_saveexec_b64 s[0:1], s[2:3]
	s_cbranch_execz .LBB831_8
; %bb.7:
	global_load_ushort v9, v[4:5], off offset:192
	global_load_ushort v10, v[6:7], off offset:192
	s_waitcnt vmcnt(1)
	v_cvt_f32_f16_e32 v24, v9
	s_waitcnt vmcnt(0)
	v_cvt_f32_f16_e32 v34, v10
.LBB831_8:
	s_or_b64 exec, exec, s[0:1]
	v_or_b32_e32 v9, 0x80, v8
	v_cmp_gt_i32_e64 s[20:21], s42, v9
	s_and_b64 s[2:3], s[30:31], s[20:21]
	v_mov_b32_e32 v20, 0
	v_mov_b32_e32 v32, 0
	v_mov_b32_e32 v33, 0
	s_and_saveexec_b64 s[0:1], s[2:3]
	s_cbranch_execz .LBB831_10
; %bb.9:
	global_load_ushort v9, v[4:5], off offset:256
	global_load_ushort v10, v[6:7], off offset:256
	s_waitcnt vmcnt(1)
	v_cvt_f32_f16_e32 v32, v9
	s_waitcnt vmcnt(0)
	v_cvt_f32_f16_e32 v33, v10
.LBB831_10:
	;; [unrolled: 32-line block ×7, first 2 shown]
	s_or_b64 exec, exec, s[34:35]
	v_or_b32_e32 v8, 0x1e0, v8
	v_cmp_gt_i32_e32 vcc, s42, v8
	s_and_b64 s[34:35], s[30:31], vcc
	v_mov_b32_e32 v8, 0
	s_and_saveexec_b64 s[30:31], s[34:35]
	s_cbranch_execz .LBB831_32
; %bb.31:
	global_load_ushort v8, v[4:5], off offset:960
	global_load_ushort v41, v[6:7], off offset:960
	s_waitcnt vmcnt(1)
	v_cvt_f32_f16_e32 v9, v8
	s_waitcnt vmcnt(0)
	v_cvt_f32_f16_e32 v8, v41
.LBB831_32:
	s_or_b64 exec, exec, s[30:31]
	s_load_dwordx2 s[4:5], s[4:5], 0x28
	v_mbcnt_lo_u32_b32 v52, -1, 0
	v_mbcnt_hi_u32_b32 v52, -1, v52
	v_and_b32_e32 v53, 0x60, v52
	v_xor_b32_e32 v54, 16, v52
	s_waitcnt lgkmcnt(0)
	v_mov_b32_e32 v4, s5
	v_add_co_u32_e64 v2, s[4:5], s4, v2
	v_addc_co_u32_e64 v3, s[4:5], v4, v3, s[4:5]
	global_load_ubyte v4, v[2:3], off
	global_load_ubyte v5, v[2:3], off offset:32
	global_load_ubyte v6, v[2:3], off offset:64
	;; [unrolled: 1-line block ×14, first 2 shown]
	s_nop 0
	global_load_ubyte v2, v[2:3], off offset:480
	v_add_f32_e32 v3, 0, v39
	v_add_u32_e32 v53, 32, v53
	v_cmp_lt_i32_e64 s[4:5], v54, v53
	v_cndmask_b32_e64 v54, v52, v54, s[4:5]
	v_lshlrev_b32_e32 v54, 2, v54
	s_waitcnt vmcnt(15)
	v_and_b32_e32 v4, 1, v4
	v_cmp_eq_u32_e64 s[62:63], 1, v4
	s_waitcnt vmcnt(14)
	v_and_b32_e32 v5, 1, v5
	v_cndmask_b32_e64 v3, v3, 0, s[62:63]
	v_add_f32_e32 v4, v3, v28
	v_cmp_eq_u32_e64 s[60:61], 1, v5
	s_waitcnt vmcnt(13)
	v_and_b32_e32 v6, 1, v6
	v_cndmask_b32_e64 v3, v4, v3, s[60:61]
	v_add_f32_e32 v4, v3, v35
	v_cmp_eq_u32_e64 s[58:59], 1, v6
	s_waitcnt vmcnt(12)
	v_and_b32_e32 v7, 1, v7
	v_cndmask_b32_e64 v3, v4, v3, s[58:59]
	v_add_f32_e32 v4, v3, v24
	v_cmp_eq_u32_e64 s[56:57], 1, v7
	s_waitcnt vmcnt(11)
	v_and_b32_e32 v41, 1, v41
	v_cndmask_b32_e64 v3, v4, v3, s[56:57]
	v_add_f32_e32 v4, v3, v32
	v_cmp_eq_u32_e64 s[54:55], 1, v41
	s_waitcnt vmcnt(10)
	v_and_b32_e32 v42, 1, v42
	v_cndmask_b32_e64 v3, v4, v3, s[54:55]
	v_add_f32_e32 v4, v3, v20
	v_cmp_eq_u32_e64 s[52:53], 1, v42
	s_waitcnt vmcnt(9)
	v_and_b32_e32 v43, 1, v43
	v_cndmask_b32_e64 v3, v4, v3, s[52:53]
	v_add_f32_e32 v4, v3, v29
	v_cmp_eq_u32_e64 s[50:51], 1, v43
	s_waitcnt vmcnt(8)
	v_and_b32_e32 v44, 1, v44
	v_cndmask_b32_e64 v3, v4, v3, s[50:51]
	v_add_f32_e32 v4, v3, v16
	v_cmp_eq_u32_e64 s[48:49], 1, v44
	s_waitcnt vmcnt(7)
	v_and_b32_e32 v45, 1, v45
	v_cndmask_b32_e64 v3, v4, v3, s[48:49]
	v_add_f32_e32 v4, v3, v25
	v_cmp_eq_u32_e64 s[46:47], 1, v45
	s_waitcnt vmcnt(6)
	v_and_b32_e32 v46, 1, v46
	v_cndmask_b32_e64 v3, v4, v3, s[46:47]
	v_add_f32_e32 v4, v3, v12
	v_cmp_eq_u32_e64 s[44:45], 1, v46
	s_waitcnt vmcnt(5)
	v_and_b32_e32 v47, 1, v47
	v_cndmask_b32_e64 v3, v4, v3, s[44:45]
	v_add_f32_e32 v4, v3, v21
	v_cmp_eq_u32_e64 s[42:43], 1, v47
	s_waitcnt vmcnt(4)
	v_and_b32_e32 v48, 1, v48
	v_cndmask_b32_e64 v3, v4, v3, s[42:43]
	v_add_f32_e32 v4, v3, v11
	v_cmp_eq_u32_e64 s[40:41], 1, v48
	s_waitcnt vmcnt(3)
	v_and_b32_e32 v49, 1, v49
	v_cndmask_b32_e64 v3, v4, v3, s[40:41]
	v_add_f32_e32 v4, v3, v17
	v_cmp_eq_u32_e64 s[4:5], 1, v49
	s_waitcnt vmcnt(2)
	v_and_b32_e32 v50, 1, v50
	v_cndmask_b32_e64 v3, v4, v3, s[4:5]
	v_add_f32_e32 v4, v3, v10
	v_cmp_eq_u32_e64 s[36:37], 1, v50
	s_waitcnt vmcnt(1)
	v_and_b32_e32 v51, 1, v51
	v_cndmask_b32_e64 v3, v4, v3, s[36:37]
	v_add_f32_e32 v4, v3, v13
	v_cmp_eq_u32_e64 s[34:35], 1, v51
	s_waitcnt vmcnt(0)
	v_and_b32_e32 v2, 1, v2
	v_cndmask_b32_e64 v3, v4, v3, s[34:35]
	v_add_f32_e32 v4, v3, v9
	v_cmp_eq_u32_e64 s[30:31], 1, v2
	v_cndmask_b32_e64 v2, v4, v3, s[30:31]
	ds_bpermute_b32 v3, v54, v2
	v_xor_b32_e32 v4, 8, v52
	v_cmp_lt_i32_e64 s[64:65], v4, v53
	v_cndmask_b32_e64 v4, v52, v4, s[64:65]
	v_lshlrev_b32_e32 v4, 2, v4
	s_waitcnt lgkmcnt(0)
	v_add_f32_e32 v2, v2, v3
	ds_bpermute_b32 v3, v4, v2
	v_xor_b32_e32 v4, 4, v52
	v_cmp_lt_i32_e64 s[64:65], v4, v53
	v_cndmask_b32_e64 v4, v52, v4, s[64:65]
	v_lshlrev_b32_e32 v4, 2, v4
	s_waitcnt lgkmcnt(0)
	v_add_f32_e32 v2, v2, v3
	;; [unrolled: 7-line block ×3, first 2 shown]
	ds_bpermute_b32 v3, v4, v2
	v_xor_b32_e32 v4, 1, v52
	v_cmp_lt_i32_e64 s[64:65], v4, v53
	v_cndmask_b32_e64 v4, v52, v4, s[64:65]
	v_cmp_lt_i32_e64 s[64:65], 0, v38
	s_waitcnt lgkmcnt(0)
	v_add_f32_e32 v2, v2, v3
	v_lshlrev_b32_e32 v3, 2, v4
	ds_bpermute_b32 v3, v3, v2
	s_and_saveexec_b64 s[66:67], s[64:65]
	s_cbranch_execz .LBB831_113
; %bb.33:
	s_waitcnt lgkmcnt(0)
	v_add_f32_e32 v2, v2, v3
	v_mov_b32_e32 v3, s69
	v_add_co_u32_e64 v0, s[64:65], s68, v0
	v_addc_co_u32_e64 v1, s[64:65], v3, v1, s[64:65]
	s_and_saveexec_b64 s[64:65], s[28:29]
	s_cbranch_execz .LBB831_38
; %bb.34:
	s_xor_b64 s[28:29], s[62:63], -1
	s_and_saveexec_b64 s[62:63], s[28:29]
	s_xor_b64 s[28:29], exec, s[62:63]
	s_cbranch_execz .LBB831_36
; %bb.35:
	v_fma_mixlo_f16 v3, -v2, v40, v39
	global_store_short v[0:1], v3, off
.LBB831_36:
	s_andn2_saveexec_b64 s[28:29], s[28:29]
	s_cbranch_execz .LBB831_38
; %bb.37:
	v_mov_b32_e32 v3, 0
	global_store_short v[0:1], v3, off
.LBB831_38:
	s_or_b64 exec, exec, s[64:65]
	s_and_saveexec_b64 s[28:29], s[26:27]
	s_cbranch_execz .LBB831_43
; %bb.39:
	s_xor_b64 s[26:27], s[60:61], -1
	s_and_saveexec_b64 s[60:61], s[26:27]
	s_xor_b64 s[26:27], exec, s[60:61]
	s_cbranch_execz .LBB831_41
; %bb.40:
	v_fma_mixlo_f16 v3, -v2, v37, v28
	global_store_short v[0:1], v3, off offset:64
.LBB831_41:
	s_andn2_saveexec_b64 s[26:27], s[26:27]
	s_cbranch_execz .LBB831_43
; %bb.42:
	v_mov_b32_e32 v3, 0
	global_store_short v[0:1], v3, off offset:64
.LBB831_43:
	s_or_b64 exec, exec, s[28:29]
	s_and_saveexec_b64 s[26:27], s[24:25]
	s_cbranch_execz .LBB831_48
; %bb.44:
	s_xor_b64 s[24:25], s[58:59], -1
	s_and_saveexec_b64 s[28:29], s[24:25]
	s_xor_b64 s[24:25], exec, s[28:29]
	s_cbranch_execz .LBB831_46
; %bb.45:
	v_fma_mixlo_f16 v3, -v2, v36, v35
	global_store_short v[0:1], v3, off offset:128
.LBB831_46:
	s_andn2_saveexec_b64 s[24:25], s[24:25]
	s_cbranch_execz .LBB831_48
; %bb.47:
	v_mov_b32_e32 v3, 0
	global_store_short v[0:1], v3, off offset:128
.LBB831_48:
	;; [unrolled: 18-line block ×14, first 2 shown]
	s_or_b64 exec, exec, s[2:3]
	s_and_b64 exec, exec, vcc
	s_cbranch_execz .LBB831_113
; %bb.109:
	s_xor_b64 s[0:1], s[30:31], -1
	s_and_saveexec_b64 s[2:3], s[0:1]
	s_xor_b64 s[0:1], exec, s[2:3]
	s_cbranch_execz .LBB831_111
; %bb.110:
	v_fma_mixlo_f16 v2, -v2, v8, v9
	global_store_short v[0:1], v2, off offset:960
                                        ; implicit-def: $vgpr0_vgpr1
.LBB831_111:
	s_andn2_saveexec_b64 s[0:1], s[0:1]
	s_cbranch_execz .LBB831_113
; %bb.112:
	v_mov_b32_e32 v2, 0
	global_store_short v[0:1], v2, off offset:960
.LBB831_113:
	s_endpgm
	.section	.rodata,"a",@progbits
	.p2align	6, 0x0
	.amdhsa_kernel _ZN12_GLOBAL__N_121softmax_warp_backwardIN3c104HalfES2_fLi9ELb0ELb1ELi32EEEvPT0_PKT_S7_iiiPKb
		.amdhsa_group_segment_fixed_size 0
		.amdhsa_private_segment_fixed_size 0
		.amdhsa_kernarg_size 304
		.amdhsa_user_sgpr_count 6
		.amdhsa_user_sgpr_private_segment_buffer 1
		.amdhsa_user_sgpr_dispatch_ptr 0
		.amdhsa_user_sgpr_queue_ptr 0
		.amdhsa_user_sgpr_kernarg_segment_ptr 1
		.amdhsa_user_sgpr_dispatch_id 0
		.amdhsa_user_sgpr_flat_scratch_init 0
		.amdhsa_user_sgpr_kernarg_preload_length 0
		.amdhsa_user_sgpr_kernarg_preload_offset 0
		.amdhsa_user_sgpr_private_segment_size 0
		.amdhsa_uses_dynamic_stack 0
		.amdhsa_system_sgpr_private_segment_wavefront_offset 0
		.amdhsa_system_sgpr_workgroup_id_x 1
		.amdhsa_system_sgpr_workgroup_id_y 0
		.amdhsa_system_sgpr_workgroup_id_z 0
		.amdhsa_system_sgpr_workgroup_info 0
		.amdhsa_system_vgpr_workitem_id 1
		.amdhsa_next_free_vgpr 55
		.amdhsa_next_free_sgpr 72
		.amdhsa_accum_offset 56
		.amdhsa_reserve_vcc 1
		.amdhsa_reserve_flat_scratch 0
		.amdhsa_float_round_mode_32 0
		.amdhsa_float_round_mode_16_64 0
		.amdhsa_float_denorm_mode_32 3
		.amdhsa_float_denorm_mode_16_64 3
		.amdhsa_dx10_clamp 1
		.amdhsa_ieee_mode 1
		.amdhsa_fp16_overflow 0
		.amdhsa_tg_split 0
		.amdhsa_exception_fp_ieee_invalid_op 0
		.amdhsa_exception_fp_denorm_src 0
		.amdhsa_exception_fp_ieee_div_zero 0
		.amdhsa_exception_fp_ieee_overflow 0
		.amdhsa_exception_fp_ieee_underflow 0
		.amdhsa_exception_fp_ieee_inexact 0
		.amdhsa_exception_int_div_zero 0
	.end_amdhsa_kernel
	.section	.text._ZN12_GLOBAL__N_121softmax_warp_backwardIN3c104HalfES2_fLi9ELb0ELb1ELi32EEEvPT0_PKT_S7_iiiPKb,"axG",@progbits,_ZN12_GLOBAL__N_121softmax_warp_backwardIN3c104HalfES2_fLi9ELb0ELb1ELi32EEEvPT0_PKT_S7_iiiPKb,comdat
.Lfunc_end831:
	.size	_ZN12_GLOBAL__N_121softmax_warp_backwardIN3c104HalfES2_fLi9ELb0ELb1ELi32EEEvPT0_PKT_S7_iiiPKb, .Lfunc_end831-_ZN12_GLOBAL__N_121softmax_warp_backwardIN3c104HalfES2_fLi9ELb0ELb1ELi32EEEvPT0_PKT_S7_iiiPKb
                                        ; -- End function
	.section	.AMDGPU.csdata,"",@progbits
; Kernel info:
; codeLenInByte = 3148
; NumSgprs: 76
; NumVgprs: 55
; NumAgprs: 0
; TotalNumVgprs: 55
; ScratchSize: 0
; MemoryBound: 0
; FloatMode: 240
; IeeeMode: 1
; LDSByteSize: 0 bytes/workgroup (compile time only)
; SGPRBlocks: 9
; VGPRBlocks: 6
; NumSGPRsForWavesPerEU: 76
; NumVGPRsForWavesPerEU: 55
; AccumOffset: 56
; Occupancy: 8
; WaveLimiterHint : 0
; COMPUTE_PGM_RSRC2:SCRATCH_EN: 0
; COMPUTE_PGM_RSRC2:USER_SGPR: 6
; COMPUTE_PGM_RSRC2:TRAP_HANDLER: 0
; COMPUTE_PGM_RSRC2:TGID_X_EN: 1
; COMPUTE_PGM_RSRC2:TGID_Y_EN: 0
; COMPUTE_PGM_RSRC2:TGID_Z_EN: 0
; COMPUTE_PGM_RSRC2:TIDIG_COMP_CNT: 1
; COMPUTE_PGM_RSRC3_GFX90A:ACCUM_OFFSET: 13
; COMPUTE_PGM_RSRC3_GFX90A:TG_SPLIT: 0
	.section	.text._ZN12_GLOBAL__N_121softmax_warp_backwardIN3c104HalfES2_fLi10ELb0ELb1ELi64EEEvPT0_PKT_S7_iiiPKb,"axG",@progbits,_ZN12_GLOBAL__N_121softmax_warp_backwardIN3c104HalfES2_fLi10ELb0ELb1ELi64EEEvPT0_PKT_S7_iiiPKb,comdat
	.globl	_ZN12_GLOBAL__N_121softmax_warp_backwardIN3c104HalfES2_fLi10ELb0ELb1ELi64EEEvPT0_PKT_S7_iiiPKb ; -- Begin function _ZN12_GLOBAL__N_121softmax_warp_backwardIN3c104HalfES2_fLi10ELb0ELb1ELi64EEEvPT0_PKT_S7_iiiPKb
	.p2align	8
	.type	_ZN12_GLOBAL__N_121softmax_warp_backwardIN3c104HalfES2_fLi10ELb0ELb1ELi64EEEvPT0_PKT_S7_iiiPKb,@function
_ZN12_GLOBAL__N_121softmax_warp_backwardIN3c104HalfES2_fLi10ELb0ELb1ELi64EEEvPT0_PKT_S7_iiiPKb: ; @_ZN12_GLOBAL__N_121softmax_warp_backwardIN3c104HalfES2_fLi10ELb0ELb1ELi64EEEvPT0_PKT_S7_iiiPKb
; %bb.0:
	s_load_dword s2, s[4:5], 0x3c
	s_load_dwordx4 s[40:43], s[4:5], 0x18
	s_load_dwordx4 s[68:71], s[4:5], 0x0
	s_load_dwordx2 s[0:1], s[4:5], 0x10
	v_bfe_u32 v1, v0, 10, 10
	s_waitcnt lgkmcnt(0)
	s_lshr_b32 s2, s2, 16
	s_mul_i32 s6, s6, s2
	v_and_b32_e32 v11, 0x3ff, v0
	v_add_u32_e32 v1, s6, v1
	v_and_b32_e32 v8, 63, v11
	v_mad_u64_u32 v[2:3], s[2:3], v1, s41, v[8:9]
	v_ashrrev_i32_e32 v3, 31, v2
	v_sub_u32_e32 v38, s40, v1
	v_lshlrev_b64 v[0:1], 1, v[2:3]
	v_mov_b32_e32 v5, s71
	v_add_co_u32_e32 v4, vcc, s70, v0
	v_addc_co_u32_e32 v5, vcc, v5, v1, vcc
	v_mov_b32_e32 v7, s1
	v_add_co_u32_e32 v6, vcc, s0, v0
	v_cmp_lt_i32_e64 s[30:31], 0, v38
	v_cmp_gt_i32_e64 s[28:29], s42, v8
	v_addc_co_u32_e32 v7, vcc, v7, v1, vcc
	s_and_b64 s[2:3], s[30:31], s[28:29]
	v_mov_b32_e32 v28, 0
	v_mov_b32_e32 v39, 0
	;; [unrolled: 1-line block ×3, first 2 shown]
	s_and_saveexec_b64 s[0:1], s[2:3]
	s_cbranch_execz .LBB832_2
; %bb.1:
	global_load_ushort v9, v[4:5], off
	global_load_ushort v10, v[6:7], off
	s_waitcnt vmcnt(1)
	v_cvt_f32_f16_e32 v39, v9
	s_waitcnt vmcnt(0)
	v_cvt_f32_f16_e32 v40, v10
.LBB832_2:
	s_or_b64 exec, exec, s[0:1]
	v_or_b32_e32 v9, 64, v8
	v_cmp_gt_i32_e64 s[26:27], s42, v9
	s_and_b64 s[2:3], s[30:31], s[26:27]
	v_mov_b32_e32 v37, 0
	s_and_saveexec_b64 s[0:1], s[2:3]
	s_cbranch_execz .LBB832_4
; %bb.3:
	global_load_ushort v9, v[4:5], off offset:128
	global_load_ushort v10, v[6:7], off offset:128
	s_waitcnt vmcnt(1)
	v_cvt_f32_f16_e32 v28, v9
	s_waitcnt vmcnt(0)
	v_cvt_f32_f16_e32 v37, v10
.LBB832_4:
	s_or_b64 exec, exec, s[0:1]
	v_or_b32_e32 v9, 0x80, v8
	v_cmp_gt_i32_e64 s[24:25], s42, v9
	s_and_b64 s[2:3], s[30:31], s[24:25]
	v_mov_b32_e32 v24, 0
	v_mov_b32_e32 v35, 0
	v_mov_b32_e32 v36, 0
	s_and_saveexec_b64 s[0:1], s[2:3]
	s_cbranch_execz .LBB832_6
; %bb.5:
	global_load_ushort v9, v[4:5], off offset:256
	global_load_ushort v10, v[6:7], off offset:256
	s_waitcnt vmcnt(1)
	v_cvt_f32_f16_e32 v35, v9
	s_waitcnt vmcnt(0)
	v_cvt_f32_f16_e32 v36, v10
.LBB832_6:
	s_or_b64 exec, exec, s[0:1]
	v_or_b32_e32 v9, 0xc0, v8
	v_cmp_gt_i32_e64 s[22:23], s42, v9
	s_and_b64 s[2:3], s[30:31], s[22:23]
	v_mov_b32_e32 v34, 0
	s_and_saveexec_b64 s[0:1], s[2:3]
	s_cbranch_execz .LBB832_8
; %bb.7:
	global_load_ushort v9, v[4:5], off offset:384
	global_load_ushort v10, v[6:7], off offset:384
	s_waitcnt vmcnt(1)
	v_cvt_f32_f16_e32 v24, v9
	s_waitcnt vmcnt(0)
	v_cvt_f32_f16_e32 v34, v10
.LBB832_8:
	s_or_b64 exec, exec, s[0:1]
	v_or_b32_e32 v9, 0x100, v8
	v_cmp_gt_i32_e64 s[20:21], s42, v9
	s_and_b64 s[2:3], s[30:31], s[20:21]
	v_mov_b32_e32 v20, 0
	v_mov_b32_e32 v32, 0
	v_mov_b32_e32 v33, 0
	s_and_saveexec_b64 s[0:1], s[2:3]
	s_cbranch_execz .LBB832_10
; %bb.9:
	global_load_ushort v9, v[4:5], off offset:512
	global_load_ushort v10, v[6:7], off offset:512
	s_waitcnt vmcnt(1)
	v_cvt_f32_f16_e32 v32, v9
	s_waitcnt vmcnt(0)
	v_cvt_f32_f16_e32 v33, v10
.LBB832_10:
	;; [unrolled: 32-line block ×7, first 2 shown]
	s_or_b64 exec, exec, s[34:35]
	v_or_b32_e32 v11, 0x3c0, v11
	v_cmp_gt_i32_e32 vcc, s42, v11
	s_and_b64 s[34:35], s[30:31], vcc
	v_mov_b32_e32 v11, 0
	s_and_saveexec_b64 s[30:31], s[34:35]
	s_cbranch_execz .LBB832_32
; %bb.31:
	global_load_ushort v8, v[4:5], off offset:1920
	global_load_ushort v11, v[6:7], off offset:1920
	s_waitcnt vmcnt(1)
	v_cvt_f32_f16_e32 v8, v8
	s_waitcnt vmcnt(0)
	v_cvt_f32_f16_e32 v11, v11
.LBB832_32:
	s_or_b64 exec, exec, s[30:31]
	s_load_dwordx2 s[4:5], s[4:5], 0x28
	v_mbcnt_lo_u32_b32 v52, -1, 0
	v_mbcnt_hi_u32_b32 v52, -1, v52
	v_and_b32_e32 v53, 64, v52
	v_xor_b32_e32 v54, 32, v52
	s_waitcnt lgkmcnt(0)
	v_mov_b32_e32 v4, s5
	v_add_co_u32_e64 v2, s[4:5], s4, v2
	v_addc_co_u32_e64 v3, s[4:5], v4, v3, s[4:5]
	global_load_ubyte v4, v[2:3], off
	global_load_ubyte v5, v[2:3], off offset:64
	global_load_ubyte v6, v[2:3], off offset:128
	;; [unrolled: 1-line block ×14, first 2 shown]
	s_nop 0
	global_load_ubyte v2, v[2:3], off offset:960
	v_add_f32_e32 v3, 0, v39
	v_add_u32_e32 v53, 64, v53
	v_cmp_lt_i32_e64 s[4:5], v54, v53
	v_cndmask_b32_e64 v54, v52, v54, s[4:5]
	v_lshlrev_b32_e32 v54, 2, v54
	s_waitcnt vmcnt(15)
	v_and_b32_e32 v4, 1, v4
	v_cmp_eq_u32_e64 s[62:63], 1, v4
	s_waitcnt vmcnt(14)
	v_and_b32_e32 v5, 1, v5
	v_cndmask_b32_e64 v3, v3, 0, s[62:63]
	v_add_f32_e32 v4, v3, v28
	v_cmp_eq_u32_e64 s[60:61], 1, v5
	s_waitcnt vmcnt(13)
	v_and_b32_e32 v6, 1, v6
	v_cndmask_b32_e64 v3, v4, v3, s[60:61]
	v_add_f32_e32 v4, v3, v35
	;; [unrolled: 5-line block ×15, first 2 shown]
	v_cmp_eq_u32_e64 s[30:31], 1, v2
	v_cndmask_b32_e64 v2, v4, v3, s[30:31]
	ds_bpermute_b32 v3, v54, v2
	v_xor_b32_e32 v4, 16, v52
	v_cmp_lt_i32_e64 s[64:65], v4, v53
	v_cndmask_b32_e64 v4, v52, v4, s[64:65]
	v_lshlrev_b32_e32 v4, 2, v4
	s_waitcnt lgkmcnt(0)
	v_add_f32_e32 v2, v2, v3
	ds_bpermute_b32 v3, v4, v2
	v_xor_b32_e32 v4, 8, v52
	v_cmp_lt_i32_e64 s[64:65], v4, v53
	v_cndmask_b32_e64 v4, v52, v4, s[64:65]
	v_lshlrev_b32_e32 v4, 2, v4
	s_waitcnt lgkmcnt(0)
	v_add_f32_e32 v2, v2, v3
	;; [unrolled: 7-line block ×4, first 2 shown]
	ds_bpermute_b32 v3, v4, v2
	v_xor_b32_e32 v4, 1, v52
	v_cmp_lt_i32_e64 s[64:65], v4, v53
	v_cndmask_b32_e64 v4, v52, v4, s[64:65]
	v_cmp_lt_i32_e64 s[64:65], 0, v38
	s_waitcnt lgkmcnt(0)
	v_add_f32_e32 v2, v2, v3
	v_lshlrev_b32_e32 v3, 2, v4
	ds_bpermute_b32 v3, v3, v2
	s_and_saveexec_b64 s[66:67], s[64:65]
	s_cbranch_execz .LBB832_113
; %bb.33:
	s_waitcnt lgkmcnt(0)
	v_add_f32_e32 v2, v2, v3
	v_mov_b32_e32 v3, s69
	v_add_co_u32_e64 v0, s[64:65], s68, v0
	v_addc_co_u32_e64 v1, s[64:65], v3, v1, s[64:65]
	s_and_saveexec_b64 s[64:65], s[28:29]
	s_cbranch_execz .LBB832_38
; %bb.34:
	s_xor_b64 s[28:29], s[62:63], -1
	s_and_saveexec_b64 s[62:63], s[28:29]
	s_xor_b64 s[28:29], exec, s[62:63]
	s_cbranch_execz .LBB832_36
; %bb.35:
	v_fma_mixlo_f16 v3, -v2, v40, v39
	global_store_short v[0:1], v3, off
.LBB832_36:
	s_andn2_saveexec_b64 s[28:29], s[28:29]
	s_cbranch_execz .LBB832_38
; %bb.37:
	v_mov_b32_e32 v3, 0
	global_store_short v[0:1], v3, off
.LBB832_38:
	s_or_b64 exec, exec, s[64:65]
	s_and_saveexec_b64 s[28:29], s[26:27]
	s_cbranch_execz .LBB832_43
; %bb.39:
	s_xor_b64 s[26:27], s[60:61], -1
	s_and_saveexec_b64 s[60:61], s[26:27]
	s_xor_b64 s[26:27], exec, s[60:61]
	s_cbranch_execz .LBB832_41
; %bb.40:
	v_fma_mixlo_f16 v3, -v2, v37, v28
	global_store_short v[0:1], v3, off offset:128
.LBB832_41:
	s_andn2_saveexec_b64 s[26:27], s[26:27]
	s_cbranch_execz .LBB832_43
; %bb.42:
	v_mov_b32_e32 v3, 0
	global_store_short v[0:1], v3, off offset:128
.LBB832_43:
	s_or_b64 exec, exec, s[28:29]
	s_and_saveexec_b64 s[26:27], s[24:25]
	s_cbranch_execz .LBB832_48
; %bb.44:
	s_xor_b64 s[24:25], s[58:59], -1
	s_and_saveexec_b64 s[28:29], s[24:25]
	s_xor_b64 s[24:25], exec, s[28:29]
	s_cbranch_execz .LBB832_46
; %bb.45:
	v_fma_mixlo_f16 v3, -v2, v36, v35
	global_store_short v[0:1], v3, off offset:256
.LBB832_46:
	s_andn2_saveexec_b64 s[24:25], s[24:25]
	s_cbranch_execz .LBB832_48
; %bb.47:
	v_mov_b32_e32 v3, 0
	global_store_short v[0:1], v3, off offset:256
.LBB832_48:
	;; [unrolled: 18-line block ×14, first 2 shown]
	s_or_b64 exec, exec, s[2:3]
	s_and_b64 exec, exec, vcc
	s_cbranch_execz .LBB832_113
; %bb.109:
	s_xor_b64 s[0:1], s[30:31], -1
	s_and_saveexec_b64 s[2:3], s[0:1]
	s_xor_b64 s[0:1], exec, s[2:3]
	s_cbranch_execz .LBB832_111
; %bb.110:
	v_fma_mixlo_f16 v2, -v2, v11, v8
	global_store_short v[0:1], v2, off offset:1920
                                        ; implicit-def: $vgpr0_vgpr1
.LBB832_111:
	s_andn2_saveexec_b64 s[0:1], s[0:1]
	s_cbranch_execz .LBB832_113
; %bb.112:
	v_mov_b32_e32 v2, 0
	global_store_short v[0:1], v2, off offset:1920
.LBB832_113:
	s_endpgm
	.section	.rodata,"a",@progbits
	.p2align	6, 0x0
	.amdhsa_kernel _ZN12_GLOBAL__N_121softmax_warp_backwardIN3c104HalfES2_fLi10ELb0ELb1ELi64EEEvPT0_PKT_S7_iiiPKb
		.amdhsa_group_segment_fixed_size 0
		.amdhsa_private_segment_fixed_size 0
		.amdhsa_kernarg_size 304
		.amdhsa_user_sgpr_count 6
		.amdhsa_user_sgpr_private_segment_buffer 1
		.amdhsa_user_sgpr_dispatch_ptr 0
		.amdhsa_user_sgpr_queue_ptr 0
		.amdhsa_user_sgpr_kernarg_segment_ptr 1
		.amdhsa_user_sgpr_dispatch_id 0
		.amdhsa_user_sgpr_flat_scratch_init 0
		.amdhsa_user_sgpr_kernarg_preload_length 0
		.amdhsa_user_sgpr_kernarg_preload_offset 0
		.amdhsa_user_sgpr_private_segment_size 0
		.amdhsa_uses_dynamic_stack 0
		.amdhsa_system_sgpr_private_segment_wavefront_offset 0
		.amdhsa_system_sgpr_workgroup_id_x 1
		.amdhsa_system_sgpr_workgroup_id_y 0
		.amdhsa_system_sgpr_workgroup_id_z 0
		.amdhsa_system_sgpr_workgroup_info 0
		.amdhsa_system_vgpr_workitem_id 1
		.amdhsa_next_free_vgpr 55
		.amdhsa_next_free_sgpr 72
		.amdhsa_accum_offset 56
		.amdhsa_reserve_vcc 1
		.amdhsa_reserve_flat_scratch 0
		.amdhsa_float_round_mode_32 0
		.amdhsa_float_round_mode_16_64 0
		.amdhsa_float_denorm_mode_32 3
		.amdhsa_float_denorm_mode_16_64 3
		.amdhsa_dx10_clamp 1
		.amdhsa_ieee_mode 1
		.amdhsa_fp16_overflow 0
		.amdhsa_tg_split 0
		.amdhsa_exception_fp_ieee_invalid_op 0
		.amdhsa_exception_fp_denorm_src 0
		.amdhsa_exception_fp_ieee_div_zero 0
		.amdhsa_exception_fp_ieee_overflow 0
		.amdhsa_exception_fp_ieee_underflow 0
		.amdhsa_exception_fp_ieee_inexact 0
		.amdhsa_exception_int_div_zero 0
	.end_amdhsa_kernel
	.section	.text._ZN12_GLOBAL__N_121softmax_warp_backwardIN3c104HalfES2_fLi10ELb0ELb1ELi64EEEvPT0_PKT_S7_iiiPKb,"axG",@progbits,_ZN12_GLOBAL__N_121softmax_warp_backwardIN3c104HalfES2_fLi10ELb0ELb1ELi64EEEvPT0_PKT_S7_iiiPKb,comdat
.Lfunc_end832:
	.size	_ZN12_GLOBAL__N_121softmax_warp_backwardIN3c104HalfES2_fLi10ELb0ELb1ELi64EEEvPT0_PKT_S7_iiiPKb, .Lfunc_end832-_ZN12_GLOBAL__N_121softmax_warp_backwardIN3c104HalfES2_fLi10ELb0ELb1ELi64EEEvPT0_PKT_S7_iiiPKb
                                        ; -- End function
	.section	.AMDGPU.csdata,"",@progbits
; Kernel info:
; codeLenInByte = 3196
; NumSgprs: 76
; NumVgprs: 55
; NumAgprs: 0
; TotalNumVgprs: 55
; ScratchSize: 0
; MemoryBound: 0
; FloatMode: 240
; IeeeMode: 1
; LDSByteSize: 0 bytes/workgroup (compile time only)
; SGPRBlocks: 9
; VGPRBlocks: 6
; NumSGPRsForWavesPerEU: 76
; NumVGPRsForWavesPerEU: 55
; AccumOffset: 56
; Occupancy: 8
; WaveLimiterHint : 0
; COMPUTE_PGM_RSRC2:SCRATCH_EN: 0
; COMPUTE_PGM_RSRC2:USER_SGPR: 6
; COMPUTE_PGM_RSRC2:TRAP_HANDLER: 0
; COMPUTE_PGM_RSRC2:TGID_X_EN: 1
; COMPUTE_PGM_RSRC2:TGID_Y_EN: 0
; COMPUTE_PGM_RSRC2:TGID_Z_EN: 0
; COMPUTE_PGM_RSRC2:TIDIG_COMP_CNT: 1
; COMPUTE_PGM_RSRC3_GFX90A:ACCUM_OFFSET: 13
; COMPUTE_PGM_RSRC3_GFX90A:TG_SPLIT: 0
	.section	.text._ZN12_GLOBAL__N_121softmax_warp_backwardIN3c104HalfES2_fLi10ELb0ELb1ELi32EEEvPT0_PKT_S7_iiiPKb,"axG",@progbits,_ZN12_GLOBAL__N_121softmax_warp_backwardIN3c104HalfES2_fLi10ELb0ELb1ELi32EEEvPT0_PKT_S7_iiiPKb,comdat
	.globl	_ZN12_GLOBAL__N_121softmax_warp_backwardIN3c104HalfES2_fLi10ELb0ELb1ELi32EEEvPT0_PKT_S7_iiiPKb ; -- Begin function _ZN12_GLOBAL__N_121softmax_warp_backwardIN3c104HalfES2_fLi10ELb0ELb1ELi32EEEvPT0_PKT_S7_iiiPKb
	.p2align	8
	.type	_ZN12_GLOBAL__N_121softmax_warp_backwardIN3c104HalfES2_fLi10ELb0ELb1ELi32EEEvPT0_PKT_S7_iiiPKb,@function
_ZN12_GLOBAL__N_121softmax_warp_backwardIN3c104HalfES2_fLi10ELb0ELb1ELi32EEEvPT0_PKT_S7_iiiPKb: ; @_ZN12_GLOBAL__N_121softmax_warp_backwardIN3c104HalfES2_fLi10ELb0ELb1ELi32EEEvPT0_PKT_S7_iiiPKb
; %bb.0:
	s_load_dword s7, s[4:5], 0x3c
	s_load_dwordx4 s[0:3], s[4:5], 0x18
	s_load_dwordx4 s[12:15], s[4:5], 0x0
	s_load_dwordx2 s[8:9], s[4:5], 0x10
	v_bfe_u32 v1, v0, 10, 10
	s_waitcnt lgkmcnt(0)
	s_lshr_b32 s3, s7, 16
	s_mul_i32 s6, s6, s3
	v_and_b32_e32 v11, 0x3ff, v0
	v_add_u32_e32 v1, s6, v1
	v_and_b32_e32 v8, 31, v11
	v_sub_u32_e32 v71, s0, v1
	v_mad_u64_u32 v[2:3], s[0:1], v1, s1, v[8:9]
	v_ashrrev_i32_e32 v3, 31, v2
	v_lshlrev_b64 v[0:1], 1, v[2:3]
	v_mov_b32_e32 v5, s15
	v_add_co_u32_e32 v4, vcc, s14, v0
	v_addc_co_u32_e32 v5, vcc, v5, v1, vcc
	s_mov_b64 s[0:1], s[12:13]
                                        ; implicit-def: $vgpr73 : SGPR spill to VGPR lane
	v_mov_b32_e32 v7, s9
	v_add_co_u32_e32 v6, vcc, s8, v0
	v_writelane_b32 v73, s0, 0
	v_addc_co_u32_e32 v7, vcc, v7, v1, vcc
	v_writelane_b32 v73, s1, 1
	v_cmp_lt_i32_e32 vcc, 0, v71
	v_cmp_gt_i32_e64 s[62:63], s2, v8
	v_writelane_b32 v73, s2, 2
	s_and_b64 s[6:7], vcc, s[62:63]
	v_mov_b32_e32 v60, 0
	v_mov_b32_e32 v70, 0
	;; [unrolled: 1-line block ×3, first 2 shown]
	v_writelane_b32 v73, s3, 3
	s_and_saveexec_b64 s[0:1], s[6:7]
	s_cbranch_execz .LBB833_2
; %bb.1:
	global_load_ushort v9, v[4:5], off
	global_load_ushort v10, v[6:7], off
	s_waitcnt vmcnt(1)
	v_cvt_f32_f16_e32 v70, v9
	s_waitcnt vmcnt(0)
	v_cvt_f32_f16_e32 v72, v10
.LBB833_2:
	s_or_b64 exec, exec, s[0:1]
	v_or_b32_e32 v9, 32, v8
	v_cmp_gt_i32_e64 s[60:61], s2, v9
	s_and_b64 s[6:7], vcc, s[60:61]
	v_mov_b32_e32 v69, 0
	s_and_saveexec_b64 s[0:1], s[6:7]
	s_cbranch_execz .LBB833_4
; %bb.3:
	global_load_ushort v9, v[4:5], off offset:64
	global_load_ushort v10, v[6:7], off offset:64
	s_waitcnt vmcnt(1)
	v_cvt_f32_f16_e32 v60, v9
	s_waitcnt vmcnt(0)
	v_cvt_f32_f16_e32 v69, v10
.LBB833_4:
	s_or_b64 exec, exec, s[0:1]
	v_or_b32_e32 v9, 64, v8
	v_cmp_gt_i32_e64 s[58:59], s2, v9
	s_and_b64 s[6:7], vcc, s[58:59]
	v_mov_b32_e32 v56, 0
	v_mov_b32_e32 v67, 0
	v_mov_b32_e32 v68, 0
	s_and_saveexec_b64 s[0:1], s[6:7]
	s_cbranch_execz .LBB833_6
; %bb.5:
	global_load_ushort v9, v[4:5], off offset:128
	global_load_ushort v10, v[6:7], off offset:128
	s_waitcnt vmcnt(1)
	v_cvt_f32_f16_e32 v67, v9
	s_waitcnt vmcnt(0)
	v_cvt_f32_f16_e32 v68, v10
.LBB833_6:
	s_or_b64 exec, exec, s[0:1]
	v_or_b32_e32 v9, 0x60, v8
	v_cmp_gt_i32_e64 s[56:57], s2, v9
	s_and_b64 s[6:7], vcc, s[56:57]
	v_mov_b32_e32 v66, 0
	s_and_saveexec_b64 s[0:1], s[6:7]
	s_cbranch_execz .LBB833_8
; %bb.7:
	global_load_ushort v9, v[4:5], off offset:192
	global_load_ushort v10, v[6:7], off offset:192
	s_waitcnt vmcnt(1)
	v_cvt_f32_f16_e32 v56, v9
	s_waitcnt vmcnt(0)
	v_cvt_f32_f16_e32 v66, v10
.LBB833_8:
	s_or_b64 exec, exec, s[0:1]
	v_or_b32_e32 v9, 0x80, v8
	v_cmp_gt_i32_e64 s[54:55], s2, v9
	s_and_b64 s[6:7], vcc, s[54:55]
	v_mov_b32_e32 v52, 0
	v_mov_b32_e32 v64, 0
	v_mov_b32_e32 v65, 0
	s_and_saveexec_b64 s[0:1], s[6:7]
	s_cbranch_execz .LBB833_10
; %bb.9:
	global_load_ushort v9, v[4:5], off offset:256
	global_load_ushort v10, v[6:7], off offset:256
	s_waitcnt vmcnt(1)
	v_cvt_f32_f16_e32 v64, v9
	s_waitcnt vmcnt(0)
	v_cvt_f32_f16_e32 v65, v10
.LBB833_10:
	;; [unrolled: 32-line block ×6, first 2 shown]
	s_or_b64 exec, exec, s[0:1]
	v_or_b32_e32 v9, 0x1a0, v8
	v_cmp_gt_i32_e64 s[36:37], s2, v9
	s_and_b64 s[6:7], vcc, s[36:37]
	v_mov_b32_e32 v47, 0
	s_and_saveexec_b64 s[0:1], s[6:7]
	s_cbranch_execz .LBB833_28
; %bb.27:
	global_load_ushort v9, v[4:5], off offset:832
	global_load_ushort v10, v[6:7], off offset:832
	s_waitcnt vmcnt(1)
	v_cvt_f32_f16_e32 v36, v9
	s_waitcnt vmcnt(0)
	v_cvt_f32_f16_e32 v47, v10
.LBB833_28:
	s_or_b64 exec, exec, s[0:1]
	v_or_b32_e32 v9, 0x1c0, v8
	v_cmp_gt_i32_e64 s[0:1], s2, v9
	v_writelane_b32 v73, s0, 4
	s_and_b64 s[6:7], vcc, s[0:1]
	v_mov_b32_e32 v31, 0
	v_mov_b32_e32 v45, 0
	v_mov_b32_e32 v46, 0
	v_writelane_b32 v73, s1, 5
	s_and_saveexec_b64 s[0:1], s[6:7]
	s_cbranch_execz .LBB833_30
; %bb.29:
	global_load_ushort v9, v[4:5], off offset:896
	global_load_ushort v10, v[6:7], off offset:896
	s_waitcnt vmcnt(1)
	v_cvt_f32_f16_e32 v45, v9
	s_waitcnt vmcnt(0)
	v_cvt_f32_f16_e32 v46, v10
.LBB833_30:
	s_or_b64 exec, exec, s[0:1]
	v_or_b32_e32 v9, 0x1e0, v8
	v_cmp_gt_i32_e64 s[0:1], s2, v9
	v_writelane_b32 v73, s0, 6
	s_and_b64 s[6:7], vcc, s[0:1]
	v_mov_b32_e32 v43, 0
	v_writelane_b32 v73, s1, 7
	s_and_saveexec_b64 s[0:1], s[6:7]
	s_cbranch_execz .LBB833_32
; %bb.31:
	global_load_ushort v9, v[4:5], off offset:960
	global_load_ushort v10, v[6:7], off offset:960
	s_waitcnt vmcnt(1)
	v_cvt_f32_f16_e32 v31, v9
	s_waitcnt vmcnt(0)
	v_cvt_f32_f16_e32 v43, v10
.LBB833_32:
	s_or_b64 exec, exec, s[0:1]
	v_or_b32_e32 v9, 0x200, v8
	v_cmp_gt_i32_e64 s[0:1], s2, v9
	v_writelane_b32 v73, s0, 8
	s_and_b64 s[6:7], vcc, s[0:1]
	v_mov_b32_e32 v27, 0
	v_mov_b32_e32 v41, 0
	v_mov_b32_e32 v42, 0
	v_writelane_b32 v73, s1, 9
	s_and_saveexec_b64 s[0:1], s[6:7]
	s_cbranch_execz .LBB833_34
; %bb.33:
	global_load_ushort v9, v[4:5], off offset:1024
	global_load_ushort v10, v[6:7], off offset:1024
	s_waitcnt vmcnt(1)
	v_cvt_f32_f16_e32 v41, v9
	s_waitcnt vmcnt(0)
	v_cvt_f32_f16_e32 v42, v10
.LBB833_34:
	s_or_b64 exec, exec, s[0:1]
	v_or_b32_e32 v9, 0x220, v8
	v_cmp_gt_i32_e64 s[0:1], s2, v9
	v_writelane_b32 v73, s0, 10
	s_and_b64 s[6:7], vcc, s[0:1]
	v_mov_b32_e32 v39, 0
	v_writelane_b32 v73, s1, 11
	s_and_saveexec_b64 s[0:1], s[6:7]
	s_cbranch_execz .LBB833_36
; %bb.35:
	global_load_ushort v9, v[4:5], off offset:1088
	global_load_ushort v10, v[6:7], off offset:1088
	s_waitcnt vmcnt(1)
	v_cvt_f32_f16_e32 v27, v9
	s_waitcnt vmcnt(0)
	v_cvt_f32_f16_e32 v39, v10
.LBB833_36:
	s_or_b64 exec, exec, s[0:1]
	v_or_b32_e32 v9, 0x240, v8
	v_cmp_gt_i32_e64 s[0:1], s2, v9
	v_writelane_b32 v73, s0, 12
	s_and_b64 s[6:7], vcc, s[0:1]
	v_mov_b32_e32 v23, 0
	v_mov_b32_e32 v37, 0
	v_mov_b32_e32 v38, 0
	v_writelane_b32 v73, s1, 13
	s_and_saveexec_b64 s[0:1], s[6:7]
	s_cbranch_execz .LBB833_38
; %bb.37:
	global_load_ushort v9, v[4:5], off offset:1152
	global_load_ushort v10, v[6:7], off offset:1152
	s_waitcnt vmcnt(1)
	v_cvt_f32_f16_e32 v37, v9
	s_waitcnt vmcnt(0)
	v_cvt_f32_f16_e32 v38, v10
.LBB833_38:
	s_or_b64 exec, exec, s[0:1]
	v_or_b32_e32 v9, 0x260, v8
	v_cmp_gt_i32_e64 s[0:1], s2, v9
	v_writelane_b32 v73, s0, 14
	s_and_b64 s[6:7], vcc, s[0:1]
	v_mov_b32_e32 v35, 0
	v_writelane_b32 v73, s1, 15
	s_and_saveexec_b64 s[0:1], s[6:7]
	s_cbranch_execz .LBB833_40
; %bb.39:
	global_load_ushort v9, v[4:5], off offset:1216
	global_load_ushort v10, v[6:7], off offset:1216
	s_waitcnt vmcnt(1)
	v_cvt_f32_f16_e32 v23, v9
	s_waitcnt vmcnt(0)
	v_cvt_f32_f16_e32 v35, v10
.LBB833_40:
	s_or_b64 exec, exec, s[0:1]
	v_or_b32_e32 v9, 0x280, v8
	v_cmp_gt_i32_e64 s[0:1], s2, v9
	v_writelane_b32 v73, s0, 16
	s_and_b64 s[6:7], vcc, s[0:1]
	v_mov_b32_e32 v19, 0
	v_mov_b32_e32 v33, 0
	v_mov_b32_e32 v34, 0
	v_writelane_b32 v73, s1, 17
	s_and_saveexec_b64 s[0:1], s[6:7]
	s_cbranch_execz .LBB833_42
; %bb.41:
	global_load_ushort v9, v[4:5], off offset:1280
	global_load_ushort v10, v[6:7], off offset:1280
	s_waitcnt vmcnt(1)
	v_cvt_f32_f16_e32 v33, v9
	s_waitcnt vmcnt(0)
	v_cvt_f32_f16_e32 v34, v10
.LBB833_42:
	s_or_b64 exec, exec, s[0:1]
	v_or_b32_e32 v9, 0x2a0, v8
	v_cmp_gt_i32_e64 s[0:1], s2, v9
	v_writelane_b32 v73, s0, 18
	s_and_b64 s[6:7], vcc, s[0:1]
	v_mov_b32_e32 v32, 0
	v_writelane_b32 v73, s1, 19
	s_and_saveexec_b64 s[0:1], s[6:7]
	s_cbranch_execz .LBB833_44
; %bb.43:
	global_load_ushort v9, v[4:5], off offset:1344
	global_load_ushort v10, v[6:7], off offset:1344
	s_waitcnt vmcnt(1)
	v_cvt_f32_f16_e32 v19, v9
	s_waitcnt vmcnt(0)
	v_cvt_f32_f16_e32 v32, v10
.LBB833_44:
	s_or_b64 exec, exec, s[0:1]
	v_or_b32_e32 v9, 0x2c0, v8
	v_cmp_gt_i32_e64 s[0:1], s2, v9
	v_writelane_b32 v73, s0, 20
	s_and_b64 s[6:7], vcc, s[0:1]
	v_mov_b32_e32 v15, 0
	v_mov_b32_e32 v29, 0
	v_mov_b32_e32 v30, 0
	v_writelane_b32 v73, s1, 21
	s_and_saveexec_b64 s[0:1], s[6:7]
	s_cbranch_execz .LBB833_46
; %bb.45:
	global_load_ushort v9, v[4:5], off offset:1408
	global_load_ushort v10, v[6:7], off offset:1408
	s_waitcnt vmcnt(1)
	v_cvt_f32_f16_e32 v29, v9
	s_waitcnt vmcnt(0)
	v_cvt_f32_f16_e32 v30, v10
.LBB833_46:
	s_or_b64 exec, exec, s[0:1]
	v_or_b32_e32 v9, 0x2e0, v8
	v_cmp_gt_i32_e64 s[0:1], s2, v9
	v_writelane_b32 v73, s0, 22
	s_and_b64 s[6:7], vcc, s[0:1]
	v_mov_b32_e32 v28, 0
	v_writelane_b32 v73, s1, 23
	s_and_saveexec_b64 s[0:1], s[6:7]
	s_cbranch_execz .LBB833_48
; %bb.47:
	global_load_ushort v9, v[4:5], off offset:1472
	global_load_ushort v10, v[6:7], off offset:1472
	s_waitcnt vmcnt(1)
	v_cvt_f32_f16_e32 v15, v9
	s_waitcnt vmcnt(0)
	v_cvt_f32_f16_e32 v28, v10
.LBB833_48:
	s_or_b64 exec, exec, s[0:1]
	v_or_b32_e32 v9, 0x300, v8
	v_cmp_gt_i32_e64 s[0:1], s2, v9
	v_writelane_b32 v73, s0, 24
	s_and_b64 s[6:7], vcc, s[0:1]
	v_mov_b32_e32 v12, 0
	v_mov_b32_e32 v25, 0
	v_mov_b32_e32 v26, 0
	v_writelane_b32 v73, s1, 25
	s_and_saveexec_b64 s[0:1], s[6:7]
	s_cbranch_execz .LBB833_50
; %bb.49:
	global_load_ushort v9, v[4:5], off offset:1536
	global_load_ushort v10, v[6:7], off offset:1536
	s_waitcnt vmcnt(1)
	v_cvt_f32_f16_e32 v25, v9
	s_waitcnt vmcnt(0)
	v_cvt_f32_f16_e32 v26, v10
.LBB833_50:
	s_or_b64 exec, exec, s[0:1]
	v_or_b32_e32 v9, 0x320, v8
	v_cmp_gt_i32_e64 s[0:1], s2, v9
	v_writelane_b32 v73, s0, 26
	s_and_b64 s[6:7], vcc, s[0:1]
	v_mov_b32_e32 v24, 0
	v_writelane_b32 v73, s1, 27
	s_and_saveexec_b64 s[0:1], s[6:7]
	s_cbranch_execz .LBB833_52
; %bb.51:
	global_load_ushort v9, v[4:5], off offset:1600
	global_load_ushort v10, v[6:7], off offset:1600
	s_waitcnt vmcnt(1)
	v_cvt_f32_f16_e32 v12, v9
	s_waitcnt vmcnt(0)
	v_cvt_f32_f16_e32 v24, v10
.LBB833_52:
	s_or_b64 exec, exec, s[0:1]
	v_or_b32_e32 v9, 0x340, v8
	v_cmp_gt_i32_e64 s[0:1], s2, v9
	v_writelane_b32 v73, s0, 28
	s_and_b64 s[6:7], vcc, s[0:1]
	v_mov_b32_e32 v10, 0
	v_mov_b32_e32 v21, 0
	v_mov_b32_e32 v22, 0
	v_writelane_b32 v73, s1, 29
	s_and_saveexec_b64 s[0:1], s[6:7]
	s_cbranch_execz .LBB833_54
; %bb.53:
	global_load_ushort v9, v[4:5], off offset:1664
	global_load_ushort v13, v[6:7], off offset:1664
	s_waitcnt vmcnt(1)
	v_cvt_f32_f16_e32 v21, v9
	s_waitcnt vmcnt(0)
	v_cvt_f32_f16_e32 v22, v13
.LBB833_54:
	s_or_b64 exec, exec, s[0:1]
	v_or_b32_e32 v9, 0x360, v8
	v_cmp_gt_i32_e64 s[0:1], s2, v9
	v_writelane_b32 v73, s0, 30
	s_and_b64 s[6:7], vcc, s[0:1]
	v_mov_b32_e32 v20, 0
	v_writelane_b32 v73, s1, 31
	s_and_saveexec_b64 s[0:1], s[6:7]
	s_cbranch_execz .LBB833_56
; %bb.55:
	global_load_ushort v9, v[4:5], off offset:1728
	global_load_ushort v13, v[6:7], off offset:1728
	s_waitcnt vmcnt(1)
	v_cvt_f32_f16_e32 v10, v9
	s_waitcnt vmcnt(0)
	v_cvt_f32_f16_e32 v20, v13
.LBB833_56:
	s_or_b64 exec, exec, s[0:1]
	v_or_b32_e32 v9, 0x380, v8
	v_cmp_gt_i32_e64 s[0:1], s2, v9
	v_writelane_b32 v73, s0, 32
	s_and_b64 s[6:7], vcc, s[0:1]
	v_mov_b32_e32 v9, 0
	v_mov_b32_e32 v17, 0
	v_mov_b32_e32 v18, 0
	v_writelane_b32 v73, s1, 33
	s_and_saveexec_b64 s[0:1], s[6:7]
	s_cbranch_execz .LBB833_58
; %bb.57:
	global_load_ushort v13, v[4:5], off offset:1792
	global_load_ushort v14, v[6:7], off offset:1792
	s_waitcnt vmcnt(1)
	v_cvt_f32_f16_e32 v17, v13
	s_waitcnt vmcnt(0)
	v_cvt_f32_f16_e32 v18, v14
.LBB833_58:
	s_or_b64 exec, exec, s[0:1]
	v_or_b32_e32 v13, 0x3a0, v8
	v_cmp_gt_i32_e64 s[0:1], s2, v13
	v_writelane_b32 v73, s0, 34
	s_and_b64 s[6:7], vcc, s[0:1]
	v_mov_b32_e32 v16, 0
	v_writelane_b32 v73, s1, 35
	s_and_saveexec_b64 s[0:1], s[6:7]
	s_cbranch_execz .LBB833_60
; %bb.59:
	global_load_ushort v9, v[4:5], off offset:1856
	global_load_ushort v13, v[6:7], off offset:1856
	s_waitcnt vmcnt(1)
	v_cvt_f32_f16_e32 v9, v9
	s_waitcnt vmcnt(0)
	v_cvt_f32_f16_e32 v16, v13
.LBB833_60:
	s_or_b64 exec, exec, s[0:1]
	v_or_b32_e32 v8, 0x3c0, v8
	v_cmp_gt_i32_e64 s[0:1], s2, v8
	v_writelane_b32 v73, s0, 36
	s_and_b64 s[6:7], vcc, s[0:1]
	v_mov_b32_e32 v8, 0
	v_mov_b32_e32 v13, 0
	v_mov_b32_e32 v14, 0
	v_writelane_b32 v73, s1, 37
	s_and_saveexec_b64 s[0:1], s[6:7]
	s_cbranch_execz .LBB833_62
; %bb.61:
	global_load_ushort v13, v[4:5], off offset:1920
	global_load_ushort v14, v[6:7], off offset:1920
	s_waitcnt vmcnt(1)
	v_cvt_f32_f16_e32 v13, v13
	s_waitcnt vmcnt(0)
	v_cvt_f32_f16_e32 v14, v14
.LBB833_62:
	s_or_b64 exec, exec, s[0:1]
	v_or_b32_e32 v11, 0x3e0, v11
	v_cmp_gt_i32_e64 s[0:1], s2, v11
	v_writelane_b32 v73, s0, 38
	s_and_b64 s[2:3], vcc, s[0:1]
	v_mov_b32_e32 v11, 0
	v_writelane_b32 v73, s1, 39
	s_and_saveexec_b64 s[0:1], s[2:3]
	s_cbranch_execz .LBB833_64
; %bb.63:
	global_load_ushort v4, v[4:5], off offset:1984
	s_nop 0
	global_load_ushort v5, v[6:7], off offset:1984
	s_waitcnt vmcnt(1)
	v_cvt_f32_f16_e32 v8, v4
	s_waitcnt vmcnt(0)
	v_cvt_f32_f16_e32 v11, v5
.LBB833_64:
	s_or_b64 exec, exec, s[0:1]
	s_load_dwordx2 s[0:1], s[4:5], 0x28
	s_waitcnt lgkmcnt(0)
	v_add_co_u32_e32 v2, vcc, s0, v2
	v_mov_b32_e32 v4, s1
	v_addc_co_u32_e32 v3, vcc, v4, v3, vcc
	global_load_ubyte v4, v[2:3], off
	global_load_ubyte v5, v[2:3], off offset:32
	s_waitcnt vmcnt(1)
	v_and_b32_e32 v4, 1, v4
	v_cmp_eq_u32_e64 s[28:29], 1, v4
	v_add_f32_e32 v4, 0, v70
	v_cndmask_b32_e64 v4, v4, 0, s[28:29]
	s_waitcnt vmcnt(0)
	v_and_b32_e32 v5, 1, v5
	v_cmp_eq_u32_e64 s[26:27], 1, v5
	v_add_f32_e32 v5, v4, v60
	v_cndmask_b32_e64 v4, v5, v4, s[26:27]
	global_load_ubyte v5, v[2:3], off offset:64
	s_waitcnt vmcnt(0)
	v_and_b32_e32 v5, 1, v5
	v_cmp_eq_u32_e64 s[24:25], 1, v5
	v_add_f32_e32 v5, v4, v67
	v_cndmask_b32_e64 v4, v5, v4, s[24:25]
	global_load_ubyte v5, v[2:3], off offset:96
	;; [unrolled: 6-line block ×29, first 2 shown]
	s_waitcnt vmcnt(0)
	v_and_b32_e32 v5, 1, v5
	global_load_ubyte v2, v[2:3], off offset:992
	v_cmp_eq_u32_e64 s[64:65], 1, v5
	v_add_f32_e32 v5, v4, v13
	v_cndmask_b32_e64 v4, v5, v4, s[64:65]
	v_mbcnt_lo_u32_b32 v3, -1, 0
	v_mbcnt_hi_u32_b32 v3, -1, v3
	v_xor_b32_e32 v5, 16, v3
	s_waitcnt vmcnt(0)
	v_and_b32_e32 v2, 1, v2
	v_cmp_eq_u32_e64 s[30:31], 1, v2
	v_add_f32_e32 v2, v4, v8
	v_cndmask_b32_e64 v2, v2, v4, s[30:31]
	v_and_b32_e32 v4, 0x60, v3
	v_add_u32_e32 v4, 32, v4
	v_cmp_lt_i32_e32 vcc, v5, v4
	v_cndmask_b32_e32 v5, v3, v5, vcc
	v_lshlrev_b32_e32 v5, 2, v5
	ds_bpermute_b32 v5, v5, v2
	s_waitcnt lgkmcnt(0)
	v_add_f32_e32 v2, v2, v5
	v_xor_b32_e32 v5, 8, v3
	v_cmp_lt_i32_e32 vcc, v5, v4
	v_cndmask_b32_e32 v5, v3, v5, vcc
	v_lshlrev_b32_e32 v5, 2, v5
	ds_bpermute_b32 v5, v5, v2
	s_waitcnt lgkmcnt(0)
	v_add_f32_e32 v2, v2, v5
	v_xor_b32_e32 v5, 4, v3
	;; [unrolled: 7-line block ×4, first 2 shown]
	v_cmp_lt_i32_e32 vcc, v5, v4
	v_cndmask_b32_e32 v3, v3, v5, vcc
	v_lshlrev_b32_e32 v3, 2, v3
	ds_bpermute_b32 v3, v3, v2
	v_cmp_lt_i32_e32 vcc, 0, v71
	s_and_saveexec_b64 s[34:35], vcc
	s_cbranch_execz .LBB833_225
; %bb.65:
	s_mov_b64 s[34:35], s[36:37]
	s_mov_b64 vcc, s[38:39]
	v_readlane_b32 s36, v73, 0
	v_readlane_b32 s37, v73, 1
	;; [unrolled: 1-line block ×4, first 2 shown]
	s_waitcnt lgkmcnt(0)
	v_add_f32_e32 v2, v2, v3
	s_mov_b64 s[38:39], vcc
	v_mov_b32_e32 v3, s37
	v_add_co_u32_e32 v0, vcc, s36, v0
	s_mov_b64 s[36:37], s[34:35]
	v_addc_co_u32_e32 v1, vcc, v3, v1, vcc
	s_and_saveexec_b64 vcc, s[62:63]
	s_cbranch_execz .LBB833_70
; %bb.66:
	s_xor_b64 s[28:29], s[28:29], -1
	s_and_saveexec_b64 s[34:35], s[28:29]
	s_xor_b64 s[28:29], exec, s[34:35]
	s_cbranch_execz .LBB833_68
; %bb.67:
	v_fma_mixlo_f16 v3, -v2, v72, v70
	global_store_short v[0:1], v3, off
.LBB833_68:
	s_andn2_saveexec_b64 s[28:29], s[28:29]
	s_cbranch_execz .LBB833_70
; %bb.69:
	v_mov_b32_e32 v3, 0
	global_store_short v[0:1], v3, off
.LBB833_70:
	s_or_b64 exec, exec, vcc
	s_and_saveexec_b64 s[28:29], s[60:61]
	s_cbranch_execz .LBB833_75
; %bb.71:
	s_xor_b64 s[26:27], s[26:27], -1
	s_and_saveexec_b64 s[34:35], s[26:27]
	s_xor_b64 s[26:27], exec, s[34:35]
	s_cbranch_execz .LBB833_73
; %bb.72:
	v_fma_mixlo_f16 v3, -v2, v69, v60
	global_store_short v[0:1], v3, off offset:64
.LBB833_73:
	s_andn2_saveexec_b64 s[26:27], s[26:27]
	s_cbranch_execz .LBB833_75
; %bb.74:
	v_mov_b32_e32 v3, 0
	global_store_short v[0:1], v3, off offset:64
.LBB833_75:
	s_or_b64 exec, exec, s[28:29]
	s_and_saveexec_b64 s[26:27], s[58:59]
	s_cbranch_execz .LBB833_80
; %bb.76:
	s_xor_b64 s[24:25], s[24:25], -1
	s_and_saveexec_b64 s[28:29], s[24:25]
	s_xor_b64 s[24:25], exec, s[28:29]
	s_cbranch_execz .LBB833_78
; %bb.77:
	v_fma_mixlo_f16 v3, -v2, v68, v67
	global_store_short v[0:1], v3, off offset:128
.LBB833_78:
	s_andn2_saveexec_b64 s[24:25], s[24:25]
	s_cbranch_execz .LBB833_80
; %bb.79:
	v_mov_b32_e32 v3, 0
	global_store_short v[0:1], v3, off offset:128
.LBB833_80:
	s_or_b64 exec, exec, s[26:27]
	;; [unrolled: 18-line block ×13, first 2 shown]
	s_mov_b64 s[2:3], exec
	v_readlane_b32 s4, v73, 4
	v_readlane_b32 s5, v73, 5
	s_and_b64 s[4:5], s[2:3], s[4:5]
	s_mov_b64 exec, s[4:5]
	s_cbranch_execz .LBB833_140
; %bb.136:
	s_xor_b64 s[0:1], s[0:1], -1
	s_and_saveexec_b64 s[4:5], s[0:1]
	s_xor_b64 s[0:1], exec, s[4:5]
	s_cbranch_execz .LBB833_138
; %bb.137:
	v_fma_mixlo_f16 v3, -v2, v46, v45
	global_store_short v[0:1], v3, off offset:896
.LBB833_138:
	s_andn2_saveexec_b64 s[0:1], s[0:1]
	s_cbranch_execz .LBB833_140
; %bb.139:
	v_mov_b32_e32 v3, 0
	global_store_short v[0:1], v3, off offset:896
.LBB833_140:
	s_or_b64 exec, exec, s[2:3]
	s_mov_b64 s[0:1], exec
	v_readlane_b32 s2, v73, 6
	v_readlane_b32 s3, v73, 7
	s_and_b64 s[2:3], s[0:1], s[2:3]
	s_mov_b64 exec, s[2:3]
	s_cbranch_execz .LBB833_145
; %bb.141:
	s_xor_b64 s[2:3], s[94:95], -1
	s_and_saveexec_b64 s[4:5], s[2:3]
	s_xor_b64 s[2:3], exec, s[4:5]
	s_cbranch_execz .LBB833_143
; %bb.142:
	v_fma_mixlo_f16 v3, -v2, v43, v31
	global_store_short v[0:1], v3, off offset:960
.LBB833_143:
	s_andn2_saveexec_b64 s[2:3], s[2:3]
	s_cbranch_execz .LBB833_145
; %bb.144:
	v_mov_b32_e32 v3, 0
	global_store_short v[0:1], v3, off offset:960
.LBB833_145:
	s_or_b64 exec, exec, s[0:1]
	;; [unrolled: 22-line block ×17, first 2 shown]
	v_readlane_b32 s0, v73, 38
	v_readlane_b32 s1, v73, 39
	s_and_b64 exec, exec, s[0:1]
	s_cbranch_execz .LBB833_225
; %bb.221:
	s_xor_b64 s[0:1], s[30:31], -1
	s_and_saveexec_b64 s[2:3], s[0:1]
	s_xor_b64 s[0:1], exec, s[2:3]
	s_cbranch_execz .LBB833_223
; %bb.222:
	v_fma_mixlo_f16 v2, -v2, v11, v8
	global_store_short v[0:1], v2, off offset:1984
                                        ; implicit-def: $vgpr0_vgpr1
.LBB833_223:
	s_andn2_saveexec_b64 s[0:1], s[0:1]
	s_cbranch_execz .LBB833_225
; %bb.224:
	v_mov_b32_e32 v2, 0
	global_store_short v[0:1], v2, off offset:1984
.LBB833_225:
	s_endpgm
	.section	.rodata,"a",@progbits
	.p2align	6, 0x0
	.amdhsa_kernel _ZN12_GLOBAL__N_121softmax_warp_backwardIN3c104HalfES2_fLi10ELb0ELb1ELi32EEEvPT0_PKT_S7_iiiPKb
		.amdhsa_group_segment_fixed_size 0
		.amdhsa_private_segment_fixed_size 0
		.amdhsa_kernarg_size 304
		.amdhsa_user_sgpr_count 6
		.amdhsa_user_sgpr_private_segment_buffer 1
		.amdhsa_user_sgpr_dispatch_ptr 0
		.amdhsa_user_sgpr_queue_ptr 0
		.amdhsa_user_sgpr_kernarg_segment_ptr 1
		.amdhsa_user_sgpr_dispatch_id 0
		.amdhsa_user_sgpr_flat_scratch_init 0
		.amdhsa_user_sgpr_kernarg_preload_length 0
		.amdhsa_user_sgpr_kernarg_preload_offset 0
		.amdhsa_user_sgpr_private_segment_size 0
		.amdhsa_uses_dynamic_stack 0
		.amdhsa_system_sgpr_private_segment_wavefront_offset 0
		.amdhsa_system_sgpr_workgroup_id_x 1
		.amdhsa_system_sgpr_workgroup_id_y 0
		.amdhsa_system_sgpr_workgroup_id_z 0
		.amdhsa_system_sgpr_workgroup_info 0
		.amdhsa_system_vgpr_workitem_id 1
		.amdhsa_next_free_vgpr 74
		.amdhsa_next_free_sgpr 96
		.amdhsa_accum_offset 76
		.amdhsa_reserve_vcc 1
		.amdhsa_reserve_flat_scratch 0
		.amdhsa_float_round_mode_32 0
		.amdhsa_float_round_mode_16_64 0
		.amdhsa_float_denorm_mode_32 3
		.amdhsa_float_denorm_mode_16_64 3
		.amdhsa_dx10_clamp 1
		.amdhsa_ieee_mode 1
		.amdhsa_fp16_overflow 0
		.amdhsa_tg_split 0
		.amdhsa_exception_fp_ieee_invalid_op 0
		.amdhsa_exception_fp_denorm_src 0
		.amdhsa_exception_fp_ieee_div_zero 0
		.amdhsa_exception_fp_ieee_overflow 0
		.amdhsa_exception_fp_ieee_underflow 0
		.amdhsa_exception_fp_ieee_inexact 0
		.amdhsa_exception_int_div_zero 0
	.end_amdhsa_kernel
	.section	.text._ZN12_GLOBAL__N_121softmax_warp_backwardIN3c104HalfES2_fLi10ELb0ELb1ELi32EEEvPT0_PKT_S7_iiiPKb,"axG",@progbits,_ZN12_GLOBAL__N_121softmax_warp_backwardIN3c104HalfES2_fLi10ELb0ELb1ELi32EEEvPT0_PKT_S7_iiiPKb,comdat
.Lfunc_end833:
	.size	_ZN12_GLOBAL__N_121softmax_warp_backwardIN3c104HalfES2_fLi10ELb0ELb1ELi32EEEvPT0_PKT_S7_iiiPKb, .Lfunc_end833-_ZN12_GLOBAL__N_121softmax_warp_backwardIN3c104HalfES2_fLi10ELb0ELb1ELi32EEEvPT0_PKT_S7_iiiPKb
                                        ; -- End function
	.section	.AMDGPU.csdata,"",@progbits
; Kernel info:
; codeLenInByte = 6644
; NumSgprs: 100
; NumVgprs: 74
; NumAgprs: 0
; TotalNumVgprs: 74
; ScratchSize: 0
; MemoryBound: 0
; FloatMode: 240
; IeeeMode: 1
; LDSByteSize: 0 bytes/workgroup (compile time only)
; SGPRBlocks: 12
; VGPRBlocks: 9
; NumSGPRsForWavesPerEU: 100
; NumVGPRsForWavesPerEU: 74
; AccumOffset: 76
; Occupancy: 6
; WaveLimiterHint : 0
; COMPUTE_PGM_RSRC2:SCRATCH_EN: 0
; COMPUTE_PGM_RSRC2:USER_SGPR: 6
; COMPUTE_PGM_RSRC2:TRAP_HANDLER: 0
; COMPUTE_PGM_RSRC2:TGID_X_EN: 1
; COMPUTE_PGM_RSRC2:TGID_Y_EN: 0
; COMPUTE_PGM_RSRC2:TGID_Z_EN: 0
; COMPUTE_PGM_RSRC2:TIDIG_COMP_CNT: 1
; COMPUTE_PGM_RSRC3_GFX90A:ACCUM_OFFSET: 18
; COMPUTE_PGM_RSRC3_GFX90A:TG_SPLIT: 0
	.section	.text._ZN12_GLOBAL__N_121softmax_warp_backwardIN3c108BFloat16ES2_fLi0ELb0ELb1ELi64EEEvPT0_PKT_S7_iiiPKb,"axG",@progbits,_ZN12_GLOBAL__N_121softmax_warp_backwardIN3c108BFloat16ES2_fLi0ELb0ELb1ELi64EEEvPT0_PKT_S7_iiiPKb,comdat
	.globl	_ZN12_GLOBAL__N_121softmax_warp_backwardIN3c108BFloat16ES2_fLi0ELb0ELb1ELi64EEEvPT0_PKT_S7_iiiPKb ; -- Begin function _ZN12_GLOBAL__N_121softmax_warp_backwardIN3c108BFloat16ES2_fLi0ELb0ELb1ELi64EEEvPT0_PKT_S7_iiiPKb
	.p2align	8
	.type	_ZN12_GLOBAL__N_121softmax_warp_backwardIN3c108BFloat16ES2_fLi0ELb0ELb1ELi64EEEvPT0_PKT_S7_iiiPKb,@function
_ZN12_GLOBAL__N_121softmax_warp_backwardIN3c108BFloat16ES2_fLi0ELb0ELb1ELi64EEEvPT0_PKT_S7_iiiPKb: ; @_ZN12_GLOBAL__N_121softmax_warp_backwardIN3c108BFloat16ES2_fLi0ELb0ELb1ELi64EEEvPT0_PKT_S7_iiiPKb
; %bb.0:
	s_load_dword s2, s[4:5], 0x3c
	s_load_dwordx4 s[8:11], s[4:5], 0x18
	s_load_dwordx4 s[12:15], s[4:5], 0x0
	s_load_dwordx2 s[0:1], s[4:5], 0x10
	v_bfe_u32 v0, v0, 10, 10
	s_waitcnt lgkmcnt(0)
	s_lshr_b32 s2, s2, 16
	s_mul_i32 s6, s6, s2
	v_add_lshl_u32 v0, s6, v0, 1
	v_mul_lo_u32 v4, v0, s9
	v_ashrrev_i32_e32 v5, 31, v4
	v_sub_u32_e32 v2, s8, v0
	v_lshlrev_b64 v[0:1], 1, v[4:5]
	v_mov_b32_e32 v3, s15
	v_add_co_u32_e32 v6, vcc, s14, v0
	v_addc_co_u32_e32 v7, vcc, v3, v1, vcc
	v_mov_b32_e32 v3, s1
	v_add_co_u32_e32 v8, vcc, s0, v0
	v_addc_co_u32_e32 v9, vcc, v3, v1, vcc
	s_cmp_gt_i32 s10, 0
	s_cselect_b64 s[2:3], -1, 0
	v_cmp_lt_i32_e32 vcc, 0, v2
	s_and_b64 s[6:7], s[2:3], vcc
	v_mov_b32_e32 v10, 0
	v_mov_b32_e32 v11, 0
	;; [unrolled: 1-line block ×3, first 2 shown]
	s_and_saveexec_b64 s[0:1], s[6:7]
	s_cbranch_execz .LBB834_2
; %bb.1:
	global_load_ushort v3, v[8:9], off
	global_load_ushort v12, v[6:7], off
	s_waitcnt vmcnt(1)
	v_lshlrev_b32_e32 v11, 16, v3
	s_waitcnt vmcnt(0)
	v_lshlrev_b32_e32 v12, 16, v12
.LBB834_2:
	s_or_b64 exec, exec, s[0:1]
	v_cmp_lt_i32_e64 s[0:1], 1, v2
	s_and_b64 s[0:1], s[2:3], s[0:1]
	s_mov_b32 s11, 0
	v_mov_b32_e32 v3, 0
	s_and_saveexec_b64 s[6:7], s[0:1]
	s_cbranch_execz .LBB834_4
; %bb.3:
	s_lshl_b64 s[8:9], s[10:11], 1
	v_mov_b32_e32 v3, s9
	v_add_co_u32_e64 v6, s[0:1], s8, v6
	v_addc_co_u32_e64 v7, s[0:1], v7, v3, s[0:1]
	v_add_co_u32_e64 v8, s[0:1], s8, v8
	v_addc_co_u32_e64 v9, s[0:1], v9, v3, s[0:1]
	global_load_ushort v3, v[8:9], off
	global_load_ushort v13, v[6:7], off
	s_waitcnt vmcnt(1)
	v_lshlrev_b32_e32 v10, 16, v3
	s_waitcnt vmcnt(0)
	v_lshlrev_b32_e32 v3, 16, v13
.LBB834_4:
	s_or_b64 exec, exec, s[6:7]
	s_and_saveexec_b64 s[0:1], vcc
	s_cbranch_execz .LBB834_12
; %bb.5:
	s_load_dwordx2 s[0:1], s[4:5], 0x28
	v_mov_b32_e32 v8, s13
	v_cndmask_b32_e64 v9, 0, 1, s[2:3]
	v_add_co_u32_e64 v0, s[4:5], s12, v0
	s_waitcnt lgkmcnt(0)
	v_mov_b32_e32 v6, s1
	v_add_co_u32_e32 v4, vcc, s0, v4
	v_addc_co_u32_e32 v5, vcc, v6, v5, vcc
	global_load_ubyte v7, v[4:5], off
	s_ashr_i32 s0, s10, 31
	v_mov_b32_e32 v6, s0
	v_add_co_u32_e32 v4, vcc, s10, v4
	v_addc_co_u32_e32 v5, vcc, v5, v6, vcc
	global_load_ubyte v6, v[4:5], off
	v_add_f32_e32 v4, 0, v12
	s_andn2_b64 vcc, exec, s[2:3]
	v_mov_b32_e32 v5, 0
	v_cmp_ne_u32_e64 s[0:1], 1, v9
	v_addc_co_u32_e64 v1, s[4:5], v8, v1, s[4:5]
	s_waitcnt vmcnt(1)
	v_and_b32_e32 v7, 1, v7
	v_cmp_eq_u32_e64 s[2:3], 1, v7
	v_cndmask_b32_e64 v4, v4, 0, s[2:3]
	s_cbranch_vccnz .LBB834_9
; %bb.6:
	s_xor_b64 s[4:5], s[2:3], -1
	v_mov_b32_e32 v7, v5
	s_and_saveexec_b64 s[2:3], s[4:5]
; %bb.7:
	v_fma_f32 v7, -v4, v11, v12
	v_bfe_u32 v8, v7, 16, 1
	s_movk_i32 s4, 0x7fff
	v_add3_u32 v8, v7, v8, s4
	v_lshrrev_b32_e32 v8, 16, v8
	v_mov_b32_e32 v9, 0x7fc0
	v_cmp_o_f32_e32 vcc, v7, v7
	v_cndmask_b32_e32 v7, v9, v8, vcc
; %bb.8:
	s_or_b64 exec, exec, s[2:3]
	global_store_short v[0:1], v7, off
.LBB834_9:
	v_cmp_ne_u32_e32 vcc, 1, v2
	s_and_b64 exec, exec, vcc
	s_cbranch_execz .LBB834_12
; %bb.10:
	s_and_b64 vcc, exec, s[0:1]
	s_cbranch_vccnz .LBB834_12
; %bb.11:
	s_waitcnt vmcnt(0)
	v_and_b32_e32 v2, 1, v6
	v_pk_add_f32 v[4:5], v[4:5], v[2:3]
	v_cmp_eq_u32_e32 vcc, 1, v2
	v_cndmask_b32_e64 v2, v5, 0, vcc
	v_fma_f32 v2, -v2, v10, v3
	v_bfe_u32 v3, v2, 16, 1
	s_movk_i32 s0, 0x7fff
	v_add3_u32 v3, v2, v3, s0
	v_lshrrev_b32_e32 v3, 16, v3
	v_mov_b32_e32 v4, 0x7fc0
	v_cmp_o_f32_e64 s[0:1], v2, v2
	v_cndmask_b32_e64 v2, v4, v3, s[0:1]
	s_lshl_b64 s[0:1], s[10:11], 1
	v_mov_b32_e32 v3, s1
	v_add_co_u32_e64 v0, s[0:1], s0, v0
	v_addc_co_u32_e64 v1, s[0:1], v1, v3, s[0:1]
	v_cndmask_b32_e64 v2, v2, 0, vcc
	global_store_short v[0:1], v2, off
.LBB834_12:
	s_endpgm
	.section	.rodata,"a",@progbits
	.p2align	6, 0x0
	.amdhsa_kernel _ZN12_GLOBAL__N_121softmax_warp_backwardIN3c108BFloat16ES2_fLi0ELb0ELb1ELi64EEEvPT0_PKT_S7_iiiPKb
		.amdhsa_group_segment_fixed_size 0
		.amdhsa_private_segment_fixed_size 0
		.amdhsa_kernarg_size 304
		.amdhsa_user_sgpr_count 6
		.amdhsa_user_sgpr_private_segment_buffer 1
		.amdhsa_user_sgpr_dispatch_ptr 0
		.amdhsa_user_sgpr_queue_ptr 0
		.amdhsa_user_sgpr_kernarg_segment_ptr 1
		.amdhsa_user_sgpr_dispatch_id 0
		.amdhsa_user_sgpr_flat_scratch_init 0
		.amdhsa_user_sgpr_kernarg_preload_length 0
		.amdhsa_user_sgpr_kernarg_preload_offset 0
		.amdhsa_user_sgpr_private_segment_size 0
		.amdhsa_uses_dynamic_stack 0
		.amdhsa_system_sgpr_private_segment_wavefront_offset 0
		.amdhsa_system_sgpr_workgroup_id_x 1
		.amdhsa_system_sgpr_workgroup_id_y 0
		.amdhsa_system_sgpr_workgroup_id_z 0
		.amdhsa_system_sgpr_workgroup_info 0
		.amdhsa_system_vgpr_workitem_id 1
		.amdhsa_next_free_vgpr 14
		.amdhsa_next_free_sgpr 16
		.amdhsa_accum_offset 16
		.amdhsa_reserve_vcc 1
		.amdhsa_reserve_flat_scratch 0
		.amdhsa_float_round_mode_32 0
		.amdhsa_float_round_mode_16_64 0
		.amdhsa_float_denorm_mode_32 3
		.amdhsa_float_denorm_mode_16_64 3
		.amdhsa_dx10_clamp 1
		.amdhsa_ieee_mode 1
		.amdhsa_fp16_overflow 0
		.amdhsa_tg_split 0
		.amdhsa_exception_fp_ieee_invalid_op 0
		.amdhsa_exception_fp_denorm_src 0
		.amdhsa_exception_fp_ieee_div_zero 0
		.amdhsa_exception_fp_ieee_overflow 0
		.amdhsa_exception_fp_ieee_underflow 0
		.amdhsa_exception_fp_ieee_inexact 0
		.amdhsa_exception_int_div_zero 0
	.end_amdhsa_kernel
	.section	.text._ZN12_GLOBAL__N_121softmax_warp_backwardIN3c108BFloat16ES2_fLi0ELb0ELb1ELi64EEEvPT0_PKT_S7_iiiPKb,"axG",@progbits,_ZN12_GLOBAL__N_121softmax_warp_backwardIN3c108BFloat16ES2_fLi0ELb0ELb1ELi64EEEvPT0_PKT_S7_iiiPKb,comdat
.Lfunc_end834:
	.size	_ZN12_GLOBAL__N_121softmax_warp_backwardIN3c108BFloat16ES2_fLi0ELb0ELb1ELi64EEEvPT0_PKT_S7_iiiPKb, .Lfunc_end834-_ZN12_GLOBAL__N_121softmax_warp_backwardIN3c108BFloat16ES2_fLi0ELb0ELb1ELi64EEEvPT0_PKT_S7_iiiPKb
                                        ; -- End function
	.section	.AMDGPU.csdata,"",@progbits
; Kernel info:
; codeLenInByte = 644
; NumSgprs: 20
; NumVgprs: 14
; NumAgprs: 0
; TotalNumVgprs: 14
; ScratchSize: 0
; MemoryBound: 0
; FloatMode: 240
; IeeeMode: 1
; LDSByteSize: 0 bytes/workgroup (compile time only)
; SGPRBlocks: 2
; VGPRBlocks: 1
; NumSGPRsForWavesPerEU: 20
; NumVGPRsForWavesPerEU: 14
; AccumOffset: 16
; Occupancy: 8
; WaveLimiterHint : 0
; COMPUTE_PGM_RSRC2:SCRATCH_EN: 0
; COMPUTE_PGM_RSRC2:USER_SGPR: 6
; COMPUTE_PGM_RSRC2:TRAP_HANDLER: 0
; COMPUTE_PGM_RSRC2:TGID_X_EN: 1
; COMPUTE_PGM_RSRC2:TGID_Y_EN: 0
; COMPUTE_PGM_RSRC2:TGID_Z_EN: 0
; COMPUTE_PGM_RSRC2:TIDIG_COMP_CNT: 1
; COMPUTE_PGM_RSRC3_GFX90A:ACCUM_OFFSET: 3
; COMPUTE_PGM_RSRC3_GFX90A:TG_SPLIT: 0
	.section	.text._ZN12_GLOBAL__N_121softmax_warp_backwardIN3c108BFloat16ES2_fLi0ELb0ELb1ELi32EEEvPT0_PKT_S7_iiiPKb,"axG",@progbits,_ZN12_GLOBAL__N_121softmax_warp_backwardIN3c108BFloat16ES2_fLi0ELb0ELb1ELi32EEEvPT0_PKT_S7_iiiPKb,comdat
	.globl	_ZN12_GLOBAL__N_121softmax_warp_backwardIN3c108BFloat16ES2_fLi0ELb0ELb1ELi32EEEvPT0_PKT_S7_iiiPKb ; -- Begin function _ZN12_GLOBAL__N_121softmax_warp_backwardIN3c108BFloat16ES2_fLi0ELb0ELb1ELi32EEEvPT0_PKT_S7_iiiPKb
	.p2align	8
	.type	_ZN12_GLOBAL__N_121softmax_warp_backwardIN3c108BFloat16ES2_fLi0ELb0ELb1ELi32EEEvPT0_PKT_S7_iiiPKb,@function
_ZN12_GLOBAL__N_121softmax_warp_backwardIN3c108BFloat16ES2_fLi0ELb0ELb1ELi32EEEvPT0_PKT_S7_iiiPKb: ; @_ZN12_GLOBAL__N_121softmax_warp_backwardIN3c108BFloat16ES2_fLi0ELb0ELb1ELi32EEEvPT0_PKT_S7_iiiPKb
; %bb.0:
	s_load_dword s2, s[4:5], 0x3c
	s_load_dwordx4 s[8:11], s[4:5], 0x18
	s_load_dwordx4 s[12:15], s[4:5], 0x0
	s_load_dwordx2 s[0:1], s[4:5], 0x10
	v_bfe_u32 v0, v0, 10, 10
	s_waitcnt lgkmcnt(0)
	s_lshr_b32 s2, s2, 16
	s_mul_i32 s6, s6, s2
	v_add_lshl_u32 v0, s6, v0, 1
	v_mul_lo_u32 v4, v0, s9
	v_ashrrev_i32_e32 v5, 31, v4
	v_sub_u32_e32 v2, s8, v0
	v_lshlrev_b64 v[0:1], 1, v[4:5]
	v_mov_b32_e32 v3, s15
	v_add_co_u32_e32 v6, vcc, s14, v0
	v_addc_co_u32_e32 v7, vcc, v3, v1, vcc
	v_mov_b32_e32 v3, s1
	v_add_co_u32_e32 v8, vcc, s0, v0
	v_addc_co_u32_e32 v9, vcc, v3, v1, vcc
	s_cmp_gt_i32 s10, 0
	s_cselect_b64 s[2:3], -1, 0
	v_cmp_lt_i32_e32 vcc, 0, v2
	s_and_b64 s[6:7], s[2:3], vcc
	v_mov_b32_e32 v10, 0
	v_mov_b32_e32 v11, 0
	;; [unrolled: 1-line block ×3, first 2 shown]
	s_and_saveexec_b64 s[0:1], s[6:7]
	s_cbranch_execz .LBB835_2
; %bb.1:
	global_load_ushort v3, v[8:9], off
	global_load_ushort v12, v[6:7], off
	s_waitcnt vmcnt(1)
	v_lshlrev_b32_e32 v11, 16, v3
	s_waitcnt vmcnt(0)
	v_lshlrev_b32_e32 v12, 16, v12
.LBB835_2:
	s_or_b64 exec, exec, s[0:1]
	v_cmp_lt_i32_e64 s[0:1], 1, v2
	s_and_b64 s[0:1], s[2:3], s[0:1]
	s_mov_b32 s11, 0
	v_mov_b32_e32 v3, 0
	s_and_saveexec_b64 s[6:7], s[0:1]
	s_cbranch_execz .LBB835_4
; %bb.3:
	s_lshl_b64 s[8:9], s[10:11], 1
	v_mov_b32_e32 v3, s9
	v_add_co_u32_e64 v6, s[0:1], s8, v6
	v_addc_co_u32_e64 v7, s[0:1], v7, v3, s[0:1]
	v_add_co_u32_e64 v8, s[0:1], s8, v8
	v_addc_co_u32_e64 v9, s[0:1], v9, v3, s[0:1]
	global_load_ushort v3, v[8:9], off
	global_load_ushort v13, v[6:7], off
	s_waitcnt vmcnt(1)
	v_lshlrev_b32_e32 v10, 16, v3
	s_waitcnt vmcnt(0)
	v_lshlrev_b32_e32 v3, 16, v13
.LBB835_4:
	s_or_b64 exec, exec, s[6:7]
	s_and_saveexec_b64 s[0:1], vcc
	s_cbranch_execz .LBB835_12
; %bb.5:
	s_load_dwordx2 s[0:1], s[4:5], 0x28
	v_mov_b32_e32 v8, s13
	v_cndmask_b32_e64 v9, 0, 1, s[2:3]
	v_add_co_u32_e64 v0, s[4:5], s12, v0
	s_waitcnt lgkmcnt(0)
	v_mov_b32_e32 v6, s1
	v_add_co_u32_e32 v4, vcc, s0, v4
	v_addc_co_u32_e32 v5, vcc, v6, v5, vcc
	global_load_ubyte v7, v[4:5], off
	s_ashr_i32 s0, s10, 31
	v_mov_b32_e32 v6, s0
	v_add_co_u32_e32 v4, vcc, s10, v4
	v_addc_co_u32_e32 v5, vcc, v5, v6, vcc
	global_load_ubyte v6, v[4:5], off
	v_add_f32_e32 v4, 0, v12
	s_andn2_b64 vcc, exec, s[2:3]
	v_mov_b32_e32 v5, 0
	v_cmp_ne_u32_e64 s[0:1], 1, v9
	v_addc_co_u32_e64 v1, s[4:5], v8, v1, s[4:5]
	s_waitcnt vmcnt(1)
	v_and_b32_e32 v7, 1, v7
	v_cmp_eq_u32_e64 s[2:3], 1, v7
	v_cndmask_b32_e64 v4, v4, 0, s[2:3]
	s_cbranch_vccnz .LBB835_9
; %bb.6:
	s_xor_b64 s[4:5], s[2:3], -1
	v_mov_b32_e32 v7, v5
	s_and_saveexec_b64 s[2:3], s[4:5]
; %bb.7:
	v_fma_f32 v7, -v4, v11, v12
	v_bfe_u32 v8, v7, 16, 1
	s_movk_i32 s4, 0x7fff
	v_add3_u32 v8, v7, v8, s4
	v_lshrrev_b32_e32 v8, 16, v8
	v_mov_b32_e32 v9, 0x7fc0
	v_cmp_o_f32_e32 vcc, v7, v7
	v_cndmask_b32_e32 v7, v9, v8, vcc
; %bb.8:
	s_or_b64 exec, exec, s[2:3]
	global_store_short v[0:1], v7, off
.LBB835_9:
	v_cmp_ne_u32_e32 vcc, 1, v2
	s_and_b64 exec, exec, vcc
	s_cbranch_execz .LBB835_12
; %bb.10:
	s_and_b64 vcc, exec, s[0:1]
	s_cbranch_vccnz .LBB835_12
; %bb.11:
	s_waitcnt vmcnt(0)
	v_and_b32_e32 v2, 1, v6
	v_pk_add_f32 v[4:5], v[4:5], v[2:3]
	v_cmp_eq_u32_e32 vcc, 1, v2
	v_cndmask_b32_e64 v2, v5, 0, vcc
	v_fma_f32 v2, -v2, v10, v3
	v_bfe_u32 v3, v2, 16, 1
	s_movk_i32 s0, 0x7fff
	v_add3_u32 v3, v2, v3, s0
	v_lshrrev_b32_e32 v3, 16, v3
	v_mov_b32_e32 v4, 0x7fc0
	v_cmp_o_f32_e64 s[0:1], v2, v2
	v_cndmask_b32_e64 v2, v4, v3, s[0:1]
	s_lshl_b64 s[0:1], s[10:11], 1
	v_mov_b32_e32 v3, s1
	v_add_co_u32_e64 v0, s[0:1], s0, v0
	v_addc_co_u32_e64 v1, s[0:1], v1, v3, s[0:1]
	v_cndmask_b32_e64 v2, v2, 0, vcc
	global_store_short v[0:1], v2, off
.LBB835_12:
	s_endpgm
	.section	.rodata,"a",@progbits
	.p2align	6, 0x0
	.amdhsa_kernel _ZN12_GLOBAL__N_121softmax_warp_backwardIN3c108BFloat16ES2_fLi0ELb0ELb1ELi32EEEvPT0_PKT_S7_iiiPKb
		.amdhsa_group_segment_fixed_size 0
		.amdhsa_private_segment_fixed_size 0
		.amdhsa_kernarg_size 304
		.amdhsa_user_sgpr_count 6
		.amdhsa_user_sgpr_private_segment_buffer 1
		.amdhsa_user_sgpr_dispatch_ptr 0
		.amdhsa_user_sgpr_queue_ptr 0
		.amdhsa_user_sgpr_kernarg_segment_ptr 1
		.amdhsa_user_sgpr_dispatch_id 0
		.amdhsa_user_sgpr_flat_scratch_init 0
		.amdhsa_user_sgpr_kernarg_preload_length 0
		.amdhsa_user_sgpr_kernarg_preload_offset 0
		.amdhsa_user_sgpr_private_segment_size 0
		.amdhsa_uses_dynamic_stack 0
		.amdhsa_system_sgpr_private_segment_wavefront_offset 0
		.amdhsa_system_sgpr_workgroup_id_x 1
		.amdhsa_system_sgpr_workgroup_id_y 0
		.amdhsa_system_sgpr_workgroup_id_z 0
		.amdhsa_system_sgpr_workgroup_info 0
		.amdhsa_system_vgpr_workitem_id 1
		.amdhsa_next_free_vgpr 14
		.amdhsa_next_free_sgpr 16
		.amdhsa_accum_offset 16
		.amdhsa_reserve_vcc 1
		.amdhsa_reserve_flat_scratch 0
		.amdhsa_float_round_mode_32 0
		.amdhsa_float_round_mode_16_64 0
		.amdhsa_float_denorm_mode_32 3
		.amdhsa_float_denorm_mode_16_64 3
		.amdhsa_dx10_clamp 1
		.amdhsa_ieee_mode 1
		.amdhsa_fp16_overflow 0
		.amdhsa_tg_split 0
		.amdhsa_exception_fp_ieee_invalid_op 0
		.amdhsa_exception_fp_denorm_src 0
		.amdhsa_exception_fp_ieee_div_zero 0
		.amdhsa_exception_fp_ieee_overflow 0
		.amdhsa_exception_fp_ieee_underflow 0
		.amdhsa_exception_fp_ieee_inexact 0
		.amdhsa_exception_int_div_zero 0
	.end_amdhsa_kernel
	.section	.text._ZN12_GLOBAL__N_121softmax_warp_backwardIN3c108BFloat16ES2_fLi0ELb0ELb1ELi32EEEvPT0_PKT_S7_iiiPKb,"axG",@progbits,_ZN12_GLOBAL__N_121softmax_warp_backwardIN3c108BFloat16ES2_fLi0ELb0ELb1ELi32EEEvPT0_PKT_S7_iiiPKb,comdat
.Lfunc_end835:
	.size	_ZN12_GLOBAL__N_121softmax_warp_backwardIN3c108BFloat16ES2_fLi0ELb0ELb1ELi32EEEvPT0_PKT_S7_iiiPKb, .Lfunc_end835-_ZN12_GLOBAL__N_121softmax_warp_backwardIN3c108BFloat16ES2_fLi0ELb0ELb1ELi32EEEvPT0_PKT_S7_iiiPKb
                                        ; -- End function
	.section	.AMDGPU.csdata,"",@progbits
; Kernel info:
; codeLenInByte = 644
; NumSgprs: 20
; NumVgprs: 14
; NumAgprs: 0
; TotalNumVgprs: 14
; ScratchSize: 0
; MemoryBound: 0
; FloatMode: 240
; IeeeMode: 1
; LDSByteSize: 0 bytes/workgroup (compile time only)
; SGPRBlocks: 2
; VGPRBlocks: 1
; NumSGPRsForWavesPerEU: 20
; NumVGPRsForWavesPerEU: 14
; AccumOffset: 16
; Occupancy: 8
; WaveLimiterHint : 0
; COMPUTE_PGM_RSRC2:SCRATCH_EN: 0
; COMPUTE_PGM_RSRC2:USER_SGPR: 6
; COMPUTE_PGM_RSRC2:TRAP_HANDLER: 0
; COMPUTE_PGM_RSRC2:TGID_X_EN: 1
; COMPUTE_PGM_RSRC2:TGID_Y_EN: 0
; COMPUTE_PGM_RSRC2:TGID_Z_EN: 0
; COMPUTE_PGM_RSRC2:TIDIG_COMP_CNT: 1
; COMPUTE_PGM_RSRC3_GFX90A:ACCUM_OFFSET: 3
; COMPUTE_PGM_RSRC3_GFX90A:TG_SPLIT: 0
	.section	.text._ZN12_GLOBAL__N_121softmax_warp_backwardIN3c108BFloat16ES2_fLi1ELb0ELb1ELi64EEEvPT0_PKT_S7_iiiPKb,"axG",@progbits,_ZN12_GLOBAL__N_121softmax_warp_backwardIN3c108BFloat16ES2_fLi1ELb0ELb1ELi64EEEvPT0_PKT_S7_iiiPKb,comdat
	.globl	_ZN12_GLOBAL__N_121softmax_warp_backwardIN3c108BFloat16ES2_fLi1ELb0ELb1ELi64EEEvPT0_PKT_S7_iiiPKb ; -- Begin function _ZN12_GLOBAL__N_121softmax_warp_backwardIN3c108BFloat16ES2_fLi1ELb0ELb1ELi64EEEvPT0_PKT_S7_iiiPKb
	.p2align	8
	.type	_ZN12_GLOBAL__N_121softmax_warp_backwardIN3c108BFloat16ES2_fLi1ELb0ELb1ELi64EEEvPT0_PKT_S7_iiiPKb,@function
_ZN12_GLOBAL__N_121softmax_warp_backwardIN3c108BFloat16ES2_fLi1ELb0ELb1ELi64EEEvPT0_PKT_S7_iiiPKb: ; @_ZN12_GLOBAL__N_121softmax_warp_backwardIN3c108BFloat16ES2_fLi1ELb0ELb1ELi64EEEvPT0_PKT_S7_iiiPKb
; %bb.0:
	s_load_dword s2, s[4:5], 0x3c
	s_load_dwordx4 s[8:11], s[4:5], 0x18
	s_load_dwordx4 s[12:15], s[4:5], 0x0
	s_load_dwordx2 s[0:1], s[4:5], 0x10
	v_bfe_u32 v1, v0, 10, 10
	s_waitcnt lgkmcnt(0)
	s_lshr_b32 s2, s2, 16
	s_mul_i32 s6, s6, s2
	v_add_lshl_u32 v1, s6, v1, 1
	v_sub_u32_e32 v10, s8, v1
	v_mul_lo_u32 v1, v1, s9
	v_and_b32_e32 v0, 1, v0
	v_or_b32_e32 v4, v1, v0
	v_ashrrev_i32_e32 v5, 31, v4
	v_lshlrev_b64 v[2:3], 1, v[4:5]
	v_mov_b32_e32 v1, s15
	v_add_co_u32_e32 v6, vcc, s14, v2
	v_addc_co_u32_e32 v7, vcc, v1, v3, vcc
	v_mov_b32_e32 v1, s1
	v_add_co_u32_e32 v8, vcc, s0, v2
	v_addc_co_u32_e32 v9, vcc, v1, v3, vcc
	v_cmp_gt_i32_e32 vcc, s10, v0
	v_cmp_lt_i32_e64 s[0:1], 0, v10
	s_and_b64 s[6:7], vcc, s[0:1]
	v_mov_b32_e32 v0, 0
	v_mov_b32_e32 v11, 0
	;; [unrolled: 1-line block ×3, first 2 shown]
	s_and_saveexec_b64 s[2:3], s[6:7]
	s_cbranch_execz .LBB836_2
; %bb.1:
	global_load_ushort v1, v[8:9], off
	global_load_ushort v12, v[6:7], off
	s_waitcnt vmcnt(1)
	v_lshlrev_b32_e32 v11, 16, v1
	s_waitcnt vmcnt(0)
	v_lshlrev_b32_e32 v12, 16, v12
.LBB836_2:
	s_or_b64 exec, exec, s[2:3]
	v_cmp_lt_i32_e64 s[2:3], 1, v10
	s_and_b64 s[2:3], vcc, s[2:3]
	s_mov_b32 s11, 0
	v_mov_b32_e32 v1, 0
	s_and_saveexec_b64 s[6:7], s[2:3]
	s_cbranch_execz .LBB836_4
; %bb.3:
	s_lshl_b64 s[8:9], s[10:11], 1
	v_mov_b32_e32 v13, s9
	v_add_co_u32_e64 v0, s[2:3], s8, v6
	v_addc_co_u32_e64 v1, s[2:3], v7, v13, s[2:3]
	v_add_co_u32_e64 v6, s[2:3], s8, v8
	v_addc_co_u32_e64 v7, s[2:3], v9, v13, s[2:3]
	global_load_ushort v8, v[6:7], off
	global_load_ushort v9, v[0:1], off
	s_waitcnt vmcnt(1)
	v_lshlrev_b32_e32 v0, 16, v8
	s_waitcnt vmcnt(0)
	v_lshlrev_b32_e32 v1, 16, v9
.LBB836_4:
	s_or_b64 exec, exec, s[6:7]
	s_load_dwordx2 s[2:3], s[4:5], 0x28
	s_ashr_i32 s4, s10, 31
	v_mov_b32_e32 v7, s4
	v_mbcnt_lo_u32_b32 v8, -1, 0
	v_mbcnt_hi_u32_b32 v8, -1, v8
	s_waitcnt lgkmcnt(0)
	v_mov_b32_e32 v6, s3
	v_add_co_u32_e64 v4, s[2:3], s2, v4
	v_addc_co_u32_e64 v5, s[2:3], v6, v5, s[2:3]
	global_load_ubyte v6, v[4:5], off
	v_add_co_u32_e64 v4, s[2:3], s10, v4
	v_addc_co_u32_e64 v5, s[2:3], v5, v7, s[2:3]
	global_load_ubyte v7, v[4:5], off
	v_and_b32_e32 v13, 0x7e, v8
	v_xor_b32_e32 v9, 1, v8
	v_add_u32_e32 v13, 2, v13
	v_add_f32_e32 v4, 0, v12
	v_cmp_lt_i32_e64 s[2:3], v9, v13
	v_mov_b32_e32 v5, 0
	v_cndmask_b32_e64 v8, v8, v9, s[2:3]
	v_lshlrev_b32_e32 v8, 2, v8
	s_waitcnt vmcnt(1)
	v_and_b32_e32 v6, 1, v6
	v_cmp_eq_u32_e64 s[4:5], 1, v6
	v_cndmask_b32_e64 v4, v4, 0, s[4:5]
	s_waitcnt vmcnt(0)
	v_and_b32_e32 v9, 1, v7
	v_pk_add_f32 v[6:7], v[4:5], v[0:1]
	v_cmp_eq_u32_e64 s[2:3], 1, v9
	v_cndmask_b32_e64 v5, v7, 0, s[2:3]
	ds_bpermute_b32 v6, v8, v4
	ds_bpermute_b32 v7, v8, v5
	s_and_saveexec_b64 s[6:7], s[0:1]
	s_cbranch_execz .LBB836_12
; %bb.5:
	s_waitcnt lgkmcnt(0)
	v_pk_add_f32 v[4:5], v[4:5], v[6:7]
	v_mov_b32_e32 v6, s13
	v_add_co_u32_e64 v2, s[0:1], s12, v2
	v_addc_co_u32_e64 v3, s[0:1], v6, v3, s[0:1]
	s_and_saveexec_b64 s[6:7], vcc
	s_cbranch_execz .LBB836_9
; %bb.6:
	s_xor_b64 s[0:1], s[4:5], -1
	v_mov_b32_e32 v6, 0
	s_and_saveexec_b64 s[4:5], s[0:1]
; %bb.7:
	v_fma_f32 v4, -v4, v11, v12
	v_bfe_u32 v6, v4, 16, 1
	s_movk_i32 s0, 0x7fff
	v_add3_u32 v6, v4, v6, s0
	v_lshrrev_b32_e32 v6, 16, v6
	v_mov_b32_e32 v7, 0x7fc0
	v_cmp_o_f32_e64 s[0:1], v4, v4
	v_cndmask_b32_e64 v6, v7, v6, s[0:1]
; %bb.8:
	s_or_b64 exec, exec, s[4:5]
	global_store_short v[2:3], v6, off
.LBB836_9:
	s_or_b64 exec, exec, s[6:7]
	v_cmp_ne_u32_e64 s[0:1], 1, v10
	s_and_b64 exec, exec, s[0:1]
	s_cbranch_execz .LBB836_12
; %bb.10:
	s_and_b64 exec, exec, vcc
	s_cbranch_execz .LBB836_12
; %bb.11:
	v_fma_f32 v0, -v5, v0, v1
	v_bfe_u32 v1, v0, 16, 1
	s_movk_i32 s0, 0x7fff
	v_add3_u32 v1, v0, v1, s0
	v_lshrrev_b32_e32 v1, 16, v1
	v_mov_b32_e32 v4, 0x7fc0
	v_cmp_o_f32_e32 vcc, v0, v0
	s_lshl_b64 s[0:1], s[10:11], 1
	v_cndmask_b32_e32 v4, v4, v1, vcc
	v_mov_b32_e32 v1, s1
	v_add_co_u32_e32 v0, vcc, s0, v2
	v_addc_co_u32_e32 v1, vcc, v3, v1, vcc
	v_cndmask_b32_e64 v2, v4, 0, s[2:3]
	global_store_short v[0:1], v2, off
.LBB836_12:
	s_endpgm
	.section	.rodata,"a",@progbits
	.p2align	6, 0x0
	.amdhsa_kernel _ZN12_GLOBAL__N_121softmax_warp_backwardIN3c108BFloat16ES2_fLi1ELb0ELb1ELi64EEEvPT0_PKT_S7_iiiPKb
		.amdhsa_group_segment_fixed_size 0
		.amdhsa_private_segment_fixed_size 0
		.amdhsa_kernarg_size 304
		.amdhsa_user_sgpr_count 6
		.amdhsa_user_sgpr_private_segment_buffer 1
		.amdhsa_user_sgpr_dispatch_ptr 0
		.amdhsa_user_sgpr_queue_ptr 0
		.amdhsa_user_sgpr_kernarg_segment_ptr 1
		.amdhsa_user_sgpr_dispatch_id 0
		.amdhsa_user_sgpr_flat_scratch_init 0
		.amdhsa_user_sgpr_kernarg_preload_length 0
		.amdhsa_user_sgpr_kernarg_preload_offset 0
		.amdhsa_user_sgpr_private_segment_size 0
		.amdhsa_uses_dynamic_stack 0
		.amdhsa_system_sgpr_private_segment_wavefront_offset 0
		.amdhsa_system_sgpr_workgroup_id_x 1
		.amdhsa_system_sgpr_workgroup_id_y 0
		.amdhsa_system_sgpr_workgroup_id_z 0
		.amdhsa_system_sgpr_workgroup_info 0
		.amdhsa_system_vgpr_workitem_id 1
		.amdhsa_next_free_vgpr 14
		.amdhsa_next_free_sgpr 16
		.amdhsa_accum_offset 16
		.amdhsa_reserve_vcc 1
		.amdhsa_reserve_flat_scratch 0
		.amdhsa_float_round_mode_32 0
		.amdhsa_float_round_mode_16_64 0
		.amdhsa_float_denorm_mode_32 3
		.amdhsa_float_denorm_mode_16_64 3
		.amdhsa_dx10_clamp 1
		.amdhsa_ieee_mode 1
		.amdhsa_fp16_overflow 0
		.amdhsa_tg_split 0
		.amdhsa_exception_fp_ieee_invalid_op 0
		.amdhsa_exception_fp_denorm_src 0
		.amdhsa_exception_fp_ieee_div_zero 0
		.amdhsa_exception_fp_ieee_overflow 0
		.amdhsa_exception_fp_ieee_underflow 0
		.amdhsa_exception_fp_ieee_inexact 0
		.amdhsa_exception_int_div_zero 0
	.end_amdhsa_kernel
	.section	.text._ZN12_GLOBAL__N_121softmax_warp_backwardIN3c108BFloat16ES2_fLi1ELb0ELb1ELi64EEEvPT0_PKT_S7_iiiPKb,"axG",@progbits,_ZN12_GLOBAL__N_121softmax_warp_backwardIN3c108BFloat16ES2_fLi1ELb0ELb1ELi64EEEvPT0_PKT_S7_iiiPKb,comdat
.Lfunc_end836:
	.size	_ZN12_GLOBAL__N_121softmax_warp_backwardIN3c108BFloat16ES2_fLi1ELb0ELb1ELi64EEEvPT0_PKT_S7_iiiPKb, .Lfunc_end836-_ZN12_GLOBAL__N_121softmax_warp_backwardIN3c108BFloat16ES2_fLi1ELb0ELb1ELi64EEEvPT0_PKT_S7_iiiPKb
                                        ; -- End function
	.section	.AMDGPU.csdata,"",@progbits
; Kernel info:
; codeLenInByte = 736
; NumSgprs: 20
; NumVgprs: 14
; NumAgprs: 0
; TotalNumVgprs: 14
; ScratchSize: 0
; MemoryBound: 0
; FloatMode: 240
; IeeeMode: 1
; LDSByteSize: 0 bytes/workgroup (compile time only)
; SGPRBlocks: 2
; VGPRBlocks: 1
; NumSGPRsForWavesPerEU: 20
; NumVGPRsForWavesPerEU: 14
; AccumOffset: 16
; Occupancy: 8
; WaveLimiterHint : 0
; COMPUTE_PGM_RSRC2:SCRATCH_EN: 0
; COMPUTE_PGM_RSRC2:USER_SGPR: 6
; COMPUTE_PGM_RSRC2:TRAP_HANDLER: 0
; COMPUTE_PGM_RSRC2:TGID_X_EN: 1
; COMPUTE_PGM_RSRC2:TGID_Y_EN: 0
; COMPUTE_PGM_RSRC2:TGID_Z_EN: 0
; COMPUTE_PGM_RSRC2:TIDIG_COMP_CNT: 1
; COMPUTE_PGM_RSRC3_GFX90A:ACCUM_OFFSET: 3
; COMPUTE_PGM_RSRC3_GFX90A:TG_SPLIT: 0
	.section	.text._ZN12_GLOBAL__N_121softmax_warp_backwardIN3c108BFloat16ES2_fLi1ELb0ELb1ELi32EEEvPT0_PKT_S7_iiiPKb,"axG",@progbits,_ZN12_GLOBAL__N_121softmax_warp_backwardIN3c108BFloat16ES2_fLi1ELb0ELb1ELi32EEEvPT0_PKT_S7_iiiPKb,comdat
	.globl	_ZN12_GLOBAL__N_121softmax_warp_backwardIN3c108BFloat16ES2_fLi1ELb0ELb1ELi32EEEvPT0_PKT_S7_iiiPKb ; -- Begin function _ZN12_GLOBAL__N_121softmax_warp_backwardIN3c108BFloat16ES2_fLi1ELb0ELb1ELi32EEEvPT0_PKT_S7_iiiPKb
	.p2align	8
	.type	_ZN12_GLOBAL__N_121softmax_warp_backwardIN3c108BFloat16ES2_fLi1ELb0ELb1ELi32EEEvPT0_PKT_S7_iiiPKb,@function
_ZN12_GLOBAL__N_121softmax_warp_backwardIN3c108BFloat16ES2_fLi1ELb0ELb1ELi32EEEvPT0_PKT_S7_iiiPKb: ; @_ZN12_GLOBAL__N_121softmax_warp_backwardIN3c108BFloat16ES2_fLi1ELb0ELb1ELi32EEEvPT0_PKT_S7_iiiPKb
; %bb.0:
	s_load_dword s2, s[4:5], 0x3c
	s_load_dwordx4 s[8:11], s[4:5], 0x18
	s_load_dwordx4 s[12:15], s[4:5], 0x0
	s_load_dwordx2 s[0:1], s[4:5], 0x10
	v_bfe_u32 v1, v0, 10, 10
	s_waitcnt lgkmcnt(0)
	s_lshr_b32 s2, s2, 16
	s_mul_i32 s6, s6, s2
	v_add_lshl_u32 v1, s6, v1, 1
	v_sub_u32_e32 v10, s8, v1
	v_mul_lo_u32 v1, v1, s9
	v_and_b32_e32 v0, 1, v0
	v_or_b32_e32 v4, v1, v0
	v_ashrrev_i32_e32 v5, 31, v4
	v_lshlrev_b64 v[2:3], 1, v[4:5]
	v_mov_b32_e32 v1, s15
	v_add_co_u32_e32 v6, vcc, s14, v2
	v_addc_co_u32_e32 v7, vcc, v1, v3, vcc
	v_mov_b32_e32 v1, s1
	v_add_co_u32_e32 v8, vcc, s0, v2
	v_addc_co_u32_e32 v9, vcc, v1, v3, vcc
	v_cmp_gt_i32_e32 vcc, s10, v0
	v_cmp_lt_i32_e64 s[0:1], 0, v10
	s_and_b64 s[6:7], vcc, s[0:1]
	v_mov_b32_e32 v0, 0
	v_mov_b32_e32 v11, 0
	;; [unrolled: 1-line block ×3, first 2 shown]
	s_and_saveexec_b64 s[2:3], s[6:7]
	s_cbranch_execz .LBB837_2
; %bb.1:
	global_load_ushort v1, v[8:9], off
	global_load_ushort v12, v[6:7], off
	s_waitcnt vmcnt(1)
	v_lshlrev_b32_e32 v11, 16, v1
	s_waitcnt vmcnt(0)
	v_lshlrev_b32_e32 v12, 16, v12
.LBB837_2:
	s_or_b64 exec, exec, s[2:3]
	v_cmp_lt_i32_e64 s[2:3], 1, v10
	s_and_b64 s[2:3], vcc, s[2:3]
	s_mov_b32 s11, 0
	v_mov_b32_e32 v1, 0
	s_and_saveexec_b64 s[6:7], s[2:3]
	s_cbranch_execz .LBB837_4
; %bb.3:
	s_lshl_b64 s[8:9], s[10:11], 1
	v_mov_b32_e32 v13, s9
	v_add_co_u32_e64 v0, s[2:3], s8, v6
	v_addc_co_u32_e64 v1, s[2:3], v7, v13, s[2:3]
	v_add_co_u32_e64 v6, s[2:3], s8, v8
	v_addc_co_u32_e64 v7, s[2:3], v9, v13, s[2:3]
	global_load_ushort v8, v[6:7], off
	global_load_ushort v9, v[0:1], off
	s_waitcnt vmcnt(1)
	v_lshlrev_b32_e32 v0, 16, v8
	s_waitcnt vmcnt(0)
	v_lshlrev_b32_e32 v1, 16, v9
.LBB837_4:
	s_or_b64 exec, exec, s[6:7]
	s_load_dwordx2 s[2:3], s[4:5], 0x28
	s_ashr_i32 s4, s10, 31
	v_mov_b32_e32 v7, s4
	v_mbcnt_lo_u32_b32 v8, -1, 0
	v_mbcnt_hi_u32_b32 v8, -1, v8
	s_waitcnt lgkmcnt(0)
	v_mov_b32_e32 v6, s3
	v_add_co_u32_e64 v4, s[2:3], s2, v4
	v_addc_co_u32_e64 v5, s[2:3], v6, v5, s[2:3]
	global_load_ubyte v6, v[4:5], off
	v_add_co_u32_e64 v4, s[2:3], s10, v4
	v_addc_co_u32_e64 v5, s[2:3], v5, v7, s[2:3]
	global_load_ubyte v7, v[4:5], off
	v_and_b32_e32 v13, 0x7e, v8
	v_xor_b32_e32 v9, 1, v8
	v_add_u32_e32 v13, 2, v13
	v_add_f32_e32 v4, 0, v12
	v_cmp_lt_i32_e64 s[2:3], v9, v13
	v_mov_b32_e32 v5, 0
	v_cndmask_b32_e64 v8, v8, v9, s[2:3]
	v_lshlrev_b32_e32 v8, 2, v8
	s_waitcnt vmcnt(1)
	v_and_b32_e32 v6, 1, v6
	v_cmp_eq_u32_e64 s[4:5], 1, v6
	v_cndmask_b32_e64 v4, v4, 0, s[4:5]
	s_waitcnt vmcnt(0)
	v_and_b32_e32 v9, 1, v7
	v_pk_add_f32 v[6:7], v[4:5], v[0:1]
	v_cmp_eq_u32_e64 s[2:3], 1, v9
	v_cndmask_b32_e64 v5, v7, 0, s[2:3]
	ds_bpermute_b32 v6, v8, v4
	ds_bpermute_b32 v7, v8, v5
	s_and_saveexec_b64 s[6:7], s[0:1]
	s_cbranch_execz .LBB837_12
; %bb.5:
	s_waitcnt lgkmcnt(0)
	v_pk_add_f32 v[4:5], v[4:5], v[6:7]
	v_mov_b32_e32 v6, s13
	v_add_co_u32_e64 v2, s[0:1], s12, v2
	v_addc_co_u32_e64 v3, s[0:1], v6, v3, s[0:1]
	s_and_saveexec_b64 s[6:7], vcc
	s_cbranch_execz .LBB837_9
; %bb.6:
	s_xor_b64 s[0:1], s[4:5], -1
	v_mov_b32_e32 v6, 0
	s_and_saveexec_b64 s[4:5], s[0:1]
; %bb.7:
	v_fma_f32 v4, -v4, v11, v12
	v_bfe_u32 v6, v4, 16, 1
	s_movk_i32 s0, 0x7fff
	v_add3_u32 v6, v4, v6, s0
	v_lshrrev_b32_e32 v6, 16, v6
	v_mov_b32_e32 v7, 0x7fc0
	v_cmp_o_f32_e64 s[0:1], v4, v4
	v_cndmask_b32_e64 v6, v7, v6, s[0:1]
; %bb.8:
	s_or_b64 exec, exec, s[4:5]
	global_store_short v[2:3], v6, off
.LBB837_9:
	s_or_b64 exec, exec, s[6:7]
	v_cmp_ne_u32_e64 s[0:1], 1, v10
	s_and_b64 exec, exec, s[0:1]
	s_cbranch_execz .LBB837_12
; %bb.10:
	s_and_b64 exec, exec, vcc
	s_cbranch_execz .LBB837_12
; %bb.11:
	v_fma_f32 v0, -v5, v0, v1
	v_bfe_u32 v1, v0, 16, 1
	s_movk_i32 s0, 0x7fff
	v_add3_u32 v1, v0, v1, s0
	v_lshrrev_b32_e32 v1, 16, v1
	v_mov_b32_e32 v4, 0x7fc0
	v_cmp_o_f32_e32 vcc, v0, v0
	s_lshl_b64 s[0:1], s[10:11], 1
	v_cndmask_b32_e32 v4, v4, v1, vcc
	v_mov_b32_e32 v1, s1
	v_add_co_u32_e32 v0, vcc, s0, v2
	v_addc_co_u32_e32 v1, vcc, v3, v1, vcc
	v_cndmask_b32_e64 v2, v4, 0, s[2:3]
	global_store_short v[0:1], v2, off
.LBB837_12:
	s_endpgm
	.section	.rodata,"a",@progbits
	.p2align	6, 0x0
	.amdhsa_kernel _ZN12_GLOBAL__N_121softmax_warp_backwardIN3c108BFloat16ES2_fLi1ELb0ELb1ELi32EEEvPT0_PKT_S7_iiiPKb
		.amdhsa_group_segment_fixed_size 0
		.amdhsa_private_segment_fixed_size 0
		.amdhsa_kernarg_size 304
		.amdhsa_user_sgpr_count 6
		.amdhsa_user_sgpr_private_segment_buffer 1
		.amdhsa_user_sgpr_dispatch_ptr 0
		.amdhsa_user_sgpr_queue_ptr 0
		.amdhsa_user_sgpr_kernarg_segment_ptr 1
		.amdhsa_user_sgpr_dispatch_id 0
		.amdhsa_user_sgpr_flat_scratch_init 0
		.amdhsa_user_sgpr_kernarg_preload_length 0
		.amdhsa_user_sgpr_kernarg_preload_offset 0
		.amdhsa_user_sgpr_private_segment_size 0
		.amdhsa_uses_dynamic_stack 0
		.amdhsa_system_sgpr_private_segment_wavefront_offset 0
		.amdhsa_system_sgpr_workgroup_id_x 1
		.amdhsa_system_sgpr_workgroup_id_y 0
		.amdhsa_system_sgpr_workgroup_id_z 0
		.amdhsa_system_sgpr_workgroup_info 0
		.amdhsa_system_vgpr_workitem_id 1
		.amdhsa_next_free_vgpr 14
		.amdhsa_next_free_sgpr 16
		.amdhsa_accum_offset 16
		.amdhsa_reserve_vcc 1
		.amdhsa_reserve_flat_scratch 0
		.amdhsa_float_round_mode_32 0
		.amdhsa_float_round_mode_16_64 0
		.amdhsa_float_denorm_mode_32 3
		.amdhsa_float_denorm_mode_16_64 3
		.amdhsa_dx10_clamp 1
		.amdhsa_ieee_mode 1
		.amdhsa_fp16_overflow 0
		.amdhsa_tg_split 0
		.amdhsa_exception_fp_ieee_invalid_op 0
		.amdhsa_exception_fp_denorm_src 0
		.amdhsa_exception_fp_ieee_div_zero 0
		.amdhsa_exception_fp_ieee_overflow 0
		.amdhsa_exception_fp_ieee_underflow 0
		.amdhsa_exception_fp_ieee_inexact 0
		.amdhsa_exception_int_div_zero 0
	.end_amdhsa_kernel
	.section	.text._ZN12_GLOBAL__N_121softmax_warp_backwardIN3c108BFloat16ES2_fLi1ELb0ELb1ELi32EEEvPT0_PKT_S7_iiiPKb,"axG",@progbits,_ZN12_GLOBAL__N_121softmax_warp_backwardIN3c108BFloat16ES2_fLi1ELb0ELb1ELi32EEEvPT0_PKT_S7_iiiPKb,comdat
.Lfunc_end837:
	.size	_ZN12_GLOBAL__N_121softmax_warp_backwardIN3c108BFloat16ES2_fLi1ELb0ELb1ELi32EEEvPT0_PKT_S7_iiiPKb, .Lfunc_end837-_ZN12_GLOBAL__N_121softmax_warp_backwardIN3c108BFloat16ES2_fLi1ELb0ELb1ELi32EEEvPT0_PKT_S7_iiiPKb
                                        ; -- End function
	.section	.AMDGPU.csdata,"",@progbits
; Kernel info:
; codeLenInByte = 736
; NumSgprs: 20
; NumVgprs: 14
; NumAgprs: 0
; TotalNumVgprs: 14
; ScratchSize: 0
; MemoryBound: 0
; FloatMode: 240
; IeeeMode: 1
; LDSByteSize: 0 bytes/workgroup (compile time only)
; SGPRBlocks: 2
; VGPRBlocks: 1
; NumSGPRsForWavesPerEU: 20
; NumVGPRsForWavesPerEU: 14
; AccumOffset: 16
; Occupancy: 8
; WaveLimiterHint : 0
; COMPUTE_PGM_RSRC2:SCRATCH_EN: 0
; COMPUTE_PGM_RSRC2:USER_SGPR: 6
; COMPUTE_PGM_RSRC2:TRAP_HANDLER: 0
; COMPUTE_PGM_RSRC2:TGID_X_EN: 1
; COMPUTE_PGM_RSRC2:TGID_Y_EN: 0
; COMPUTE_PGM_RSRC2:TGID_Z_EN: 0
; COMPUTE_PGM_RSRC2:TIDIG_COMP_CNT: 1
; COMPUTE_PGM_RSRC3_GFX90A:ACCUM_OFFSET: 3
; COMPUTE_PGM_RSRC3_GFX90A:TG_SPLIT: 0
	.section	.text._ZN12_GLOBAL__N_121softmax_warp_backwardIN3c108BFloat16ES2_fLi2ELb0ELb1ELi64EEEvPT0_PKT_S7_iiiPKb,"axG",@progbits,_ZN12_GLOBAL__N_121softmax_warp_backwardIN3c108BFloat16ES2_fLi2ELb0ELb1ELi64EEEvPT0_PKT_S7_iiiPKb,comdat
	.globl	_ZN12_GLOBAL__N_121softmax_warp_backwardIN3c108BFloat16ES2_fLi2ELb0ELb1ELi64EEEvPT0_PKT_S7_iiiPKb ; -- Begin function _ZN12_GLOBAL__N_121softmax_warp_backwardIN3c108BFloat16ES2_fLi2ELb0ELb1ELi64EEEvPT0_PKT_S7_iiiPKb
	.p2align	8
	.type	_ZN12_GLOBAL__N_121softmax_warp_backwardIN3c108BFloat16ES2_fLi2ELb0ELb1ELi64EEEvPT0_PKT_S7_iiiPKb,@function
_ZN12_GLOBAL__N_121softmax_warp_backwardIN3c108BFloat16ES2_fLi2ELb0ELb1ELi64EEEvPT0_PKT_S7_iiiPKb: ; @_ZN12_GLOBAL__N_121softmax_warp_backwardIN3c108BFloat16ES2_fLi2ELb0ELb1ELi64EEEvPT0_PKT_S7_iiiPKb
; %bb.0:
	s_load_dword s2, s[4:5], 0x3c
	s_load_dwordx4 s[8:11], s[4:5], 0x18
	s_load_dwordx4 s[12:15], s[4:5], 0x0
	s_load_dwordx2 s[0:1], s[4:5], 0x10
	v_bfe_u32 v1, v0, 10, 10
	s_waitcnt lgkmcnt(0)
	s_lshr_b32 s2, s2, 16
	s_mul_i32 s6, s6, s2
	v_add_lshl_u32 v1, s6, v1, 1
	v_and_b32_e32 v10, 3, v0
	v_mad_u64_u32 v[4:5], s[2:3], v1, s9, v[10:11]
	v_ashrrev_i32_e32 v5, 31, v4
	v_sub_u32_e32 v2, s8, v1
	v_lshlrev_b64 v[0:1], 1, v[4:5]
	v_mov_b32_e32 v3, s15
	v_add_co_u32_e32 v6, vcc, s14, v0
	v_addc_co_u32_e32 v7, vcc, v3, v1, vcc
	v_mov_b32_e32 v3, s1
	v_add_co_u32_e32 v8, vcc, s0, v0
	v_addc_co_u32_e32 v9, vcc, v3, v1, vcc
	v_cmp_gt_i32_e32 vcc, s10, v10
	v_cmp_lt_i32_e64 s[0:1], 0, v2
	s_and_b64 s[6:7], vcc, s[0:1]
	v_mov_b32_e32 v10, 0
	v_mov_b32_e32 v11, 0
	;; [unrolled: 1-line block ×3, first 2 shown]
	s_and_saveexec_b64 s[2:3], s[6:7]
	s_cbranch_execz .LBB838_2
; %bb.1:
	global_load_ushort v3, v[8:9], off
	global_load_ushort v12, v[6:7], off
	s_waitcnt vmcnt(1)
	v_lshlrev_b32_e32 v11, 16, v3
	s_waitcnt vmcnt(0)
	v_lshlrev_b32_e32 v12, 16, v12
.LBB838_2:
	s_or_b64 exec, exec, s[2:3]
	v_cmp_lt_i32_e64 s[2:3], 1, v2
	s_and_b64 s[2:3], vcc, s[2:3]
	s_mov_b32 s11, 0
	v_mov_b32_e32 v3, 0
	s_and_saveexec_b64 s[6:7], s[2:3]
	s_cbranch_execz .LBB838_4
; %bb.3:
	s_lshl_b64 s[8:9], s[10:11], 1
	v_mov_b32_e32 v3, s9
	v_add_co_u32_e64 v6, s[2:3], s8, v6
	v_addc_co_u32_e64 v7, s[2:3], v7, v3, s[2:3]
	v_add_co_u32_e64 v8, s[2:3], s8, v8
	v_addc_co_u32_e64 v9, s[2:3], v9, v3, s[2:3]
	global_load_ushort v3, v[8:9], off
	global_load_ushort v13, v[6:7], off
	s_waitcnt vmcnt(1)
	v_lshlrev_b32_e32 v10, 16, v3
	s_waitcnt vmcnt(0)
	v_lshlrev_b32_e32 v3, 16, v13
.LBB838_4:
	s_or_b64 exec, exec, s[6:7]
	s_load_dwordx2 s[2:3], s[4:5], 0x28
	s_ashr_i32 s4, s10, 31
	v_mov_b32_e32 v7, s4
	v_add_f32_e32 v8, 0, v12
	s_waitcnt lgkmcnt(0)
	v_mov_b32_e32 v6, s3
	v_add_co_u32_e64 v4, s[2:3], s2, v4
	v_addc_co_u32_e64 v5, s[2:3], v6, v5, s[2:3]
	global_load_ubyte v6, v[4:5], off
	v_add_co_u32_e64 v4, s[2:3], s10, v4
	v_addc_co_u32_e64 v5, s[2:3], v5, v7, s[2:3]
	global_load_ubyte v7, v[4:5], off
	v_pk_add_f32 v[4:5], v[2:3], s[10:11]
	v_mbcnt_lo_u32_b32 v4, -1, 0
	v_mbcnt_hi_u32_b32 v9, -1, v4
	v_and_b32_e32 v4, 0x7c, v9
	v_xor_b32_e32 v13, 2, v9
	v_add_u32_e32 v14, 4, v4
	v_cmp_lt_i32_e64 s[2:3], v13, v14
	v_cndmask_b32_e64 v4, v9, v13, s[2:3]
	v_lshlrev_b32_e32 v13, 2, v4
	s_waitcnt vmcnt(1)
	v_and_b32_e32 v4, 1, v6
	v_cmp_eq_u32_e64 s[4:5], 1, v4
	v_cndmask_b32_e64 v4, v8, 0, s[4:5]
	v_xor_b32_e32 v8, 1, v9
	v_cmp_lt_i32_e64 s[6:7], v8, v14
	s_waitcnt vmcnt(0)
	v_and_b32_e32 v6, 1, v7
	v_cmp_eq_u32_e64 s[2:3], 1, v6
	v_cndmask_b32_e64 v5, v5, 0, s[2:3]
	ds_bpermute_b32 v6, v13, v4
	ds_bpermute_b32 v7, v13, v5
	v_cndmask_b32_e64 v8, v9, v8, s[6:7]
	v_lshlrev_b32_e32 v8, 2, v8
	s_waitcnt lgkmcnt(0)
	v_pk_add_f32 v[4:5], v[4:5], v[6:7]
	ds_bpermute_b32 v6, v8, v4
	ds_bpermute_b32 v7, v8, v5
	s_and_saveexec_b64 s[6:7], s[0:1]
	s_cbranch_execz .LBB838_12
; %bb.5:
	s_waitcnt lgkmcnt(0)
	v_pk_add_f32 v[4:5], v[4:5], v[6:7]
	v_mov_b32_e32 v6, s13
	v_add_co_u32_e64 v0, s[0:1], s12, v0
	v_addc_co_u32_e64 v1, s[0:1], v6, v1, s[0:1]
	s_and_saveexec_b64 s[6:7], vcc
	s_cbranch_execz .LBB838_9
; %bb.6:
	s_xor_b64 s[0:1], s[4:5], -1
	v_mov_b32_e32 v6, 0
	s_and_saveexec_b64 s[4:5], s[0:1]
; %bb.7:
	v_fma_f32 v4, -v4, v11, v12
	v_bfe_u32 v6, v4, 16, 1
	s_movk_i32 s0, 0x7fff
	v_add3_u32 v6, v4, v6, s0
	v_lshrrev_b32_e32 v6, 16, v6
	v_mov_b32_e32 v7, 0x7fc0
	v_cmp_o_f32_e64 s[0:1], v4, v4
	v_cndmask_b32_e64 v6, v7, v6, s[0:1]
; %bb.8:
	s_or_b64 exec, exec, s[4:5]
	global_store_short v[0:1], v6, off
.LBB838_9:
	s_or_b64 exec, exec, s[6:7]
	v_cmp_ne_u32_e64 s[0:1], 1, v2
	s_and_b64 exec, exec, s[0:1]
	s_cbranch_execz .LBB838_12
; %bb.10:
	s_and_b64 exec, exec, vcc
	s_cbranch_execz .LBB838_12
; %bb.11:
	v_fma_f32 v2, -v5, v10, v3
	v_bfe_u32 v3, v2, 16, 1
	s_movk_i32 s0, 0x7fff
	v_add3_u32 v3, v2, v3, s0
	v_lshrrev_b32_e32 v3, 16, v3
	v_mov_b32_e32 v4, 0x7fc0
	v_cmp_o_f32_e32 vcc, v2, v2
	s_lshl_b64 s[0:1], s[10:11], 1
	v_cndmask_b32_e32 v2, v4, v3, vcc
	v_mov_b32_e32 v3, s1
	v_add_co_u32_e32 v0, vcc, s0, v0
	v_addc_co_u32_e32 v1, vcc, v1, v3, vcc
	v_cndmask_b32_e64 v2, v2, 0, s[2:3]
	global_store_short v[0:1], v2, off
.LBB838_12:
	s_endpgm
	.section	.rodata,"a",@progbits
	.p2align	6, 0x0
	.amdhsa_kernel _ZN12_GLOBAL__N_121softmax_warp_backwardIN3c108BFloat16ES2_fLi2ELb0ELb1ELi64EEEvPT0_PKT_S7_iiiPKb
		.amdhsa_group_segment_fixed_size 0
		.amdhsa_private_segment_fixed_size 0
		.amdhsa_kernarg_size 304
		.amdhsa_user_sgpr_count 6
		.amdhsa_user_sgpr_private_segment_buffer 1
		.amdhsa_user_sgpr_dispatch_ptr 0
		.amdhsa_user_sgpr_queue_ptr 0
		.amdhsa_user_sgpr_kernarg_segment_ptr 1
		.amdhsa_user_sgpr_dispatch_id 0
		.amdhsa_user_sgpr_flat_scratch_init 0
		.amdhsa_user_sgpr_kernarg_preload_length 0
		.amdhsa_user_sgpr_kernarg_preload_offset 0
		.amdhsa_user_sgpr_private_segment_size 0
		.amdhsa_uses_dynamic_stack 0
		.amdhsa_system_sgpr_private_segment_wavefront_offset 0
		.amdhsa_system_sgpr_workgroup_id_x 1
		.amdhsa_system_sgpr_workgroup_id_y 0
		.amdhsa_system_sgpr_workgroup_id_z 0
		.amdhsa_system_sgpr_workgroup_info 0
		.amdhsa_system_vgpr_workitem_id 1
		.amdhsa_next_free_vgpr 15
		.amdhsa_next_free_sgpr 16
		.amdhsa_accum_offset 16
		.amdhsa_reserve_vcc 1
		.amdhsa_reserve_flat_scratch 0
		.amdhsa_float_round_mode_32 0
		.amdhsa_float_round_mode_16_64 0
		.amdhsa_float_denorm_mode_32 3
		.amdhsa_float_denorm_mode_16_64 3
		.amdhsa_dx10_clamp 1
		.amdhsa_ieee_mode 1
		.amdhsa_fp16_overflow 0
		.amdhsa_tg_split 0
		.amdhsa_exception_fp_ieee_invalid_op 0
		.amdhsa_exception_fp_denorm_src 0
		.amdhsa_exception_fp_ieee_div_zero 0
		.amdhsa_exception_fp_ieee_overflow 0
		.amdhsa_exception_fp_ieee_underflow 0
		.amdhsa_exception_fp_ieee_inexact 0
		.amdhsa_exception_int_div_zero 0
	.end_amdhsa_kernel
	.section	.text._ZN12_GLOBAL__N_121softmax_warp_backwardIN3c108BFloat16ES2_fLi2ELb0ELb1ELi64EEEvPT0_PKT_S7_iiiPKb,"axG",@progbits,_ZN12_GLOBAL__N_121softmax_warp_backwardIN3c108BFloat16ES2_fLi2ELb0ELb1ELi64EEEvPT0_PKT_S7_iiiPKb,comdat
.Lfunc_end838:
	.size	_ZN12_GLOBAL__N_121softmax_warp_backwardIN3c108BFloat16ES2_fLi2ELb0ELb1ELi64EEEvPT0_PKT_S7_iiiPKb, .Lfunc_end838-_ZN12_GLOBAL__N_121softmax_warp_backwardIN3c108BFloat16ES2_fLi2ELb0ELb1ELi64EEEvPT0_PKT_S7_iiiPKb
                                        ; -- End function
	.section	.AMDGPU.csdata,"",@progbits
; Kernel info:
; codeLenInByte = 780
; NumSgprs: 20
; NumVgprs: 15
; NumAgprs: 0
; TotalNumVgprs: 15
; ScratchSize: 0
; MemoryBound: 0
; FloatMode: 240
; IeeeMode: 1
; LDSByteSize: 0 bytes/workgroup (compile time only)
; SGPRBlocks: 2
; VGPRBlocks: 1
; NumSGPRsForWavesPerEU: 20
; NumVGPRsForWavesPerEU: 15
; AccumOffset: 16
; Occupancy: 8
; WaveLimiterHint : 0
; COMPUTE_PGM_RSRC2:SCRATCH_EN: 0
; COMPUTE_PGM_RSRC2:USER_SGPR: 6
; COMPUTE_PGM_RSRC2:TRAP_HANDLER: 0
; COMPUTE_PGM_RSRC2:TGID_X_EN: 1
; COMPUTE_PGM_RSRC2:TGID_Y_EN: 0
; COMPUTE_PGM_RSRC2:TGID_Z_EN: 0
; COMPUTE_PGM_RSRC2:TIDIG_COMP_CNT: 1
; COMPUTE_PGM_RSRC3_GFX90A:ACCUM_OFFSET: 3
; COMPUTE_PGM_RSRC3_GFX90A:TG_SPLIT: 0
	.section	.text._ZN12_GLOBAL__N_121softmax_warp_backwardIN3c108BFloat16ES2_fLi2ELb0ELb1ELi32EEEvPT0_PKT_S7_iiiPKb,"axG",@progbits,_ZN12_GLOBAL__N_121softmax_warp_backwardIN3c108BFloat16ES2_fLi2ELb0ELb1ELi32EEEvPT0_PKT_S7_iiiPKb,comdat
	.globl	_ZN12_GLOBAL__N_121softmax_warp_backwardIN3c108BFloat16ES2_fLi2ELb0ELb1ELi32EEEvPT0_PKT_S7_iiiPKb ; -- Begin function _ZN12_GLOBAL__N_121softmax_warp_backwardIN3c108BFloat16ES2_fLi2ELb0ELb1ELi32EEEvPT0_PKT_S7_iiiPKb
	.p2align	8
	.type	_ZN12_GLOBAL__N_121softmax_warp_backwardIN3c108BFloat16ES2_fLi2ELb0ELb1ELi32EEEvPT0_PKT_S7_iiiPKb,@function
_ZN12_GLOBAL__N_121softmax_warp_backwardIN3c108BFloat16ES2_fLi2ELb0ELb1ELi32EEEvPT0_PKT_S7_iiiPKb: ; @_ZN12_GLOBAL__N_121softmax_warp_backwardIN3c108BFloat16ES2_fLi2ELb0ELb1ELi32EEEvPT0_PKT_S7_iiiPKb
; %bb.0:
	s_load_dword s2, s[4:5], 0x3c
	s_load_dwordx4 s[8:11], s[4:5], 0x18
	s_load_dwordx4 s[12:15], s[4:5], 0x0
	s_load_dwordx2 s[0:1], s[4:5], 0x10
	v_bfe_u32 v1, v0, 10, 10
	s_waitcnt lgkmcnt(0)
	s_lshr_b32 s2, s2, 16
	s_mul_i32 s6, s6, s2
	v_add_lshl_u32 v1, s6, v1, 1
	v_and_b32_e32 v10, 3, v0
	v_mad_u64_u32 v[4:5], s[2:3], v1, s9, v[10:11]
	v_ashrrev_i32_e32 v5, 31, v4
	v_sub_u32_e32 v2, s8, v1
	v_lshlrev_b64 v[0:1], 1, v[4:5]
	v_mov_b32_e32 v3, s15
	v_add_co_u32_e32 v6, vcc, s14, v0
	v_addc_co_u32_e32 v7, vcc, v3, v1, vcc
	v_mov_b32_e32 v3, s1
	v_add_co_u32_e32 v8, vcc, s0, v0
	v_addc_co_u32_e32 v9, vcc, v3, v1, vcc
	v_cmp_gt_i32_e32 vcc, s10, v10
	v_cmp_lt_i32_e64 s[0:1], 0, v2
	s_and_b64 s[6:7], vcc, s[0:1]
	v_mov_b32_e32 v10, 0
	v_mov_b32_e32 v11, 0
	;; [unrolled: 1-line block ×3, first 2 shown]
	s_and_saveexec_b64 s[2:3], s[6:7]
	s_cbranch_execz .LBB839_2
; %bb.1:
	global_load_ushort v3, v[8:9], off
	global_load_ushort v12, v[6:7], off
	s_waitcnt vmcnt(1)
	v_lshlrev_b32_e32 v11, 16, v3
	s_waitcnt vmcnt(0)
	v_lshlrev_b32_e32 v12, 16, v12
.LBB839_2:
	s_or_b64 exec, exec, s[2:3]
	v_cmp_lt_i32_e64 s[2:3], 1, v2
	s_and_b64 s[2:3], vcc, s[2:3]
	s_mov_b32 s11, 0
	v_mov_b32_e32 v3, 0
	s_and_saveexec_b64 s[6:7], s[2:3]
	s_cbranch_execz .LBB839_4
; %bb.3:
	s_lshl_b64 s[8:9], s[10:11], 1
	v_mov_b32_e32 v3, s9
	v_add_co_u32_e64 v6, s[2:3], s8, v6
	v_addc_co_u32_e64 v7, s[2:3], v7, v3, s[2:3]
	v_add_co_u32_e64 v8, s[2:3], s8, v8
	v_addc_co_u32_e64 v9, s[2:3], v9, v3, s[2:3]
	global_load_ushort v3, v[8:9], off
	global_load_ushort v13, v[6:7], off
	s_waitcnt vmcnt(1)
	v_lshlrev_b32_e32 v10, 16, v3
	s_waitcnt vmcnt(0)
	v_lshlrev_b32_e32 v3, 16, v13
.LBB839_4:
	s_or_b64 exec, exec, s[6:7]
	s_load_dwordx2 s[2:3], s[4:5], 0x28
	s_ashr_i32 s4, s10, 31
	v_mov_b32_e32 v7, s4
	v_add_f32_e32 v8, 0, v12
	s_waitcnt lgkmcnt(0)
	v_mov_b32_e32 v6, s3
	v_add_co_u32_e64 v4, s[2:3], s2, v4
	v_addc_co_u32_e64 v5, s[2:3], v6, v5, s[2:3]
	global_load_ubyte v6, v[4:5], off
	v_add_co_u32_e64 v4, s[2:3], s10, v4
	v_addc_co_u32_e64 v5, s[2:3], v5, v7, s[2:3]
	global_load_ubyte v7, v[4:5], off
	v_pk_add_f32 v[4:5], v[2:3], s[10:11]
	v_mbcnt_lo_u32_b32 v4, -1, 0
	v_mbcnt_hi_u32_b32 v9, -1, v4
	v_and_b32_e32 v4, 0x7c, v9
	v_xor_b32_e32 v13, 2, v9
	v_add_u32_e32 v14, 4, v4
	v_cmp_lt_i32_e64 s[2:3], v13, v14
	v_cndmask_b32_e64 v4, v9, v13, s[2:3]
	v_lshlrev_b32_e32 v13, 2, v4
	s_waitcnt vmcnt(1)
	v_and_b32_e32 v4, 1, v6
	v_cmp_eq_u32_e64 s[4:5], 1, v4
	v_cndmask_b32_e64 v4, v8, 0, s[4:5]
	v_xor_b32_e32 v8, 1, v9
	v_cmp_lt_i32_e64 s[6:7], v8, v14
	s_waitcnt vmcnt(0)
	v_and_b32_e32 v6, 1, v7
	v_cmp_eq_u32_e64 s[2:3], 1, v6
	v_cndmask_b32_e64 v5, v5, 0, s[2:3]
	ds_bpermute_b32 v6, v13, v4
	ds_bpermute_b32 v7, v13, v5
	v_cndmask_b32_e64 v8, v9, v8, s[6:7]
	v_lshlrev_b32_e32 v8, 2, v8
	s_waitcnt lgkmcnt(0)
	v_pk_add_f32 v[4:5], v[4:5], v[6:7]
	ds_bpermute_b32 v6, v8, v4
	ds_bpermute_b32 v7, v8, v5
	s_and_saveexec_b64 s[6:7], s[0:1]
	s_cbranch_execz .LBB839_12
; %bb.5:
	s_waitcnt lgkmcnt(0)
	v_pk_add_f32 v[4:5], v[4:5], v[6:7]
	v_mov_b32_e32 v6, s13
	v_add_co_u32_e64 v0, s[0:1], s12, v0
	v_addc_co_u32_e64 v1, s[0:1], v6, v1, s[0:1]
	s_and_saveexec_b64 s[6:7], vcc
	s_cbranch_execz .LBB839_9
; %bb.6:
	s_xor_b64 s[0:1], s[4:5], -1
	v_mov_b32_e32 v6, 0
	s_and_saveexec_b64 s[4:5], s[0:1]
; %bb.7:
	v_fma_f32 v4, -v4, v11, v12
	v_bfe_u32 v6, v4, 16, 1
	s_movk_i32 s0, 0x7fff
	v_add3_u32 v6, v4, v6, s0
	v_lshrrev_b32_e32 v6, 16, v6
	v_mov_b32_e32 v7, 0x7fc0
	v_cmp_o_f32_e64 s[0:1], v4, v4
	v_cndmask_b32_e64 v6, v7, v6, s[0:1]
; %bb.8:
	s_or_b64 exec, exec, s[4:5]
	global_store_short v[0:1], v6, off
.LBB839_9:
	s_or_b64 exec, exec, s[6:7]
	v_cmp_ne_u32_e64 s[0:1], 1, v2
	s_and_b64 exec, exec, s[0:1]
	s_cbranch_execz .LBB839_12
; %bb.10:
	s_and_b64 exec, exec, vcc
	s_cbranch_execz .LBB839_12
; %bb.11:
	v_fma_f32 v2, -v5, v10, v3
	v_bfe_u32 v3, v2, 16, 1
	s_movk_i32 s0, 0x7fff
	v_add3_u32 v3, v2, v3, s0
	v_lshrrev_b32_e32 v3, 16, v3
	v_mov_b32_e32 v4, 0x7fc0
	v_cmp_o_f32_e32 vcc, v2, v2
	s_lshl_b64 s[0:1], s[10:11], 1
	v_cndmask_b32_e32 v2, v4, v3, vcc
	v_mov_b32_e32 v3, s1
	v_add_co_u32_e32 v0, vcc, s0, v0
	v_addc_co_u32_e32 v1, vcc, v1, v3, vcc
	v_cndmask_b32_e64 v2, v2, 0, s[2:3]
	global_store_short v[0:1], v2, off
.LBB839_12:
	s_endpgm
	.section	.rodata,"a",@progbits
	.p2align	6, 0x0
	.amdhsa_kernel _ZN12_GLOBAL__N_121softmax_warp_backwardIN3c108BFloat16ES2_fLi2ELb0ELb1ELi32EEEvPT0_PKT_S7_iiiPKb
		.amdhsa_group_segment_fixed_size 0
		.amdhsa_private_segment_fixed_size 0
		.amdhsa_kernarg_size 304
		.amdhsa_user_sgpr_count 6
		.amdhsa_user_sgpr_private_segment_buffer 1
		.amdhsa_user_sgpr_dispatch_ptr 0
		.amdhsa_user_sgpr_queue_ptr 0
		.amdhsa_user_sgpr_kernarg_segment_ptr 1
		.amdhsa_user_sgpr_dispatch_id 0
		.amdhsa_user_sgpr_flat_scratch_init 0
		.amdhsa_user_sgpr_kernarg_preload_length 0
		.amdhsa_user_sgpr_kernarg_preload_offset 0
		.amdhsa_user_sgpr_private_segment_size 0
		.amdhsa_uses_dynamic_stack 0
		.amdhsa_system_sgpr_private_segment_wavefront_offset 0
		.amdhsa_system_sgpr_workgroup_id_x 1
		.amdhsa_system_sgpr_workgroup_id_y 0
		.amdhsa_system_sgpr_workgroup_id_z 0
		.amdhsa_system_sgpr_workgroup_info 0
		.amdhsa_system_vgpr_workitem_id 1
		.amdhsa_next_free_vgpr 15
		.amdhsa_next_free_sgpr 16
		.amdhsa_accum_offset 16
		.amdhsa_reserve_vcc 1
		.amdhsa_reserve_flat_scratch 0
		.amdhsa_float_round_mode_32 0
		.amdhsa_float_round_mode_16_64 0
		.amdhsa_float_denorm_mode_32 3
		.amdhsa_float_denorm_mode_16_64 3
		.amdhsa_dx10_clamp 1
		.amdhsa_ieee_mode 1
		.amdhsa_fp16_overflow 0
		.amdhsa_tg_split 0
		.amdhsa_exception_fp_ieee_invalid_op 0
		.amdhsa_exception_fp_denorm_src 0
		.amdhsa_exception_fp_ieee_div_zero 0
		.amdhsa_exception_fp_ieee_overflow 0
		.amdhsa_exception_fp_ieee_underflow 0
		.amdhsa_exception_fp_ieee_inexact 0
		.amdhsa_exception_int_div_zero 0
	.end_amdhsa_kernel
	.section	.text._ZN12_GLOBAL__N_121softmax_warp_backwardIN3c108BFloat16ES2_fLi2ELb0ELb1ELi32EEEvPT0_PKT_S7_iiiPKb,"axG",@progbits,_ZN12_GLOBAL__N_121softmax_warp_backwardIN3c108BFloat16ES2_fLi2ELb0ELb1ELi32EEEvPT0_PKT_S7_iiiPKb,comdat
.Lfunc_end839:
	.size	_ZN12_GLOBAL__N_121softmax_warp_backwardIN3c108BFloat16ES2_fLi2ELb0ELb1ELi32EEEvPT0_PKT_S7_iiiPKb, .Lfunc_end839-_ZN12_GLOBAL__N_121softmax_warp_backwardIN3c108BFloat16ES2_fLi2ELb0ELb1ELi32EEEvPT0_PKT_S7_iiiPKb
                                        ; -- End function
	.section	.AMDGPU.csdata,"",@progbits
; Kernel info:
; codeLenInByte = 780
; NumSgprs: 20
; NumVgprs: 15
; NumAgprs: 0
; TotalNumVgprs: 15
; ScratchSize: 0
; MemoryBound: 0
; FloatMode: 240
; IeeeMode: 1
; LDSByteSize: 0 bytes/workgroup (compile time only)
; SGPRBlocks: 2
; VGPRBlocks: 1
; NumSGPRsForWavesPerEU: 20
; NumVGPRsForWavesPerEU: 15
; AccumOffset: 16
; Occupancy: 8
; WaveLimiterHint : 0
; COMPUTE_PGM_RSRC2:SCRATCH_EN: 0
; COMPUTE_PGM_RSRC2:USER_SGPR: 6
; COMPUTE_PGM_RSRC2:TRAP_HANDLER: 0
; COMPUTE_PGM_RSRC2:TGID_X_EN: 1
; COMPUTE_PGM_RSRC2:TGID_Y_EN: 0
; COMPUTE_PGM_RSRC2:TGID_Z_EN: 0
; COMPUTE_PGM_RSRC2:TIDIG_COMP_CNT: 1
; COMPUTE_PGM_RSRC3_GFX90A:ACCUM_OFFSET: 3
; COMPUTE_PGM_RSRC3_GFX90A:TG_SPLIT: 0
	.section	.text._ZN12_GLOBAL__N_121softmax_warp_backwardIN3c108BFloat16ES2_fLi3ELb0ELb1ELi64EEEvPT0_PKT_S7_iiiPKb,"axG",@progbits,_ZN12_GLOBAL__N_121softmax_warp_backwardIN3c108BFloat16ES2_fLi3ELb0ELb1ELi64EEEvPT0_PKT_S7_iiiPKb,comdat
	.globl	_ZN12_GLOBAL__N_121softmax_warp_backwardIN3c108BFloat16ES2_fLi3ELb0ELb1ELi64EEEvPT0_PKT_S7_iiiPKb ; -- Begin function _ZN12_GLOBAL__N_121softmax_warp_backwardIN3c108BFloat16ES2_fLi3ELb0ELb1ELi64EEEvPT0_PKT_S7_iiiPKb
	.p2align	8
	.type	_ZN12_GLOBAL__N_121softmax_warp_backwardIN3c108BFloat16ES2_fLi3ELb0ELb1ELi64EEEvPT0_PKT_S7_iiiPKb,@function
_ZN12_GLOBAL__N_121softmax_warp_backwardIN3c108BFloat16ES2_fLi3ELb0ELb1ELi64EEEvPT0_PKT_S7_iiiPKb: ; @_ZN12_GLOBAL__N_121softmax_warp_backwardIN3c108BFloat16ES2_fLi3ELb0ELb1ELi64EEEvPT0_PKT_S7_iiiPKb
; %bb.0:
	s_load_dword s2, s[4:5], 0x3c
	s_load_dwordx4 s[8:11], s[4:5], 0x18
	s_load_dwordx4 s[12:15], s[4:5], 0x0
	s_load_dwordx2 s[0:1], s[4:5], 0x10
	v_bfe_u32 v1, v0, 10, 10
	s_waitcnt lgkmcnt(0)
	s_lshr_b32 s2, s2, 16
	s_mul_i32 s6, s6, s2
	v_add_lshl_u32 v1, s6, v1, 1
	v_and_b32_e32 v10, 7, v0
	v_mad_u64_u32 v[4:5], s[2:3], v1, s9, v[10:11]
	v_ashrrev_i32_e32 v5, 31, v4
	v_sub_u32_e32 v2, s8, v1
	v_lshlrev_b64 v[0:1], 1, v[4:5]
	v_mov_b32_e32 v3, s15
	v_add_co_u32_e32 v6, vcc, s14, v0
	v_addc_co_u32_e32 v7, vcc, v3, v1, vcc
	v_mov_b32_e32 v3, s1
	v_add_co_u32_e32 v8, vcc, s0, v0
	v_addc_co_u32_e32 v9, vcc, v3, v1, vcc
	v_cmp_gt_i32_e32 vcc, s10, v10
	v_cmp_lt_i32_e64 s[0:1], 0, v2
	s_and_b64 s[6:7], vcc, s[0:1]
	v_mov_b32_e32 v10, 0
	v_mov_b32_e32 v11, 0
	;; [unrolled: 1-line block ×3, first 2 shown]
	s_and_saveexec_b64 s[2:3], s[6:7]
	s_cbranch_execz .LBB840_2
; %bb.1:
	global_load_ushort v3, v[8:9], off
	global_load_ushort v12, v[6:7], off
	s_waitcnt vmcnt(1)
	v_lshlrev_b32_e32 v11, 16, v3
	s_waitcnt vmcnt(0)
	v_lshlrev_b32_e32 v12, 16, v12
.LBB840_2:
	s_or_b64 exec, exec, s[2:3]
	v_cmp_lt_i32_e64 s[2:3], 1, v2
	s_and_b64 s[2:3], vcc, s[2:3]
	s_mov_b32 s11, 0
	v_mov_b32_e32 v3, 0
	s_and_saveexec_b64 s[6:7], s[2:3]
	s_cbranch_execz .LBB840_4
; %bb.3:
	s_lshl_b64 s[8:9], s[10:11], 1
	v_mov_b32_e32 v3, s9
	v_add_co_u32_e64 v6, s[2:3], s8, v6
	v_addc_co_u32_e64 v7, s[2:3], v7, v3, s[2:3]
	v_add_co_u32_e64 v8, s[2:3], s8, v8
	v_addc_co_u32_e64 v9, s[2:3], v9, v3, s[2:3]
	global_load_ushort v3, v[8:9], off
	global_load_ushort v13, v[6:7], off
	s_waitcnt vmcnt(1)
	v_lshlrev_b32_e32 v10, 16, v3
	s_waitcnt vmcnt(0)
	v_lshlrev_b32_e32 v3, 16, v13
.LBB840_4:
	s_or_b64 exec, exec, s[6:7]
	s_load_dwordx2 s[2:3], s[4:5], 0x28
	s_ashr_i32 s4, s10, 31
	v_mov_b32_e32 v7, s4
	v_add_f32_e32 v8, 0, v12
	s_waitcnt lgkmcnt(0)
	v_mov_b32_e32 v6, s3
	v_add_co_u32_e64 v4, s[2:3], s2, v4
	v_addc_co_u32_e64 v5, s[2:3], v6, v5, s[2:3]
	global_load_ubyte v6, v[4:5], off
	v_add_co_u32_e64 v4, s[2:3], s10, v4
	v_addc_co_u32_e64 v5, s[2:3], v5, v7, s[2:3]
	global_load_ubyte v7, v[4:5], off
	v_pk_add_f32 v[4:5], v[2:3], s[10:11]
	v_mbcnt_lo_u32_b32 v4, -1, 0
	v_mbcnt_hi_u32_b32 v9, -1, v4
	v_and_b32_e32 v4, 0x78, v9
	v_xor_b32_e32 v13, 4, v9
	v_add_u32_e32 v14, 8, v4
	v_cmp_lt_i32_e64 s[2:3], v13, v14
	v_cndmask_b32_e64 v4, v9, v13, s[2:3]
	v_lshlrev_b32_e32 v13, 2, v4
	s_waitcnt vmcnt(1)
	v_and_b32_e32 v4, 1, v6
	v_cmp_eq_u32_e64 s[4:5], 1, v4
	v_cndmask_b32_e64 v4, v8, 0, s[4:5]
	v_xor_b32_e32 v8, 2, v9
	v_cmp_lt_i32_e64 s[6:7], v8, v14
	s_waitcnt vmcnt(0)
	v_and_b32_e32 v6, 1, v7
	v_cmp_eq_u32_e64 s[2:3], 1, v6
	v_cndmask_b32_e64 v5, v5, 0, s[2:3]
	ds_bpermute_b32 v6, v13, v4
	ds_bpermute_b32 v7, v13, v5
	v_cndmask_b32_e64 v8, v9, v8, s[6:7]
	v_lshlrev_b32_e32 v8, 2, v8
	s_waitcnt lgkmcnt(0)
	v_pk_add_f32 v[4:5], v[4:5], v[6:7]
	ds_bpermute_b32 v6, v8, v4
	ds_bpermute_b32 v7, v8, v5
	v_xor_b32_e32 v8, 1, v9
	v_cmp_lt_i32_e64 s[6:7], v8, v14
	v_cndmask_b32_e64 v8, v9, v8, s[6:7]
	v_lshlrev_b32_e32 v8, 2, v8
	s_waitcnt lgkmcnt(0)
	v_pk_add_f32 v[4:5], v[4:5], v[6:7]
	ds_bpermute_b32 v6, v8, v4
	ds_bpermute_b32 v7, v8, v5
	s_and_saveexec_b64 s[6:7], s[0:1]
	s_cbranch_execz .LBB840_12
; %bb.5:
	s_waitcnt lgkmcnt(0)
	v_pk_add_f32 v[4:5], v[4:5], v[6:7]
	v_mov_b32_e32 v6, s13
	v_add_co_u32_e64 v0, s[0:1], s12, v0
	v_addc_co_u32_e64 v1, s[0:1], v6, v1, s[0:1]
	s_and_saveexec_b64 s[6:7], vcc
	s_cbranch_execz .LBB840_9
; %bb.6:
	s_xor_b64 s[0:1], s[4:5], -1
	v_mov_b32_e32 v6, 0
	s_and_saveexec_b64 s[4:5], s[0:1]
; %bb.7:
	v_fma_f32 v4, -v4, v11, v12
	v_bfe_u32 v6, v4, 16, 1
	s_movk_i32 s0, 0x7fff
	v_add3_u32 v6, v4, v6, s0
	v_lshrrev_b32_e32 v6, 16, v6
	v_mov_b32_e32 v7, 0x7fc0
	v_cmp_o_f32_e64 s[0:1], v4, v4
	v_cndmask_b32_e64 v6, v7, v6, s[0:1]
; %bb.8:
	s_or_b64 exec, exec, s[4:5]
	global_store_short v[0:1], v6, off
.LBB840_9:
	s_or_b64 exec, exec, s[6:7]
	v_cmp_ne_u32_e64 s[0:1], 1, v2
	s_and_b64 exec, exec, s[0:1]
	s_cbranch_execz .LBB840_12
; %bb.10:
	s_and_b64 exec, exec, vcc
	s_cbranch_execz .LBB840_12
; %bb.11:
	v_fma_f32 v2, -v5, v10, v3
	v_bfe_u32 v3, v2, 16, 1
	s_movk_i32 s0, 0x7fff
	v_add3_u32 v3, v2, v3, s0
	v_lshrrev_b32_e32 v3, 16, v3
	v_mov_b32_e32 v4, 0x7fc0
	v_cmp_o_f32_e32 vcc, v2, v2
	s_lshl_b64 s[0:1], s[10:11], 1
	v_cndmask_b32_e32 v2, v4, v3, vcc
	v_mov_b32_e32 v3, s1
	v_add_co_u32_e32 v0, vcc, s0, v0
	v_addc_co_u32_e32 v1, vcc, v1, v3, vcc
	v_cndmask_b32_e64 v2, v2, 0, s[2:3]
	global_store_short v[0:1], v2, off
.LBB840_12:
	s_endpgm
	.section	.rodata,"a",@progbits
	.p2align	6, 0x0
	.amdhsa_kernel _ZN12_GLOBAL__N_121softmax_warp_backwardIN3c108BFloat16ES2_fLi3ELb0ELb1ELi64EEEvPT0_PKT_S7_iiiPKb
		.amdhsa_group_segment_fixed_size 0
		.amdhsa_private_segment_fixed_size 0
		.amdhsa_kernarg_size 304
		.amdhsa_user_sgpr_count 6
		.amdhsa_user_sgpr_private_segment_buffer 1
		.amdhsa_user_sgpr_dispatch_ptr 0
		.amdhsa_user_sgpr_queue_ptr 0
		.amdhsa_user_sgpr_kernarg_segment_ptr 1
		.amdhsa_user_sgpr_dispatch_id 0
		.amdhsa_user_sgpr_flat_scratch_init 0
		.amdhsa_user_sgpr_kernarg_preload_length 0
		.amdhsa_user_sgpr_kernarg_preload_offset 0
		.amdhsa_user_sgpr_private_segment_size 0
		.amdhsa_uses_dynamic_stack 0
		.amdhsa_system_sgpr_private_segment_wavefront_offset 0
		.amdhsa_system_sgpr_workgroup_id_x 1
		.amdhsa_system_sgpr_workgroup_id_y 0
		.amdhsa_system_sgpr_workgroup_id_z 0
		.amdhsa_system_sgpr_workgroup_info 0
		.amdhsa_system_vgpr_workitem_id 1
		.amdhsa_next_free_vgpr 15
		.amdhsa_next_free_sgpr 16
		.amdhsa_accum_offset 16
		.amdhsa_reserve_vcc 1
		.amdhsa_reserve_flat_scratch 0
		.amdhsa_float_round_mode_32 0
		.amdhsa_float_round_mode_16_64 0
		.amdhsa_float_denorm_mode_32 3
		.amdhsa_float_denorm_mode_16_64 3
		.amdhsa_dx10_clamp 1
		.amdhsa_ieee_mode 1
		.amdhsa_fp16_overflow 0
		.amdhsa_tg_split 0
		.amdhsa_exception_fp_ieee_invalid_op 0
		.amdhsa_exception_fp_denorm_src 0
		.amdhsa_exception_fp_ieee_div_zero 0
		.amdhsa_exception_fp_ieee_overflow 0
		.amdhsa_exception_fp_ieee_underflow 0
		.amdhsa_exception_fp_ieee_inexact 0
		.amdhsa_exception_int_div_zero 0
	.end_amdhsa_kernel
	.section	.text._ZN12_GLOBAL__N_121softmax_warp_backwardIN3c108BFloat16ES2_fLi3ELb0ELb1ELi64EEEvPT0_PKT_S7_iiiPKb,"axG",@progbits,_ZN12_GLOBAL__N_121softmax_warp_backwardIN3c108BFloat16ES2_fLi3ELb0ELb1ELi64EEEvPT0_PKT_S7_iiiPKb,comdat
.Lfunc_end840:
	.size	_ZN12_GLOBAL__N_121softmax_warp_backwardIN3c108BFloat16ES2_fLi3ELb0ELb1ELi64EEEvPT0_PKT_S7_iiiPKb, .Lfunc_end840-_ZN12_GLOBAL__N_121softmax_warp_backwardIN3c108BFloat16ES2_fLi3ELb0ELb1ELi64EEEvPT0_PKT_S7_iiiPKb
                                        ; -- End function
	.section	.AMDGPU.csdata,"",@progbits
; Kernel info:
; codeLenInByte = 832
; NumSgprs: 20
; NumVgprs: 15
; NumAgprs: 0
; TotalNumVgprs: 15
; ScratchSize: 0
; MemoryBound: 0
; FloatMode: 240
; IeeeMode: 1
; LDSByteSize: 0 bytes/workgroup (compile time only)
; SGPRBlocks: 2
; VGPRBlocks: 1
; NumSGPRsForWavesPerEU: 20
; NumVGPRsForWavesPerEU: 15
; AccumOffset: 16
; Occupancy: 8
; WaveLimiterHint : 0
; COMPUTE_PGM_RSRC2:SCRATCH_EN: 0
; COMPUTE_PGM_RSRC2:USER_SGPR: 6
; COMPUTE_PGM_RSRC2:TRAP_HANDLER: 0
; COMPUTE_PGM_RSRC2:TGID_X_EN: 1
; COMPUTE_PGM_RSRC2:TGID_Y_EN: 0
; COMPUTE_PGM_RSRC2:TGID_Z_EN: 0
; COMPUTE_PGM_RSRC2:TIDIG_COMP_CNT: 1
; COMPUTE_PGM_RSRC3_GFX90A:ACCUM_OFFSET: 3
; COMPUTE_PGM_RSRC3_GFX90A:TG_SPLIT: 0
	.section	.text._ZN12_GLOBAL__N_121softmax_warp_backwardIN3c108BFloat16ES2_fLi3ELb0ELb1ELi32EEEvPT0_PKT_S7_iiiPKb,"axG",@progbits,_ZN12_GLOBAL__N_121softmax_warp_backwardIN3c108BFloat16ES2_fLi3ELb0ELb1ELi32EEEvPT0_PKT_S7_iiiPKb,comdat
	.globl	_ZN12_GLOBAL__N_121softmax_warp_backwardIN3c108BFloat16ES2_fLi3ELb0ELb1ELi32EEEvPT0_PKT_S7_iiiPKb ; -- Begin function _ZN12_GLOBAL__N_121softmax_warp_backwardIN3c108BFloat16ES2_fLi3ELb0ELb1ELi32EEEvPT0_PKT_S7_iiiPKb
	.p2align	8
	.type	_ZN12_GLOBAL__N_121softmax_warp_backwardIN3c108BFloat16ES2_fLi3ELb0ELb1ELi32EEEvPT0_PKT_S7_iiiPKb,@function
_ZN12_GLOBAL__N_121softmax_warp_backwardIN3c108BFloat16ES2_fLi3ELb0ELb1ELi32EEEvPT0_PKT_S7_iiiPKb: ; @_ZN12_GLOBAL__N_121softmax_warp_backwardIN3c108BFloat16ES2_fLi3ELb0ELb1ELi32EEEvPT0_PKT_S7_iiiPKb
; %bb.0:
	s_load_dword s2, s[4:5], 0x3c
	s_load_dwordx4 s[8:11], s[4:5], 0x18
	s_load_dwordx4 s[12:15], s[4:5], 0x0
	s_load_dwordx2 s[0:1], s[4:5], 0x10
	v_bfe_u32 v1, v0, 10, 10
	s_waitcnt lgkmcnt(0)
	s_lshr_b32 s2, s2, 16
	s_mul_i32 s6, s6, s2
	v_add_lshl_u32 v1, s6, v1, 1
	v_and_b32_e32 v10, 7, v0
	v_mad_u64_u32 v[4:5], s[2:3], v1, s9, v[10:11]
	v_ashrrev_i32_e32 v5, 31, v4
	v_sub_u32_e32 v2, s8, v1
	v_lshlrev_b64 v[0:1], 1, v[4:5]
	v_mov_b32_e32 v3, s15
	v_add_co_u32_e32 v6, vcc, s14, v0
	v_addc_co_u32_e32 v7, vcc, v3, v1, vcc
	v_mov_b32_e32 v3, s1
	v_add_co_u32_e32 v8, vcc, s0, v0
	v_addc_co_u32_e32 v9, vcc, v3, v1, vcc
	v_cmp_gt_i32_e32 vcc, s10, v10
	v_cmp_lt_i32_e64 s[0:1], 0, v2
	s_and_b64 s[6:7], vcc, s[0:1]
	v_mov_b32_e32 v10, 0
	v_mov_b32_e32 v11, 0
	;; [unrolled: 1-line block ×3, first 2 shown]
	s_and_saveexec_b64 s[2:3], s[6:7]
	s_cbranch_execz .LBB841_2
; %bb.1:
	global_load_ushort v3, v[8:9], off
	global_load_ushort v12, v[6:7], off
	s_waitcnt vmcnt(1)
	v_lshlrev_b32_e32 v11, 16, v3
	s_waitcnt vmcnt(0)
	v_lshlrev_b32_e32 v12, 16, v12
.LBB841_2:
	s_or_b64 exec, exec, s[2:3]
	v_cmp_lt_i32_e64 s[2:3], 1, v2
	s_and_b64 s[2:3], vcc, s[2:3]
	s_mov_b32 s11, 0
	v_mov_b32_e32 v3, 0
	s_and_saveexec_b64 s[6:7], s[2:3]
	s_cbranch_execz .LBB841_4
; %bb.3:
	s_lshl_b64 s[8:9], s[10:11], 1
	v_mov_b32_e32 v3, s9
	v_add_co_u32_e64 v6, s[2:3], s8, v6
	v_addc_co_u32_e64 v7, s[2:3], v7, v3, s[2:3]
	v_add_co_u32_e64 v8, s[2:3], s8, v8
	v_addc_co_u32_e64 v9, s[2:3], v9, v3, s[2:3]
	global_load_ushort v3, v[8:9], off
	global_load_ushort v13, v[6:7], off
	s_waitcnt vmcnt(1)
	v_lshlrev_b32_e32 v10, 16, v3
	s_waitcnt vmcnt(0)
	v_lshlrev_b32_e32 v3, 16, v13
.LBB841_4:
	s_or_b64 exec, exec, s[6:7]
	s_load_dwordx2 s[2:3], s[4:5], 0x28
	s_ashr_i32 s4, s10, 31
	v_mov_b32_e32 v7, s4
	v_add_f32_e32 v8, 0, v12
	s_waitcnt lgkmcnt(0)
	v_mov_b32_e32 v6, s3
	v_add_co_u32_e64 v4, s[2:3], s2, v4
	v_addc_co_u32_e64 v5, s[2:3], v6, v5, s[2:3]
	global_load_ubyte v6, v[4:5], off
	v_add_co_u32_e64 v4, s[2:3], s10, v4
	v_addc_co_u32_e64 v5, s[2:3], v5, v7, s[2:3]
	global_load_ubyte v7, v[4:5], off
	v_pk_add_f32 v[4:5], v[2:3], s[10:11]
	v_mbcnt_lo_u32_b32 v4, -1, 0
	v_mbcnt_hi_u32_b32 v9, -1, v4
	v_and_b32_e32 v4, 0x78, v9
	v_xor_b32_e32 v13, 4, v9
	v_add_u32_e32 v14, 8, v4
	v_cmp_lt_i32_e64 s[2:3], v13, v14
	v_cndmask_b32_e64 v4, v9, v13, s[2:3]
	v_lshlrev_b32_e32 v13, 2, v4
	s_waitcnt vmcnt(1)
	v_and_b32_e32 v4, 1, v6
	v_cmp_eq_u32_e64 s[4:5], 1, v4
	v_cndmask_b32_e64 v4, v8, 0, s[4:5]
	v_xor_b32_e32 v8, 2, v9
	v_cmp_lt_i32_e64 s[6:7], v8, v14
	s_waitcnt vmcnt(0)
	v_and_b32_e32 v6, 1, v7
	v_cmp_eq_u32_e64 s[2:3], 1, v6
	v_cndmask_b32_e64 v5, v5, 0, s[2:3]
	ds_bpermute_b32 v6, v13, v4
	ds_bpermute_b32 v7, v13, v5
	v_cndmask_b32_e64 v8, v9, v8, s[6:7]
	v_lshlrev_b32_e32 v8, 2, v8
	s_waitcnt lgkmcnt(0)
	v_pk_add_f32 v[4:5], v[4:5], v[6:7]
	ds_bpermute_b32 v6, v8, v4
	ds_bpermute_b32 v7, v8, v5
	v_xor_b32_e32 v8, 1, v9
	v_cmp_lt_i32_e64 s[6:7], v8, v14
	v_cndmask_b32_e64 v8, v9, v8, s[6:7]
	v_lshlrev_b32_e32 v8, 2, v8
	s_waitcnt lgkmcnt(0)
	v_pk_add_f32 v[4:5], v[4:5], v[6:7]
	ds_bpermute_b32 v6, v8, v4
	ds_bpermute_b32 v7, v8, v5
	s_and_saveexec_b64 s[6:7], s[0:1]
	s_cbranch_execz .LBB841_12
; %bb.5:
	s_waitcnt lgkmcnt(0)
	v_pk_add_f32 v[4:5], v[4:5], v[6:7]
	v_mov_b32_e32 v6, s13
	v_add_co_u32_e64 v0, s[0:1], s12, v0
	v_addc_co_u32_e64 v1, s[0:1], v6, v1, s[0:1]
	s_and_saveexec_b64 s[6:7], vcc
	s_cbranch_execz .LBB841_9
; %bb.6:
	s_xor_b64 s[0:1], s[4:5], -1
	v_mov_b32_e32 v6, 0
	s_and_saveexec_b64 s[4:5], s[0:1]
; %bb.7:
	v_fma_f32 v4, -v4, v11, v12
	v_bfe_u32 v6, v4, 16, 1
	s_movk_i32 s0, 0x7fff
	v_add3_u32 v6, v4, v6, s0
	v_lshrrev_b32_e32 v6, 16, v6
	v_mov_b32_e32 v7, 0x7fc0
	v_cmp_o_f32_e64 s[0:1], v4, v4
	v_cndmask_b32_e64 v6, v7, v6, s[0:1]
; %bb.8:
	s_or_b64 exec, exec, s[4:5]
	global_store_short v[0:1], v6, off
.LBB841_9:
	s_or_b64 exec, exec, s[6:7]
	v_cmp_ne_u32_e64 s[0:1], 1, v2
	s_and_b64 exec, exec, s[0:1]
	s_cbranch_execz .LBB841_12
; %bb.10:
	s_and_b64 exec, exec, vcc
	s_cbranch_execz .LBB841_12
; %bb.11:
	v_fma_f32 v2, -v5, v10, v3
	v_bfe_u32 v3, v2, 16, 1
	s_movk_i32 s0, 0x7fff
	v_add3_u32 v3, v2, v3, s0
	v_lshrrev_b32_e32 v3, 16, v3
	v_mov_b32_e32 v4, 0x7fc0
	v_cmp_o_f32_e32 vcc, v2, v2
	s_lshl_b64 s[0:1], s[10:11], 1
	v_cndmask_b32_e32 v2, v4, v3, vcc
	v_mov_b32_e32 v3, s1
	v_add_co_u32_e32 v0, vcc, s0, v0
	v_addc_co_u32_e32 v1, vcc, v1, v3, vcc
	v_cndmask_b32_e64 v2, v2, 0, s[2:3]
	global_store_short v[0:1], v2, off
.LBB841_12:
	s_endpgm
	.section	.rodata,"a",@progbits
	.p2align	6, 0x0
	.amdhsa_kernel _ZN12_GLOBAL__N_121softmax_warp_backwardIN3c108BFloat16ES2_fLi3ELb0ELb1ELi32EEEvPT0_PKT_S7_iiiPKb
		.amdhsa_group_segment_fixed_size 0
		.amdhsa_private_segment_fixed_size 0
		.amdhsa_kernarg_size 304
		.amdhsa_user_sgpr_count 6
		.amdhsa_user_sgpr_private_segment_buffer 1
		.amdhsa_user_sgpr_dispatch_ptr 0
		.amdhsa_user_sgpr_queue_ptr 0
		.amdhsa_user_sgpr_kernarg_segment_ptr 1
		.amdhsa_user_sgpr_dispatch_id 0
		.amdhsa_user_sgpr_flat_scratch_init 0
		.amdhsa_user_sgpr_kernarg_preload_length 0
		.amdhsa_user_sgpr_kernarg_preload_offset 0
		.amdhsa_user_sgpr_private_segment_size 0
		.amdhsa_uses_dynamic_stack 0
		.amdhsa_system_sgpr_private_segment_wavefront_offset 0
		.amdhsa_system_sgpr_workgroup_id_x 1
		.amdhsa_system_sgpr_workgroup_id_y 0
		.amdhsa_system_sgpr_workgroup_id_z 0
		.amdhsa_system_sgpr_workgroup_info 0
		.amdhsa_system_vgpr_workitem_id 1
		.amdhsa_next_free_vgpr 15
		.amdhsa_next_free_sgpr 16
		.amdhsa_accum_offset 16
		.amdhsa_reserve_vcc 1
		.amdhsa_reserve_flat_scratch 0
		.amdhsa_float_round_mode_32 0
		.amdhsa_float_round_mode_16_64 0
		.amdhsa_float_denorm_mode_32 3
		.amdhsa_float_denorm_mode_16_64 3
		.amdhsa_dx10_clamp 1
		.amdhsa_ieee_mode 1
		.amdhsa_fp16_overflow 0
		.amdhsa_tg_split 0
		.amdhsa_exception_fp_ieee_invalid_op 0
		.amdhsa_exception_fp_denorm_src 0
		.amdhsa_exception_fp_ieee_div_zero 0
		.amdhsa_exception_fp_ieee_overflow 0
		.amdhsa_exception_fp_ieee_underflow 0
		.amdhsa_exception_fp_ieee_inexact 0
		.amdhsa_exception_int_div_zero 0
	.end_amdhsa_kernel
	.section	.text._ZN12_GLOBAL__N_121softmax_warp_backwardIN3c108BFloat16ES2_fLi3ELb0ELb1ELi32EEEvPT0_PKT_S7_iiiPKb,"axG",@progbits,_ZN12_GLOBAL__N_121softmax_warp_backwardIN3c108BFloat16ES2_fLi3ELb0ELb1ELi32EEEvPT0_PKT_S7_iiiPKb,comdat
.Lfunc_end841:
	.size	_ZN12_GLOBAL__N_121softmax_warp_backwardIN3c108BFloat16ES2_fLi3ELb0ELb1ELi32EEEvPT0_PKT_S7_iiiPKb, .Lfunc_end841-_ZN12_GLOBAL__N_121softmax_warp_backwardIN3c108BFloat16ES2_fLi3ELb0ELb1ELi32EEEvPT0_PKT_S7_iiiPKb
                                        ; -- End function
	.section	.AMDGPU.csdata,"",@progbits
; Kernel info:
; codeLenInByte = 832
; NumSgprs: 20
; NumVgprs: 15
; NumAgprs: 0
; TotalNumVgprs: 15
; ScratchSize: 0
; MemoryBound: 0
; FloatMode: 240
; IeeeMode: 1
; LDSByteSize: 0 bytes/workgroup (compile time only)
; SGPRBlocks: 2
; VGPRBlocks: 1
; NumSGPRsForWavesPerEU: 20
; NumVGPRsForWavesPerEU: 15
; AccumOffset: 16
; Occupancy: 8
; WaveLimiterHint : 0
; COMPUTE_PGM_RSRC2:SCRATCH_EN: 0
; COMPUTE_PGM_RSRC2:USER_SGPR: 6
; COMPUTE_PGM_RSRC2:TRAP_HANDLER: 0
; COMPUTE_PGM_RSRC2:TGID_X_EN: 1
; COMPUTE_PGM_RSRC2:TGID_Y_EN: 0
; COMPUTE_PGM_RSRC2:TGID_Z_EN: 0
; COMPUTE_PGM_RSRC2:TIDIG_COMP_CNT: 1
; COMPUTE_PGM_RSRC3_GFX90A:ACCUM_OFFSET: 3
; COMPUTE_PGM_RSRC3_GFX90A:TG_SPLIT: 0
	.section	.text._ZN12_GLOBAL__N_121softmax_warp_backwardIN3c108BFloat16ES2_fLi4ELb0ELb1ELi64EEEvPT0_PKT_S7_iiiPKb,"axG",@progbits,_ZN12_GLOBAL__N_121softmax_warp_backwardIN3c108BFloat16ES2_fLi4ELb0ELb1ELi64EEEvPT0_PKT_S7_iiiPKb,comdat
	.globl	_ZN12_GLOBAL__N_121softmax_warp_backwardIN3c108BFloat16ES2_fLi4ELb0ELb1ELi64EEEvPT0_PKT_S7_iiiPKb ; -- Begin function _ZN12_GLOBAL__N_121softmax_warp_backwardIN3c108BFloat16ES2_fLi4ELb0ELb1ELi64EEEvPT0_PKT_S7_iiiPKb
	.p2align	8
	.type	_ZN12_GLOBAL__N_121softmax_warp_backwardIN3c108BFloat16ES2_fLi4ELb0ELb1ELi64EEEvPT0_PKT_S7_iiiPKb,@function
_ZN12_GLOBAL__N_121softmax_warp_backwardIN3c108BFloat16ES2_fLi4ELb0ELb1ELi64EEEvPT0_PKT_S7_iiiPKb: ; @_ZN12_GLOBAL__N_121softmax_warp_backwardIN3c108BFloat16ES2_fLi4ELb0ELb1ELi64EEEvPT0_PKT_S7_iiiPKb
; %bb.0:
	s_load_dword s2, s[4:5], 0x3c
	s_load_dwordx4 s[8:11], s[4:5], 0x18
	s_load_dwordx4 s[12:15], s[4:5], 0x0
	s_load_dwordx2 s[0:1], s[4:5], 0x10
	v_bfe_u32 v1, v0, 10, 10
	s_waitcnt lgkmcnt(0)
	s_lshr_b32 s2, s2, 16
	s_mul_i32 s6, s6, s2
	v_add_lshl_u32 v1, s6, v1, 1
	v_and_b32_e32 v10, 15, v0
	v_mad_u64_u32 v[4:5], s[2:3], v1, s9, v[10:11]
	v_ashrrev_i32_e32 v5, 31, v4
	v_sub_u32_e32 v2, s8, v1
	v_lshlrev_b64 v[0:1], 1, v[4:5]
	v_mov_b32_e32 v3, s15
	v_add_co_u32_e32 v6, vcc, s14, v0
	v_addc_co_u32_e32 v7, vcc, v3, v1, vcc
	v_mov_b32_e32 v3, s1
	v_add_co_u32_e32 v8, vcc, s0, v0
	v_addc_co_u32_e32 v9, vcc, v3, v1, vcc
	v_cmp_gt_i32_e32 vcc, s10, v10
	v_cmp_lt_i32_e64 s[0:1], 0, v2
	s_and_b64 s[6:7], vcc, s[0:1]
	v_mov_b32_e32 v10, 0
	v_mov_b32_e32 v11, 0
	;; [unrolled: 1-line block ×3, first 2 shown]
	s_and_saveexec_b64 s[2:3], s[6:7]
	s_cbranch_execz .LBB842_2
; %bb.1:
	global_load_ushort v3, v[8:9], off
	global_load_ushort v12, v[6:7], off
	s_waitcnt vmcnt(1)
	v_lshlrev_b32_e32 v11, 16, v3
	s_waitcnt vmcnt(0)
	v_lshlrev_b32_e32 v12, 16, v12
.LBB842_2:
	s_or_b64 exec, exec, s[2:3]
	v_cmp_lt_i32_e64 s[2:3], 1, v2
	s_and_b64 s[2:3], vcc, s[2:3]
	s_mov_b32 s11, 0
	v_mov_b32_e32 v3, 0
	s_and_saveexec_b64 s[6:7], s[2:3]
	s_cbranch_execz .LBB842_4
; %bb.3:
	s_lshl_b64 s[8:9], s[10:11], 1
	v_mov_b32_e32 v3, s9
	v_add_co_u32_e64 v6, s[2:3], s8, v6
	v_addc_co_u32_e64 v7, s[2:3], v7, v3, s[2:3]
	v_add_co_u32_e64 v8, s[2:3], s8, v8
	v_addc_co_u32_e64 v9, s[2:3], v9, v3, s[2:3]
	global_load_ushort v3, v[8:9], off
	global_load_ushort v13, v[6:7], off
	s_waitcnt vmcnt(1)
	v_lshlrev_b32_e32 v10, 16, v3
	s_waitcnt vmcnt(0)
	v_lshlrev_b32_e32 v3, 16, v13
.LBB842_4:
	s_or_b64 exec, exec, s[6:7]
	s_load_dwordx2 s[2:3], s[4:5], 0x28
	s_ashr_i32 s4, s10, 31
	v_mov_b32_e32 v7, s4
	v_add_f32_e32 v8, 0, v12
	s_waitcnt lgkmcnt(0)
	v_mov_b32_e32 v6, s3
	v_add_co_u32_e64 v4, s[2:3], s2, v4
	v_addc_co_u32_e64 v5, s[2:3], v6, v5, s[2:3]
	global_load_ubyte v6, v[4:5], off
	v_add_co_u32_e64 v4, s[2:3], s10, v4
	v_addc_co_u32_e64 v5, s[2:3], v5, v7, s[2:3]
	global_load_ubyte v7, v[4:5], off
	v_pk_add_f32 v[4:5], v[2:3], s[10:11]
	v_mbcnt_lo_u32_b32 v4, -1, 0
	v_mbcnt_hi_u32_b32 v9, -1, v4
	v_and_b32_e32 v4, 0x70, v9
	v_xor_b32_e32 v13, 8, v9
	v_add_u32_e32 v14, 16, v4
	v_cmp_lt_i32_e64 s[2:3], v13, v14
	v_cndmask_b32_e64 v4, v9, v13, s[2:3]
	v_lshlrev_b32_e32 v13, 2, v4
	s_waitcnt vmcnt(1)
	v_and_b32_e32 v4, 1, v6
	v_cmp_eq_u32_e64 s[4:5], 1, v4
	v_cndmask_b32_e64 v4, v8, 0, s[4:5]
	v_xor_b32_e32 v8, 4, v9
	v_cmp_lt_i32_e64 s[6:7], v8, v14
	s_waitcnt vmcnt(0)
	v_and_b32_e32 v6, 1, v7
	v_cmp_eq_u32_e64 s[2:3], 1, v6
	v_cndmask_b32_e64 v5, v5, 0, s[2:3]
	ds_bpermute_b32 v6, v13, v4
	ds_bpermute_b32 v7, v13, v5
	v_cndmask_b32_e64 v8, v9, v8, s[6:7]
	v_lshlrev_b32_e32 v8, 2, v8
	s_waitcnt lgkmcnt(0)
	v_pk_add_f32 v[4:5], v[4:5], v[6:7]
	ds_bpermute_b32 v6, v8, v4
	ds_bpermute_b32 v7, v8, v5
	v_xor_b32_e32 v8, 2, v9
	v_cmp_lt_i32_e64 s[6:7], v8, v14
	v_cndmask_b32_e64 v8, v9, v8, s[6:7]
	v_lshlrev_b32_e32 v8, 2, v8
	s_waitcnt lgkmcnt(0)
	v_pk_add_f32 v[4:5], v[4:5], v[6:7]
	ds_bpermute_b32 v6, v8, v4
	ds_bpermute_b32 v7, v8, v5
	v_xor_b32_e32 v8, 1, v9
	v_cmp_lt_i32_e64 s[6:7], v8, v14
	v_cndmask_b32_e64 v8, v9, v8, s[6:7]
	v_lshlrev_b32_e32 v8, 2, v8
	s_waitcnt lgkmcnt(0)
	v_pk_add_f32 v[4:5], v[4:5], v[6:7]
	ds_bpermute_b32 v6, v8, v4
	ds_bpermute_b32 v7, v8, v5
	s_and_saveexec_b64 s[6:7], s[0:1]
	s_cbranch_execz .LBB842_12
; %bb.5:
	s_waitcnt lgkmcnt(0)
	v_pk_add_f32 v[4:5], v[4:5], v[6:7]
	v_mov_b32_e32 v6, s13
	v_add_co_u32_e64 v0, s[0:1], s12, v0
	v_addc_co_u32_e64 v1, s[0:1], v6, v1, s[0:1]
	s_and_saveexec_b64 s[6:7], vcc
	s_cbranch_execz .LBB842_9
; %bb.6:
	s_xor_b64 s[0:1], s[4:5], -1
	v_mov_b32_e32 v6, 0
	s_and_saveexec_b64 s[4:5], s[0:1]
; %bb.7:
	v_fma_f32 v4, -v4, v11, v12
	v_bfe_u32 v6, v4, 16, 1
	s_movk_i32 s0, 0x7fff
	v_add3_u32 v6, v4, v6, s0
	v_lshrrev_b32_e32 v6, 16, v6
	v_mov_b32_e32 v7, 0x7fc0
	v_cmp_o_f32_e64 s[0:1], v4, v4
	v_cndmask_b32_e64 v6, v7, v6, s[0:1]
; %bb.8:
	s_or_b64 exec, exec, s[4:5]
	global_store_short v[0:1], v6, off
.LBB842_9:
	s_or_b64 exec, exec, s[6:7]
	v_cmp_ne_u32_e64 s[0:1], 1, v2
	s_and_b64 exec, exec, s[0:1]
	s_cbranch_execz .LBB842_12
; %bb.10:
	s_and_b64 exec, exec, vcc
	s_cbranch_execz .LBB842_12
; %bb.11:
	v_fma_f32 v2, -v5, v10, v3
	v_bfe_u32 v3, v2, 16, 1
	s_movk_i32 s0, 0x7fff
	v_add3_u32 v3, v2, v3, s0
	v_lshrrev_b32_e32 v3, 16, v3
	v_mov_b32_e32 v4, 0x7fc0
	v_cmp_o_f32_e32 vcc, v2, v2
	s_lshl_b64 s[0:1], s[10:11], 1
	v_cndmask_b32_e32 v2, v4, v3, vcc
	v_mov_b32_e32 v3, s1
	v_add_co_u32_e32 v0, vcc, s0, v0
	v_addc_co_u32_e32 v1, vcc, v1, v3, vcc
	v_cndmask_b32_e64 v2, v2, 0, s[2:3]
	global_store_short v[0:1], v2, off
.LBB842_12:
	s_endpgm
	.section	.rodata,"a",@progbits
	.p2align	6, 0x0
	.amdhsa_kernel _ZN12_GLOBAL__N_121softmax_warp_backwardIN3c108BFloat16ES2_fLi4ELb0ELb1ELi64EEEvPT0_PKT_S7_iiiPKb
		.amdhsa_group_segment_fixed_size 0
		.amdhsa_private_segment_fixed_size 0
		.amdhsa_kernarg_size 304
		.amdhsa_user_sgpr_count 6
		.amdhsa_user_sgpr_private_segment_buffer 1
		.amdhsa_user_sgpr_dispatch_ptr 0
		.amdhsa_user_sgpr_queue_ptr 0
		.amdhsa_user_sgpr_kernarg_segment_ptr 1
		.amdhsa_user_sgpr_dispatch_id 0
		.amdhsa_user_sgpr_flat_scratch_init 0
		.amdhsa_user_sgpr_kernarg_preload_length 0
		.amdhsa_user_sgpr_kernarg_preload_offset 0
		.amdhsa_user_sgpr_private_segment_size 0
		.amdhsa_uses_dynamic_stack 0
		.amdhsa_system_sgpr_private_segment_wavefront_offset 0
		.amdhsa_system_sgpr_workgroup_id_x 1
		.amdhsa_system_sgpr_workgroup_id_y 0
		.amdhsa_system_sgpr_workgroup_id_z 0
		.amdhsa_system_sgpr_workgroup_info 0
		.amdhsa_system_vgpr_workitem_id 1
		.amdhsa_next_free_vgpr 15
		.amdhsa_next_free_sgpr 16
		.amdhsa_accum_offset 16
		.amdhsa_reserve_vcc 1
		.amdhsa_reserve_flat_scratch 0
		.amdhsa_float_round_mode_32 0
		.amdhsa_float_round_mode_16_64 0
		.amdhsa_float_denorm_mode_32 3
		.amdhsa_float_denorm_mode_16_64 3
		.amdhsa_dx10_clamp 1
		.amdhsa_ieee_mode 1
		.amdhsa_fp16_overflow 0
		.amdhsa_tg_split 0
		.amdhsa_exception_fp_ieee_invalid_op 0
		.amdhsa_exception_fp_denorm_src 0
		.amdhsa_exception_fp_ieee_div_zero 0
		.amdhsa_exception_fp_ieee_overflow 0
		.amdhsa_exception_fp_ieee_underflow 0
		.amdhsa_exception_fp_ieee_inexact 0
		.amdhsa_exception_int_div_zero 0
	.end_amdhsa_kernel
	.section	.text._ZN12_GLOBAL__N_121softmax_warp_backwardIN3c108BFloat16ES2_fLi4ELb0ELb1ELi64EEEvPT0_PKT_S7_iiiPKb,"axG",@progbits,_ZN12_GLOBAL__N_121softmax_warp_backwardIN3c108BFloat16ES2_fLi4ELb0ELb1ELi64EEEvPT0_PKT_S7_iiiPKb,comdat
.Lfunc_end842:
	.size	_ZN12_GLOBAL__N_121softmax_warp_backwardIN3c108BFloat16ES2_fLi4ELb0ELb1ELi64EEEvPT0_PKT_S7_iiiPKb, .Lfunc_end842-_ZN12_GLOBAL__N_121softmax_warp_backwardIN3c108BFloat16ES2_fLi4ELb0ELb1ELi64EEEvPT0_PKT_S7_iiiPKb
                                        ; -- End function
	.section	.AMDGPU.csdata,"",@progbits
; Kernel info:
; codeLenInByte = 884
; NumSgprs: 20
; NumVgprs: 15
; NumAgprs: 0
; TotalNumVgprs: 15
; ScratchSize: 0
; MemoryBound: 0
; FloatMode: 240
; IeeeMode: 1
; LDSByteSize: 0 bytes/workgroup (compile time only)
; SGPRBlocks: 2
; VGPRBlocks: 1
; NumSGPRsForWavesPerEU: 20
; NumVGPRsForWavesPerEU: 15
; AccumOffset: 16
; Occupancy: 8
; WaveLimiterHint : 0
; COMPUTE_PGM_RSRC2:SCRATCH_EN: 0
; COMPUTE_PGM_RSRC2:USER_SGPR: 6
; COMPUTE_PGM_RSRC2:TRAP_HANDLER: 0
; COMPUTE_PGM_RSRC2:TGID_X_EN: 1
; COMPUTE_PGM_RSRC2:TGID_Y_EN: 0
; COMPUTE_PGM_RSRC2:TGID_Z_EN: 0
; COMPUTE_PGM_RSRC2:TIDIG_COMP_CNT: 1
; COMPUTE_PGM_RSRC3_GFX90A:ACCUM_OFFSET: 3
; COMPUTE_PGM_RSRC3_GFX90A:TG_SPLIT: 0
	.section	.text._ZN12_GLOBAL__N_121softmax_warp_backwardIN3c108BFloat16ES2_fLi4ELb0ELb1ELi32EEEvPT0_PKT_S7_iiiPKb,"axG",@progbits,_ZN12_GLOBAL__N_121softmax_warp_backwardIN3c108BFloat16ES2_fLi4ELb0ELb1ELi32EEEvPT0_PKT_S7_iiiPKb,comdat
	.globl	_ZN12_GLOBAL__N_121softmax_warp_backwardIN3c108BFloat16ES2_fLi4ELb0ELb1ELi32EEEvPT0_PKT_S7_iiiPKb ; -- Begin function _ZN12_GLOBAL__N_121softmax_warp_backwardIN3c108BFloat16ES2_fLi4ELb0ELb1ELi32EEEvPT0_PKT_S7_iiiPKb
	.p2align	8
	.type	_ZN12_GLOBAL__N_121softmax_warp_backwardIN3c108BFloat16ES2_fLi4ELb0ELb1ELi32EEEvPT0_PKT_S7_iiiPKb,@function
_ZN12_GLOBAL__N_121softmax_warp_backwardIN3c108BFloat16ES2_fLi4ELb0ELb1ELi32EEEvPT0_PKT_S7_iiiPKb: ; @_ZN12_GLOBAL__N_121softmax_warp_backwardIN3c108BFloat16ES2_fLi4ELb0ELb1ELi32EEEvPT0_PKT_S7_iiiPKb
; %bb.0:
	s_load_dword s2, s[4:5], 0x3c
	s_load_dwordx4 s[8:11], s[4:5], 0x18
	s_load_dwordx4 s[12:15], s[4:5], 0x0
	s_load_dwordx2 s[0:1], s[4:5], 0x10
	v_bfe_u32 v1, v0, 10, 10
	s_waitcnt lgkmcnt(0)
	s_lshr_b32 s2, s2, 16
	s_mul_i32 s6, s6, s2
	v_add_lshl_u32 v1, s6, v1, 1
	v_and_b32_e32 v10, 15, v0
	v_mad_u64_u32 v[4:5], s[2:3], v1, s9, v[10:11]
	v_ashrrev_i32_e32 v5, 31, v4
	v_sub_u32_e32 v2, s8, v1
	v_lshlrev_b64 v[0:1], 1, v[4:5]
	v_mov_b32_e32 v3, s15
	v_add_co_u32_e32 v6, vcc, s14, v0
	v_addc_co_u32_e32 v7, vcc, v3, v1, vcc
	v_mov_b32_e32 v3, s1
	v_add_co_u32_e32 v8, vcc, s0, v0
	v_addc_co_u32_e32 v9, vcc, v3, v1, vcc
	v_cmp_gt_i32_e32 vcc, s10, v10
	v_cmp_lt_i32_e64 s[0:1], 0, v2
	s_and_b64 s[6:7], vcc, s[0:1]
	v_mov_b32_e32 v10, 0
	v_mov_b32_e32 v11, 0
	;; [unrolled: 1-line block ×3, first 2 shown]
	s_and_saveexec_b64 s[2:3], s[6:7]
	s_cbranch_execz .LBB843_2
; %bb.1:
	global_load_ushort v3, v[8:9], off
	global_load_ushort v12, v[6:7], off
	s_waitcnt vmcnt(1)
	v_lshlrev_b32_e32 v11, 16, v3
	s_waitcnt vmcnt(0)
	v_lshlrev_b32_e32 v12, 16, v12
.LBB843_2:
	s_or_b64 exec, exec, s[2:3]
	v_cmp_lt_i32_e64 s[2:3], 1, v2
	s_and_b64 s[2:3], vcc, s[2:3]
	s_mov_b32 s11, 0
	v_mov_b32_e32 v3, 0
	s_and_saveexec_b64 s[6:7], s[2:3]
	s_cbranch_execz .LBB843_4
; %bb.3:
	s_lshl_b64 s[8:9], s[10:11], 1
	v_mov_b32_e32 v3, s9
	v_add_co_u32_e64 v6, s[2:3], s8, v6
	v_addc_co_u32_e64 v7, s[2:3], v7, v3, s[2:3]
	v_add_co_u32_e64 v8, s[2:3], s8, v8
	v_addc_co_u32_e64 v9, s[2:3], v9, v3, s[2:3]
	global_load_ushort v3, v[8:9], off
	global_load_ushort v13, v[6:7], off
	s_waitcnt vmcnt(1)
	v_lshlrev_b32_e32 v10, 16, v3
	s_waitcnt vmcnt(0)
	v_lshlrev_b32_e32 v3, 16, v13
.LBB843_4:
	s_or_b64 exec, exec, s[6:7]
	s_load_dwordx2 s[2:3], s[4:5], 0x28
	s_ashr_i32 s4, s10, 31
	v_mov_b32_e32 v7, s4
	v_add_f32_e32 v8, 0, v12
	s_waitcnt lgkmcnt(0)
	v_mov_b32_e32 v6, s3
	v_add_co_u32_e64 v4, s[2:3], s2, v4
	v_addc_co_u32_e64 v5, s[2:3], v6, v5, s[2:3]
	global_load_ubyte v6, v[4:5], off
	v_add_co_u32_e64 v4, s[2:3], s10, v4
	v_addc_co_u32_e64 v5, s[2:3], v5, v7, s[2:3]
	global_load_ubyte v7, v[4:5], off
	v_pk_add_f32 v[4:5], v[2:3], s[10:11]
	v_mbcnt_lo_u32_b32 v4, -1, 0
	v_mbcnt_hi_u32_b32 v9, -1, v4
	v_and_b32_e32 v4, 0x70, v9
	v_xor_b32_e32 v13, 8, v9
	v_add_u32_e32 v14, 16, v4
	v_cmp_lt_i32_e64 s[2:3], v13, v14
	v_cndmask_b32_e64 v4, v9, v13, s[2:3]
	v_lshlrev_b32_e32 v13, 2, v4
	s_waitcnt vmcnt(1)
	v_and_b32_e32 v4, 1, v6
	v_cmp_eq_u32_e64 s[4:5], 1, v4
	v_cndmask_b32_e64 v4, v8, 0, s[4:5]
	v_xor_b32_e32 v8, 4, v9
	v_cmp_lt_i32_e64 s[6:7], v8, v14
	s_waitcnt vmcnt(0)
	v_and_b32_e32 v6, 1, v7
	v_cmp_eq_u32_e64 s[2:3], 1, v6
	v_cndmask_b32_e64 v5, v5, 0, s[2:3]
	ds_bpermute_b32 v6, v13, v4
	ds_bpermute_b32 v7, v13, v5
	v_cndmask_b32_e64 v8, v9, v8, s[6:7]
	v_lshlrev_b32_e32 v8, 2, v8
	s_waitcnt lgkmcnt(0)
	v_pk_add_f32 v[4:5], v[4:5], v[6:7]
	ds_bpermute_b32 v6, v8, v4
	ds_bpermute_b32 v7, v8, v5
	v_xor_b32_e32 v8, 2, v9
	v_cmp_lt_i32_e64 s[6:7], v8, v14
	v_cndmask_b32_e64 v8, v9, v8, s[6:7]
	v_lshlrev_b32_e32 v8, 2, v8
	s_waitcnt lgkmcnt(0)
	v_pk_add_f32 v[4:5], v[4:5], v[6:7]
	ds_bpermute_b32 v6, v8, v4
	ds_bpermute_b32 v7, v8, v5
	v_xor_b32_e32 v8, 1, v9
	v_cmp_lt_i32_e64 s[6:7], v8, v14
	v_cndmask_b32_e64 v8, v9, v8, s[6:7]
	v_lshlrev_b32_e32 v8, 2, v8
	s_waitcnt lgkmcnt(0)
	v_pk_add_f32 v[4:5], v[4:5], v[6:7]
	ds_bpermute_b32 v6, v8, v4
	ds_bpermute_b32 v7, v8, v5
	s_and_saveexec_b64 s[6:7], s[0:1]
	s_cbranch_execz .LBB843_12
; %bb.5:
	s_waitcnt lgkmcnt(0)
	v_pk_add_f32 v[4:5], v[4:5], v[6:7]
	v_mov_b32_e32 v6, s13
	v_add_co_u32_e64 v0, s[0:1], s12, v0
	v_addc_co_u32_e64 v1, s[0:1], v6, v1, s[0:1]
	s_and_saveexec_b64 s[6:7], vcc
	s_cbranch_execz .LBB843_9
; %bb.6:
	s_xor_b64 s[0:1], s[4:5], -1
	v_mov_b32_e32 v6, 0
	s_and_saveexec_b64 s[4:5], s[0:1]
; %bb.7:
	v_fma_f32 v4, -v4, v11, v12
	v_bfe_u32 v6, v4, 16, 1
	s_movk_i32 s0, 0x7fff
	v_add3_u32 v6, v4, v6, s0
	v_lshrrev_b32_e32 v6, 16, v6
	v_mov_b32_e32 v7, 0x7fc0
	v_cmp_o_f32_e64 s[0:1], v4, v4
	v_cndmask_b32_e64 v6, v7, v6, s[0:1]
; %bb.8:
	s_or_b64 exec, exec, s[4:5]
	global_store_short v[0:1], v6, off
.LBB843_9:
	s_or_b64 exec, exec, s[6:7]
	v_cmp_ne_u32_e64 s[0:1], 1, v2
	s_and_b64 exec, exec, s[0:1]
	s_cbranch_execz .LBB843_12
; %bb.10:
	s_and_b64 exec, exec, vcc
	s_cbranch_execz .LBB843_12
; %bb.11:
	v_fma_f32 v2, -v5, v10, v3
	v_bfe_u32 v3, v2, 16, 1
	s_movk_i32 s0, 0x7fff
	v_add3_u32 v3, v2, v3, s0
	v_lshrrev_b32_e32 v3, 16, v3
	v_mov_b32_e32 v4, 0x7fc0
	v_cmp_o_f32_e32 vcc, v2, v2
	s_lshl_b64 s[0:1], s[10:11], 1
	v_cndmask_b32_e32 v2, v4, v3, vcc
	v_mov_b32_e32 v3, s1
	v_add_co_u32_e32 v0, vcc, s0, v0
	v_addc_co_u32_e32 v1, vcc, v1, v3, vcc
	v_cndmask_b32_e64 v2, v2, 0, s[2:3]
	global_store_short v[0:1], v2, off
.LBB843_12:
	s_endpgm
	.section	.rodata,"a",@progbits
	.p2align	6, 0x0
	.amdhsa_kernel _ZN12_GLOBAL__N_121softmax_warp_backwardIN3c108BFloat16ES2_fLi4ELb0ELb1ELi32EEEvPT0_PKT_S7_iiiPKb
		.amdhsa_group_segment_fixed_size 0
		.amdhsa_private_segment_fixed_size 0
		.amdhsa_kernarg_size 304
		.amdhsa_user_sgpr_count 6
		.amdhsa_user_sgpr_private_segment_buffer 1
		.amdhsa_user_sgpr_dispatch_ptr 0
		.amdhsa_user_sgpr_queue_ptr 0
		.amdhsa_user_sgpr_kernarg_segment_ptr 1
		.amdhsa_user_sgpr_dispatch_id 0
		.amdhsa_user_sgpr_flat_scratch_init 0
		.amdhsa_user_sgpr_kernarg_preload_length 0
		.amdhsa_user_sgpr_kernarg_preload_offset 0
		.amdhsa_user_sgpr_private_segment_size 0
		.amdhsa_uses_dynamic_stack 0
		.amdhsa_system_sgpr_private_segment_wavefront_offset 0
		.amdhsa_system_sgpr_workgroup_id_x 1
		.amdhsa_system_sgpr_workgroup_id_y 0
		.amdhsa_system_sgpr_workgroup_id_z 0
		.amdhsa_system_sgpr_workgroup_info 0
		.amdhsa_system_vgpr_workitem_id 1
		.amdhsa_next_free_vgpr 15
		.amdhsa_next_free_sgpr 16
		.amdhsa_accum_offset 16
		.amdhsa_reserve_vcc 1
		.amdhsa_reserve_flat_scratch 0
		.amdhsa_float_round_mode_32 0
		.amdhsa_float_round_mode_16_64 0
		.amdhsa_float_denorm_mode_32 3
		.amdhsa_float_denorm_mode_16_64 3
		.amdhsa_dx10_clamp 1
		.amdhsa_ieee_mode 1
		.amdhsa_fp16_overflow 0
		.amdhsa_tg_split 0
		.amdhsa_exception_fp_ieee_invalid_op 0
		.amdhsa_exception_fp_denorm_src 0
		.amdhsa_exception_fp_ieee_div_zero 0
		.amdhsa_exception_fp_ieee_overflow 0
		.amdhsa_exception_fp_ieee_underflow 0
		.amdhsa_exception_fp_ieee_inexact 0
		.amdhsa_exception_int_div_zero 0
	.end_amdhsa_kernel
	.section	.text._ZN12_GLOBAL__N_121softmax_warp_backwardIN3c108BFloat16ES2_fLi4ELb0ELb1ELi32EEEvPT0_PKT_S7_iiiPKb,"axG",@progbits,_ZN12_GLOBAL__N_121softmax_warp_backwardIN3c108BFloat16ES2_fLi4ELb0ELb1ELi32EEEvPT0_PKT_S7_iiiPKb,comdat
.Lfunc_end843:
	.size	_ZN12_GLOBAL__N_121softmax_warp_backwardIN3c108BFloat16ES2_fLi4ELb0ELb1ELi32EEEvPT0_PKT_S7_iiiPKb, .Lfunc_end843-_ZN12_GLOBAL__N_121softmax_warp_backwardIN3c108BFloat16ES2_fLi4ELb0ELb1ELi32EEEvPT0_PKT_S7_iiiPKb
                                        ; -- End function
	.section	.AMDGPU.csdata,"",@progbits
; Kernel info:
; codeLenInByte = 884
; NumSgprs: 20
; NumVgprs: 15
; NumAgprs: 0
; TotalNumVgprs: 15
; ScratchSize: 0
; MemoryBound: 0
; FloatMode: 240
; IeeeMode: 1
; LDSByteSize: 0 bytes/workgroup (compile time only)
; SGPRBlocks: 2
; VGPRBlocks: 1
; NumSGPRsForWavesPerEU: 20
; NumVGPRsForWavesPerEU: 15
; AccumOffset: 16
; Occupancy: 8
; WaveLimiterHint : 0
; COMPUTE_PGM_RSRC2:SCRATCH_EN: 0
; COMPUTE_PGM_RSRC2:USER_SGPR: 6
; COMPUTE_PGM_RSRC2:TRAP_HANDLER: 0
; COMPUTE_PGM_RSRC2:TGID_X_EN: 1
; COMPUTE_PGM_RSRC2:TGID_Y_EN: 0
; COMPUTE_PGM_RSRC2:TGID_Z_EN: 0
; COMPUTE_PGM_RSRC2:TIDIG_COMP_CNT: 1
; COMPUTE_PGM_RSRC3_GFX90A:ACCUM_OFFSET: 3
; COMPUTE_PGM_RSRC3_GFX90A:TG_SPLIT: 0
	.section	.text._ZN12_GLOBAL__N_121softmax_warp_backwardIN3c108BFloat16ES2_fLi5ELb0ELb1ELi64EEEvPT0_PKT_S7_iiiPKb,"axG",@progbits,_ZN12_GLOBAL__N_121softmax_warp_backwardIN3c108BFloat16ES2_fLi5ELb0ELb1ELi64EEEvPT0_PKT_S7_iiiPKb,comdat
	.globl	_ZN12_GLOBAL__N_121softmax_warp_backwardIN3c108BFloat16ES2_fLi5ELb0ELb1ELi64EEEvPT0_PKT_S7_iiiPKb ; -- Begin function _ZN12_GLOBAL__N_121softmax_warp_backwardIN3c108BFloat16ES2_fLi5ELb0ELb1ELi64EEEvPT0_PKT_S7_iiiPKb
	.p2align	8
	.type	_ZN12_GLOBAL__N_121softmax_warp_backwardIN3c108BFloat16ES2_fLi5ELb0ELb1ELi64EEEvPT0_PKT_S7_iiiPKb,@function
_ZN12_GLOBAL__N_121softmax_warp_backwardIN3c108BFloat16ES2_fLi5ELb0ELb1ELi64EEEvPT0_PKT_S7_iiiPKb: ; @_ZN12_GLOBAL__N_121softmax_warp_backwardIN3c108BFloat16ES2_fLi5ELb0ELb1ELi64EEEvPT0_PKT_S7_iiiPKb
; %bb.0:
	s_load_dword s2, s[4:5], 0x3c
	s_load_dwordx4 s[8:11], s[4:5], 0x18
	s_load_dwordx4 s[12:15], s[4:5], 0x0
	s_load_dwordx2 s[0:1], s[4:5], 0x10
	v_bfe_u32 v1, v0, 10, 10
	s_waitcnt lgkmcnt(0)
	s_lshr_b32 s2, s2, 16
	s_mul_i32 s6, s6, s2
	v_add_lshl_u32 v1, s6, v1, 1
	v_and_b32_e32 v10, 31, v0
	v_mad_u64_u32 v[4:5], s[2:3], v1, s9, v[10:11]
	v_ashrrev_i32_e32 v5, 31, v4
	v_sub_u32_e32 v2, s8, v1
	v_lshlrev_b64 v[0:1], 1, v[4:5]
	v_mov_b32_e32 v3, s15
	v_add_co_u32_e32 v6, vcc, s14, v0
	v_addc_co_u32_e32 v7, vcc, v3, v1, vcc
	v_mov_b32_e32 v3, s1
	v_add_co_u32_e32 v8, vcc, s0, v0
	v_addc_co_u32_e32 v9, vcc, v3, v1, vcc
	v_cmp_gt_i32_e32 vcc, s10, v10
	v_cmp_lt_i32_e64 s[0:1], 0, v2
	s_and_b64 s[6:7], vcc, s[0:1]
	v_mov_b32_e32 v10, 0
	v_mov_b32_e32 v11, 0
	;; [unrolled: 1-line block ×3, first 2 shown]
	s_and_saveexec_b64 s[2:3], s[6:7]
	s_cbranch_execz .LBB844_2
; %bb.1:
	global_load_ushort v3, v[8:9], off
	global_load_ushort v12, v[6:7], off
	s_waitcnt vmcnt(1)
	v_lshlrev_b32_e32 v11, 16, v3
	s_waitcnt vmcnt(0)
	v_lshlrev_b32_e32 v12, 16, v12
.LBB844_2:
	s_or_b64 exec, exec, s[2:3]
	v_cmp_lt_i32_e64 s[2:3], 1, v2
	s_and_b64 s[2:3], vcc, s[2:3]
	s_mov_b32 s11, 0
	v_mov_b32_e32 v3, 0
	s_and_saveexec_b64 s[6:7], s[2:3]
	s_cbranch_execz .LBB844_4
; %bb.3:
	s_lshl_b64 s[8:9], s[10:11], 1
	v_mov_b32_e32 v3, s9
	v_add_co_u32_e64 v6, s[2:3], s8, v6
	v_addc_co_u32_e64 v7, s[2:3], v7, v3, s[2:3]
	v_add_co_u32_e64 v8, s[2:3], s8, v8
	v_addc_co_u32_e64 v9, s[2:3], v9, v3, s[2:3]
	global_load_ushort v3, v[8:9], off
	global_load_ushort v13, v[6:7], off
	s_waitcnt vmcnt(1)
	v_lshlrev_b32_e32 v10, 16, v3
	s_waitcnt vmcnt(0)
	v_lshlrev_b32_e32 v3, 16, v13
.LBB844_4:
	s_or_b64 exec, exec, s[6:7]
	s_load_dwordx2 s[2:3], s[4:5], 0x28
	s_ashr_i32 s4, s10, 31
	v_mov_b32_e32 v7, s4
	v_add_f32_e32 v8, 0, v12
	s_waitcnt lgkmcnt(0)
	v_mov_b32_e32 v6, s3
	v_add_co_u32_e64 v4, s[2:3], s2, v4
	v_addc_co_u32_e64 v5, s[2:3], v6, v5, s[2:3]
	global_load_ubyte v6, v[4:5], off
	v_add_co_u32_e64 v4, s[2:3], s10, v4
	v_addc_co_u32_e64 v5, s[2:3], v5, v7, s[2:3]
	global_load_ubyte v7, v[4:5], off
	v_pk_add_f32 v[4:5], v[2:3], s[10:11]
	v_mbcnt_lo_u32_b32 v4, -1, 0
	v_mbcnt_hi_u32_b32 v9, -1, v4
	v_and_b32_e32 v4, 0x60, v9
	v_xor_b32_e32 v13, 16, v9
	v_add_u32_e32 v14, 32, v4
	v_cmp_lt_i32_e64 s[2:3], v13, v14
	v_cndmask_b32_e64 v4, v9, v13, s[2:3]
	v_lshlrev_b32_e32 v13, 2, v4
	s_waitcnt vmcnt(1)
	v_and_b32_e32 v4, 1, v6
	v_cmp_eq_u32_e64 s[4:5], 1, v4
	v_cndmask_b32_e64 v4, v8, 0, s[4:5]
	v_xor_b32_e32 v8, 8, v9
	v_cmp_lt_i32_e64 s[6:7], v8, v14
	s_waitcnt vmcnt(0)
	v_and_b32_e32 v6, 1, v7
	v_cmp_eq_u32_e64 s[2:3], 1, v6
	v_cndmask_b32_e64 v5, v5, 0, s[2:3]
	ds_bpermute_b32 v6, v13, v4
	ds_bpermute_b32 v7, v13, v5
	v_cndmask_b32_e64 v8, v9, v8, s[6:7]
	v_lshlrev_b32_e32 v8, 2, v8
	s_waitcnt lgkmcnt(0)
	v_pk_add_f32 v[4:5], v[4:5], v[6:7]
	ds_bpermute_b32 v6, v8, v4
	ds_bpermute_b32 v7, v8, v5
	v_xor_b32_e32 v8, 4, v9
	v_cmp_lt_i32_e64 s[6:7], v8, v14
	v_cndmask_b32_e64 v8, v9, v8, s[6:7]
	v_lshlrev_b32_e32 v8, 2, v8
	s_waitcnt lgkmcnt(0)
	v_pk_add_f32 v[4:5], v[4:5], v[6:7]
	ds_bpermute_b32 v6, v8, v4
	ds_bpermute_b32 v7, v8, v5
	v_xor_b32_e32 v8, 2, v9
	v_cmp_lt_i32_e64 s[6:7], v8, v14
	;; [unrolled: 8-line block ×3, first 2 shown]
	v_cndmask_b32_e64 v8, v9, v8, s[6:7]
	v_lshlrev_b32_e32 v8, 2, v8
	s_waitcnt lgkmcnt(0)
	v_pk_add_f32 v[4:5], v[4:5], v[6:7]
	ds_bpermute_b32 v6, v8, v4
	ds_bpermute_b32 v7, v8, v5
	s_and_saveexec_b64 s[6:7], s[0:1]
	s_cbranch_execz .LBB844_12
; %bb.5:
	s_waitcnt lgkmcnt(0)
	v_pk_add_f32 v[4:5], v[4:5], v[6:7]
	v_mov_b32_e32 v6, s13
	v_add_co_u32_e64 v0, s[0:1], s12, v0
	v_addc_co_u32_e64 v1, s[0:1], v6, v1, s[0:1]
	s_and_saveexec_b64 s[6:7], vcc
	s_cbranch_execz .LBB844_9
; %bb.6:
	s_xor_b64 s[0:1], s[4:5], -1
	v_mov_b32_e32 v6, 0
	s_and_saveexec_b64 s[4:5], s[0:1]
; %bb.7:
	v_fma_f32 v4, -v4, v11, v12
	v_bfe_u32 v6, v4, 16, 1
	s_movk_i32 s0, 0x7fff
	v_add3_u32 v6, v4, v6, s0
	v_lshrrev_b32_e32 v6, 16, v6
	v_mov_b32_e32 v7, 0x7fc0
	v_cmp_o_f32_e64 s[0:1], v4, v4
	v_cndmask_b32_e64 v6, v7, v6, s[0:1]
; %bb.8:
	s_or_b64 exec, exec, s[4:5]
	global_store_short v[0:1], v6, off
.LBB844_9:
	s_or_b64 exec, exec, s[6:7]
	v_cmp_ne_u32_e64 s[0:1], 1, v2
	s_and_b64 exec, exec, s[0:1]
	s_cbranch_execz .LBB844_12
; %bb.10:
	s_and_b64 exec, exec, vcc
	s_cbranch_execz .LBB844_12
; %bb.11:
	v_fma_f32 v2, -v5, v10, v3
	v_bfe_u32 v3, v2, 16, 1
	s_movk_i32 s0, 0x7fff
	v_add3_u32 v3, v2, v3, s0
	v_lshrrev_b32_e32 v3, 16, v3
	v_mov_b32_e32 v4, 0x7fc0
	v_cmp_o_f32_e32 vcc, v2, v2
	s_lshl_b64 s[0:1], s[10:11], 1
	v_cndmask_b32_e32 v2, v4, v3, vcc
	v_mov_b32_e32 v3, s1
	v_add_co_u32_e32 v0, vcc, s0, v0
	v_addc_co_u32_e32 v1, vcc, v1, v3, vcc
	v_cndmask_b32_e64 v2, v2, 0, s[2:3]
	global_store_short v[0:1], v2, off
.LBB844_12:
	s_endpgm
	.section	.rodata,"a",@progbits
	.p2align	6, 0x0
	.amdhsa_kernel _ZN12_GLOBAL__N_121softmax_warp_backwardIN3c108BFloat16ES2_fLi5ELb0ELb1ELi64EEEvPT0_PKT_S7_iiiPKb
		.amdhsa_group_segment_fixed_size 0
		.amdhsa_private_segment_fixed_size 0
		.amdhsa_kernarg_size 304
		.amdhsa_user_sgpr_count 6
		.amdhsa_user_sgpr_private_segment_buffer 1
		.amdhsa_user_sgpr_dispatch_ptr 0
		.amdhsa_user_sgpr_queue_ptr 0
		.amdhsa_user_sgpr_kernarg_segment_ptr 1
		.amdhsa_user_sgpr_dispatch_id 0
		.amdhsa_user_sgpr_flat_scratch_init 0
		.amdhsa_user_sgpr_kernarg_preload_length 0
		.amdhsa_user_sgpr_kernarg_preload_offset 0
		.amdhsa_user_sgpr_private_segment_size 0
		.amdhsa_uses_dynamic_stack 0
		.amdhsa_system_sgpr_private_segment_wavefront_offset 0
		.amdhsa_system_sgpr_workgroup_id_x 1
		.amdhsa_system_sgpr_workgroup_id_y 0
		.amdhsa_system_sgpr_workgroup_id_z 0
		.amdhsa_system_sgpr_workgroup_info 0
		.amdhsa_system_vgpr_workitem_id 1
		.amdhsa_next_free_vgpr 15
		.amdhsa_next_free_sgpr 16
		.amdhsa_accum_offset 16
		.amdhsa_reserve_vcc 1
		.amdhsa_reserve_flat_scratch 0
		.amdhsa_float_round_mode_32 0
		.amdhsa_float_round_mode_16_64 0
		.amdhsa_float_denorm_mode_32 3
		.amdhsa_float_denorm_mode_16_64 3
		.amdhsa_dx10_clamp 1
		.amdhsa_ieee_mode 1
		.amdhsa_fp16_overflow 0
		.amdhsa_tg_split 0
		.amdhsa_exception_fp_ieee_invalid_op 0
		.amdhsa_exception_fp_denorm_src 0
		.amdhsa_exception_fp_ieee_div_zero 0
		.amdhsa_exception_fp_ieee_overflow 0
		.amdhsa_exception_fp_ieee_underflow 0
		.amdhsa_exception_fp_ieee_inexact 0
		.amdhsa_exception_int_div_zero 0
	.end_amdhsa_kernel
	.section	.text._ZN12_GLOBAL__N_121softmax_warp_backwardIN3c108BFloat16ES2_fLi5ELb0ELb1ELi64EEEvPT0_PKT_S7_iiiPKb,"axG",@progbits,_ZN12_GLOBAL__N_121softmax_warp_backwardIN3c108BFloat16ES2_fLi5ELb0ELb1ELi64EEEvPT0_PKT_S7_iiiPKb,comdat
.Lfunc_end844:
	.size	_ZN12_GLOBAL__N_121softmax_warp_backwardIN3c108BFloat16ES2_fLi5ELb0ELb1ELi64EEEvPT0_PKT_S7_iiiPKb, .Lfunc_end844-_ZN12_GLOBAL__N_121softmax_warp_backwardIN3c108BFloat16ES2_fLi5ELb0ELb1ELi64EEEvPT0_PKT_S7_iiiPKb
                                        ; -- End function
	.section	.AMDGPU.csdata,"",@progbits
; Kernel info:
; codeLenInByte = 936
; NumSgprs: 20
; NumVgprs: 15
; NumAgprs: 0
; TotalNumVgprs: 15
; ScratchSize: 0
; MemoryBound: 0
; FloatMode: 240
; IeeeMode: 1
; LDSByteSize: 0 bytes/workgroup (compile time only)
; SGPRBlocks: 2
; VGPRBlocks: 1
; NumSGPRsForWavesPerEU: 20
; NumVGPRsForWavesPerEU: 15
; AccumOffset: 16
; Occupancy: 8
; WaveLimiterHint : 0
; COMPUTE_PGM_RSRC2:SCRATCH_EN: 0
; COMPUTE_PGM_RSRC2:USER_SGPR: 6
; COMPUTE_PGM_RSRC2:TRAP_HANDLER: 0
; COMPUTE_PGM_RSRC2:TGID_X_EN: 1
; COMPUTE_PGM_RSRC2:TGID_Y_EN: 0
; COMPUTE_PGM_RSRC2:TGID_Z_EN: 0
; COMPUTE_PGM_RSRC2:TIDIG_COMP_CNT: 1
; COMPUTE_PGM_RSRC3_GFX90A:ACCUM_OFFSET: 3
; COMPUTE_PGM_RSRC3_GFX90A:TG_SPLIT: 0
	.section	.text._ZN12_GLOBAL__N_121softmax_warp_backwardIN3c108BFloat16ES2_fLi5ELb0ELb1ELi32EEEvPT0_PKT_S7_iiiPKb,"axG",@progbits,_ZN12_GLOBAL__N_121softmax_warp_backwardIN3c108BFloat16ES2_fLi5ELb0ELb1ELi32EEEvPT0_PKT_S7_iiiPKb,comdat
	.globl	_ZN12_GLOBAL__N_121softmax_warp_backwardIN3c108BFloat16ES2_fLi5ELb0ELb1ELi32EEEvPT0_PKT_S7_iiiPKb ; -- Begin function _ZN12_GLOBAL__N_121softmax_warp_backwardIN3c108BFloat16ES2_fLi5ELb0ELb1ELi32EEEvPT0_PKT_S7_iiiPKb
	.p2align	8
	.type	_ZN12_GLOBAL__N_121softmax_warp_backwardIN3c108BFloat16ES2_fLi5ELb0ELb1ELi32EEEvPT0_PKT_S7_iiiPKb,@function
_ZN12_GLOBAL__N_121softmax_warp_backwardIN3c108BFloat16ES2_fLi5ELb0ELb1ELi32EEEvPT0_PKT_S7_iiiPKb: ; @_ZN12_GLOBAL__N_121softmax_warp_backwardIN3c108BFloat16ES2_fLi5ELb0ELb1ELi32EEEvPT0_PKT_S7_iiiPKb
; %bb.0:
	s_load_dword s2, s[4:5], 0x3c
	s_load_dwordx4 s[8:11], s[4:5], 0x18
	s_load_dwordx4 s[12:15], s[4:5], 0x0
	s_load_dwordx2 s[0:1], s[4:5], 0x10
	v_bfe_u32 v1, v0, 10, 10
	s_waitcnt lgkmcnt(0)
	s_lshr_b32 s2, s2, 16
	s_mul_i32 s6, s6, s2
	v_add_lshl_u32 v1, s6, v1, 1
	v_and_b32_e32 v10, 31, v0
	v_mad_u64_u32 v[4:5], s[2:3], v1, s9, v[10:11]
	v_ashrrev_i32_e32 v5, 31, v4
	v_sub_u32_e32 v2, s8, v1
	v_lshlrev_b64 v[0:1], 1, v[4:5]
	v_mov_b32_e32 v3, s15
	v_add_co_u32_e32 v6, vcc, s14, v0
	v_addc_co_u32_e32 v7, vcc, v3, v1, vcc
	v_mov_b32_e32 v3, s1
	v_add_co_u32_e32 v8, vcc, s0, v0
	v_addc_co_u32_e32 v9, vcc, v3, v1, vcc
	v_cmp_gt_i32_e32 vcc, s10, v10
	v_cmp_lt_i32_e64 s[0:1], 0, v2
	s_and_b64 s[6:7], vcc, s[0:1]
	v_mov_b32_e32 v10, 0
	v_mov_b32_e32 v11, 0
	;; [unrolled: 1-line block ×3, first 2 shown]
	s_and_saveexec_b64 s[2:3], s[6:7]
	s_cbranch_execz .LBB845_2
; %bb.1:
	global_load_ushort v3, v[8:9], off
	global_load_ushort v12, v[6:7], off
	s_waitcnt vmcnt(1)
	v_lshlrev_b32_e32 v11, 16, v3
	s_waitcnt vmcnt(0)
	v_lshlrev_b32_e32 v12, 16, v12
.LBB845_2:
	s_or_b64 exec, exec, s[2:3]
	v_cmp_lt_i32_e64 s[2:3], 1, v2
	s_and_b64 s[2:3], vcc, s[2:3]
	s_mov_b32 s11, 0
	v_mov_b32_e32 v3, 0
	s_and_saveexec_b64 s[6:7], s[2:3]
	s_cbranch_execz .LBB845_4
; %bb.3:
	s_lshl_b64 s[8:9], s[10:11], 1
	v_mov_b32_e32 v3, s9
	v_add_co_u32_e64 v6, s[2:3], s8, v6
	v_addc_co_u32_e64 v7, s[2:3], v7, v3, s[2:3]
	v_add_co_u32_e64 v8, s[2:3], s8, v8
	v_addc_co_u32_e64 v9, s[2:3], v9, v3, s[2:3]
	global_load_ushort v3, v[8:9], off
	global_load_ushort v13, v[6:7], off
	s_waitcnt vmcnt(1)
	v_lshlrev_b32_e32 v10, 16, v3
	s_waitcnt vmcnt(0)
	v_lshlrev_b32_e32 v3, 16, v13
.LBB845_4:
	s_or_b64 exec, exec, s[6:7]
	s_load_dwordx2 s[2:3], s[4:5], 0x28
	s_ashr_i32 s4, s10, 31
	v_mov_b32_e32 v7, s4
	v_add_f32_e32 v8, 0, v12
	s_waitcnt lgkmcnt(0)
	v_mov_b32_e32 v6, s3
	v_add_co_u32_e64 v4, s[2:3], s2, v4
	v_addc_co_u32_e64 v5, s[2:3], v6, v5, s[2:3]
	global_load_ubyte v6, v[4:5], off
	v_add_co_u32_e64 v4, s[2:3], s10, v4
	v_addc_co_u32_e64 v5, s[2:3], v5, v7, s[2:3]
	global_load_ubyte v7, v[4:5], off
	v_pk_add_f32 v[4:5], v[2:3], s[10:11]
	v_mbcnt_lo_u32_b32 v4, -1, 0
	v_mbcnt_hi_u32_b32 v9, -1, v4
	v_and_b32_e32 v4, 0x60, v9
	v_xor_b32_e32 v13, 16, v9
	v_add_u32_e32 v14, 32, v4
	v_cmp_lt_i32_e64 s[2:3], v13, v14
	v_cndmask_b32_e64 v4, v9, v13, s[2:3]
	v_lshlrev_b32_e32 v13, 2, v4
	s_waitcnt vmcnt(1)
	v_and_b32_e32 v4, 1, v6
	v_cmp_eq_u32_e64 s[4:5], 1, v4
	v_cndmask_b32_e64 v4, v8, 0, s[4:5]
	v_xor_b32_e32 v8, 8, v9
	v_cmp_lt_i32_e64 s[6:7], v8, v14
	s_waitcnt vmcnt(0)
	v_and_b32_e32 v6, 1, v7
	v_cmp_eq_u32_e64 s[2:3], 1, v6
	v_cndmask_b32_e64 v5, v5, 0, s[2:3]
	ds_bpermute_b32 v6, v13, v4
	ds_bpermute_b32 v7, v13, v5
	v_cndmask_b32_e64 v8, v9, v8, s[6:7]
	v_lshlrev_b32_e32 v8, 2, v8
	s_waitcnt lgkmcnt(0)
	v_pk_add_f32 v[4:5], v[4:5], v[6:7]
	ds_bpermute_b32 v6, v8, v4
	ds_bpermute_b32 v7, v8, v5
	v_xor_b32_e32 v8, 4, v9
	v_cmp_lt_i32_e64 s[6:7], v8, v14
	v_cndmask_b32_e64 v8, v9, v8, s[6:7]
	v_lshlrev_b32_e32 v8, 2, v8
	s_waitcnt lgkmcnt(0)
	v_pk_add_f32 v[4:5], v[4:5], v[6:7]
	ds_bpermute_b32 v6, v8, v4
	ds_bpermute_b32 v7, v8, v5
	v_xor_b32_e32 v8, 2, v9
	v_cmp_lt_i32_e64 s[6:7], v8, v14
	;; [unrolled: 8-line block ×3, first 2 shown]
	v_cndmask_b32_e64 v8, v9, v8, s[6:7]
	v_lshlrev_b32_e32 v8, 2, v8
	s_waitcnt lgkmcnt(0)
	v_pk_add_f32 v[4:5], v[4:5], v[6:7]
	ds_bpermute_b32 v6, v8, v4
	ds_bpermute_b32 v7, v8, v5
	s_and_saveexec_b64 s[6:7], s[0:1]
	s_cbranch_execz .LBB845_12
; %bb.5:
	s_waitcnt lgkmcnt(0)
	v_pk_add_f32 v[4:5], v[4:5], v[6:7]
	v_mov_b32_e32 v6, s13
	v_add_co_u32_e64 v0, s[0:1], s12, v0
	v_addc_co_u32_e64 v1, s[0:1], v6, v1, s[0:1]
	s_and_saveexec_b64 s[6:7], vcc
	s_cbranch_execz .LBB845_9
; %bb.6:
	s_xor_b64 s[0:1], s[4:5], -1
	v_mov_b32_e32 v6, 0
	s_and_saveexec_b64 s[4:5], s[0:1]
; %bb.7:
	v_fma_f32 v4, -v4, v11, v12
	v_bfe_u32 v6, v4, 16, 1
	s_movk_i32 s0, 0x7fff
	v_add3_u32 v6, v4, v6, s0
	v_lshrrev_b32_e32 v6, 16, v6
	v_mov_b32_e32 v7, 0x7fc0
	v_cmp_o_f32_e64 s[0:1], v4, v4
	v_cndmask_b32_e64 v6, v7, v6, s[0:1]
; %bb.8:
	s_or_b64 exec, exec, s[4:5]
	global_store_short v[0:1], v6, off
.LBB845_9:
	s_or_b64 exec, exec, s[6:7]
	v_cmp_ne_u32_e64 s[0:1], 1, v2
	s_and_b64 exec, exec, s[0:1]
	s_cbranch_execz .LBB845_12
; %bb.10:
	s_and_b64 exec, exec, vcc
	s_cbranch_execz .LBB845_12
; %bb.11:
	v_fma_f32 v2, -v5, v10, v3
	v_bfe_u32 v3, v2, 16, 1
	s_movk_i32 s0, 0x7fff
	v_add3_u32 v3, v2, v3, s0
	v_lshrrev_b32_e32 v3, 16, v3
	v_mov_b32_e32 v4, 0x7fc0
	v_cmp_o_f32_e32 vcc, v2, v2
	s_lshl_b64 s[0:1], s[10:11], 1
	v_cndmask_b32_e32 v2, v4, v3, vcc
	v_mov_b32_e32 v3, s1
	v_add_co_u32_e32 v0, vcc, s0, v0
	v_addc_co_u32_e32 v1, vcc, v1, v3, vcc
	v_cndmask_b32_e64 v2, v2, 0, s[2:3]
	global_store_short v[0:1], v2, off
.LBB845_12:
	s_endpgm
	.section	.rodata,"a",@progbits
	.p2align	6, 0x0
	.amdhsa_kernel _ZN12_GLOBAL__N_121softmax_warp_backwardIN3c108BFloat16ES2_fLi5ELb0ELb1ELi32EEEvPT0_PKT_S7_iiiPKb
		.amdhsa_group_segment_fixed_size 0
		.amdhsa_private_segment_fixed_size 0
		.amdhsa_kernarg_size 304
		.amdhsa_user_sgpr_count 6
		.amdhsa_user_sgpr_private_segment_buffer 1
		.amdhsa_user_sgpr_dispatch_ptr 0
		.amdhsa_user_sgpr_queue_ptr 0
		.amdhsa_user_sgpr_kernarg_segment_ptr 1
		.amdhsa_user_sgpr_dispatch_id 0
		.amdhsa_user_sgpr_flat_scratch_init 0
		.amdhsa_user_sgpr_kernarg_preload_length 0
		.amdhsa_user_sgpr_kernarg_preload_offset 0
		.amdhsa_user_sgpr_private_segment_size 0
		.amdhsa_uses_dynamic_stack 0
		.amdhsa_system_sgpr_private_segment_wavefront_offset 0
		.amdhsa_system_sgpr_workgroup_id_x 1
		.amdhsa_system_sgpr_workgroup_id_y 0
		.amdhsa_system_sgpr_workgroup_id_z 0
		.amdhsa_system_sgpr_workgroup_info 0
		.amdhsa_system_vgpr_workitem_id 1
		.amdhsa_next_free_vgpr 15
		.amdhsa_next_free_sgpr 16
		.amdhsa_accum_offset 16
		.amdhsa_reserve_vcc 1
		.amdhsa_reserve_flat_scratch 0
		.amdhsa_float_round_mode_32 0
		.amdhsa_float_round_mode_16_64 0
		.amdhsa_float_denorm_mode_32 3
		.amdhsa_float_denorm_mode_16_64 3
		.amdhsa_dx10_clamp 1
		.amdhsa_ieee_mode 1
		.amdhsa_fp16_overflow 0
		.amdhsa_tg_split 0
		.amdhsa_exception_fp_ieee_invalid_op 0
		.amdhsa_exception_fp_denorm_src 0
		.amdhsa_exception_fp_ieee_div_zero 0
		.amdhsa_exception_fp_ieee_overflow 0
		.amdhsa_exception_fp_ieee_underflow 0
		.amdhsa_exception_fp_ieee_inexact 0
		.amdhsa_exception_int_div_zero 0
	.end_amdhsa_kernel
	.section	.text._ZN12_GLOBAL__N_121softmax_warp_backwardIN3c108BFloat16ES2_fLi5ELb0ELb1ELi32EEEvPT0_PKT_S7_iiiPKb,"axG",@progbits,_ZN12_GLOBAL__N_121softmax_warp_backwardIN3c108BFloat16ES2_fLi5ELb0ELb1ELi32EEEvPT0_PKT_S7_iiiPKb,comdat
.Lfunc_end845:
	.size	_ZN12_GLOBAL__N_121softmax_warp_backwardIN3c108BFloat16ES2_fLi5ELb0ELb1ELi32EEEvPT0_PKT_S7_iiiPKb, .Lfunc_end845-_ZN12_GLOBAL__N_121softmax_warp_backwardIN3c108BFloat16ES2_fLi5ELb0ELb1ELi32EEEvPT0_PKT_S7_iiiPKb
                                        ; -- End function
	.section	.AMDGPU.csdata,"",@progbits
; Kernel info:
; codeLenInByte = 936
; NumSgprs: 20
; NumVgprs: 15
; NumAgprs: 0
; TotalNumVgprs: 15
; ScratchSize: 0
; MemoryBound: 0
; FloatMode: 240
; IeeeMode: 1
; LDSByteSize: 0 bytes/workgroup (compile time only)
; SGPRBlocks: 2
; VGPRBlocks: 1
; NumSGPRsForWavesPerEU: 20
; NumVGPRsForWavesPerEU: 15
; AccumOffset: 16
; Occupancy: 8
; WaveLimiterHint : 0
; COMPUTE_PGM_RSRC2:SCRATCH_EN: 0
; COMPUTE_PGM_RSRC2:USER_SGPR: 6
; COMPUTE_PGM_RSRC2:TRAP_HANDLER: 0
; COMPUTE_PGM_RSRC2:TGID_X_EN: 1
; COMPUTE_PGM_RSRC2:TGID_Y_EN: 0
; COMPUTE_PGM_RSRC2:TGID_Z_EN: 0
; COMPUTE_PGM_RSRC2:TIDIG_COMP_CNT: 1
; COMPUTE_PGM_RSRC3_GFX90A:ACCUM_OFFSET: 3
; COMPUTE_PGM_RSRC3_GFX90A:TG_SPLIT: 0
	.section	.text._ZN12_GLOBAL__N_121softmax_warp_backwardIN3c108BFloat16ES2_fLi6ELb0ELb1ELi64EEEvPT0_PKT_S7_iiiPKb,"axG",@progbits,_ZN12_GLOBAL__N_121softmax_warp_backwardIN3c108BFloat16ES2_fLi6ELb0ELb1ELi64EEEvPT0_PKT_S7_iiiPKb,comdat
	.globl	_ZN12_GLOBAL__N_121softmax_warp_backwardIN3c108BFloat16ES2_fLi6ELb0ELb1ELi64EEEvPT0_PKT_S7_iiiPKb ; -- Begin function _ZN12_GLOBAL__N_121softmax_warp_backwardIN3c108BFloat16ES2_fLi6ELb0ELb1ELi64EEEvPT0_PKT_S7_iiiPKb
	.p2align	8
	.type	_ZN12_GLOBAL__N_121softmax_warp_backwardIN3c108BFloat16ES2_fLi6ELb0ELb1ELi64EEEvPT0_PKT_S7_iiiPKb,@function
_ZN12_GLOBAL__N_121softmax_warp_backwardIN3c108BFloat16ES2_fLi6ELb0ELb1ELi64EEEvPT0_PKT_S7_iiiPKb: ; @_ZN12_GLOBAL__N_121softmax_warp_backwardIN3c108BFloat16ES2_fLi6ELb0ELb1ELi64EEEvPT0_PKT_S7_iiiPKb
; %bb.0:
	s_load_dword s2, s[4:5], 0x3c
	s_load_dwordx4 s[8:11], s[4:5], 0x18
	s_load_dwordx4 s[12:15], s[4:5], 0x0
	s_load_dwordx2 s[0:1], s[4:5], 0x10
	v_bfe_u32 v1, v0, 10, 10
	s_waitcnt lgkmcnt(0)
	s_lshr_b32 s2, s2, 16
	s_mul_i32 s6, s6, s2
	v_add_lshl_u32 v1, s6, v1, 1
	v_and_b32_e32 v10, 63, v0
	v_mad_u64_u32 v[4:5], s[2:3], v1, s9, v[10:11]
	v_ashrrev_i32_e32 v5, 31, v4
	v_sub_u32_e32 v2, s8, v1
	v_lshlrev_b64 v[0:1], 1, v[4:5]
	v_mov_b32_e32 v3, s15
	v_add_co_u32_e32 v6, vcc, s14, v0
	v_addc_co_u32_e32 v7, vcc, v3, v1, vcc
	v_mov_b32_e32 v3, s1
	v_add_co_u32_e32 v8, vcc, s0, v0
	v_addc_co_u32_e32 v9, vcc, v3, v1, vcc
	v_cmp_gt_i32_e32 vcc, s10, v10
	v_cmp_lt_i32_e64 s[0:1], 0, v2
	s_and_b64 s[6:7], vcc, s[0:1]
	v_mov_b32_e32 v10, 0
	v_mov_b32_e32 v11, 0
	;; [unrolled: 1-line block ×3, first 2 shown]
	s_and_saveexec_b64 s[2:3], s[6:7]
	s_cbranch_execz .LBB846_2
; %bb.1:
	global_load_ushort v3, v[8:9], off
	global_load_ushort v12, v[6:7], off
	s_waitcnt vmcnt(1)
	v_lshlrev_b32_e32 v11, 16, v3
	s_waitcnt vmcnt(0)
	v_lshlrev_b32_e32 v12, 16, v12
.LBB846_2:
	s_or_b64 exec, exec, s[2:3]
	v_cmp_lt_i32_e64 s[2:3], 1, v2
	s_and_b64 s[2:3], vcc, s[2:3]
	s_mov_b32 s11, 0
	v_mov_b32_e32 v3, 0
	s_and_saveexec_b64 s[6:7], s[2:3]
	s_cbranch_execz .LBB846_4
; %bb.3:
	s_lshl_b64 s[8:9], s[10:11], 1
	v_mov_b32_e32 v3, s9
	v_add_co_u32_e64 v6, s[2:3], s8, v6
	v_addc_co_u32_e64 v7, s[2:3], v7, v3, s[2:3]
	v_add_co_u32_e64 v8, s[2:3], s8, v8
	v_addc_co_u32_e64 v9, s[2:3], v9, v3, s[2:3]
	global_load_ushort v3, v[8:9], off
	global_load_ushort v13, v[6:7], off
	s_waitcnt vmcnt(1)
	v_lshlrev_b32_e32 v10, 16, v3
	s_waitcnt vmcnt(0)
	v_lshlrev_b32_e32 v3, 16, v13
.LBB846_4:
	s_or_b64 exec, exec, s[6:7]
	s_load_dwordx2 s[2:3], s[4:5], 0x28
	s_ashr_i32 s4, s10, 31
	v_mov_b32_e32 v7, s4
	v_add_f32_e32 v8, 0, v12
	s_waitcnt lgkmcnt(0)
	v_mov_b32_e32 v6, s3
	v_add_co_u32_e64 v4, s[2:3], s2, v4
	v_addc_co_u32_e64 v5, s[2:3], v6, v5, s[2:3]
	global_load_ubyte v6, v[4:5], off
	v_add_co_u32_e64 v4, s[2:3], s10, v4
	v_addc_co_u32_e64 v5, s[2:3], v5, v7, s[2:3]
	global_load_ubyte v7, v[4:5], off
	v_pk_add_f32 v[4:5], v[2:3], s[10:11]
	v_mbcnt_lo_u32_b32 v4, -1, 0
	v_mbcnt_hi_u32_b32 v9, -1, v4
	v_and_b32_e32 v4, 64, v9
	v_xor_b32_e32 v13, 32, v9
	v_add_u32_e32 v14, 64, v4
	v_cmp_lt_i32_e64 s[2:3], v13, v14
	v_cndmask_b32_e64 v4, v9, v13, s[2:3]
	v_lshlrev_b32_e32 v13, 2, v4
	s_waitcnt vmcnt(1)
	v_and_b32_e32 v4, 1, v6
	v_cmp_eq_u32_e64 s[4:5], 1, v4
	v_cndmask_b32_e64 v4, v8, 0, s[4:5]
	v_xor_b32_e32 v8, 16, v9
	v_cmp_lt_i32_e64 s[6:7], v8, v14
	s_waitcnt vmcnt(0)
	v_and_b32_e32 v6, 1, v7
	v_cmp_eq_u32_e64 s[2:3], 1, v6
	v_cndmask_b32_e64 v5, v5, 0, s[2:3]
	ds_bpermute_b32 v6, v13, v4
	ds_bpermute_b32 v7, v13, v5
	v_cndmask_b32_e64 v8, v9, v8, s[6:7]
	v_lshlrev_b32_e32 v8, 2, v8
	s_waitcnt lgkmcnt(0)
	v_pk_add_f32 v[4:5], v[4:5], v[6:7]
	ds_bpermute_b32 v6, v8, v4
	ds_bpermute_b32 v7, v8, v5
	v_xor_b32_e32 v8, 8, v9
	v_cmp_lt_i32_e64 s[6:7], v8, v14
	v_cndmask_b32_e64 v8, v9, v8, s[6:7]
	v_lshlrev_b32_e32 v8, 2, v8
	s_waitcnt lgkmcnt(0)
	v_pk_add_f32 v[4:5], v[4:5], v[6:7]
	ds_bpermute_b32 v6, v8, v4
	ds_bpermute_b32 v7, v8, v5
	v_xor_b32_e32 v8, 4, v9
	v_cmp_lt_i32_e64 s[6:7], v8, v14
	;; [unrolled: 8-line block ×4, first 2 shown]
	v_cndmask_b32_e64 v8, v9, v8, s[6:7]
	v_lshlrev_b32_e32 v8, 2, v8
	s_waitcnt lgkmcnt(0)
	v_pk_add_f32 v[4:5], v[4:5], v[6:7]
	ds_bpermute_b32 v6, v8, v4
	ds_bpermute_b32 v7, v8, v5
	s_and_saveexec_b64 s[6:7], s[0:1]
	s_cbranch_execz .LBB846_12
; %bb.5:
	s_waitcnt lgkmcnt(0)
	v_pk_add_f32 v[4:5], v[4:5], v[6:7]
	v_mov_b32_e32 v6, s13
	v_add_co_u32_e64 v0, s[0:1], s12, v0
	v_addc_co_u32_e64 v1, s[0:1], v6, v1, s[0:1]
	s_and_saveexec_b64 s[6:7], vcc
	s_cbranch_execz .LBB846_9
; %bb.6:
	s_xor_b64 s[0:1], s[4:5], -1
	v_mov_b32_e32 v6, 0
	s_and_saveexec_b64 s[4:5], s[0:1]
; %bb.7:
	v_fma_f32 v4, -v4, v11, v12
	v_bfe_u32 v6, v4, 16, 1
	s_movk_i32 s0, 0x7fff
	v_add3_u32 v6, v4, v6, s0
	v_lshrrev_b32_e32 v6, 16, v6
	v_mov_b32_e32 v7, 0x7fc0
	v_cmp_o_f32_e64 s[0:1], v4, v4
	v_cndmask_b32_e64 v6, v7, v6, s[0:1]
; %bb.8:
	s_or_b64 exec, exec, s[4:5]
	global_store_short v[0:1], v6, off
.LBB846_9:
	s_or_b64 exec, exec, s[6:7]
	v_cmp_ne_u32_e64 s[0:1], 1, v2
	s_and_b64 exec, exec, s[0:1]
	s_cbranch_execz .LBB846_12
; %bb.10:
	s_and_b64 exec, exec, vcc
	s_cbranch_execz .LBB846_12
; %bb.11:
	v_fma_f32 v2, -v5, v10, v3
	v_bfe_u32 v3, v2, 16, 1
	s_movk_i32 s0, 0x7fff
	v_add3_u32 v3, v2, v3, s0
	v_lshrrev_b32_e32 v3, 16, v3
	v_mov_b32_e32 v4, 0x7fc0
	v_cmp_o_f32_e32 vcc, v2, v2
	s_lshl_b64 s[0:1], s[10:11], 1
	v_cndmask_b32_e32 v2, v4, v3, vcc
	v_mov_b32_e32 v3, s1
	v_add_co_u32_e32 v0, vcc, s0, v0
	v_addc_co_u32_e32 v1, vcc, v1, v3, vcc
	v_cndmask_b32_e64 v2, v2, 0, s[2:3]
	global_store_short v[0:1], v2, off
.LBB846_12:
	s_endpgm
	.section	.rodata,"a",@progbits
	.p2align	6, 0x0
	.amdhsa_kernel _ZN12_GLOBAL__N_121softmax_warp_backwardIN3c108BFloat16ES2_fLi6ELb0ELb1ELi64EEEvPT0_PKT_S7_iiiPKb
		.amdhsa_group_segment_fixed_size 0
		.amdhsa_private_segment_fixed_size 0
		.amdhsa_kernarg_size 304
		.amdhsa_user_sgpr_count 6
		.amdhsa_user_sgpr_private_segment_buffer 1
		.amdhsa_user_sgpr_dispatch_ptr 0
		.amdhsa_user_sgpr_queue_ptr 0
		.amdhsa_user_sgpr_kernarg_segment_ptr 1
		.amdhsa_user_sgpr_dispatch_id 0
		.amdhsa_user_sgpr_flat_scratch_init 0
		.amdhsa_user_sgpr_kernarg_preload_length 0
		.amdhsa_user_sgpr_kernarg_preload_offset 0
		.amdhsa_user_sgpr_private_segment_size 0
		.amdhsa_uses_dynamic_stack 0
		.amdhsa_system_sgpr_private_segment_wavefront_offset 0
		.amdhsa_system_sgpr_workgroup_id_x 1
		.amdhsa_system_sgpr_workgroup_id_y 0
		.amdhsa_system_sgpr_workgroup_id_z 0
		.amdhsa_system_sgpr_workgroup_info 0
		.amdhsa_system_vgpr_workitem_id 1
		.amdhsa_next_free_vgpr 15
		.amdhsa_next_free_sgpr 16
		.amdhsa_accum_offset 16
		.amdhsa_reserve_vcc 1
		.amdhsa_reserve_flat_scratch 0
		.amdhsa_float_round_mode_32 0
		.amdhsa_float_round_mode_16_64 0
		.amdhsa_float_denorm_mode_32 3
		.amdhsa_float_denorm_mode_16_64 3
		.amdhsa_dx10_clamp 1
		.amdhsa_ieee_mode 1
		.amdhsa_fp16_overflow 0
		.amdhsa_tg_split 0
		.amdhsa_exception_fp_ieee_invalid_op 0
		.amdhsa_exception_fp_denorm_src 0
		.amdhsa_exception_fp_ieee_div_zero 0
		.amdhsa_exception_fp_ieee_overflow 0
		.amdhsa_exception_fp_ieee_underflow 0
		.amdhsa_exception_fp_ieee_inexact 0
		.amdhsa_exception_int_div_zero 0
	.end_amdhsa_kernel
	.section	.text._ZN12_GLOBAL__N_121softmax_warp_backwardIN3c108BFloat16ES2_fLi6ELb0ELb1ELi64EEEvPT0_PKT_S7_iiiPKb,"axG",@progbits,_ZN12_GLOBAL__N_121softmax_warp_backwardIN3c108BFloat16ES2_fLi6ELb0ELb1ELi64EEEvPT0_PKT_S7_iiiPKb,comdat
.Lfunc_end846:
	.size	_ZN12_GLOBAL__N_121softmax_warp_backwardIN3c108BFloat16ES2_fLi6ELb0ELb1ELi64EEEvPT0_PKT_S7_iiiPKb, .Lfunc_end846-_ZN12_GLOBAL__N_121softmax_warp_backwardIN3c108BFloat16ES2_fLi6ELb0ELb1ELi64EEEvPT0_PKT_S7_iiiPKb
                                        ; -- End function
	.section	.AMDGPU.csdata,"",@progbits
; Kernel info:
; codeLenInByte = 984
; NumSgprs: 20
; NumVgprs: 15
; NumAgprs: 0
; TotalNumVgprs: 15
; ScratchSize: 0
; MemoryBound: 0
; FloatMode: 240
; IeeeMode: 1
; LDSByteSize: 0 bytes/workgroup (compile time only)
; SGPRBlocks: 2
; VGPRBlocks: 1
; NumSGPRsForWavesPerEU: 20
; NumVGPRsForWavesPerEU: 15
; AccumOffset: 16
; Occupancy: 8
; WaveLimiterHint : 0
; COMPUTE_PGM_RSRC2:SCRATCH_EN: 0
; COMPUTE_PGM_RSRC2:USER_SGPR: 6
; COMPUTE_PGM_RSRC2:TRAP_HANDLER: 0
; COMPUTE_PGM_RSRC2:TGID_X_EN: 1
; COMPUTE_PGM_RSRC2:TGID_Y_EN: 0
; COMPUTE_PGM_RSRC2:TGID_Z_EN: 0
; COMPUTE_PGM_RSRC2:TIDIG_COMP_CNT: 1
; COMPUTE_PGM_RSRC3_GFX90A:ACCUM_OFFSET: 3
; COMPUTE_PGM_RSRC3_GFX90A:TG_SPLIT: 0
	.section	.text._ZN12_GLOBAL__N_121softmax_warp_backwardIN3c108BFloat16ES2_fLi6ELb0ELb1ELi32EEEvPT0_PKT_S7_iiiPKb,"axG",@progbits,_ZN12_GLOBAL__N_121softmax_warp_backwardIN3c108BFloat16ES2_fLi6ELb0ELb1ELi32EEEvPT0_PKT_S7_iiiPKb,comdat
	.globl	_ZN12_GLOBAL__N_121softmax_warp_backwardIN3c108BFloat16ES2_fLi6ELb0ELb1ELi32EEEvPT0_PKT_S7_iiiPKb ; -- Begin function _ZN12_GLOBAL__N_121softmax_warp_backwardIN3c108BFloat16ES2_fLi6ELb0ELb1ELi32EEEvPT0_PKT_S7_iiiPKb
	.p2align	8
	.type	_ZN12_GLOBAL__N_121softmax_warp_backwardIN3c108BFloat16ES2_fLi6ELb0ELb1ELi32EEEvPT0_PKT_S7_iiiPKb,@function
_ZN12_GLOBAL__N_121softmax_warp_backwardIN3c108BFloat16ES2_fLi6ELb0ELb1ELi32EEEvPT0_PKT_S7_iiiPKb: ; @_ZN12_GLOBAL__N_121softmax_warp_backwardIN3c108BFloat16ES2_fLi6ELb0ELb1ELi32EEEvPT0_PKT_S7_iiiPKb
; %bb.0:
	s_load_dword s2, s[4:5], 0x3c
	s_load_dwordx4 s[12:15], s[4:5], 0x18
	s_load_dwordx4 s[16:19], s[4:5], 0x0
	s_load_dwordx2 s[0:1], s[4:5], 0x10
	v_bfe_u32 v1, v0, 10, 10
	s_waitcnt lgkmcnt(0)
	s_lshr_b32 s2, s2, 16
	s_mul_i32 s6, s6, s2
	v_add_lshl_u32 v1, s6, v1, 1
	v_and_b32_e32 v0, 31, v0
	v_mad_u64_u32 v[6:7], s[2:3], v1, s13, v[0:1]
	v_ashrrev_i32_e32 v7, 31, v6
	v_lshlrev_b64 v[2:3], 1, v[6:7]
	v_sub_u32_e32 v4, s12, v1
	v_mov_b32_e32 v1, s19
	v_add_co_u32_e32 v8, vcc, s18, v2
	v_addc_co_u32_e32 v9, vcc, v1, v3, vcc
	v_mov_b32_e32 v1, s1
	v_add_co_u32_e32 v10, vcc, s0, v2
	v_addc_co_u32_e32 v11, vcc, v1, v3, vcc
	v_cmp_lt_i32_e64 s[2:3], 0, v4
	v_cmp_gt_i32_e32 vcc, s14, v0
	s_and_b64 s[6:7], s[2:3], vcc
	v_mov_b32_e32 v13, 0
	v_mov_b32_e32 v15, 0
	;; [unrolled: 1-line block ×3, first 2 shown]
	s_and_saveexec_b64 s[0:1], s[6:7]
	s_cbranch_execz .LBB847_2
; %bb.1:
	global_load_ushort v1, v[10:11], off
	global_load_ushort v5, v[8:9], off
	s_waitcnt vmcnt(1)
	v_lshlrev_b32_e32 v15, 16, v1
	s_waitcnt vmcnt(0)
	v_lshlrev_b32_e32 v16, 16, v5
.LBB847_2:
	s_or_b64 exec, exec, s[0:1]
	v_or_b32_e32 v0, 32, v0
	v_cmp_gt_i32_e64 s[0:1], s14, v0
	s_and_b64 s[8:9], s[2:3], s[0:1]
	v_mov_b32_e32 v0, 0
	s_and_saveexec_b64 s[6:7], s[8:9]
	s_cbranch_execz .LBB847_4
; %bb.3:
	global_load_ushort v0, v[10:11], off offset:64
	global_load_ushort v1, v[8:9], off offset:64
	s_waitcnt vmcnt(1)
	v_lshlrev_b32_e32 v13, 16, v0
	s_waitcnt vmcnt(0)
	v_lshlrev_b32_e32 v0, 16, v1
.LBB847_4:
	s_or_b64 exec, exec, s[6:7]
	v_cmp_lt_i32_e64 s[6:7], 1, v4
	s_and_b64 s[8:9], s[6:7], vcc
	s_mov_b32 s15, 0
	v_mov_b32_e32 v12, 0
	v_mov_b32_e32 v14, 0
	;; [unrolled: 1-line block ×3, first 2 shown]
	s_and_saveexec_b64 s[10:11], s[8:9]
	s_cbranch_execz .LBB847_6
; %bb.5:
	s_lshl_b64 s[12:13], s[14:15], 1
	v_mov_b32_e32 v1, s13
	v_add_co_u32_e64 v18, s[8:9], s12, v8
	v_addc_co_u32_e64 v19, s[8:9], v9, v1, s[8:9]
	v_add_co_u32_e64 v20, s[8:9], s12, v10
	v_addc_co_u32_e64 v21, s[8:9], v11, v1, s[8:9]
	global_load_ushort v1, v[20:21], off
	global_load_ushort v5, v[18:19], off
	s_waitcnt vmcnt(1)
	v_lshlrev_b32_e32 v14, 16, v1
	s_waitcnt vmcnt(0)
	v_lshlrev_b32_e32 v1, 16, v5
.LBB847_6:
	s_or_b64 exec, exec, s[10:11]
	s_and_b64 s[6:7], s[6:7], s[0:1]
	v_mov_b32_e32 v5, 0
	s_and_saveexec_b64 s[8:9], s[6:7]
	s_cbranch_execz .LBB847_8
; %bb.7:
	s_lshl_b64 s[10:11], s[14:15], 1
	v_mov_b32_e32 v5, s11
	v_add_co_u32_e64 v8, s[6:7], s10, v8
	v_addc_co_u32_e64 v9, s[6:7], v9, v5, s[6:7]
	v_add_co_u32_e64 v10, s[6:7], s10, v10
	v_addc_co_u32_e64 v11, s[6:7], v11, v5, s[6:7]
	global_load_ushort v5, v[10:11], off offset:64
	global_load_ushort v17, v[8:9], off offset:64
	s_waitcnt vmcnt(1)
	v_lshlrev_b32_e32 v12, 16, v5
	s_waitcnt vmcnt(0)
	v_lshlrev_b32_e32 v5, 16, v17
.LBB847_8:
	s_or_b64 exec, exec, s[8:9]
	s_load_dwordx2 s[4:5], s[4:5], 0x28
	v_mbcnt_lo_u32_b32 v17, -1, 0
	v_mbcnt_hi_u32_b32 v17, -1, v17
	v_and_b32_e32 v18, 0x60, v17
	v_xor_b32_e32 v19, 16, v17
	s_waitcnt lgkmcnt(0)
	v_mov_b32_e32 v8, s5
	v_add_co_u32_e64 v6, s[4:5], s4, v6
	v_addc_co_u32_e64 v7, s[4:5], v8, v7, s[4:5]
	s_ashr_i32 s4, s14, 31
	global_load_ubyte v8, v[6:7], off
	global_load_ubyte v9, v[6:7], off offset:32
	v_mov_b32_e32 v10, s4
	v_add_co_u32_e64 v6, s[4:5], s14, v6
	v_addc_co_u32_e64 v7, s[4:5], v7, v10, s[4:5]
	global_load_ubyte v10, v[6:7], off
	global_load_ubyte v11, v[6:7], off offset:32
	v_add_f32_e32 v6, 0, v16
	v_mov_b32_e32 v7, 0
	v_add_u32_e32 v18, 32, v18
	v_cmp_lt_i32_e64 s[4:5], v19, v18
	v_cndmask_b32_e64 v19, v17, v19, s[4:5]
	v_lshlrev_b32_e32 v19, 2, v19
	s_waitcnt vmcnt(3)
	v_and_b32_e32 v8, 1, v8
	v_cmp_eq_u32_e64 s[10:11], 1, v8
	s_waitcnt vmcnt(2)
	v_and_b32_e32 v20, 1, v9
	v_cndmask_b32_e64 v6, v6, 0, s[10:11]
	v_pk_add_f32 v[8:9], v[6:7], v[0:1] op_sel_hi:[1,0]
	v_cmp_eq_u32_e64 s[8:9], 1, v20
	s_waitcnt vmcnt(1)
	v_and_b32_e32 v21, 1, v10
	s_waitcnt vmcnt(0)
	v_and_b32_e32 v22, 1, v11
	v_pk_add_f32 v[10:11], v[6:7], v[0:1]
	v_cmp_eq_u32_e64 s[6:7], 1, v21
	v_cndmask_b32_e64 v6, v8, v6, s[8:9]
	v_cndmask_b32_e64 v7, v11, 0, s[6:7]
	v_pk_add_f32 v[8:9], v[6:7], v[4:5]
	v_cmp_eq_u32_e64 s[4:5], 1, v22
	v_cndmask_b32_e64 v7, v9, v7, s[4:5]
	ds_bpermute_b32 v8, v19, v6
	ds_bpermute_b32 v9, v19, v7
	v_xor_b32_e32 v10, 8, v17
	v_cmp_lt_i32_e64 s[12:13], v10, v18
	v_cndmask_b32_e64 v10, v17, v10, s[12:13]
	v_lshlrev_b32_e32 v10, 2, v10
	s_waitcnt lgkmcnt(0)
	v_pk_add_f32 v[6:7], v[6:7], v[8:9]
	ds_bpermute_b32 v8, v10, v6
	ds_bpermute_b32 v9, v10, v7
	v_xor_b32_e32 v10, 4, v17
	v_cmp_lt_i32_e64 s[12:13], v10, v18
	v_cndmask_b32_e64 v10, v17, v10, s[12:13]
	v_lshlrev_b32_e32 v10, 2, v10
	s_waitcnt lgkmcnt(0)
	v_pk_add_f32 v[6:7], v[6:7], v[8:9]
	;; [unrolled: 8-line block ×4, first 2 shown]
	ds_bpermute_b32 v8, v10, v6
	ds_bpermute_b32 v9, v10, v7
	s_and_saveexec_b64 s[12:13], s[2:3]
	s_cbranch_execz .LBB847_12
; %bb.9:
	s_waitcnt lgkmcnt(0)
	v_pk_add_f32 v[6:7], v[6:7], v[8:9]
	v_mov_b32_e32 v8, s17
	v_add_co_u32_e64 v2, s[2:3], s16, v2
	v_addc_co_u32_e64 v3, s[2:3], v8, v3, s[2:3]
	s_and_saveexec_b64 s[12:13], vcc
	s_cbranch_execnz .LBB847_13
; %bb.10:
	s_or_b64 exec, exec, s[12:13]
	s_xor_b64 s[2:3], s[8:9], -1
	s_and_saveexec_b64 s[8:9], s[0:1]
	s_cbranch_execnz .LBB847_16
.LBB847_11:
	s_or_b64 exec, exec, s[8:9]
	v_cmp_ne_u32_e64 s[2:3], 1, v4
	s_and_b64 exec, exec, s[2:3]
	s_cbranch_execnz .LBB847_19
.LBB847_12:
	s_endpgm
.LBB847_13:
	s_xor_b64 s[2:3], s[10:11], -1
	v_mov_b32_e32 v8, 0
	s_and_saveexec_b64 s[10:11], s[2:3]
; %bb.14:
	v_fma_f32 v8, -v6, v15, v16
	v_bfe_u32 v9, v8, 16, 1
	s_movk_i32 s2, 0x7fff
	v_add3_u32 v9, v8, v9, s2
	v_lshrrev_b32_e32 v9, 16, v9
	v_mov_b32_e32 v10, 0x7fc0
	v_cmp_o_f32_e64 s[2:3], v8, v8
	v_cndmask_b32_e64 v8, v10, v9, s[2:3]
; %bb.15:
	s_or_b64 exec, exec, s[10:11]
	global_store_short v[2:3], v8, off
	s_or_b64 exec, exec, s[12:13]
	s_xor_b64 s[2:3], s[8:9], -1
	s_and_saveexec_b64 s[8:9], s[0:1]
	s_cbranch_execz .LBB847_11
.LBB847_16:
	v_mov_b32_e32 v8, 0
	s_and_saveexec_b64 s[10:11], s[2:3]
; %bb.17:
	v_fma_f32 v0, -v6, v13, v0
	v_bfe_u32 v6, v0, 16, 1
	s_movk_i32 s2, 0x7fff
	v_add3_u32 v6, v0, v6, s2
	v_lshrrev_b32_e32 v6, 16, v6
	v_mov_b32_e32 v8, 0x7fc0
	v_cmp_o_f32_e64 s[2:3], v0, v0
	v_cndmask_b32_e64 v8, v8, v6, s[2:3]
; %bb.18:
	s_or_b64 exec, exec, s[10:11]
	global_store_short v[2:3], v8, off offset:64
	s_or_b64 exec, exec, s[8:9]
	v_cmp_ne_u32_e64 s[2:3], 1, v4
	s_and_b64 exec, exec, s[2:3]
	s_cbranch_execz .LBB847_12
.LBB847_19:
	s_lshl_b64 s[2:3], s[14:15], 1
	v_mov_b32_e32 v0, s3
	v_add_co_u32_e64 v2, s[2:3], s2, v2
	v_addc_co_u32_e64 v3, s[2:3], v3, v0, s[2:3]
	s_and_saveexec_b64 s[2:3], vcc
	s_cbranch_execz .LBB847_21
; %bb.20:
	v_fma_f32 v0, -v7, v14, v1
	v_bfe_u32 v1, v0, 16, 1
	s_movk_i32 s8, 0x7fff
	v_add3_u32 v1, v0, v1, s8
	v_lshrrev_b32_e32 v1, 16, v1
	v_mov_b32_e32 v4, 0x7fc0
	v_cmp_o_f32_e32 vcc, v0, v0
	v_cndmask_b32_e32 v0, v4, v1, vcc
	v_cndmask_b32_e64 v0, v0, 0, s[6:7]
	global_store_short v[2:3], v0, off
.LBB847_21:
	s_or_b64 exec, exec, s[2:3]
	s_and_b64 exec, exec, s[0:1]
	s_cbranch_execz .LBB847_12
; %bb.22:
	v_fma_f32 v0, -v7, v12, v5
	v_bfe_u32 v1, v0, 16, 1
	s_movk_i32 s0, 0x7fff
	v_add3_u32 v1, v0, v1, s0
	v_lshrrev_b32_e32 v1, 16, v1
	v_mov_b32_e32 v4, 0x7fc0
	v_cmp_o_f32_e32 vcc, v0, v0
	v_cndmask_b32_e32 v0, v4, v1, vcc
	v_cndmask_b32_e64 v0, v0, 0, s[4:5]
	global_store_short v[2:3], v0, off offset:64
	s_endpgm
	.section	.rodata,"a",@progbits
	.p2align	6, 0x0
	.amdhsa_kernel _ZN12_GLOBAL__N_121softmax_warp_backwardIN3c108BFloat16ES2_fLi6ELb0ELb1ELi32EEEvPT0_PKT_S7_iiiPKb
		.amdhsa_group_segment_fixed_size 0
		.amdhsa_private_segment_fixed_size 0
		.amdhsa_kernarg_size 304
		.amdhsa_user_sgpr_count 6
		.amdhsa_user_sgpr_private_segment_buffer 1
		.amdhsa_user_sgpr_dispatch_ptr 0
		.amdhsa_user_sgpr_queue_ptr 0
		.amdhsa_user_sgpr_kernarg_segment_ptr 1
		.amdhsa_user_sgpr_dispatch_id 0
		.amdhsa_user_sgpr_flat_scratch_init 0
		.amdhsa_user_sgpr_kernarg_preload_length 0
		.amdhsa_user_sgpr_kernarg_preload_offset 0
		.amdhsa_user_sgpr_private_segment_size 0
		.amdhsa_uses_dynamic_stack 0
		.amdhsa_system_sgpr_private_segment_wavefront_offset 0
		.amdhsa_system_sgpr_workgroup_id_x 1
		.amdhsa_system_sgpr_workgroup_id_y 0
		.amdhsa_system_sgpr_workgroup_id_z 0
		.amdhsa_system_sgpr_workgroup_info 0
		.amdhsa_system_vgpr_workitem_id 1
		.amdhsa_next_free_vgpr 23
		.amdhsa_next_free_sgpr 20
		.amdhsa_accum_offset 24
		.amdhsa_reserve_vcc 1
		.amdhsa_reserve_flat_scratch 0
		.amdhsa_float_round_mode_32 0
		.amdhsa_float_round_mode_16_64 0
		.amdhsa_float_denorm_mode_32 3
		.amdhsa_float_denorm_mode_16_64 3
		.amdhsa_dx10_clamp 1
		.amdhsa_ieee_mode 1
		.amdhsa_fp16_overflow 0
		.amdhsa_tg_split 0
		.amdhsa_exception_fp_ieee_invalid_op 0
		.amdhsa_exception_fp_denorm_src 0
		.amdhsa_exception_fp_ieee_div_zero 0
		.amdhsa_exception_fp_ieee_overflow 0
		.amdhsa_exception_fp_ieee_underflow 0
		.amdhsa_exception_fp_ieee_inexact 0
		.amdhsa_exception_int_div_zero 0
	.end_amdhsa_kernel
	.section	.text._ZN12_GLOBAL__N_121softmax_warp_backwardIN3c108BFloat16ES2_fLi6ELb0ELb1ELi32EEEvPT0_PKT_S7_iiiPKb,"axG",@progbits,_ZN12_GLOBAL__N_121softmax_warp_backwardIN3c108BFloat16ES2_fLi6ELb0ELb1ELi32EEEvPT0_PKT_S7_iiiPKb,comdat
.Lfunc_end847:
	.size	_ZN12_GLOBAL__N_121softmax_warp_backwardIN3c108BFloat16ES2_fLi6ELb0ELb1ELi32EEEvPT0_PKT_S7_iiiPKb, .Lfunc_end847-_ZN12_GLOBAL__N_121softmax_warp_backwardIN3c108BFloat16ES2_fLi6ELb0ELb1ELi32EEEvPT0_PKT_S7_iiiPKb
                                        ; -- End function
	.section	.AMDGPU.csdata,"",@progbits
; Kernel info:
; codeLenInByte = 1400
; NumSgprs: 24
; NumVgprs: 23
; NumAgprs: 0
; TotalNumVgprs: 23
; ScratchSize: 0
; MemoryBound: 0
; FloatMode: 240
; IeeeMode: 1
; LDSByteSize: 0 bytes/workgroup (compile time only)
; SGPRBlocks: 2
; VGPRBlocks: 2
; NumSGPRsForWavesPerEU: 24
; NumVGPRsForWavesPerEU: 23
; AccumOffset: 24
; Occupancy: 8
; WaveLimiterHint : 0
; COMPUTE_PGM_RSRC2:SCRATCH_EN: 0
; COMPUTE_PGM_RSRC2:USER_SGPR: 6
; COMPUTE_PGM_RSRC2:TRAP_HANDLER: 0
; COMPUTE_PGM_RSRC2:TGID_X_EN: 1
; COMPUTE_PGM_RSRC2:TGID_Y_EN: 0
; COMPUTE_PGM_RSRC2:TGID_Z_EN: 0
; COMPUTE_PGM_RSRC2:TIDIG_COMP_CNT: 1
; COMPUTE_PGM_RSRC3_GFX90A:ACCUM_OFFSET: 5
; COMPUTE_PGM_RSRC3_GFX90A:TG_SPLIT: 0
	.section	.text._ZN12_GLOBAL__N_121softmax_warp_backwardIN3c108BFloat16ES2_fLi7ELb0ELb1ELi64EEEvPT0_PKT_S7_iiiPKb,"axG",@progbits,_ZN12_GLOBAL__N_121softmax_warp_backwardIN3c108BFloat16ES2_fLi7ELb0ELb1ELi64EEEvPT0_PKT_S7_iiiPKb,comdat
	.globl	_ZN12_GLOBAL__N_121softmax_warp_backwardIN3c108BFloat16ES2_fLi7ELb0ELb1ELi64EEEvPT0_PKT_S7_iiiPKb ; -- Begin function _ZN12_GLOBAL__N_121softmax_warp_backwardIN3c108BFloat16ES2_fLi7ELb0ELb1ELi64EEEvPT0_PKT_S7_iiiPKb
	.p2align	8
	.type	_ZN12_GLOBAL__N_121softmax_warp_backwardIN3c108BFloat16ES2_fLi7ELb0ELb1ELi64EEEvPT0_PKT_S7_iiiPKb,@function
_ZN12_GLOBAL__N_121softmax_warp_backwardIN3c108BFloat16ES2_fLi7ELb0ELb1ELi64EEEvPT0_PKT_S7_iiiPKb: ; @_ZN12_GLOBAL__N_121softmax_warp_backwardIN3c108BFloat16ES2_fLi7ELb0ELb1ELi64EEEvPT0_PKT_S7_iiiPKb
; %bb.0:
	s_load_dword s2, s[4:5], 0x3c
	s_load_dwordx4 s[12:15], s[4:5], 0x18
	s_load_dwordx4 s[16:19], s[4:5], 0x0
	s_load_dwordx2 s[0:1], s[4:5], 0x10
	v_bfe_u32 v1, v0, 10, 10
	s_waitcnt lgkmcnt(0)
	s_lshr_b32 s2, s2, 16
	s_mul_i32 s6, s6, s2
	v_add_lshl_u32 v1, s6, v1, 1
	v_and_b32_e32 v0, 63, v0
	v_mad_u64_u32 v[6:7], s[2:3], v1, s13, v[0:1]
	v_ashrrev_i32_e32 v7, 31, v6
	v_lshlrev_b64 v[4:5], 1, v[6:7]
	v_sub_u32_e32 v2, s12, v1
	v_mov_b32_e32 v1, s19
	v_add_co_u32_e32 v8, vcc, s18, v4
	v_addc_co_u32_e32 v9, vcc, v1, v5, vcc
	v_mov_b32_e32 v1, s1
	v_add_co_u32_e32 v10, vcc, s0, v4
	v_addc_co_u32_e32 v11, vcc, v1, v5, vcc
	v_cmp_lt_i32_e64 s[2:3], 0, v2
	v_cmp_gt_i32_e32 vcc, s14, v0
	s_and_b64 s[6:7], s[2:3], vcc
	v_mov_b32_e32 v13, 0
	v_mov_b32_e32 v15, 0
	;; [unrolled: 1-line block ×3, first 2 shown]
	s_and_saveexec_b64 s[0:1], s[6:7]
	s_cbranch_execz .LBB848_2
; %bb.1:
	global_load_ushort v1, v[10:11], off
	global_load_ushort v3, v[8:9], off
	s_waitcnt vmcnt(1)
	v_lshlrev_b32_e32 v15, 16, v1
	s_waitcnt vmcnt(0)
	v_lshlrev_b32_e32 v16, 16, v3
.LBB848_2:
	s_or_b64 exec, exec, s[0:1]
	v_or_b32_e32 v0, 64, v0
	v_cmp_gt_i32_e64 s[0:1], s14, v0
	s_and_b64 s[8:9], s[2:3], s[0:1]
	v_mov_b32_e32 v0, 0
	s_and_saveexec_b64 s[6:7], s[8:9]
	s_cbranch_execz .LBB848_4
; %bb.3:
	global_load_ushort v0, v[10:11], off offset:128
	global_load_ushort v1, v[8:9], off offset:128
	s_waitcnt vmcnt(1)
	v_lshlrev_b32_e32 v13, 16, v0
	s_waitcnt vmcnt(0)
	v_lshlrev_b32_e32 v0, 16, v1
.LBB848_4:
	s_or_b64 exec, exec, s[6:7]
	v_cmp_lt_i32_e64 s[6:7], 1, v2
	s_and_b64 s[8:9], s[6:7], vcc
	s_mov_b32 s15, 0
	v_mov_b32_e32 v12, 0
	v_mov_b32_e32 v14, 0
	;; [unrolled: 1-line block ×3, first 2 shown]
	s_and_saveexec_b64 s[10:11], s[8:9]
	s_cbranch_execz .LBB848_6
; %bb.5:
	s_lshl_b64 s[12:13], s[14:15], 1
	v_mov_b32_e32 v1, s13
	v_add_co_u32_e64 v18, s[8:9], s12, v8
	v_addc_co_u32_e64 v19, s[8:9], v9, v1, s[8:9]
	v_add_co_u32_e64 v20, s[8:9], s12, v10
	v_addc_co_u32_e64 v21, s[8:9], v11, v1, s[8:9]
	global_load_ushort v1, v[20:21], off
	global_load_ushort v3, v[18:19], off
	s_waitcnt vmcnt(1)
	v_lshlrev_b32_e32 v14, 16, v1
	s_waitcnt vmcnt(0)
	v_lshlrev_b32_e32 v1, 16, v3
.LBB848_6:
	s_or_b64 exec, exec, s[10:11]
	s_and_b64 s[6:7], s[6:7], s[0:1]
	v_mov_b32_e32 v3, 0
	s_and_saveexec_b64 s[8:9], s[6:7]
	s_cbranch_execz .LBB848_8
; %bb.7:
	s_lshl_b64 s[10:11], s[14:15], 1
	v_mov_b32_e32 v3, s11
	v_add_co_u32_e64 v8, s[6:7], s10, v8
	v_addc_co_u32_e64 v9, s[6:7], v9, v3, s[6:7]
	v_add_co_u32_e64 v10, s[6:7], s10, v10
	v_addc_co_u32_e64 v11, s[6:7], v11, v3, s[6:7]
	global_load_ushort v3, v[10:11], off offset:128
	global_load_ushort v17, v[8:9], off offset:128
	s_waitcnt vmcnt(1)
	v_lshlrev_b32_e32 v12, 16, v3
	s_waitcnt vmcnt(0)
	v_lshlrev_b32_e32 v3, 16, v17
.LBB848_8:
	s_or_b64 exec, exec, s[8:9]
	s_load_dwordx2 s[4:5], s[4:5], 0x28
	v_mbcnt_lo_u32_b32 v19, -1, 0
	v_mbcnt_hi_u32_b32 v20, -1, v19
	v_and_b32_e32 v19, 64, v20
	v_xor_b32_e32 v21, 32, v20
	s_waitcnt lgkmcnt(0)
	v_mov_b32_e32 v8, s5
	v_add_co_u32_e64 v6, s[4:5], s4, v6
	v_addc_co_u32_e64 v7, s[4:5], v8, v7, s[4:5]
	s_ashr_i32 s4, s14, 31
	global_load_ubyte v10, v[6:7], off
	global_load_ubyte v11, v[6:7], off offset:64
	v_mov_b32_e32 v9, s4
	v_add_co_u32_e64 v8, s[4:5], s14, v6
	v_addc_co_u32_e64 v9, s[4:5], v7, v9, s[4:5]
	global_load_ubyte v17, v[8:9], off
	global_load_ubyte v18, v[8:9], off offset:64
	v_add_u32_e32 v22, 64, v19
	v_add_f32_e32 v8, 0, v16
	v_cmp_lt_i32_e64 s[4:5], v21, v22
	v_mov_b32_e32 v9, 0
	v_cndmask_b32_e64 v19, v20, v21, s[4:5]
	v_lshlrev_b32_e32 v21, 2, v19
	s_waitcnt vmcnt(3)
	v_and_b32_e32 v10, 1, v10
	v_cmp_eq_u32_e64 s[8:9], 1, v10
	s_waitcnt vmcnt(2)
	v_and_b32_e32 v23, 1, v11
	v_cndmask_b32_e64 v8, v8, 0, s[8:9]
	v_pk_add_f32 v[10:11], v[8:9], v[0:1] op_sel_hi:[1,0]
	v_cmp_eq_u32_e64 s[4:5], 1, v23
	s_waitcnt vmcnt(1)
	v_and_b32_e32 v17, 1, v17
	s_waitcnt vmcnt(0)
	v_and_b32_e32 v24, 1, v18
	v_pk_add_f32 v[18:19], v[8:9], v[0:1]
	v_cmp_eq_u32_e64 s[6:7], 1, v17
	v_cndmask_b32_e64 v8, v10, v8, s[4:5]
	v_cndmask_b32_e64 v9, v19, 0, s[6:7]
	v_pk_add_f32 v[10:11], v[8:9], v[2:3]
	v_cmp_eq_u32_e64 s[4:5], 1, v24
	v_cndmask_b32_e64 v9, v11, v9, s[4:5]
	ds_bpermute_b32 v10, v21, v8
	ds_bpermute_b32 v11, v21, v9
	v_xor_b32_e32 v17, 16, v20
	v_cmp_lt_i32_e64 s[10:11], v17, v22
	v_cndmask_b32_e64 v17, v20, v17, s[10:11]
	v_lshlrev_b32_e32 v17, 2, v17
	s_waitcnt lgkmcnt(0)
	v_pk_add_f32 v[8:9], v[8:9], v[10:11]
	ds_bpermute_b32 v10, v17, v8
	ds_bpermute_b32 v11, v17, v9
	v_xor_b32_e32 v17, 8, v20
	v_cmp_lt_i32_e64 s[10:11], v17, v22
	v_cndmask_b32_e64 v17, v20, v17, s[10:11]
	v_lshlrev_b32_e32 v17, 2, v17
	s_waitcnt lgkmcnt(0)
	v_pk_add_f32 v[8:9], v[8:9], v[10:11]
	;; [unrolled: 8-line block ×5, first 2 shown]
	ds_bpermute_b32 v10, v17, v8
	ds_bpermute_b32 v11, v17, v9
	s_and_saveexec_b64 s[10:11], s[2:3]
	s_cbranch_execz .LBB848_12
; %bb.9:
	s_waitcnt lgkmcnt(0)
	v_pk_add_f32 v[8:9], v[8:9], v[10:11]
	v_mov_b32_e32 v10, s17
	v_add_co_u32_e64 v4, s[2:3], s16, v4
	v_addc_co_u32_e64 v5, s[2:3], v10, v5, s[2:3]
	s_and_saveexec_b64 s[10:11], vcc
	s_cbranch_execnz .LBB848_13
; %bb.10:
	s_or_b64 exec, exec, s[10:11]
	s_and_saveexec_b64 s[8:9], s[0:1]
	s_cbranch_execnz .LBB848_16
.LBB848_11:
	s_or_b64 exec, exec, s[8:9]
	v_cmp_ne_u32_e64 s[2:3], 1, v2
	s_and_b64 exec, exec, s[2:3]
	s_cbranch_execnz .LBB848_19
.LBB848_12:
	s_endpgm
.LBB848_13:
	s_xor_b64 s[2:3], s[8:9], -1
	v_mov_b32_e32 v10, 0
	s_and_saveexec_b64 s[8:9], s[2:3]
; %bb.14:
	v_fma_f32 v10, -v8, v15, v16
	v_bfe_u32 v11, v10, 16, 1
	s_movk_i32 s2, 0x7fff
	v_add3_u32 v11, v10, v11, s2
	v_lshrrev_b32_e32 v11, 16, v11
	v_mov_b32_e32 v15, 0x7fc0
	v_cmp_o_f32_e64 s[2:3], v10, v10
	v_cndmask_b32_e64 v10, v15, v11, s[2:3]
; %bb.15:
	s_or_b64 exec, exec, s[8:9]
	global_store_short v[4:5], v10, off
	s_or_b64 exec, exec, s[10:11]
	s_and_saveexec_b64 s[8:9], s[0:1]
	s_cbranch_execz .LBB848_11
.LBB848_16:
	global_load_ubyte v6, v[6:7], off offset:64
	s_waitcnt vmcnt(0)
	v_and_b32_e32 v6, 1, v6
	v_cmp_eq_u32_e64 s[2:3], 1, v6
	s_xor_b64 s[2:3], s[2:3], -1
	v_mov_b32_e32 v6, 0
	s_and_saveexec_b64 s[10:11], s[2:3]
; %bb.17:
	v_fma_f32 v0, -v8, v13, v0
	v_bfe_u32 v6, v0, 16, 1
	s_movk_i32 s2, 0x7fff
	v_add3_u32 v6, v0, v6, s2
	v_lshrrev_b32_e32 v6, 16, v6
	v_mov_b32_e32 v7, 0x7fc0
	v_cmp_o_f32_e64 s[2:3], v0, v0
	v_cndmask_b32_e64 v6, v7, v6, s[2:3]
; %bb.18:
	s_or_b64 exec, exec, s[10:11]
	global_store_short v[4:5], v6, off offset:128
	s_or_b64 exec, exec, s[8:9]
	v_cmp_ne_u32_e64 s[2:3], 1, v2
	s_and_b64 exec, exec, s[2:3]
	s_cbranch_execz .LBB848_12
.LBB848_19:
	s_lshl_b64 s[2:3], s[14:15], 1
	v_mov_b32_e32 v0, s3
	v_add_co_u32_e64 v4, s[2:3], s2, v4
	v_addc_co_u32_e64 v5, s[2:3], v5, v0, s[2:3]
	s_and_saveexec_b64 s[2:3], vcc
	s_cbranch_execz .LBB848_21
; %bb.20:
	v_fma_f32 v0, -v9, v14, v1
	v_bfe_u32 v1, v0, 16, 1
	s_movk_i32 s8, 0x7fff
	v_add3_u32 v1, v0, v1, s8
	v_lshrrev_b32_e32 v1, 16, v1
	v_mov_b32_e32 v2, 0x7fc0
	v_cmp_o_f32_e32 vcc, v0, v0
	v_cndmask_b32_e32 v0, v2, v1, vcc
	v_cndmask_b32_e64 v0, v0, 0, s[6:7]
	global_store_short v[4:5], v0, off
.LBB848_21:
	s_or_b64 exec, exec, s[2:3]
	s_and_b64 exec, exec, s[0:1]
	s_cbranch_execz .LBB848_12
; %bb.22:
	v_fma_f32 v0, -v9, v12, v3
	v_bfe_u32 v1, v0, 16, 1
	s_movk_i32 s0, 0x7fff
	v_add3_u32 v1, v0, v1, s0
	v_lshrrev_b32_e32 v1, 16, v1
	v_mov_b32_e32 v2, 0x7fc0
	v_cmp_o_f32_e32 vcc, v0, v0
	v_cndmask_b32_e32 v0, v2, v1, vcc
	v_cndmask_b32_e64 v0, v0, 0, s[4:5]
	global_store_short v[4:5], v0, off offset:128
	s_endpgm
	.section	.rodata,"a",@progbits
	.p2align	6, 0x0
	.amdhsa_kernel _ZN12_GLOBAL__N_121softmax_warp_backwardIN3c108BFloat16ES2_fLi7ELb0ELb1ELi64EEEvPT0_PKT_S7_iiiPKb
		.amdhsa_group_segment_fixed_size 0
		.amdhsa_private_segment_fixed_size 0
		.amdhsa_kernarg_size 304
		.amdhsa_user_sgpr_count 6
		.amdhsa_user_sgpr_private_segment_buffer 1
		.amdhsa_user_sgpr_dispatch_ptr 0
		.amdhsa_user_sgpr_queue_ptr 0
		.amdhsa_user_sgpr_kernarg_segment_ptr 1
		.amdhsa_user_sgpr_dispatch_id 0
		.amdhsa_user_sgpr_flat_scratch_init 0
		.amdhsa_user_sgpr_kernarg_preload_length 0
		.amdhsa_user_sgpr_kernarg_preload_offset 0
		.amdhsa_user_sgpr_private_segment_size 0
		.amdhsa_uses_dynamic_stack 0
		.amdhsa_system_sgpr_private_segment_wavefront_offset 0
		.amdhsa_system_sgpr_workgroup_id_x 1
		.amdhsa_system_sgpr_workgroup_id_y 0
		.amdhsa_system_sgpr_workgroup_id_z 0
		.amdhsa_system_sgpr_workgroup_info 0
		.amdhsa_system_vgpr_workitem_id 1
		.amdhsa_next_free_vgpr 25
		.amdhsa_next_free_sgpr 20
		.amdhsa_accum_offset 28
		.amdhsa_reserve_vcc 1
		.amdhsa_reserve_flat_scratch 0
		.amdhsa_float_round_mode_32 0
		.amdhsa_float_round_mode_16_64 0
		.amdhsa_float_denorm_mode_32 3
		.amdhsa_float_denorm_mode_16_64 3
		.amdhsa_dx10_clamp 1
		.amdhsa_ieee_mode 1
		.amdhsa_fp16_overflow 0
		.amdhsa_tg_split 0
		.amdhsa_exception_fp_ieee_invalid_op 0
		.amdhsa_exception_fp_denorm_src 0
		.amdhsa_exception_fp_ieee_div_zero 0
		.amdhsa_exception_fp_ieee_overflow 0
		.amdhsa_exception_fp_ieee_underflow 0
		.amdhsa_exception_fp_ieee_inexact 0
		.amdhsa_exception_int_div_zero 0
	.end_amdhsa_kernel
	.section	.text._ZN12_GLOBAL__N_121softmax_warp_backwardIN3c108BFloat16ES2_fLi7ELb0ELb1ELi64EEEvPT0_PKT_S7_iiiPKb,"axG",@progbits,_ZN12_GLOBAL__N_121softmax_warp_backwardIN3c108BFloat16ES2_fLi7ELb0ELb1ELi64EEEvPT0_PKT_S7_iiiPKb,comdat
.Lfunc_end848:
	.size	_ZN12_GLOBAL__N_121softmax_warp_backwardIN3c108BFloat16ES2_fLi7ELb0ELb1ELi64EEEvPT0_PKT_S7_iiiPKb, .Lfunc_end848-_ZN12_GLOBAL__N_121softmax_warp_backwardIN3c108BFloat16ES2_fLi7ELb0ELb1ELi64EEEvPT0_PKT_S7_iiiPKb
                                        ; -- End function
	.section	.AMDGPU.csdata,"",@progbits
; Kernel info:
; codeLenInByte = 1468
; NumSgprs: 24
; NumVgprs: 25
; NumAgprs: 0
; TotalNumVgprs: 25
; ScratchSize: 0
; MemoryBound: 0
; FloatMode: 240
; IeeeMode: 1
; LDSByteSize: 0 bytes/workgroup (compile time only)
; SGPRBlocks: 2
; VGPRBlocks: 3
; NumSGPRsForWavesPerEU: 24
; NumVGPRsForWavesPerEU: 25
; AccumOffset: 28
; Occupancy: 8
; WaveLimiterHint : 0
; COMPUTE_PGM_RSRC2:SCRATCH_EN: 0
; COMPUTE_PGM_RSRC2:USER_SGPR: 6
; COMPUTE_PGM_RSRC2:TRAP_HANDLER: 0
; COMPUTE_PGM_RSRC2:TGID_X_EN: 1
; COMPUTE_PGM_RSRC2:TGID_Y_EN: 0
; COMPUTE_PGM_RSRC2:TGID_Z_EN: 0
; COMPUTE_PGM_RSRC2:TIDIG_COMP_CNT: 1
; COMPUTE_PGM_RSRC3_GFX90A:ACCUM_OFFSET: 6
; COMPUTE_PGM_RSRC3_GFX90A:TG_SPLIT: 0
	.section	.text._ZN12_GLOBAL__N_121softmax_warp_backwardIN3c108BFloat16ES2_fLi7ELb0ELb1ELi32EEEvPT0_PKT_S7_iiiPKb,"axG",@progbits,_ZN12_GLOBAL__N_121softmax_warp_backwardIN3c108BFloat16ES2_fLi7ELb0ELb1ELi32EEEvPT0_PKT_S7_iiiPKb,comdat
	.globl	_ZN12_GLOBAL__N_121softmax_warp_backwardIN3c108BFloat16ES2_fLi7ELb0ELb1ELi32EEEvPT0_PKT_S7_iiiPKb ; -- Begin function _ZN12_GLOBAL__N_121softmax_warp_backwardIN3c108BFloat16ES2_fLi7ELb0ELb1ELi32EEEvPT0_PKT_S7_iiiPKb
	.p2align	8
	.type	_ZN12_GLOBAL__N_121softmax_warp_backwardIN3c108BFloat16ES2_fLi7ELb0ELb1ELi32EEEvPT0_PKT_S7_iiiPKb,@function
_ZN12_GLOBAL__N_121softmax_warp_backwardIN3c108BFloat16ES2_fLi7ELb0ELb1ELi32EEEvPT0_PKT_S7_iiiPKb: ; @_ZN12_GLOBAL__N_121softmax_warp_backwardIN3c108BFloat16ES2_fLi7ELb0ELb1ELi32EEEvPT0_PKT_S7_iiiPKb
; %bb.0:
	s_load_dword s2, s[4:5], 0x3c
	s_load_dwordx4 s[20:23], s[4:5], 0x18
	s_load_dwordx4 s[24:27], s[4:5], 0x0
	s_load_dwordx2 s[0:1], s[4:5], 0x10
	v_bfe_u32 v1, v0, 10, 10
	s_waitcnt lgkmcnt(0)
	s_lshr_b32 s2, s2, 16
	s_mul_i32 s6, s6, s2
	v_add_lshl_u32 v1, s6, v1, 1
	v_and_b32_e32 v0, 31, v0
	v_mad_u64_u32 v[10:11], s[2:3], v1, s21, v[0:1]
	v_ashrrev_i32_e32 v11, 31, v10
	v_lshlrev_b64 v[6:7], 1, v[10:11]
	v_sub_u32_e32 v8, s20, v1
	v_mov_b32_e32 v1, s27
	v_add_co_u32_e32 v12, vcc, s26, v6
	v_addc_co_u32_e32 v13, vcc, v1, v7, vcc
	v_mov_b32_e32 v1, s1
	v_add_co_u32_e32 v14, vcc, s0, v6
	v_addc_co_u32_e32 v15, vcc, v1, v7, vcc
	v_cmp_lt_i32_e64 s[6:7], 0, v8
	v_cmp_gt_i32_e32 vcc, s22, v0
	s_and_b64 s[2:3], s[6:7], vcc
	v_mov_b32_e32 v19, 0
	v_mov_b32_e32 v23, 0
	;; [unrolled: 1-line block ×3, first 2 shown]
	s_and_saveexec_b64 s[0:1], s[2:3]
	s_cbranch_execz .LBB849_2
; %bb.1:
	global_load_ushort v1, v[14:15], off
	global_load_ushort v2, v[12:13], off
	s_waitcnt vmcnt(1)
	v_lshlrev_b32_e32 v23, 16, v1
	s_waitcnt vmcnt(0)
	v_lshlrev_b32_e32 v24, 16, v2
.LBB849_2:
	s_or_b64 exec, exec, s[0:1]
	v_or_b32_e32 v1, 32, v0
	v_cmp_gt_i32_e64 s[0:1], s22, v1
	s_and_b64 s[8:9], s[6:7], s[0:1]
	v_mov_b32_e32 v4, 0
	s_and_saveexec_b64 s[2:3], s[8:9]
	s_cbranch_execz .LBB849_4
; %bb.3:
	global_load_ushort v1, v[14:15], off offset:64
	global_load_ushort v2, v[12:13], off offset:64
	s_waitcnt vmcnt(1)
	v_lshlrev_b32_e32 v19, 16, v1
	s_waitcnt vmcnt(0)
	v_lshlrev_b32_e32 v4, 16, v2
.LBB849_4:
	s_or_b64 exec, exec, s[2:3]
	v_or_b32_e32 v1, 64, v0
	v_cmp_gt_i32_e64 s[2:3], s22, v1
	s_and_b64 s[10:11], s[6:7], s[2:3]
	v_mov_b32_e32 v16, 0
	v_mov_b32_e32 v21, 0
	;; [unrolled: 1-line block ×3, first 2 shown]
	s_and_saveexec_b64 s[8:9], s[10:11]
	s_cbranch_execz .LBB849_6
; %bb.5:
	global_load_ushort v1, v[14:15], off offset:128
	global_load_ushort v2, v[12:13], off offset:128
	s_waitcnt vmcnt(1)
	v_lshlrev_b32_e32 v21, 16, v1
	s_waitcnt vmcnt(0)
	v_lshlrev_b32_e32 v2, 16, v2
.LBB849_6:
	s_or_b64 exec, exec, s[8:9]
	v_or_b32_e32 v0, 0x60, v0
	v_cmp_gt_i32_e64 s[12:13], s22, v0
	s_and_b64 s[10:11], s[6:7], s[12:13]
	v_mov_b32_e32 v0, 0
	s_and_saveexec_b64 s[8:9], s[10:11]
	s_cbranch_execz .LBB849_8
; %bb.7:
	global_load_ushort v0, v[14:15], off offset:192
	global_load_ushort v1, v[12:13], off offset:192
	s_waitcnt vmcnt(1)
	v_lshlrev_b32_e32 v16, 16, v0
	s_waitcnt vmcnt(0)
	v_lshlrev_b32_e32 v0, 16, v1
.LBB849_8:
	s_or_b64 exec, exec, s[8:9]
	v_cmp_lt_i32_e64 s[8:9], 1, v8
	s_and_b64 s[10:11], s[8:9], vcc
	s_mov_b32 s23, 0
	v_mov_b32_e32 v17, 0
	v_mov_b32_e32 v18, 0
	;; [unrolled: 1-line block ×3, first 2 shown]
	s_and_saveexec_b64 s[14:15], s[10:11]
	s_cbranch_execz .LBB849_10
; %bb.9:
	s_lshl_b64 s[16:17], s[22:23], 1
	v_mov_b32_e32 v1, s17
	v_add_co_u32_e64 v26, s[10:11], s16, v12
	v_addc_co_u32_e64 v27, s[10:11], v13, v1, s[10:11]
	v_add_co_u32_e64 v28, s[10:11], s16, v14
	v_addc_co_u32_e64 v29, s[10:11], v15, v1, s[10:11]
	global_load_ushort v1, v[28:29], off
	global_load_ushort v3, v[26:27], off
	s_waitcnt vmcnt(1)
	v_lshlrev_b32_e32 v18, 16, v1
	s_waitcnt vmcnt(0)
	v_lshlrev_b32_e32 v1, 16, v3
.LBB849_10:
	s_or_b64 exec, exec, s[14:15]
	s_and_b64 s[10:11], s[8:9], s[0:1]
	v_mov_b32_e32 v3, 0
	s_and_saveexec_b64 s[14:15], s[10:11]
	s_cbranch_execz .LBB849_12
; %bb.11:
	s_lshl_b64 s[16:17], s[22:23], 1
	v_mov_b32_e32 v3, s17
	v_add_co_u32_e64 v26, s[10:11], s16, v12
	v_addc_co_u32_e64 v27, s[10:11], v13, v3, s[10:11]
	v_add_co_u32_e64 v28, s[10:11], s16, v14
	v_addc_co_u32_e64 v29, s[10:11], v15, v3, s[10:11]
	global_load_ushort v3, v[28:29], off offset:64
	global_load_ushort v5, v[26:27], off offset:64
	s_waitcnt vmcnt(1)
	v_lshlrev_b32_e32 v17, 16, v3
	s_waitcnt vmcnt(0)
	v_lshlrev_b32_e32 v3, 16, v5
.LBB849_12:
	s_or_b64 exec, exec, s[14:15]
	s_and_b64 s[10:11], s[8:9], s[2:3]
	v_mov_b32_e32 v20, 0
	v_mov_b32_e32 v22, 0
	;; [unrolled: 1-line block ×3, first 2 shown]
	s_and_saveexec_b64 s[14:15], s[10:11]
	s_cbranch_execz .LBB849_14
; %bb.13:
	s_lshl_b64 s[16:17], s[22:23], 1
	v_mov_b32_e32 v5, s17
	v_add_co_u32_e64 v26, s[10:11], s16, v12
	v_addc_co_u32_e64 v27, s[10:11], v13, v5, s[10:11]
	v_add_co_u32_e64 v28, s[10:11], s16, v14
	v_addc_co_u32_e64 v29, s[10:11], v15, v5, s[10:11]
	global_load_ushort v5, v[28:29], off offset:128
	global_load_ushort v9, v[26:27], off offset:128
	s_waitcnt vmcnt(1)
	v_lshlrev_b32_e32 v22, 16, v5
	s_waitcnt vmcnt(0)
	v_lshlrev_b32_e32 v5, 16, v9
.LBB849_14:
	s_or_b64 exec, exec, s[14:15]
	s_and_b64 s[8:9], s[8:9], s[12:13]
	v_mov_b32_e32 v9, 0
	s_and_saveexec_b64 s[10:11], s[8:9]
	s_cbranch_execz .LBB849_16
; %bb.15:
	s_lshl_b64 s[14:15], s[22:23], 1
	v_mov_b32_e32 v9, s15
	v_add_co_u32_e64 v12, s[8:9], s14, v12
	v_addc_co_u32_e64 v13, s[8:9], v13, v9, s[8:9]
	v_add_co_u32_e64 v14, s[8:9], s14, v14
	v_addc_co_u32_e64 v15, s[8:9], v15, v9, s[8:9]
	global_load_ushort v9, v[14:15], off offset:192
	global_load_ushort v25, v[12:13], off offset:192
	s_waitcnt vmcnt(1)
	v_lshlrev_b32_e32 v20, 16, v9
	s_waitcnt vmcnt(0)
	v_lshlrev_b32_e32 v9, 16, v25
.LBB849_16:
	s_or_b64 exec, exec, s[10:11]
	s_load_dwordx2 s[4:5], s[4:5], 0x28
	s_ashr_i32 s23, s22, 31
	v_mov_b32_e32 v13, s23
	v_mbcnt_lo_u32_b32 v32, -1, 0
	v_mbcnt_hi_u32_b32 v32, -1, v32
	s_waitcnt lgkmcnt(0)
	v_mov_b32_e32 v12, s5
	v_add_co_u32_e64 v10, s[4:5], s4, v10
	v_addc_co_u32_e64 v11, s[4:5], v12, v11, s[4:5]
	global_load_ubyte v14, v[10:11], off
	global_load_ubyte v25, v[10:11], off offset:32
	global_load_ubyte v26, v[10:11], off offset:64
	;; [unrolled: 1-line block ×3, first 2 shown]
	v_add_co_u32_e64 v12, s[4:5], s22, v10
	v_addc_co_u32_e64 v13, s[4:5], v11, v13, s[4:5]
	global_load_ubyte v28, v[12:13], off
	global_load_ubyte v29, v[12:13], off offset:32
	global_load_ubyte v30, v[12:13], off offset:64
	global_load_ubyte v31, v[12:13], off offset:96
	v_and_b32_e32 v33, 0x60, v32
	v_add_f32_e32 v12, 0, v24
	v_xor_b32_e32 v34, 16, v32
	v_add_u32_e32 v33, 32, v33
	v_mov_b32_e32 v13, 0
	v_cmp_lt_i32_e64 s[4:5], v34, v33
	v_cndmask_b32_e64 v34, v32, v34, s[4:5]
	v_mov_b32_e32 v15, v13
	v_lshlrev_b32_e32 v34, 2, v34
	s_waitcnt vmcnt(7)
	v_and_b32_e32 v14, 1, v14
	v_cmp_eq_u32_e64 s[16:17], 1, v14
	s_waitcnt vmcnt(6)
	v_and_b32_e32 v25, 1, v25
	v_cndmask_b32_e64 v12, v12, 0, s[16:17]
	s_waitcnt vmcnt(5)
	v_and_b32_e32 v35, 1, v26
	s_waitcnt vmcnt(3)
	v_and_b32_e32 v14, 1, v28
	v_and_b32_e32 v36, 1, v27
	s_waitcnt vmcnt(2)
	v_and_b32_e32 v37, 1, v29
	v_pk_add_f32 v[26:27], v[12:13], v[4:5] op_sel_hi:[1,0]
	v_pk_add_f32 v[28:29], v[12:13], v[0:1]
	v_cmp_eq_u32_e64 s[4:5], 1, v25
	v_cmp_eq_u32_e64 s[14:15], 1, v14
	v_cndmask_b32_e64 v12, v26, v12, s[4:5]
	v_cndmask_b32_e64 v13, v29, 0, s[14:15]
	v_pk_add_f32 v[26:27], v[12:13], v[2:3] op_sel_hi:[1,0]
	v_cmp_eq_u32_e64 s[4:5], 1, v35
	v_pk_add_f32 v[28:29], v[12:13], v[2:3]
	v_cndmask_b32_e64 v14, v26, v12, s[4:5]
	v_cmp_eq_u32_e64 s[4:5], 1, v37
	s_waitcnt vmcnt(1)
	v_and_b32_e32 v30, 1, v30
	v_cndmask_b32_e64 v13, v29, v13, s[4:5]
	v_pk_add_f32 v[26:27], v[14:15], v[0:1] op_sel_hi:[1,0]
	v_pk_add_f32 v[28:29], v[12:13], v[4:5]
	v_cmp_eq_u32_e64 s[8:9], 1, v36
	v_cmp_eq_u32_e64 s[10:11], 1, v30
	s_waitcnt vmcnt(0)
	v_and_b32_e32 v31, 1, v31
	v_cndmask_b32_e64 v12, v26, v14, s[8:9]
	v_cndmask_b32_e64 v13, v29, v13, s[10:11]
	v_pk_add_f32 v[14:15], v[12:13], v[8:9]
	v_cmp_eq_u32_e64 s[8:9], 1, v31
	v_cndmask_b32_e64 v13, v15, v13, s[8:9]
	ds_bpermute_b32 v14, v34, v12
	ds_bpermute_b32 v15, v34, v13
	v_xor_b32_e32 v25, 8, v32
	v_cmp_lt_i32_e64 s[18:19], v25, v33
	v_cndmask_b32_e64 v25, v32, v25, s[18:19]
	v_lshlrev_b32_e32 v25, 2, v25
	s_waitcnt lgkmcnt(0)
	v_pk_add_f32 v[12:13], v[12:13], v[14:15]
	ds_bpermute_b32 v14, v25, v12
	ds_bpermute_b32 v15, v25, v13
	v_xor_b32_e32 v25, 4, v32
	v_cmp_lt_i32_e64 s[18:19], v25, v33
	v_cndmask_b32_e64 v25, v32, v25, s[18:19]
	v_lshlrev_b32_e32 v25, 2, v25
	s_waitcnt lgkmcnt(0)
	v_pk_add_f32 v[12:13], v[12:13], v[14:15]
	ds_bpermute_b32 v14, v25, v12
	ds_bpermute_b32 v15, v25, v13
	v_xor_b32_e32 v25, 2, v32
	v_cmp_lt_i32_e64 s[18:19], v25, v33
	v_cndmask_b32_e64 v25, v32, v25, s[18:19]
	v_lshlrev_b32_e32 v25, 2, v25
	s_waitcnt lgkmcnt(0)
	v_pk_add_f32 v[12:13], v[12:13], v[14:15]
	ds_bpermute_b32 v14, v25, v12
	ds_bpermute_b32 v15, v25, v13
	v_xor_b32_e32 v25, 1, v32
	v_cmp_lt_i32_e64 s[18:19], v25, v33
	v_cndmask_b32_e64 v25, v32, v25, s[18:19]
	v_lshlrev_b32_e32 v25, 2, v25
	s_waitcnt lgkmcnt(0)
	v_pk_add_f32 v[12:13], v[12:13], v[14:15]
	ds_bpermute_b32 v14, v25, v12
	ds_bpermute_b32 v15, v25, v13
	s_and_saveexec_b64 s[18:19], s[6:7]
	s_cbranch_execz .LBB849_22
; %bb.17:
	s_waitcnt lgkmcnt(0)
	v_pk_add_f32 v[12:13], v[12:13], v[14:15]
	v_mov_b32_e32 v14, s25
	v_add_co_u32_e64 v6, s[6:7], s24, v6
	v_addc_co_u32_e64 v7, s[6:7], v14, v7, s[6:7]
	s_and_saveexec_b64 s[18:19], vcc
	s_cbranch_execnz .LBB849_23
; %bb.18:
	s_or_b64 exec, exec, s[18:19]
	s_and_saveexec_b64 s[16:17], s[0:1]
	s_cbranch_execnz .LBB849_26
.LBB849_19:
	s_or_b64 exec, exec, s[16:17]
	s_and_saveexec_b64 s[16:17], s[2:3]
	s_cbranch_execnz .LBB849_29
.LBB849_20:
	s_or_b64 exec, exec, s[16:17]
	s_and_saveexec_b64 s[16:17], s[12:13]
	s_cbranch_execnz .LBB849_32
.LBB849_21:
	s_or_b64 exec, exec, s[16:17]
	v_cmp_ne_u32_e64 s[6:7], 1, v8
	s_and_b64 exec, exec, s[6:7]
	s_cbranch_execnz .LBB849_35
.LBB849_22:
	s_endpgm
.LBB849_23:
	s_xor_b64 s[6:7], s[16:17], -1
	v_mov_b32_e32 v14, 0
	s_and_saveexec_b64 s[16:17], s[6:7]
; %bb.24:
	v_fma_f32 v14, -v12, v23, v24
	v_bfe_u32 v15, v14, 16, 1
	s_movk_i32 s6, 0x7fff
	v_add3_u32 v15, v14, v15, s6
	v_lshrrev_b32_e32 v15, 16, v15
	v_mov_b32_e32 v23, 0x7fc0
	v_cmp_o_f32_e64 s[6:7], v14, v14
	v_cndmask_b32_e64 v14, v23, v15, s[6:7]
; %bb.25:
	s_or_b64 exec, exec, s[16:17]
	global_store_short v[6:7], v14, off
	s_or_b64 exec, exec, s[18:19]
	s_and_saveexec_b64 s[16:17], s[0:1]
	s_cbranch_execz .LBB849_19
.LBB849_26:
	global_load_ubyte v14, v[10:11], off offset:32
	s_waitcnt vmcnt(0)
	v_and_b32_e32 v14, 1, v14
	v_cmp_eq_u32_e64 s[6:7], 1, v14
	s_xor_b64 s[6:7], s[6:7], -1
	v_mov_b32_e32 v14, 0
	s_and_saveexec_b64 s[18:19], s[6:7]
; %bb.27:
	v_fma_f32 v4, -v12, v19, v4
	v_bfe_u32 v14, v4, 16, 1
	s_movk_i32 s6, 0x7fff
	v_add3_u32 v14, v4, v14, s6
	v_lshrrev_b32_e32 v14, 16, v14
	v_mov_b32_e32 v15, 0x7fc0
	v_cmp_o_f32_e64 s[6:7], v4, v4
	v_cndmask_b32_e64 v14, v15, v14, s[6:7]
; %bb.28:
	s_or_b64 exec, exec, s[18:19]
	global_store_short v[6:7], v14, off offset:64
	s_or_b64 exec, exec, s[16:17]
	s_and_saveexec_b64 s[16:17], s[2:3]
	s_cbranch_execz .LBB849_20
.LBB849_29:
	global_load_ubyte v4, v[10:11], off offset:64
	s_waitcnt vmcnt(0)
	v_and_b32_e32 v4, 1, v4
	v_cmp_eq_u32_e64 s[6:7], 1, v4
	s_xor_b64 s[6:7], s[6:7], -1
	v_mov_b32_e32 v4, 0
	s_and_saveexec_b64 s[18:19], s[6:7]
; %bb.30:
	v_fma_f32 v2, -v12, v21, v2
	v_bfe_u32 v4, v2, 16, 1
	s_movk_i32 s6, 0x7fff
	v_add3_u32 v4, v2, v4, s6
	v_lshrrev_b32_e32 v4, 16, v4
	v_mov_b32_e32 v14, 0x7fc0
	v_cmp_o_f32_e64 s[6:7], v2, v2
	v_cndmask_b32_e64 v4, v14, v4, s[6:7]
; %bb.31:
	s_or_b64 exec, exec, s[18:19]
	global_store_short v[6:7], v4, off offset:128
	s_or_b64 exec, exec, s[16:17]
	s_and_saveexec_b64 s[16:17], s[12:13]
	s_cbranch_execz .LBB849_21
.LBB849_32:
	global_load_ubyte v2, v[10:11], off offset:96
	s_waitcnt vmcnt(0)
	v_and_b32_e32 v2, 1, v2
	v_cmp_eq_u32_e64 s[6:7], 1, v2
	s_xor_b64 s[6:7], s[6:7], -1
	v_mov_b32_e32 v2, 0
	s_and_saveexec_b64 s[18:19], s[6:7]
; %bb.33:
	v_fma_f32 v0, -v12, v16, v0
	v_bfe_u32 v2, v0, 16, 1
	s_movk_i32 s6, 0x7fff
	v_add3_u32 v2, v0, v2, s6
	v_lshrrev_b32_e32 v2, 16, v2
	v_mov_b32_e32 v4, 0x7fc0
	v_cmp_o_f32_e64 s[6:7], v0, v0
	v_cndmask_b32_e64 v2, v4, v2, s[6:7]
; %bb.34:
	s_or_b64 exec, exec, s[18:19]
	global_store_short v[6:7], v2, off offset:192
	s_or_b64 exec, exec, s[16:17]
	v_cmp_ne_u32_e64 s[6:7], 1, v8
	s_and_b64 exec, exec, s[6:7]
	s_cbranch_execz .LBB849_22
.LBB849_35:
	s_lshl_b64 s[6:7], s[22:23], 1
	v_mov_b32_e32 v0, s7
	v_add_co_u32_e64 v6, s[6:7], s6, v6
	v_addc_co_u32_e64 v7, s[6:7], v7, v0, s[6:7]
	s_and_saveexec_b64 s[6:7], vcc
	s_cbranch_execnz .LBB849_39
; %bb.36:
	s_or_b64 exec, exec, s[6:7]
	s_and_saveexec_b64 s[6:7], s[0:1]
	s_cbranch_execnz .LBB849_40
.LBB849_37:
	s_or_b64 exec, exec, s[6:7]
	s_and_saveexec_b64 s[0:1], s[2:3]
	s_cbranch_execnz .LBB849_41
.LBB849_38:
	s_or_b64 exec, exec, s[0:1]
	s_and_b64 exec, exec, s[12:13]
	s_cbranch_execz .LBB849_22
	s_branch .LBB849_42
.LBB849_39:
	v_fma_f32 v0, -v13, v18, v1
	v_bfe_u32 v1, v0, 16, 1
	s_movk_i32 s16, 0x7fff
	v_add3_u32 v1, v0, v1, s16
	v_lshrrev_b32_e32 v1, 16, v1
	v_mov_b32_e32 v2, 0x7fc0
	v_cmp_o_f32_e32 vcc, v0, v0
	v_cndmask_b32_e32 v0, v2, v1, vcc
	v_cndmask_b32_e64 v0, v0, 0, s[14:15]
	global_store_short v[6:7], v0, off
	s_or_b64 exec, exec, s[6:7]
	s_and_saveexec_b64 s[6:7], s[0:1]
	s_cbranch_execz .LBB849_37
.LBB849_40:
	v_fma_f32 v0, -v13, v17, v3
	v_bfe_u32 v1, v0, 16, 1
	s_movk_i32 s0, 0x7fff
	v_add3_u32 v1, v0, v1, s0
	v_lshrrev_b32_e32 v1, 16, v1
	v_mov_b32_e32 v2, 0x7fc0
	v_cmp_o_f32_e32 vcc, v0, v0
	v_cndmask_b32_e32 v0, v2, v1, vcc
	v_cndmask_b32_e64 v0, v0, 0, s[4:5]
	global_store_short v[6:7], v0, off offset:64
	s_or_b64 exec, exec, s[6:7]
	s_and_saveexec_b64 s[0:1], s[2:3]
	s_cbranch_execz .LBB849_38
.LBB849_41:
	v_fma_f32 v0, -v13, v22, v5
	v_bfe_u32 v1, v0, 16, 1
	s_movk_i32 s2, 0x7fff
	v_add3_u32 v1, v0, v1, s2
	v_lshrrev_b32_e32 v1, 16, v1
	v_mov_b32_e32 v2, 0x7fc0
	v_cmp_o_f32_e32 vcc, v0, v0
	v_cndmask_b32_e32 v0, v2, v1, vcc
	v_cndmask_b32_e64 v0, v0, 0, s[10:11]
	global_store_short v[6:7], v0, off offset:128
	s_or_b64 exec, exec, s[0:1]
	s_and_b64 exec, exec, s[12:13]
	s_cbranch_execz .LBB849_22
.LBB849_42:
	v_fma_f32 v0, -v13, v20, v9
	v_bfe_u32 v1, v0, 16, 1
	s_movk_i32 s0, 0x7fff
	v_add3_u32 v1, v0, v1, s0
	v_lshrrev_b32_e32 v1, 16, v1
	v_mov_b32_e32 v2, 0x7fc0
	v_cmp_o_f32_e32 vcc, v0, v0
	v_cndmask_b32_e32 v0, v2, v1, vcc
	v_cndmask_b32_e64 v0, v0, 0, s[8:9]
	global_store_short v[6:7], v0, off offset:192
	s_endpgm
	.section	.rodata,"a",@progbits
	.p2align	6, 0x0
	.amdhsa_kernel _ZN12_GLOBAL__N_121softmax_warp_backwardIN3c108BFloat16ES2_fLi7ELb0ELb1ELi32EEEvPT0_PKT_S7_iiiPKb
		.amdhsa_group_segment_fixed_size 0
		.amdhsa_private_segment_fixed_size 0
		.amdhsa_kernarg_size 304
		.amdhsa_user_sgpr_count 6
		.amdhsa_user_sgpr_private_segment_buffer 1
		.amdhsa_user_sgpr_dispatch_ptr 0
		.amdhsa_user_sgpr_queue_ptr 0
		.amdhsa_user_sgpr_kernarg_segment_ptr 1
		.amdhsa_user_sgpr_dispatch_id 0
		.amdhsa_user_sgpr_flat_scratch_init 0
		.amdhsa_user_sgpr_kernarg_preload_length 0
		.amdhsa_user_sgpr_kernarg_preload_offset 0
		.amdhsa_user_sgpr_private_segment_size 0
		.amdhsa_uses_dynamic_stack 0
		.amdhsa_system_sgpr_private_segment_wavefront_offset 0
		.amdhsa_system_sgpr_workgroup_id_x 1
		.amdhsa_system_sgpr_workgroup_id_y 0
		.amdhsa_system_sgpr_workgroup_id_z 0
		.amdhsa_system_sgpr_workgroup_info 0
		.amdhsa_system_vgpr_workitem_id 1
		.amdhsa_next_free_vgpr 38
		.amdhsa_next_free_sgpr 28
		.amdhsa_accum_offset 40
		.amdhsa_reserve_vcc 1
		.amdhsa_reserve_flat_scratch 0
		.amdhsa_float_round_mode_32 0
		.amdhsa_float_round_mode_16_64 0
		.amdhsa_float_denorm_mode_32 3
		.amdhsa_float_denorm_mode_16_64 3
		.amdhsa_dx10_clamp 1
		.amdhsa_ieee_mode 1
		.amdhsa_fp16_overflow 0
		.amdhsa_tg_split 0
		.amdhsa_exception_fp_ieee_invalid_op 0
		.amdhsa_exception_fp_denorm_src 0
		.amdhsa_exception_fp_ieee_div_zero 0
		.amdhsa_exception_fp_ieee_overflow 0
		.amdhsa_exception_fp_ieee_underflow 0
		.amdhsa_exception_fp_ieee_inexact 0
		.amdhsa_exception_int_div_zero 0
	.end_amdhsa_kernel
	.section	.text._ZN12_GLOBAL__N_121softmax_warp_backwardIN3c108BFloat16ES2_fLi7ELb0ELb1ELi32EEEvPT0_PKT_S7_iiiPKb,"axG",@progbits,_ZN12_GLOBAL__N_121softmax_warp_backwardIN3c108BFloat16ES2_fLi7ELb0ELb1ELi32EEEvPT0_PKT_S7_iiiPKb,comdat
.Lfunc_end849:
	.size	_ZN12_GLOBAL__N_121softmax_warp_backwardIN3c108BFloat16ES2_fLi7ELb0ELb1ELi32EEEvPT0_PKT_S7_iiiPKb, .Lfunc_end849-_ZN12_GLOBAL__N_121softmax_warp_backwardIN3c108BFloat16ES2_fLi7ELb0ELb1ELi32EEEvPT0_PKT_S7_iiiPKb
                                        ; -- End function
	.section	.AMDGPU.csdata,"",@progbits
; Kernel info:
; codeLenInByte = 2360
; NumSgprs: 32
; NumVgprs: 38
; NumAgprs: 0
; TotalNumVgprs: 38
; ScratchSize: 0
; MemoryBound: 0
; FloatMode: 240
; IeeeMode: 1
; LDSByteSize: 0 bytes/workgroup (compile time only)
; SGPRBlocks: 3
; VGPRBlocks: 4
; NumSGPRsForWavesPerEU: 32
; NumVGPRsForWavesPerEU: 38
; AccumOffset: 40
; Occupancy: 8
; WaveLimiterHint : 0
; COMPUTE_PGM_RSRC2:SCRATCH_EN: 0
; COMPUTE_PGM_RSRC2:USER_SGPR: 6
; COMPUTE_PGM_RSRC2:TRAP_HANDLER: 0
; COMPUTE_PGM_RSRC2:TGID_X_EN: 1
; COMPUTE_PGM_RSRC2:TGID_Y_EN: 0
; COMPUTE_PGM_RSRC2:TGID_Z_EN: 0
; COMPUTE_PGM_RSRC2:TIDIG_COMP_CNT: 1
; COMPUTE_PGM_RSRC3_GFX90A:ACCUM_OFFSET: 9
; COMPUTE_PGM_RSRC3_GFX90A:TG_SPLIT: 0
	.section	.text._ZN12_GLOBAL__N_121softmax_warp_backwardIN3c108BFloat16ES2_fLi8ELb0ELb1ELi64EEEvPT0_PKT_S7_iiiPKb,"axG",@progbits,_ZN12_GLOBAL__N_121softmax_warp_backwardIN3c108BFloat16ES2_fLi8ELb0ELb1ELi64EEEvPT0_PKT_S7_iiiPKb,comdat
	.globl	_ZN12_GLOBAL__N_121softmax_warp_backwardIN3c108BFloat16ES2_fLi8ELb0ELb1ELi64EEEvPT0_PKT_S7_iiiPKb ; -- Begin function _ZN12_GLOBAL__N_121softmax_warp_backwardIN3c108BFloat16ES2_fLi8ELb0ELb1ELi64EEEvPT0_PKT_S7_iiiPKb
	.p2align	8
	.type	_ZN12_GLOBAL__N_121softmax_warp_backwardIN3c108BFloat16ES2_fLi8ELb0ELb1ELi64EEEvPT0_PKT_S7_iiiPKb,@function
_ZN12_GLOBAL__N_121softmax_warp_backwardIN3c108BFloat16ES2_fLi8ELb0ELb1ELi64EEEvPT0_PKT_S7_iiiPKb: ; @_ZN12_GLOBAL__N_121softmax_warp_backwardIN3c108BFloat16ES2_fLi8ELb0ELb1ELi64EEEvPT0_PKT_S7_iiiPKb
; %bb.0:
	s_load_dword s2, s[4:5], 0x3c
	s_load_dwordx4 s[8:11], s[4:5], 0x18
	s_load_dwordx4 s[16:19], s[4:5], 0x0
	s_load_dwordx2 s[0:1], s[4:5], 0x10
	v_bfe_u32 v1, v0, 10, 10
	s_waitcnt lgkmcnt(0)
	s_lshr_b32 s2, s2, 16
	s_mul_i32 s6, s6, s2
	v_add_u32_e32 v1, s6, v1
	v_and_b32_e32 v8, 63, v0
	v_mad_u64_u32 v[2:3], s[2:3], v1, s9, v[8:9]
	v_ashrrev_i32_e32 v3, 31, v2
	v_sub_u32_e32 v15, s8, v1
	v_lshlrev_b64 v[0:1], 1, v[2:3]
	v_mov_b32_e32 v5, s19
	v_add_co_u32_e32 v4, vcc, s18, v0
	v_addc_co_u32_e32 v5, vcc, v5, v1, vcc
	v_mov_b32_e32 v7, s1
	v_add_co_u32_e32 v6, vcc, s0, v0
	v_cmp_lt_i32_e64 s[8:9], 0, v15
	v_cmp_gt_i32_e64 s[6:7], s10, v8
	v_addc_co_u32_e32 v7, vcc, v7, v1, vcc
	s_and_b64 s[2:3], s[8:9], s[6:7]
	v_mov_b32_e32 v10, 0
	v_mov_b32_e32 v14, 0
	v_mov_b32_e32 v16, 0
	s_and_saveexec_b64 s[0:1], s[2:3]
	s_cbranch_execz .LBB850_2
; %bb.1:
	global_load_ushort v9, v[6:7], off
	global_load_ushort v11, v[4:5], off
	s_waitcnt vmcnt(1)
	v_lshlrev_b32_e32 v14, 16, v9
	s_waitcnt vmcnt(0)
	v_lshlrev_b32_e32 v16, 16, v11
.LBB850_2:
	s_or_b64 exec, exec, s[0:1]
	v_or_b32_e32 v9, 64, v8
	v_cmp_gt_i32_e64 s[2:3], s10, v9
	s_and_b64 s[12:13], s[8:9], s[2:3]
	v_mov_b32_e32 v13, 0
	s_and_saveexec_b64 s[0:1], s[12:13]
	s_cbranch_execz .LBB850_4
; %bb.3:
	global_load_ushort v9, v[6:7], off offset:128
	global_load_ushort v11, v[4:5], off offset:128
	s_waitcnt vmcnt(1)
	v_lshlrev_b32_e32 v10, 16, v9
	s_waitcnt vmcnt(0)
	v_lshlrev_b32_e32 v13, 16, v11
.LBB850_4:
	s_or_b64 exec, exec, s[0:1]
	v_or_b32_e32 v9, 0x80, v8
	v_cmp_gt_i32_e64 s[0:1], s10, v9
	s_and_b64 s[14:15], s[8:9], s[0:1]
	v_mov_b32_e32 v9, 0
	v_mov_b32_e32 v11, 0
	;; [unrolled: 1-line block ×3, first 2 shown]
	s_and_saveexec_b64 s[12:13], s[14:15]
	s_cbranch_execz .LBB850_6
; %bb.5:
	global_load_ushort v11, v[6:7], off offset:256
	global_load_ushort v12, v[4:5], off offset:256
	s_waitcnt vmcnt(1)
	v_lshlrev_b32_e32 v11, 16, v11
	s_waitcnt vmcnt(0)
	v_lshlrev_b32_e32 v12, 16, v12
.LBB850_6:
	s_or_b64 exec, exec, s[12:13]
	v_or_b32_e32 v8, 0xc0, v8
	v_cmp_gt_i32_e32 vcc, s10, v8
	s_and_b64 s[10:11], s[8:9], vcc
	v_mov_b32_e32 v8, 0
	s_and_saveexec_b64 s[8:9], s[10:11]
	s_cbranch_execz .LBB850_8
; %bb.7:
	global_load_ushort v8, v[6:7], off offset:384
	global_load_ushort v17, v[4:5], off offset:384
	s_waitcnt vmcnt(1)
	v_lshlrev_b32_e32 v9, 16, v8
	s_waitcnt vmcnt(0)
	v_lshlrev_b32_e32 v8, 16, v17
.LBB850_8:
	s_or_b64 exec, exec, s[8:9]
	s_load_dwordx2 s[4:5], s[4:5], 0x28
	s_waitcnt lgkmcnt(0)
	v_mov_b32_e32 v4, s5
	v_add_co_u32_e64 v2, s[4:5], s4, v2
	v_addc_co_u32_e64 v3, s[4:5], v4, v3, s[4:5]
	global_load_ubyte v4, v[2:3], off
	global_load_ubyte v5, v[2:3], off offset:64
	global_load_ubyte v6, v[2:3], off offset:128
	;; [unrolled: 1-line block ×3, first 2 shown]
	v_mbcnt_lo_u32_b32 v3, -1, 0
	v_mbcnt_hi_u32_b32 v3, -1, v3
	v_and_b32_e32 v17, 64, v3
	v_add_f32_e32 v2, 0, v16
	v_xor_b32_e32 v18, 32, v3
	v_add_u32_e32 v17, 64, v17
	v_cmp_lt_i32_e64 s[4:5], v18, v17
	v_cndmask_b32_e64 v18, v3, v18, s[4:5]
	v_lshlrev_b32_e32 v18, 2, v18
	s_waitcnt vmcnt(3)
	v_and_b32_e32 v4, 1, v4
	v_cmp_eq_u32_e64 s[12:13], 1, v4
	s_waitcnt vmcnt(2)
	v_and_b32_e32 v5, 1, v5
	v_cndmask_b32_e64 v2, v2, 0, s[12:13]
	v_add_f32_e32 v4, v2, v13
	v_cmp_eq_u32_e64 s[4:5], 1, v5
	s_waitcnt vmcnt(1)
	v_and_b32_e32 v6, 1, v6
	v_cndmask_b32_e64 v2, v4, v2, s[4:5]
	v_add_f32_e32 v4, v2, v12
	;; [unrolled: 5-line block ×3, first 2 shown]
	v_cmp_eq_u32_e64 s[10:11], 1, v7
	v_cndmask_b32_e64 v2, v4, v2, s[10:11]
	ds_bpermute_b32 v4, v18, v2
	v_xor_b32_e32 v5, 16, v3
	v_cmp_lt_i32_e64 s[14:15], v5, v17
	v_cndmask_b32_e64 v5, v3, v5, s[14:15]
	v_lshlrev_b32_e32 v5, 2, v5
	s_waitcnt lgkmcnt(0)
	v_add_f32_e32 v2, v2, v4
	ds_bpermute_b32 v4, v5, v2
	v_xor_b32_e32 v5, 8, v3
	v_cmp_lt_i32_e64 s[14:15], v5, v17
	v_cndmask_b32_e64 v5, v3, v5, s[14:15]
	v_lshlrev_b32_e32 v5, 2, v5
	s_waitcnt lgkmcnt(0)
	v_add_f32_e32 v2, v2, v4
	;; [unrolled: 7-line block ×5, first 2 shown]
	ds_bpermute_b32 v3, v3, v2
	v_cmp_lt_i32_e64 s[14:15], 0, v15
	s_and_saveexec_b64 s[18:19], s[14:15]
	s_cbranch_execz .LBB850_16
; %bb.9:
	s_waitcnt lgkmcnt(0)
	v_add_f32_e32 v2, v2, v3
	v_mov_b32_e32 v3, s17
	v_add_co_u32_e64 v0, s[14:15], s16, v0
	v_addc_co_u32_e64 v1, s[14:15], v3, v1, s[14:15]
	s_and_saveexec_b64 s[14:15], s[6:7]
	s_cbranch_execz .LBB850_13
; %bb.10:
	s_xor_b64 s[6:7], s[12:13], -1
	v_mov_b32_e32 v3, 0
	s_and_saveexec_b64 s[12:13], s[6:7]
; %bb.11:
	v_fma_f32 v3, -v2, v14, v16
	v_bfe_u32 v4, v3, 16, 1
	s_movk_i32 s6, 0x7fff
	v_add3_u32 v4, v3, v4, s6
	v_lshrrev_b32_e32 v4, 16, v4
	v_mov_b32_e32 v5, 0x7fc0
	v_cmp_o_f32_e64 s[6:7], v3, v3
	v_cndmask_b32_e64 v3, v5, v4, s[6:7]
; %bb.12:
	s_or_b64 exec, exec, s[12:13]
	global_store_short v[0:1], v3, off
.LBB850_13:
	s_or_b64 exec, exec, s[14:15]
	s_xor_b64 s[12:13], s[4:5], -1
	s_xor_b64 s[6:7], s[8:9], -1
	s_xor_b64 s[4:5], s[10:11], -1
	s_and_saveexec_b64 s[8:9], s[2:3]
	s_cbranch_execnz .LBB850_17
; %bb.14:
	s_or_b64 exec, exec, s[8:9]
	s_and_saveexec_b64 s[2:3], s[0:1]
	s_cbranch_execnz .LBB850_20
.LBB850_15:
	s_or_b64 exec, exec, s[2:3]
	s_and_b64 exec, exec, vcc
	s_cbranch_execnz .LBB850_23
.LBB850_16:
	s_endpgm
.LBB850_17:
	v_mov_b32_e32 v3, 0
	s_and_saveexec_b64 s[10:11], s[12:13]
; %bb.18:
	v_fma_f32 v3, -v2, v10, v13
	v_bfe_u32 v4, v3, 16, 1
	s_movk_i32 s2, 0x7fff
	v_add3_u32 v4, v3, v4, s2
	v_lshrrev_b32_e32 v4, 16, v4
	v_mov_b32_e32 v5, 0x7fc0
	v_cmp_o_f32_e64 s[2:3], v3, v3
	v_cndmask_b32_e64 v3, v5, v4, s[2:3]
; %bb.19:
	s_or_b64 exec, exec, s[10:11]
	global_store_short v[0:1], v3, off offset:128
	s_or_b64 exec, exec, s[8:9]
	s_and_saveexec_b64 s[2:3], s[0:1]
	s_cbranch_execz .LBB850_15
.LBB850_20:
	v_mov_b32_e32 v3, 0
	s_and_saveexec_b64 s[8:9], s[6:7]
; %bb.21:
	v_fma_f32 v3, -v2, v11, v12
	v_bfe_u32 v4, v3, 16, 1
	s_movk_i32 s0, 0x7fff
	v_add3_u32 v4, v3, v4, s0
	v_lshrrev_b32_e32 v4, 16, v4
	v_mov_b32_e32 v5, 0x7fc0
	v_cmp_o_f32_e64 s[0:1], v3, v3
	v_cndmask_b32_e64 v3, v5, v4, s[0:1]
; %bb.22:
	s_or_b64 exec, exec, s[8:9]
	global_store_short v[0:1], v3, off offset:256
	s_or_b64 exec, exec, s[2:3]
	s_and_b64 exec, exec, vcc
	s_cbranch_execz .LBB850_16
.LBB850_23:
	v_mov_b32_e32 v3, 0
	s_and_saveexec_b64 s[0:1], s[4:5]
; %bb.24:
	v_fma_f32 v2, -v2, v9, v8
	v_bfe_u32 v3, v2, 16, 1
	s_movk_i32 s2, 0x7fff
	v_add3_u32 v3, v2, v3, s2
	v_lshrrev_b32_e32 v3, 16, v3
	v_mov_b32_e32 v4, 0x7fc0
	v_cmp_o_f32_e32 vcc, v2, v2
	v_cndmask_b32_e32 v3, v4, v3, vcc
; %bb.25:
	s_or_b64 exec, exec, s[0:1]
	global_store_short v[0:1], v3, off offset:384
	s_endpgm
	.section	.rodata,"a",@progbits
	.p2align	6, 0x0
	.amdhsa_kernel _ZN12_GLOBAL__N_121softmax_warp_backwardIN3c108BFloat16ES2_fLi8ELb0ELb1ELi64EEEvPT0_PKT_S7_iiiPKb
		.amdhsa_group_segment_fixed_size 0
		.amdhsa_private_segment_fixed_size 0
		.amdhsa_kernarg_size 304
		.amdhsa_user_sgpr_count 6
		.amdhsa_user_sgpr_private_segment_buffer 1
		.amdhsa_user_sgpr_dispatch_ptr 0
		.amdhsa_user_sgpr_queue_ptr 0
		.amdhsa_user_sgpr_kernarg_segment_ptr 1
		.amdhsa_user_sgpr_dispatch_id 0
		.amdhsa_user_sgpr_flat_scratch_init 0
		.amdhsa_user_sgpr_kernarg_preload_length 0
		.amdhsa_user_sgpr_kernarg_preload_offset 0
		.amdhsa_user_sgpr_private_segment_size 0
		.amdhsa_uses_dynamic_stack 0
		.amdhsa_system_sgpr_private_segment_wavefront_offset 0
		.amdhsa_system_sgpr_workgroup_id_x 1
		.amdhsa_system_sgpr_workgroup_id_y 0
		.amdhsa_system_sgpr_workgroup_id_z 0
		.amdhsa_system_sgpr_workgroup_info 0
		.amdhsa_system_vgpr_workitem_id 1
		.amdhsa_next_free_vgpr 19
		.amdhsa_next_free_sgpr 20
		.amdhsa_accum_offset 20
		.amdhsa_reserve_vcc 1
		.amdhsa_reserve_flat_scratch 0
		.amdhsa_float_round_mode_32 0
		.amdhsa_float_round_mode_16_64 0
		.amdhsa_float_denorm_mode_32 3
		.amdhsa_float_denorm_mode_16_64 3
		.amdhsa_dx10_clamp 1
		.amdhsa_ieee_mode 1
		.amdhsa_fp16_overflow 0
		.amdhsa_tg_split 0
		.amdhsa_exception_fp_ieee_invalid_op 0
		.amdhsa_exception_fp_denorm_src 0
		.amdhsa_exception_fp_ieee_div_zero 0
		.amdhsa_exception_fp_ieee_overflow 0
		.amdhsa_exception_fp_ieee_underflow 0
		.amdhsa_exception_fp_ieee_inexact 0
		.amdhsa_exception_int_div_zero 0
	.end_amdhsa_kernel
	.section	.text._ZN12_GLOBAL__N_121softmax_warp_backwardIN3c108BFloat16ES2_fLi8ELb0ELb1ELi64EEEvPT0_PKT_S7_iiiPKb,"axG",@progbits,_ZN12_GLOBAL__N_121softmax_warp_backwardIN3c108BFloat16ES2_fLi8ELb0ELb1ELi64EEEvPT0_PKT_S7_iiiPKb,comdat
.Lfunc_end850:
	.size	_ZN12_GLOBAL__N_121softmax_warp_backwardIN3c108BFloat16ES2_fLi8ELb0ELb1ELi64EEEvPT0_PKT_S7_iiiPKb, .Lfunc_end850-_ZN12_GLOBAL__N_121softmax_warp_backwardIN3c108BFloat16ES2_fLi8ELb0ELb1ELi64EEEvPT0_PKT_S7_iiiPKb
                                        ; -- End function
	.section	.AMDGPU.csdata,"",@progbits
; Kernel info:
; codeLenInByte = 1252
; NumSgprs: 24
; NumVgprs: 19
; NumAgprs: 0
; TotalNumVgprs: 19
; ScratchSize: 0
; MemoryBound: 0
; FloatMode: 240
; IeeeMode: 1
; LDSByteSize: 0 bytes/workgroup (compile time only)
; SGPRBlocks: 2
; VGPRBlocks: 2
; NumSGPRsForWavesPerEU: 24
; NumVGPRsForWavesPerEU: 19
; AccumOffset: 20
; Occupancy: 8
; WaveLimiterHint : 0
; COMPUTE_PGM_RSRC2:SCRATCH_EN: 0
; COMPUTE_PGM_RSRC2:USER_SGPR: 6
; COMPUTE_PGM_RSRC2:TRAP_HANDLER: 0
; COMPUTE_PGM_RSRC2:TGID_X_EN: 1
; COMPUTE_PGM_RSRC2:TGID_Y_EN: 0
; COMPUTE_PGM_RSRC2:TGID_Z_EN: 0
; COMPUTE_PGM_RSRC2:TIDIG_COMP_CNT: 1
; COMPUTE_PGM_RSRC3_GFX90A:ACCUM_OFFSET: 4
; COMPUTE_PGM_RSRC3_GFX90A:TG_SPLIT: 0
	.section	.text._ZN12_GLOBAL__N_121softmax_warp_backwardIN3c108BFloat16ES2_fLi8ELb0ELb1ELi32EEEvPT0_PKT_S7_iiiPKb,"axG",@progbits,_ZN12_GLOBAL__N_121softmax_warp_backwardIN3c108BFloat16ES2_fLi8ELb0ELb1ELi32EEEvPT0_PKT_S7_iiiPKb,comdat
	.globl	_ZN12_GLOBAL__N_121softmax_warp_backwardIN3c108BFloat16ES2_fLi8ELb0ELb1ELi32EEEvPT0_PKT_S7_iiiPKb ; -- Begin function _ZN12_GLOBAL__N_121softmax_warp_backwardIN3c108BFloat16ES2_fLi8ELb0ELb1ELi32EEEvPT0_PKT_S7_iiiPKb
	.p2align	8
	.type	_ZN12_GLOBAL__N_121softmax_warp_backwardIN3c108BFloat16ES2_fLi8ELb0ELb1ELi32EEEvPT0_PKT_S7_iiiPKb,@function
_ZN12_GLOBAL__N_121softmax_warp_backwardIN3c108BFloat16ES2_fLi8ELb0ELb1ELi32EEEvPT0_PKT_S7_iiiPKb: ; @_ZN12_GLOBAL__N_121softmax_warp_backwardIN3c108BFloat16ES2_fLi8ELb0ELb1ELi32EEEvPT0_PKT_S7_iiiPKb
; %bb.0:
	s_load_dword s2, s[4:5], 0x3c
	s_load_dwordx4 s[16:19], s[4:5], 0x18
	s_load_dwordx4 s[36:39], s[4:5], 0x0
	s_load_dwordx2 s[0:1], s[4:5], 0x10
	v_bfe_u32 v1, v0, 10, 10
	s_waitcnt lgkmcnt(0)
	s_lshr_b32 s2, s2, 16
	s_mul_i32 s6, s6, s2
	v_add_u32_e32 v1, s6, v1
	v_and_b32_e32 v8, 31, v0
	v_mad_u64_u32 v[2:3], s[2:3], v1, s17, v[8:9]
	v_ashrrev_i32_e32 v3, 31, v2
	v_sub_u32_e32 v23, s16, v1
	v_lshlrev_b64 v[0:1], 1, v[2:3]
	v_mov_b32_e32 v5, s39
	v_add_co_u32_e32 v4, vcc, s38, v0
	v_addc_co_u32_e32 v5, vcc, v5, v1, vcc
	v_mov_b32_e32 v7, s1
	v_add_co_u32_e32 v6, vcc, s0, v0
	v_cmp_lt_i32_e64 s[16:17], 0, v23
	v_cmp_gt_i32_e64 s[12:13], s18, v8
	v_addc_co_u32_e32 v7, vcc, v7, v1, vcc
	s_and_b64 s[2:3], s[16:17], s[12:13]
	v_mov_b32_e32 v17, 0
	v_mov_b32_e32 v22, 0
	;; [unrolled: 1-line block ×3, first 2 shown]
	s_and_saveexec_b64 s[0:1], s[2:3]
	s_cbranch_execz .LBB851_2
; %bb.1:
	global_load_ushort v9, v[6:7], off
	global_load_ushort v10, v[4:5], off
	s_waitcnt vmcnt(1)
	v_lshlrev_b32_e32 v22, 16, v9
	s_waitcnt vmcnt(0)
	v_lshlrev_b32_e32 v24, 16, v10
.LBB851_2:
	s_or_b64 exec, exec, s[0:1]
	v_or_b32_e32 v9, 32, v8
	v_cmp_gt_i32_e64 s[10:11], s18, v9
	s_and_b64 s[2:3], s[16:17], s[10:11]
	v_mov_b32_e32 v21, 0
	s_and_saveexec_b64 s[0:1], s[2:3]
	s_cbranch_execz .LBB851_4
; %bb.3:
	global_load_ushort v9, v[6:7], off offset:64
	global_load_ushort v10, v[4:5], off offset:64
	s_waitcnt vmcnt(1)
	v_lshlrev_b32_e32 v17, 16, v9
	s_waitcnt vmcnt(0)
	v_lshlrev_b32_e32 v21, 16, v10
.LBB851_4:
	s_or_b64 exec, exec, s[0:1]
	v_or_b32_e32 v9, 64, v8
	v_cmp_gt_i32_e64 s[8:9], s18, v9
	s_and_b64 s[2:3], s[16:17], s[8:9]
	v_mov_b32_e32 v13, 0
	v_mov_b32_e32 v19, 0
	v_mov_b32_e32 v20, 0
	s_and_saveexec_b64 s[0:1], s[2:3]
	s_cbranch_execz .LBB851_6
; %bb.5:
	global_load_ushort v9, v[6:7], off offset:128
	global_load_ushort v10, v[4:5], off offset:128
	s_waitcnt vmcnt(1)
	v_lshlrev_b32_e32 v19, 16, v9
	s_waitcnt vmcnt(0)
	v_lshlrev_b32_e32 v20, 16, v10
.LBB851_6:
	s_or_b64 exec, exec, s[0:1]
	v_or_b32_e32 v9, 0x60, v8
	v_cmp_gt_i32_e64 s[6:7], s18, v9
	s_and_b64 s[2:3], s[16:17], s[6:7]
	v_mov_b32_e32 v18, 0
	s_and_saveexec_b64 s[0:1], s[2:3]
	s_cbranch_execz .LBB851_8
; %bb.7:
	global_load_ushort v9, v[6:7], off offset:192
	global_load_ushort v10, v[4:5], off offset:192
	s_waitcnt vmcnt(1)
	v_lshlrev_b32_e32 v13, 16, v9
	s_waitcnt vmcnt(0)
	v_lshlrev_b32_e32 v18, 16, v10
.LBB851_8:
	s_or_b64 exec, exec, s[0:1]
	v_or_b32_e32 v9, 0x80, v8
	v_cmp_gt_i32_e64 s[14:15], s18, v9
	s_and_b64 s[2:3], s[16:17], s[14:15]
	v_mov_b32_e32 v10, 0
	v_mov_b32_e32 v15, 0
	v_mov_b32_e32 v16, 0
	s_and_saveexec_b64 s[0:1], s[2:3]
	s_cbranch_execz .LBB851_10
; %bb.9:
	global_load_ushort v9, v[6:7], off offset:256
	global_load_ushort v11, v[4:5], off offset:256
	s_waitcnt vmcnt(1)
	v_lshlrev_b32_e32 v15, 16, v9
	s_waitcnt vmcnt(0)
	v_lshlrev_b32_e32 v16, 16, v11
.LBB851_10:
	;; [unrolled: 32-line block ×3, first 2 shown]
	s_or_b64 exec, exec, s[20:21]
	v_or_b32_e32 v8, 0xe0, v8
	v_cmp_gt_i32_e32 vcc, s18, v8
	s_and_b64 s[18:19], s[16:17], vcc
	v_mov_b32_e32 v8, 0
	s_and_saveexec_b64 s[16:17], s[18:19]
	s_cbranch_execz .LBB851_16
; %bb.15:
	global_load_ushort v8, v[6:7], off offset:448
	global_load_ushort v25, v[4:5], off offset:448
	s_waitcnt vmcnt(1)
	v_lshlrev_b32_e32 v9, 16, v8
	s_waitcnt vmcnt(0)
	v_lshlrev_b32_e32 v8, 16, v25
.LBB851_16:
	s_or_b64 exec, exec, s[16:17]
	s_load_dwordx2 s[4:5], s[4:5], 0x28
	s_waitcnt lgkmcnt(0)
	v_mov_b32_e32 v4, s5
	v_add_co_u32_e64 v2, s[4:5], s4, v2
	v_addc_co_u32_e64 v3, s[4:5], v4, v3, s[4:5]
	global_load_ubyte v4, v[2:3], off
	global_load_ubyte v5, v[2:3], off offset:32
	global_load_ubyte v6, v[2:3], off offset:64
	;; [unrolled: 1-line block ×7, first 2 shown]
	v_mbcnt_lo_u32_b32 v3, -1, 0
	v_mbcnt_hi_u32_b32 v3, -1, v3
	v_and_b32_e32 v29, 0x60, v3
	v_add_f32_e32 v2, 0, v24
	v_xor_b32_e32 v30, 16, v3
	v_add_u32_e32 v29, 32, v29
	v_cmp_lt_i32_e64 s[4:5], v30, v29
	v_cndmask_b32_e64 v30, v3, v30, s[4:5]
	v_lshlrev_b32_e32 v30, 2, v30
	s_waitcnt vmcnt(7)
	v_and_b32_e32 v4, 1, v4
	v_cmp_eq_u32_e64 s[28:29], 1, v4
	s_waitcnt vmcnt(6)
	v_and_b32_e32 v5, 1, v5
	v_cndmask_b32_e64 v2, v2, 0, s[28:29]
	v_add_f32_e32 v4, v2, v21
	v_cmp_eq_u32_e64 s[4:5], 1, v5
	s_waitcnt vmcnt(5)
	v_and_b32_e32 v6, 1, v6
	v_cndmask_b32_e64 v2, v4, v2, s[4:5]
	v_add_f32_e32 v4, v2, v20
	;; [unrolled: 5-line block ×7, first 2 shown]
	v_cmp_eq_u32_e64 s[26:27], 1, v28
	v_cndmask_b32_e64 v2, v4, v2, s[26:27]
	ds_bpermute_b32 v4, v30, v2
	v_xor_b32_e32 v5, 8, v3
	v_cmp_lt_i32_e64 s[30:31], v5, v29
	v_cndmask_b32_e64 v5, v3, v5, s[30:31]
	v_lshlrev_b32_e32 v5, 2, v5
	s_waitcnt lgkmcnt(0)
	v_add_f32_e32 v2, v2, v4
	ds_bpermute_b32 v4, v5, v2
	v_xor_b32_e32 v5, 4, v3
	v_cmp_lt_i32_e64 s[30:31], v5, v29
	v_cndmask_b32_e64 v5, v3, v5, s[30:31]
	v_lshlrev_b32_e32 v5, 2, v5
	s_waitcnt lgkmcnt(0)
	v_add_f32_e32 v2, v2, v4
	;; [unrolled: 7-line block ×4, first 2 shown]
	ds_bpermute_b32 v3, v3, v2
	v_cmp_lt_i32_e64 s[30:31], 0, v23
	s_and_saveexec_b64 s[34:35], s[30:31]
	s_cbranch_execz .LBB851_28
; %bb.17:
	s_waitcnt lgkmcnt(0)
	v_add_f32_e32 v2, v2, v3
	v_mov_b32_e32 v3, s37
	v_add_co_u32_e64 v0, s[30:31], s36, v0
	v_addc_co_u32_e64 v1, s[30:31], v3, v1, s[30:31]
	s_and_saveexec_b64 s[30:31], s[12:13]
	s_cbranch_execz .LBB851_21
; %bb.18:
	s_xor_b64 s[12:13], s[28:29], -1
	v_mov_b32_e32 v3, 0
	s_and_saveexec_b64 s[28:29], s[12:13]
; %bb.19:
	v_fma_f32 v3, -v2, v22, v24
	v_bfe_u32 v4, v3, 16, 1
	s_movk_i32 s12, 0x7fff
	v_add3_u32 v4, v3, v4, s12
	v_lshrrev_b32_e32 v4, 16, v4
	v_mov_b32_e32 v5, 0x7fc0
	v_cmp_o_f32_e64 s[12:13], v3, v3
	v_cndmask_b32_e64 v3, v5, v4, s[12:13]
; %bb.20:
	s_or_b64 exec, exec, s[28:29]
	global_store_short v[0:1], v3, off
.LBB851_21:
	s_or_b64 exec, exec, s[30:31]
	s_xor_b64 s[4:5], s[4:5], -1
	s_xor_b64 s[30:31], s[16:17], -1
	;; [unrolled: 1-line block ×7, first 2 shown]
	s_and_saveexec_b64 s[22:23], s[10:11]
	s_cbranch_execnz .LBB851_29
; %bb.22:
	s_or_b64 exec, exec, s[22:23]
	s_and_saveexec_b64 s[10:11], s[8:9]
	s_cbranch_execnz .LBB851_32
.LBB851_23:
	s_or_b64 exec, exec, s[10:11]
	s_and_saveexec_b64 s[8:9], s[6:7]
	s_cbranch_execnz .LBB851_35
.LBB851_24:
	s_or_b64 exec, exec, s[8:9]
	s_and_saveexec_b64 s[6:7], s[14:15]
	s_cbranch_execnz .LBB851_38
.LBB851_25:
	s_or_b64 exec, exec, s[6:7]
	s_and_saveexec_b64 s[4:5], s[2:3]
	s_cbranch_execnz .LBB851_41
.LBB851_26:
	s_or_b64 exec, exec, s[4:5]
	s_and_saveexec_b64 s[2:3], s[0:1]
	s_cbranch_execnz .LBB851_44
.LBB851_27:
	s_or_b64 exec, exec, s[2:3]
	s_and_b64 exec, exec, vcc
	s_cbranch_execnz .LBB851_47
.LBB851_28:
	s_endpgm
.LBB851_29:
	v_mov_b32_e32 v3, 0
	s_and_saveexec_b64 s[10:11], s[4:5]
; %bb.30:
	v_fma_f32 v3, -v2, v17, v21
	v_bfe_u32 v4, v3, 16, 1
	s_movk_i32 s4, 0x7fff
	v_add3_u32 v4, v3, v4, s4
	v_lshrrev_b32_e32 v4, 16, v4
	v_mov_b32_e32 v5, 0x7fc0
	v_cmp_o_f32_e64 s[4:5], v3, v3
	v_cndmask_b32_e64 v3, v5, v4, s[4:5]
; %bb.31:
	s_or_b64 exec, exec, s[10:11]
	global_store_short v[0:1], v3, off offset:64
	s_or_b64 exec, exec, s[22:23]
	s_and_saveexec_b64 s[10:11], s[8:9]
	s_cbranch_execz .LBB851_23
.LBB851_32:
	v_mov_b32_e32 v3, 0
	s_and_saveexec_b64 s[8:9], s[30:31]
; %bb.33:
	v_fma_f32 v3, -v2, v19, v20
	v_bfe_u32 v4, v3, 16, 1
	s_movk_i32 s4, 0x7fff
	v_add3_u32 v4, v3, v4, s4
	v_lshrrev_b32_e32 v4, 16, v4
	v_mov_b32_e32 v5, 0x7fc0
	v_cmp_o_f32_e64 s[4:5], v3, v3
	v_cndmask_b32_e64 v3, v5, v4, s[4:5]
; %bb.34:
	s_or_b64 exec, exec, s[8:9]
	global_store_short v[0:1], v3, off offset:128
	s_or_b64 exec, exec, s[10:11]
	s_and_saveexec_b64 s[8:9], s[6:7]
	s_cbranch_execz .LBB851_24
.LBB851_35:
	v_mov_b32_e32 v3, 0
	s_and_saveexec_b64 s[6:7], s[28:29]
; %bb.36:
	v_fma_f32 v3, -v2, v13, v18
	v_bfe_u32 v4, v3, 16, 1
	s_movk_i32 s4, 0x7fff
	v_add3_u32 v4, v3, v4, s4
	v_lshrrev_b32_e32 v4, 16, v4
	v_mov_b32_e32 v5, 0x7fc0
	v_cmp_o_f32_e64 s[4:5], v3, v3
	v_cndmask_b32_e64 v3, v5, v4, s[4:5]
; %bb.37:
	s_or_b64 exec, exec, s[6:7]
	global_store_short v[0:1], v3, off offset:192
	s_or_b64 exec, exec, s[8:9]
	s_and_saveexec_b64 s[6:7], s[14:15]
	s_cbranch_execz .LBB851_25
.LBB851_38:
	v_mov_b32_e32 v3, 0
	s_and_saveexec_b64 s[8:9], s[20:21]
; %bb.39:
	v_fma_f32 v3, -v2, v15, v16
	v_bfe_u32 v4, v3, 16, 1
	s_movk_i32 s4, 0x7fff
	v_add3_u32 v4, v3, v4, s4
	v_lshrrev_b32_e32 v4, 16, v4
	v_mov_b32_e32 v5, 0x7fc0
	v_cmp_o_f32_e64 s[4:5], v3, v3
	v_cndmask_b32_e64 v3, v5, v4, s[4:5]
; %bb.40:
	s_or_b64 exec, exec, s[8:9]
	global_store_short v[0:1], v3, off offset:256
	s_or_b64 exec, exec, s[6:7]
	s_and_saveexec_b64 s[4:5], s[2:3]
	s_cbranch_execz .LBB851_26
.LBB851_41:
	v_mov_b32_e32 v3, 0
	s_and_saveexec_b64 s[6:7], s[18:19]
; %bb.42:
	v_fma_f32 v3, -v2, v10, v14
	v_bfe_u32 v4, v3, 16, 1
	s_movk_i32 s2, 0x7fff
	v_add3_u32 v4, v3, v4, s2
	v_lshrrev_b32_e32 v4, 16, v4
	v_mov_b32_e32 v5, 0x7fc0
	v_cmp_o_f32_e64 s[2:3], v3, v3
	v_cndmask_b32_e64 v3, v5, v4, s[2:3]
; %bb.43:
	s_or_b64 exec, exec, s[6:7]
	global_store_short v[0:1], v3, off offset:320
	s_or_b64 exec, exec, s[4:5]
	s_and_saveexec_b64 s[2:3], s[0:1]
	s_cbranch_execz .LBB851_27
.LBB851_44:
	v_mov_b32_e32 v3, 0
	s_and_saveexec_b64 s[4:5], s[16:17]
; %bb.45:
	v_fma_f32 v3, -v2, v11, v12
	v_bfe_u32 v4, v3, 16, 1
	s_movk_i32 s0, 0x7fff
	v_add3_u32 v4, v3, v4, s0
	v_lshrrev_b32_e32 v4, 16, v4
	v_mov_b32_e32 v5, 0x7fc0
	v_cmp_o_f32_e64 s[0:1], v3, v3
	v_cndmask_b32_e64 v3, v5, v4, s[0:1]
; %bb.46:
	s_or_b64 exec, exec, s[4:5]
	global_store_short v[0:1], v3, off offset:384
	s_or_b64 exec, exec, s[2:3]
	s_and_b64 exec, exec, vcc
	s_cbranch_execz .LBB851_28
.LBB851_47:
	v_mov_b32_e32 v3, 0
	s_and_saveexec_b64 s[0:1], s[12:13]
; %bb.48:
	v_fma_f32 v2, -v2, v9, v8
	v_bfe_u32 v3, v2, 16, 1
	s_movk_i32 s2, 0x7fff
	v_add3_u32 v3, v2, v3, s2
	v_lshrrev_b32_e32 v3, 16, v3
	v_mov_b32_e32 v4, 0x7fc0
	v_cmp_o_f32_e32 vcc, v2, v2
	v_cndmask_b32_e32 v3, v4, v3, vcc
; %bb.49:
	s_or_b64 exec, exec, s[0:1]
	global_store_short v[0:1], v3, off offset:448
	s_endpgm
	.section	.rodata,"a",@progbits
	.p2align	6, 0x0
	.amdhsa_kernel _ZN12_GLOBAL__N_121softmax_warp_backwardIN3c108BFloat16ES2_fLi8ELb0ELb1ELi32EEEvPT0_PKT_S7_iiiPKb
		.amdhsa_group_segment_fixed_size 0
		.amdhsa_private_segment_fixed_size 0
		.amdhsa_kernarg_size 304
		.amdhsa_user_sgpr_count 6
		.amdhsa_user_sgpr_private_segment_buffer 1
		.amdhsa_user_sgpr_dispatch_ptr 0
		.amdhsa_user_sgpr_queue_ptr 0
		.amdhsa_user_sgpr_kernarg_segment_ptr 1
		.amdhsa_user_sgpr_dispatch_id 0
		.amdhsa_user_sgpr_flat_scratch_init 0
		.amdhsa_user_sgpr_kernarg_preload_length 0
		.amdhsa_user_sgpr_kernarg_preload_offset 0
		.amdhsa_user_sgpr_private_segment_size 0
		.amdhsa_uses_dynamic_stack 0
		.amdhsa_system_sgpr_private_segment_wavefront_offset 0
		.amdhsa_system_sgpr_workgroup_id_x 1
		.amdhsa_system_sgpr_workgroup_id_y 0
		.amdhsa_system_sgpr_workgroup_id_z 0
		.amdhsa_system_sgpr_workgroup_info 0
		.amdhsa_system_vgpr_workitem_id 1
		.amdhsa_next_free_vgpr 31
		.amdhsa_next_free_sgpr 40
		.amdhsa_accum_offset 32
		.amdhsa_reserve_vcc 1
		.amdhsa_reserve_flat_scratch 0
		.amdhsa_float_round_mode_32 0
		.amdhsa_float_round_mode_16_64 0
		.amdhsa_float_denorm_mode_32 3
		.amdhsa_float_denorm_mode_16_64 3
		.amdhsa_dx10_clamp 1
		.amdhsa_ieee_mode 1
		.amdhsa_fp16_overflow 0
		.amdhsa_tg_split 0
		.amdhsa_exception_fp_ieee_invalid_op 0
		.amdhsa_exception_fp_denorm_src 0
		.amdhsa_exception_fp_ieee_div_zero 0
		.amdhsa_exception_fp_ieee_overflow 0
		.amdhsa_exception_fp_ieee_underflow 0
		.amdhsa_exception_fp_ieee_inexact 0
		.amdhsa_exception_int_div_zero 0
	.end_amdhsa_kernel
	.section	.text._ZN12_GLOBAL__N_121softmax_warp_backwardIN3c108BFloat16ES2_fLi8ELb0ELb1ELi32EEEvPT0_PKT_S7_iiiPKb,"axG",@progbits,_ZN12_GLOBAL__N_121softmax_warp_backwardIN3c108BFloat16ES2_fLi8ELb0ELb1ELi32EEEvPT0_PKT_S7_iiiPKb,comdat
.Lfunc_end851:
	.size	_ZN12_GLOBAL__N_121softmax_warp_backwardIN3c108BFloat16ES2_fLi8ELb0ELb1ELi32EEEvPT0_PKT_S7_iiiPKb, .Lfunc_end851-_ZN12_GLOBAL__N_121softmax_warp_backwardIN3c108BFloat16ES2_fLi8ELb0ELb1ELi32EEEvPT0_PKT_S7_iiiPKb
                                        ; -- End function
	.section	.AMDGPU.csdata,"",@progbits
; Kernel info:
; codeLenInByte = 2060
; NumSgprs: 44
; NumVgprs: 31
; NumAgprs: 0
; TotalNumVgprs: 31
; ScratchSize: 0
; MemoryBound: 0
; FloatMode: 240
; IeeeMode: 1
; LDSByteSize: 0 bytes/workgroup (compile time only)
; SGPRBlocks: 5
; VGPRBlocks: 3
; NumSGPRsForWavesPerEU: 44
; NumVGPRsForWavesPerEU: 31
; AccumOffset: 32
; Occupancy: 8
; WaveLimiterHint : 0
; COMPUTE_PGM_RSRC2:SCRATCH_EN: 0
; COMPUTE_PGM_RSRC2:USER_SGPR: 6
; COMPUTE_PGM_RSRC2:TRAP_HANDLER: 0
; COMPUTE_PGM_RSRC2:TGID_X_EN: 1
; COMPUTE_PGM_RSRC2:TGID_Y_EN: 0
; COMPUTE_PGM_RSRC2:TGID_Z_EN: 0
; COMPUTE_PGM_RSRC2:TIDIG_COMP_CNT: 1
; COMPUTE_PGM_RSRC3_GFX90A:ACCUM_OFFSET: 7
; COMPUTE_PGM_RSRC3_GFX90A:TG_SPLIT: 0
	.section	.text._ZN12_GLOBAL__N_121softmax_warp_backwardIN3c108BFloat16ES2_fLi9ELb0ELb1ELi64EEEvPT0_PKT_S7_iiiPKb,"axG",@progbits,_ZN12_GLOBAL__N_121softmax_warp_backwardIN3c108BFloat16ES2_fLi9ELb0ELb1ELi64EEEvPT0_PKT_S7_iiiPKb,comdat
	.globl	_ZN12_GLOBAL__N_121softmax_warp_backwardIN3c108BFloat16ES2_fLi9ELb0ELb1ELi64EEEvPT0_PKT_S7_iiiPKb ; -- Begin function _ZN12_GLOBAL__N_121softmax_warp_backwardIN3c108BFloat16ES2_fLi9ELb0ELb1ELi64EEEvPT0_PKT_S7_iiiPKb
	.p2align	8
	.type	_ZN12_GLOBAL__N_121softmax_warp_backwardIN3c108BFloat16ES2_fLi9ELb0ELb1ELi64EEEvPT0_PKT_S7_iiiPKb,@function
_ZN12_GLOBAL__N_121softmax_warp_backwardIN3c108BFloat16ES2_fLi9ELb0ELb1ELi64EEEvPT0_PKT_S7_iiiPKb: ; @_ZN12_GLOBAL__N_121softmax_warp_backwardIN3c108BFloat16ES2_fLi9ELb0ELb1ELi64EEEvPT0_PKT_S7_iiiPKb
; %bb.0:
	s_load_dword s2, s[4:5], 0x3c
	s_load_dwordx4 s[16:19], s[4:5], 0x18
	s_load_dwordx4 s[36:39], s[4:5], 0x0
	s_load_dwordx2 s[0:1], s[4:5], 0x10
	v_bfe_u32 v1, v0, 10, 10
	s_waitcnt lgkmcnt(0)
	s_lshr_b32 s2, s2, 16
	s_mul_i32 s6, s6, s2
	v_add_u32_e32 v1, s6, v1
	v_and_b32_e32 v8, 63, v0
	v_mad_u64_u32 v[2:3], s[2:3], v1, s17, v[8:9]
	v_ashrrev_i32_e32 v3, 31, v2
	v_sub_u32_e32 v23, s16, v1
	v_lshlrev_b64 v[0:1], 1, v[2:3]
	v_mov_b32_e32 v5, s39
	v_add_co_u32_e32 v4, vcc, s38, v0
	v_addc_co_u32_e32 v5, vcc, v5, v1, vcc
	v_mov_b32_e32 v7, s1
	v_add_co_u32_e32 v6, vcc, s0, v0
	v_cmp_lt_i32_e64 s[16:17], 0, v23
	v_cmp_gt_i32_e64 s[12:13], s18, v8
	v_addc_co_u32_e32 v7, vcc, v7, v1, vcc
	s_and_b64 s[2:3], s[16:17], s[12:13]
	v_mov_b32_e32 v17, 0
	v_mov_b32_e32 v22, 0
	;; [unrolled: 1-line block ×3, first 2 shown]
	s_and_saveexec_b64 s[0:1], s[2:3]
	s_cbranch_execz .LBB852_2
; %bb.1:
	global_load_ushort v9, v[6:7], off
	global_load_ushort v10, v[4:5], off
	s_waitcnt vmcnt(1)
	v_lshlrev_b32_e32 v22, 16, v9
	s_waitcnt vmcnt(0)
	v_lshlrev_b32_e32 v24, 16, v10
.LBB852_2:
	s_or_b64 exec, exec, s[0:1]
	v_or_b32_e32 v9, 64, v8
	v_cmp_gt_i32_e64 s[10:11], s18, v9
	s_and_b64 s[2:3], s[16:17], s[10:11]
	v_mov_b32_e32 v21, 0
	s_and_saveexec_b64 s[0:1], s[2:3]
	s_cbranch_execz .LBB852_4
; %bb.3:
	global_load_ushort v9, v[6:7], off offset:128
	global_load_ushort v10, v[4:5], off offset:128
	s_waitcnt vmcnt(1)
	v_lshlrev_b32_e32 v17, 16, v9
	s_waitcnt vmcnt(0)
	v_lshlrev_b32_e32 v21, 16, v10
.LBB852_4:
	s_or_b64 exec, exec, s[0:1]
	v_or_b32_e32 v9, 0x80, v8
	v_cmp_gt_i32_e64 s[8:9], s18, v9
	s_and_b64 s[2:3], s[16:17], s[8:9]
	v_mov_b32_e32 v13, 0
	v_mov_b32_e32 v19, 0
	v_mov_b32_e32 v20, 0
	s_and_saveexec_b64 s[0:1], s[2:3]
	s_cbranch_execz .LBB852_6
; %bb.5:
	global_load_ushort v9, v[6:7], off offset:256
	global_load_ushort v10, v[4:5], off offset:256
	s_waitcnt vmcnt(1)
	v_lshlrev_b32_e32 v19, 16, v9
	s_waitcnt vmcnt(0)
	v_lshlrev_b32_e32 v20, 16, v10
.LBB852_6:
	s_or_b64 exec, exec, s[0:1]
	v_or_b32_e32 v9, 0xc0, v8
	v_cmp_gt_i32_e64 s[6:7], s18, v9
	s_and_b64 s[2:3], s[16:17], s[6:7]
	v_mov_b32_e32 v18, 0
	s_and_saveexec_b64 s[0:1], s[2:3]
	s_cbranch_execz .LBB852_8
; %bb.7:
	global_load_ushort v9, v[6:7], off offset:384
	global_load_ushort v10, v[4:5], off offset:384
	s_waitcnt vmcnt(1)
	v_lshlrev_b32_e32 v13, 16, v9
	s_waitcnt vmcnt(0)
	v_lshlrev_b32_e32 v18, 16, v10
.LBB852_8:
	s_or_b64 exec, exec, s[0:1]
	v_or_b32_e32 v9, 0x100, v8
	v_cmp_gt_i32_e64 s[14:15], s18, v9
	s_and_b64 s[2:3], s[16:17], s[14:15]
	v_mov_b32_e32 v10, 0
	v_mov_b32_e32 v15, 0
	v_mov_b32_e32 v16, 0
	s_and_saveexec_b64 s[0:1], s[2:3]
	s_cbranch_execz .LBB852_10
; %bb.9:
	global_load_ushort v9, v[6:7], off offset:512
	global_load_ushort v11, v[4:5], off offset:512
	s_waitcnt vmcnt(1)
	v_lshlrev_b32_e32 v15, 16, v9
	s_waitcnt vmcnt(0)
	v_lshlrev_b32_e32 v16, 16, v11
.LBB852_10:
	;; [unrolled: 32-line block ×3, first 2 shown]
	s_or_b64 exec, exec, s[20:21]
	v_or_b32_e32 v8, 0x1c0, v8
	v_cmp_gt_i32_e32 vcc, s18, v8
	s_and_b64 s[18:19], s[16:17], vcc
	v_mov_b32_e32 v8, 0
	s_and_saveexec_b64 s[16:17], s[18:19]
	s_cbranch_execz .LBB852_16
; %bb.15:
	global_load_ushort v8, v[6:7], off offset:896
	global_load_ushort v25, v[4:5], off offset:896
	s_waitcnt vmcnt(1)
	v_lshlrev_b32_e32 v9, 16, v8
	s_waitcnt vmcnt(0)
	v_lshlrev_b32_e32 v8, 16, v25
.LBB852_16:
	s_or_b64 exec, exec, s[16:17]
	s_load_dwordx2 s[4:5], s[4:5], 0x28
	s_waitcnt lgkmcnt(0)
	v_mov_b32_e32 v4, s5
	v_add_co_u32_e64 v2, s[4:5], s4, v2
	v_addc_co_u32_e64 v3, s[4:5], v4, v3, s[4:5]
	global_load_ubyte v4, v[2:3], off
	global_load_ubyte v5, v[2:3], off offset:64
	global_load_ubyte v6, v[2:3], off offset:128
	;; [unrolled: 1-line block ×7, first 2 shown]
	v_mbcnt_lo_u32_b32 v3, -1, 0
	v_mbcnt_hi_u32_b32 v3, -1, v3
	v_and_b32_e32 v29, 64, v3
	v_add_f32_e32 v2, 0, v24
	v_xor_b32_e32 v30, 32, v3
	v_add_u32_e32 v29, 64, v29
	v_cmp_lt_i32_e64 s[4:5], v30, v29
	v_cndmask_b32_e64 v30, v3, v30, s[4:5]
	v_lshlrev_b32_e32 v30, 2, v30
	s_waitcnt vmcnt(7)
	v_and_b32_e32 v4, 1, v4
	v_cmp_eq_u32_e64 s[28:29], 1, v4
	s_waitcnt vmcnt(6)
	v_and_b32_e32 v5, 1, v5
	v_cndmask_b32_e64 v2, v2, 0, s[28:29]
	v_add_f32_e32 v4, v2, v21
	v_cmp_eq_u32_e64 s[4:5], 1, v5
	s_waitcnt vmcnt(5)
	v_and_b32_e32 v6, 1, v6
	v_cndmask_b32_e64 v2, v4, v2, s[4:5]
	v_add_f32_e32 v4, v2, v20
	;; [unrolled: 5-line block ×7, first 2 shown]
	v_cmp_eq_u32_e64 s[26:27], 1, v28
	v_cndmask_b32_e64 v2, v4, v2, s[26:27]
	ds_bpermute_b32 v4, v30, v2
	v_xor_b32_e32 v5, 16, v3
	v_cmp_lt_i32_e64 s[30:31], v5, v29
	v_cndmask_b32_e64 v5, v3, v5, s[30:31]
	v_lshlrev_b32_e32 v5, 2, v5
	s_waitcnt lgkmcnt(0)
	v_add_f32_e32 v2, v2, v4
	ds_bpermute_b32 v4, v5, v2
	v_xor_b32_e32 v5, 8, v3
	v_cmp_lt_i32_e64 s[30:31], v5, v29
	v_cndmask_b32_e64 v5, v3, v5, s[30:31]
	v_lshlrev_b32_e32 v5, 2, v5
	s_waitcnt lgkmcnt(0)
	v_add_f32_e32 v2, v2, v4
	;; [unrolled: 7-line block ×5, first 2 shown]
	ds_bpermute_b32 v3, v3, v2
	v_cmp_lt_i32_e64 s[30:31], 0, v23
	s_and_saveexec_b64 s[34:35], s[30:31]
	s_cbranch_execz .LBB852_28
; %bb.17:
	s_waitcnt lgkmcnt(0)
	v_add_f32_e32 v2, v2, v3
	v_mov_b32_e32 v3, s37
	v_add_co_u32_e64 v0, s[30:31], s36, v0
	v_addc_co_u32_e64 v1, s[30:31], v3, v1, s[30:31]
	s_and_saveexec_b64 s[30:31], s[12:13]
	s_cbranch_execz .LBB852_21
; %bb.18:
	s_xor_b64 s[12:13], s[28:29], -1
	v_mov_b32_e32 v3, 0
	s_and_saveexec_b64 s[28:29], s[12:13]
; %bb.19:
	v_fma_f32 v3, -v2, v22, v24
	v_bfe_u32 v4, v3, 16, 1
	s_movk_i32 s12, 0x7fff
	v_add3_u32 v4, v3, v4, s12
	v_lshrrev_b32_e32 v4, 16, v4
	v_mov_b32_e32 v5, 0x7fc0
	v_cmp_o_f32_e64 s[12:13], v3, v3
	v_cndmask_b32_e64 v3, v5, v4, s[12:13]
; %bb.20:
	s_or_b64 exec, exec, s[28:29]
	global_store_short v[0:1], v3, off
.LBB852_21:
	s_or_b64 exec, exec, s[30:31]
	s_xor_b64 s[4:5], s[4:5], -1
	s_xor_b64 s[30:31], s[16:17], -1
	;; [unrolled: 1-line block ×7, first 2 shown]
	s_and_saveexec_b64 s[22:23], s[10:11]
	s_cbranch_execnz .LBB852_29
; %bb.22:
	s_or_b64 exec, exec, s[22:23]
	s_and_saveexec_b64 s[10:11], s[8:9]
	s_cbranch_execnz .LBB852_32
.LBB852_23:
	s_or_b64 exec, exec, s[10:11]
	s_and_saveexec_b64 s[8:9], s[6:7]
	s_cbranch_execnz .LBB852_35
.LBB852_24:
	s_or_b64 exec, exec, s[8:9]
	s_and_saveexec_b64 s[6:7], s[14:15]
	s_cbranch_execnz .LBB852_38
.LBB852_25:
	s_or_b64 exec, exec, s[6:7]
	s_and_saveexec_b64 s[4:5], s[2:3]
	s_cbranch_execnz .LBB852_41
.LBB852_26:
	s_or_b64 exec, exec, s[4:5]
	s_and_saveexec_b64 s[2:3], s[0:1]
	s_cbranch_execnz .LBB852_44
.LBB852_27:
	s_or_b64 exec, exec, s[2:3]
	s_and_b64 exec, exec, vcc
	s_cbranch_execnz .LBB852_47
.LBB852_28:
	s_endpgm
.LBB852_29:
	v_mov_b32_e32 v3, 0
	s_and_saveexec_b64 s[10:11], s[4:5]
; %bb.30:
	v_fma_f32 v3, -v2, v17, v21
	v_bfe_u32 v4, v3, 16, 1
	s_movk_i32 s4, 0x7fff
	v_add3_u32 v4, v3, v4, s4
	v_lshrrev_b32_e32 v4, 16, v4
	v_mov_b32_e32 v5, 0x7fc0
	v_cmp_o_f32_e64 s[4:5], v3, v3
	v_cndmask_b32_e64 v3, v5, v4, s[4:5]
; %bb.31:
	s_or_b64 exec, exec, s[10:11]
	global_store_short v[0:1], v3, off offset:128
	s_or_b64 exec, exec, s[22:23]
	s_and_saveexec_b64 s[10:11], s[8:9]
	s_cbranch_execz .LBB852_23
.LBB852_32:
	v_mov_b32_e32 v3, 0
	s_and_saveexec_b64 s[8:9], s[30:31]
; %bb.33:
	v_fma_f32 v3, -v2, v19, v20
	v_bfe_u32 v4, v3, 16, 1
	s_movk_i32 s4, 0x7fff
	v_add3_u32 v4, v3, v4, s4
	v_lshrrev_b32_e32 v4, 16, v4
	v_mov_b32_e32 v5, 0x7fc0
	v_cmp_o_f32_e64 s[4:5], v3, v3
	v_cndmask_b32_e64 v3, v5, v4, s[4:5]
; %bb.34:
	s_or_b64 exec, exec, s[8:9]
	global_store_short v[0:1], v3, off offset:256
	s_or_b64 exec, exec, s[10:11]
	s_and_saveexec_b64 s[8:9], s[6:7]
	s_cbranch_execz .LBB852_24
.LBB852_35:
	v_mov_b32_e32 v3, 0
	s_and_saveexec_b64 s[6:7], s[28:29]
; %bb.36:
	v_fma_f32 v3, -v2, v13, v18
	v_bfe_u32 v4, v3, 16, 1
	s_movk_i32 s4, 0x7fff
	v_add3_u32 v4, v3, v4, s4
	v_lshrrev_b32_e32 v4, 16, v4
	v_mov_b32_e32 v5, 0x7fc0
	v_cmp_o_f32_e64 s[4:5], v3, v3
	v_cndmask_b32_e64 v3, v5, v4, s[4:5]
; %bb.37:
	s_or_b64 exec, exec, s[6:7]
	global_store_short v[0:1], v3, off offset:384
	s_or_b64 exec, exec, s[8:9]
	s_and_saveexec_b64 s[6:7], s[14:15]
	s_cbranch_execz .LBB852_25
.LBB852_38:
	v_mov_b32_e32 v3, 0
	s_and_saveexec_b64 s[8:9], s[20:21]
; %bb.39:
	v_fma_f32 v3, -v2, v15, v16
	v_bfe_u32 v4, v3, 16, 1
	s_movk_i32 s4, 0x7fff
	v_add3_u32 v4, v3, v4, s4
	v_lshrrev_b32_e32 v4, 16, v4
	v_mov_b32_e32 v5, 0x7fc0
	v_cmp_o_f32_e64 s[4:5], v3, v3
	v_cndmask_b32_e64 v3, v5, v4, s[4:5]
; %bb.40:
	s_or_b64 exec, exec, s[8:9]
	global_store_short v[0:1], v3, off offset:512
	s_or_b64 exec, exec, s[6:7]
	s_and_saveexec_b64 s[4:5], s[2:3]
	s_cbranch_execz .LBB852_26
.LBB852_41:
	v_mov_b32_e32 v3, 0
	s_and_saveexec_b64 s[6:7], s[18:19]
; %bb.42:
	v_fma_f32 v3, -v2, v10, v14
	v_bfe_u32 v4, v3, 16, 1
	s_movk_i32 s2, 0x7fff
	v_add3_u32 v4, v3, v4, s2
	v_lshrrev_b32_e32 v4, 16, v4
	v_mov_b32_e32 v5, 0x7fc0
	v_cmp_o_f32_e64 s[2:3], v3, v3
	v_cndmask_b32_e64 v3, v5, v4, s[2:3]
; %bb.43:
	s_or_b64 exec, exec, s[6:7]
	global_store_short v[0:1], v3, off offset:640
	s_or_b64 exec, exec, s[4:5]
	s_and_saveexec_b64 s[2:3], s[0:1]
	s_cbranch_execz .LBB852_27
.LBB852_44:
	v_mov_b32_e32 v3, 0
	s_and_saveexec_b64 s[4:5], s[16:17]
; %bb.45:
	v_fma_f32 v3, -v2, v11, v12
	v_bfe_u32 v4, v3, 16, 1
	s_movk_i32 s0, 0x7fff
	v_add3_u32 v4, v3, v4, s0
	v_lshrrev_b32_e32 v4, 16, v4
	v_mov_b32_e32 v5, 0x7fc0
	v_cmp_o_f32_e64 s[0:1], v3, v3
	v_cndmask_b32_e64 v3, v5, v4, s[0:1]
; %bb.46:
	s_or_b64 exec, exec, s[4:5]
	global_store_short v[0:1], v3, off offset:768
	s_or_b64 exec, exec, s[2:3]
	s_and_b64 exec, exec, vcc
	s_cbranch_execz .LBB852_28
.LBB852_47:
	v_mov_b32_e32 v3, 0
	s_and_saveexec_b64 s[0:1], s[12:13]
; %bb.48:
	v_fma_f32 v2, -v2, v9, v8
	v_bfe_u32 v3, v2, 16, 1
	s_movk_i32 s2, 0x7fff
	v_add3_u32 v3, v2, v3, s2
	v_lshrrev_b32_e32 v3, 16, v3
	v_mov_b32_e32 v4, 0x7fc0
	v_cmp_o_f32_e32 vcc, v2, v2
	v_cndmask_b32_e32 v3, v4, v3, vcc
; %bb.49:
	s_or_b64 exec, exec, s[0:1]
	global_store_short v[0:1], v3, off offset:896
	s_endpgm
	.section	.rodata,"a",@progbits
	.p2align	6, 0x0
	.amdhsa_kernel _ZN12_GLOBAL__N_121softmax_warp_backwardIN3c108BFloat16ES2_fLi9ELb0ELb1ELi64EEEvPT0_PKT_S7_iiiPKb
		.amdhsa_group_segment_fixed_size 0
		.amdhsa_private_segment_fixed_size 0
		.amdhsa_kernarg_size 304
		.amdhsa_user_sgpr_count 6
		.amdhsa_user_sgpr_private_segment_buffer 1
		.amdhsa_user_sgpr_dispatch_ptr 0
		.amdhsa_user_sgpr_queue_ptr 0
		.amdhsa_user_sgpr_kernarg_segment_ptr 1
		.amdhsa_user_sgpr_dispatch_id 0
		.amdhsa_user_sgpr_flat_scratch_init 0
		.amdhsa_user_sgpr_kernarg_preload_length 0
		.amdhsa_user_sgpr_kernarg_preload_offset 0
		.amdhsa_user_sgpr_private_segment_size 0
		.amdhsa_uses_dynamic_stack 0
		.amdhsa_system_sgpr_private_segment_wavefront_offset 0
		.amdhsa_system_sgpr_workgroup_id_x 1
		.amdhsa_system_sgpr_workgroup_id_y 0
		.amdhsa_system_sgpr_workgroup_id_z 0
		.amdhsa_system_sgpr_workgroup_info 0
		.amdhsa_system_vgpr_workitem_id 1
		.amdhsa_next_free_vgpr 31
		.amdhsa_next_free_sgpr 40
		.amdhsa_accum_offset 32
		.amdhsa_reserve_vcc 1
		.amdhsa_reserve_flat_scratch 0
		.amdhsa_float_round_mode_32 0
		.amdhsa_float_round_mode_16_64 0
		.amdhsa_float_denorm_mode_32 3
		.amdhsa_float_denorm_mode_16_64 3
		.amdhsa_dx10_clamp 1
		.amdhsa_ieee_mode 1
		.amdhsa_fp16_overflow 0
		.amdhsa_tg_split 0
		.amdhsa_exception_fp_ieee_invalid_op 0
		.amdhsa_exception_fp_denorm_src 0
		.amdhsa_exception_fp_ieee_div_zero 0
		.amdhsa_exception_fp_ieee_overflow 0
		.amdhsa_exception_fp_ieee_underflow 0
		.amdhsa_exception_fp_ieee_inexact 0
		.amdhsa_exception_int_div_zero 0
	.end_amdhsa_kernel
	.section	.text._ZN12_GLOBAL__N_121softmax_warp_backwardIN3c108BFloat16ES2_fLi9ELb0ELb1ELi64EEEvPT0_PKT_S7_iiiPKb,"axG",@progbits,_ZN12_GLOBAL__N_121softmax_warp_backwardIN3c108BFloat16ES2_fLi9ELb0ELb1ELi64EEEvPT0_PKT_S7_iiiPKb,comdat
.Lfunc_end852:
	.size	_ZN12_GLOBAL__N_121softmax_warp_backwardIN3c108BFloat16ES2_fLi9ELb0ELb1ELi64EEEvPT0_PKT_S7_iiiPKb, .Lfunc_end852-_ZN12_GLOBAL__N_121softmax_warp_backwardIN3c108BFloat16ES2_fLi9ELb0ELb1ELi64EEEvPT0_PKT_S7_iiiPKb
                                        ; -- End function
	.section	.AMDGPU.csdata,"",@progbits
; Kernel info:
; codeLenInByte = 2100
; NumSgprs: 44
; NumVgprs: 31
; NumAgprs: 0
; TotalNumVgprs: 31
; ScratchSize: 0
; MemoryBound: 0
; FloatMode: 240
; IeeeMode: 1
; LDSByteSize: 0 bytes/workgroup (compile time only)
; SGPRBlocks: 5
; VGPRBlocks: 3
; NumSGPRsForWavesPerEU: 44
; NumVGPRsForWavesPerEU: 31
; AccumOffset: 32
; Occupancy: 8
; WaveLimiterHint : 0
; COMPUTE_PGM_RSRC2:SCRATCH_EN: 0
; COMPUTE_PGM_RSRC2:USER_SGPR: 6
; COMPUTE_PGM_RSRC2:TRAP_HANDLER: 0
; COMPUTE_PGM_RSRC2:TGID_X_EN: 1
; COMPUTE_PGM_RSRC2:TGID_Y_EN: 0
; COMPUTE_PGM_RSRC2:TGID_Z_EN: 0
; COMPUTE_PGM_RSRC2:TIDIG_COMP_CNT: 1
; COMPUTE_PGM_RSRC3_GFX90A:ACCUM_OFFSET: 7
; COMPUTE_PGM_RSRC3_GFX90A:TG_SPLIT: 0
	.section	.text._ZN12_GLOBAL__N_121softmax_warp_backwardIN3c108BFloat16ES2_fLi9ELb0ELb1ELi32EEEvPT0_PKT_S7_iiiPKb,"axG",@progbits,_ZN12_GLOBAL__N_121softmax_warp_backwardIN3c108BFloat16ES2_fLi9ELb0ELb1ELi32EEEvPT0_PKT_S7_iiiPKb,comdat
	.globl	_ZN12_GLOBAL__N_121softmax_warp_backwardIN3c108BFloat16ES2_fLi9ELb0ELb1ELi32EEEvPT0_PKT_S7_iiiPKb ; -- Begin function _ZN12_GLOBAL__N_121softmax_warp_backwardIN3c108BFloat16ES2_fLi9ELb0ELb1ELi32EEEvPT0_PKT_S7_iiiPKb
	.p2align	8
	.type	_ZN12_GLOBAL__N_121softmax_warp_backwardIN3c108BFloat16ES2_fLi9ELb0ELb1ELi32EEEvPT0_PKT_S7_iiiPKb,@function
_ZN12_GLOBAL__N_121softmax_warp_backwardIN3c108BFloat16ES2_fLi9ELb0ELb1ELi32EEEvPT0_PKT_S7_iiiPKb: ; @_ZN12_GLOBAL__N_121softmax_warp_backwardIN3c108BFloat16ES2_fLi9ELb0ELb1ELi32EEEvPT0_PKT_S7_iiiPKb
; %bb.0:
	s_load_dword s2, s[4:5], 0x3c
	s_load_dwordx4 s[36:39], s[4:5], 0x18
	s_load_dwordx4 s[68:71], s[4:5], 0x0
	s_load_dwordx2 s[0:1], s[4:5], 0x10
	v_bfe_u32 v1, v0, 10, 10
	s_waitcnt lgkmcnt(0)
	s_lshr_b32 s2, s2, 16
	s_mul_i32 s6, s6, s2
	v_add_u32_e32 v1, s6, v1
	v_and_b32_e32 v8, 31, v0
	v_mad_u64_u32 v[2:3], s[2:3], v1, s37, v[8:9]
	v_ashrrev_i32_e32 v3, 31, v2
	v_sub_u32_e32 v39, s36, v1
	v_lshlrev_b64 v[0:1], 1, v[2:3]
	v_mov_b32_e32 v5, s71
	v_add_co_u32_e32 v4, vcc, s70, v0
	v_addc_co_u32_e32 v5, vcc, v5, v1, vcc
	v_mov_b32_e32 v7, s1
	v_add_co_u32_e32 v6, vcc, s0, v0
	v_cmp_lt_i32_e64 s[34:35], 0, v39
	v_cmp_gt_i32_e64 s[28:29], s38, v8
	v_addc_co_u32_e32 v7, vcc, v7, v1, vcc
	s_and_b64 s[2:3], s[34:35], s[28:29]
	v_mov_b32_e32 v33, 0
	v_mov_b32_e32 v38, 0
	v_mov_b32_e32 v40, 0
	s_and_saveexec_b64 s[0:1], s[2:3]
	s_cbranch_execz .LBB853_2
; %bb.1:
	global_load_ushort v9, v[6:7], off
	global_load_ushort v10, v[4:5], off
	s_waitcnt vmcnt(1)
	v_lshlrev_b32_e32 v38, 16, v9
	s_waitcnt vmcnt(0)
	v_lshlrev_b32_e32 v40, 16, v10
.LBB853_2:
	s_or_b64 exec, exec, s[0:1]
	v_or_b32_e32 v9, 32, v8
	v_cmp_gt_i32_e64 s[26:27], s38, v9
	s_and_b64 s[2:3], s[34:35], s[26:27]
	v_mov_b32_e32 v37, 0
	s_and_saveexec_b64 s[0:1], s[2:3]
	s_cbranch_execz .LBB853_4
; %bb.3:
	global_load_ushort v9, v[6:7], off offset:64
	global_load_ushort v10, v[4:5], off offset:64
	s_waitcnt vmcnt(1)
	v_lshlrev_b32_e32 v33, 16, v9
	s_waitcnt vmcnt(0)
	v_lshlrev_b32_e32 v37, 16, v10
.LBB853_4:
	s_or_b64 exec, exec, s[0:1]
	v_or_b32_e32 v9, 64, v8
	v_cmp_gt_i32_e64 s[24:25], s38, v9
	s_and_b64 s[2:3], s[34:35], s[24:25]
	v_mov_b32_e32 v29, 0
	v_mov_b32_e32 v35, 0
	v_mov_b32_e32 v36, 0
	s_and_saveexec_b64 s[0:1], s[2:3]
	s_cbranch_execz .LBB853_6
; %bb.5:
	global_load_ushort v9, v[6:7], off offset:128
	global_load_ushort v10, v[4:5], off offset:128
	s_waitcnt vmcnt(1)
	v_lshlrev_b32_e32 v35, 16, v9
	s_waitcnt vmcnt(0)
	v_lshlrev_b32_e32 v36, 16, v10
.LBB853_6:
	s_or_b64 exec, exec, s[0:1]
	v_or_b32_e32 v9, 0x60, v8
	v_cmp_gt_i32_e64 s[22:23], s38, v9
	s_and_b64 s[2:3], s[34:35], s[22:23]
	v_mov_b32_e32 v34, 0
	s_and_saveexec_b64 s[0:1], s[2:3]
	s_cbranch_execz .LBB853_8
; %bb.7:
	global_load_ushort v9, v[6:7], off offset:192
	global_load_ushort v10, v[4:5], off offset:192
	s_waitcnt vmcnt(1)
	v_lshlrev_b32_e32 v29, 16, v9
	s_waitcnt vmcnt(0)
	v_lshlrev_b32_e32 v34, 16, v10
.LBB853_8:
	s_or_b64 exec, exec, s[0:1]
	v_or_b32_e32 v9, 0x80, v8
	v_cmp_gt_i32_e64 s[20:21], s38, v9
	s_and_b64 s[2:3], s[34:35], s[20:21]
	v_mov_b32_e32 v25, 0
	v_mov_b32_e32 v31, 0
	v_mov_b32_e32 v32, 0
	s_and_saveexec_b64 s[0:1], s[2:3]
	s_cbranch_execz .LBB853_10
; %bb.9:
	global_load_ushort v9, v[6:7], off offset:256
	global_load_ushort v10, v[4:5], off offset:256
	s_waitcnt vmcnt(1)
	v_lshlrev_b32_e32 v31, 16, v9
	s_waitcnt vmcnt(0)
	v_lshlrev_b32_e32 v32, 16, v10
.LBB853_10:
	s_or_b64 exec, exec, s[0:1]
	v_or_b32_e32 v9, 0xa0, v8
	v_cmp_gt_i32_e64 s[18:19], s38, v9
	s_and_b64 s[2:3], s[34:35], s[18:19]
	v_mov_b32_e32 v30, 0
	s_and_saveexec_b64 s[0:1], s[2:3]
	s_cbranch_execz .LBB853_12
; %bb.11:
	global_load_ushort v9, v[6:7], off offset:320
	global_load_ushort v10, v[4:5], off offset:320
	s_waitcnt vmcnt(1)
	v_lshlrev_b32_e32 v25, 16, v9
	s_waitcnt vmcnt(0)
	v_lshlrev_b32_e32 v30, 16, v10
.LBB853_12:
	s_or_b64 exec, exec, s[0:1]
	v_or_b32_e32 v9, 0xc0, v8
	v_cmp_gt_i32_e64 s[16:17], s38, v9
	s_and_b64 s[2:3], s[34:35], s[16:17]
	v_mov_b32_e32 v21, 0
	v_mov_b32_e32 v27, 0
	v_mov_b32_e32 v28, 0
	s_and_saveexec_b64 s[0:1], s[2:3]
	s_cbranch_execz .LBB853_14
; %bb.13:
	global_load_ushort v9, v[6:7], off offset:384
	global_load_ushort v10, v[4:5], off offset:384
	s_waitcnt vmcnt(1)
	v_lshlrev_b32_e32 v27, 16, v9
	s_waitcnt vmcnt(0)
	v_lshlrev_b32_e32 v28, 16, v10
.LBB853_14:
	s_or_b64 exec, exec, s[0:1]
	v_or_b32_e32 v9, 0xe0, v8
	v_cmp_gt_i32_e64 s[14:15], s38, v9
	s_and_b64 s[2:3], s[34:35], s[14:15]
	v_mov_b32_e32 v26, 0
	s_and_saveexec_b64 s[0:1], s[2:3]
	s_cbranch_execz .LBB853_16
; %bb.15:
	global_load_ushort v9, v[6:7], off offset:448
	global_load_ushort v10, v[4:5], off offset:448
	s_waitcnt vmcnt(1)
	v_lshlrev_b32_e32 v21, 16, v9
	s_waitcnt vmcnt(0)
	v_lshlrev_b32_e32 v26, 16, v10
.LBB853_16:
	s_or_b64 exec, exec, s[0:1]
	v_or_b32_e32 v9, 0x100, v8
	v_cmp_gt_i32_e64 s[12:13], s38, v9
	s_and_b64 s[2:3], s[34:35], s[12:13]
	v_mov_b32_e32 v17, 0
	v_mov_b32_e32 v23, 0
	v_mov_b32_e32 v24, 0
	s_and_saveexec_b64 s[0:1], s[2:3]
	s_cbranch_execz .LBB853_18
; %bb.17:
	global_load_ushort v9, v[6:7], off offset:512
	global_load_ushort v10, v[4:5], off offset:512
	s_waitcnt vmcnt(1)
	v_lshlrev_b32_e32 v23, 16, v9
	s_waitcnt vmcnt(0)
	v_lshlrev_b32_e32 v24, 16, v10
.LBB853_18:
	s_or_b64 exec, exec, s[0:1]
	v_or_b32_e32 v9, 0x120, v8
	v_cmp_gt_i32_e64 s[10:11], s38, v9
	s_and_b64 s[2:3], s[34:35], s[10:11]
	v_mov_b32_e32 v22, 0
	s_and_saveexec_b64 s[0:1], s[2:3]
	s_cbranch_execz .LBB853_20
; %bb.19:
	global_load_ushort v9, v[6:7], off offset:576
	global_load_ushort v10, v[4:5], off offset:576
	s_waitcnt vmcnt(1)
	v_lshlrev_b32_e32 v17, 16, v9
	s_waitcnt vmcnt(0)
	v_lshlrev_b32_e32 v22, 16, v10
.LBB853_20:
	s_or_b64 exec, exec, s[0:1]
	v_or_b32_e32 v9, 0x140, v8
	v_cmp_gt_i32_e64 s[8:9], s38, v9
	s_and_b64 s[2:3], s[34:35], s[8:9]
	v_mov_b32_e32 v13, 0
	v_mov_b32_e32 v19, 0
	v_mov_b32_e32 v20, 0
	s_and_saveexec_b64 s[0:1], s[2:3]
	s_cbranch_execz .LBB853_22
; %bb.21:
	global_load_ushort v9, v[6:7], off offset:640
	global_load_ushort v10, v[4:5], off offset:640
	s_waitcnt vmcnt(1)
	v_lshlrev_b32_e32 v19, 16, v9
	s_waitcnt vmcnt(0)
	v_lshlrev_b32_e32 v20, 16, v10
.LBB853_22:
	s_or_b64 exec, exec, s[0:1]
	v_or_b32_e32 v9, 0x160, v8
	v_cmp_gt_i32_e64 s[6:7], s38, v9
	s_and_b64 s[2:3], s[34:35], s[6:7]
	v_mov_b32_e32 v18, 0
	s_and_saveexec_b64 s[0:1], s[2:3]
	s_cbranch_execz .LBB853_24
; %bb.23:
	global_load_ushort v9, v[6:7], off offset:704
	global_load_ushort v10, v[4:5], off offset:704
	s_waitcnt vmcnt(1)
	v_lshlrev_b32_e32 v13, 16, v9
	s_waitcnt vmcnt(0)
	v_lshlrev_b32_e32 v18, 16, v10
.LBB853_24:
	s_or_b64 exec, exec, s[0:1]
	v_or_b32_e32 v9, 0x180, v8
	v_cmp_gt_i32_e64 s[30:31], s38, v9
	s_and_b64 s[2:3], s[34:35], s[30:31]
	v_mov_b32_e32 v10, 0
	v_mov_b32_e32 v15, 0
	v_mov_b32_e32 v16, 0
	s_and_saveexec_b64 s[0:1], s[2:3]
	s_cbranch_execz .LBB853_26
; %bb.25:
	global_load_ushort v9, v[6:7], off offset:768
	global_load_ushort v11, v[4:5], off offset:768
	s_waitcnt vmcnt(1)
	v_lshlrev_b32_e32 v15, 16, v9
	s_waitcnt vmcnt(0)
	v_lshlrev_b32_e32 v16, 16, v11
.LBB853_26:
	s_or_b64 exec, exec, s[0:1]
	v_or_b32_e32 v9, 0x1a0, v8
	v_cmp_gt_i32_e64 s[2:3], s38, v9
	s_and_b64 s[36:37], s[34:35], s[2:3]
	v_mov_b32_e32 v14, 0
	s_and_saveexec_b64 s[0:1], s[36:37]
	s_cbranch_execz .LBB853_28
; %bb.27:
	global_load_ushort v9, v[6:7], off offset:832
	global_load_ushort v11, v[4:5], off offset:832
	s_waitcnt vmcnt(1)
	v_lshlrev_b32_e32 v10, 16, v9
	s_waitcnt vmcnt(0)
	v_lshlrev_b32_e32 v14, 16, v11
.LBB853_28:
	s_or_b64 exec, exec, s[0:1]
	v_or_b32_e32 v9, 0x1c0, v8
	v_cmp_gt_i32_e64 s[0:1], s38, v9
	s_and_b64 s[40:41], s[34:35], s[0:1]
	v_mov_b32_e32 v9, 0
	v_mov_b32_e32 v11, 0
	v_mov_b32_e32 v12, 0
	s_and_saveexec_b64 s[36:37], s[40:41]
	s_cbranch_execz .LBB853_30
; %bb.29:
	global_load_ushort v11, v[6:7], off offset:896
	global_load_ushort v12, v[4:5], off offset:896
	s_waitcnt vmcnt(1)
	v_lshlrev_b32_e32 v11, 16, v11
	s_waitcnt vmcnt(0)
	v_lshlrev_b32_e32 v12, 16, v12
.LBB853_30:
	s_or_b64 exec, exec, s[36:37]
	v_or_b32_e32 v8, 0x1e0, v8
	v_cmp_gt_i32_e32 vcc, s38, v8
	s_and_b64 s[36:37], s[34:35], vcc
	v_mov_b32_e32 v8, 0
	s_and_saveexec_b64 s[34:35], s[36:37]
	s_cbranch_execz .LBB853_32
; %bb.31:
	global_load_ushort v8, v[6:7], off offset:960
	global_load_ushort v41, v[4:5], off offset:960
	s_waitcnt vmcnt(1)
	v_lshlrev_b32_e32 v9, 16, v8
	s_waitcnt vmcnt(0)
	v_lshlrev_b32_e32 v8, 16, v41
.LBB853_32:
	s_or_b64 exec, exec, s[34:35]
	s_load_dwordx2 s[4:5], s[4:5], 0x28
	v_mbcnt_lo_u32_b32 v52, -1, 0
	v_mbcnt_hi_u32_b32 v52, -1, v52
	v_and_b32_e32 v53, 0x60, v52
	v_xor_b32_e32 v54, 16, v52
	s_waitcnt lgkmcnt(0)
	v_mov_b32_e32 v4, s5
	v_add_co_u32_e64 v2, s[4:5], s4, v2
	v_addc_co_u32_e64 v3, s[4:5], v4, v3, s[4:5]
	global_load_ubyte v4, v[2:3], off
	global_load_ubyte v5, v[2:3], off offset:32
	global_load_ubyte v6, v[2:3], off offset:64
	;; [unrolled: 1-line block ×14, first 2 shown]
	s_nop 0
	global_load_ubyte v2, v[2:3], off offset:480
	v_add_f32_e32 v3, 0, v40
	v_add_u32_e32 v53, 32, v53
	v_cmp_lt_i32_e64 s[4:5], v54, v53
	v_cndmask_b32_e64 v54, v52, v54, s[4:5]
	v_lshlrev_b32_e32 v54, 2, v54
	s_waitcnt vmcnt(15)
	v_and_b32_e32 v4, 1, v4
	v_cmp_eq_u32_e64 s[56:57], 1, v4
	s_waitcnt vmcnt(14)
	v_and_b32_e32 v5, 1, v5
	v_cndmask_b32_e64 v3, v3, 0, s[56:57]
	v_add_f32_e32 v4, v3, v37
	v_cmp_eq_u32_e64 s[4:5], 1, v5
	s_waitcnt vmcnt(13)
	v_and_b32_e32 v6, 1, v6
	v_cndmask_b32_e64 v3, v4, v3, s[4:5]
	v_add_f32_e32 v4, v3, v36
	;; [unrolled: 5-line block ×15, first 2 shown]
	v_cmp_eq_u32_e64 s[62:63], 1, v2
	v_cndmask_b32_e64 v2, v4, v3, s[62:63]
	ds_bpermute_b32 v3, v54, v2
	v_xor_b32_e32 v4, 8, v52
	v_cmp_lt_i32_e64 s[64:65], v4, v53
	v_cndmask_b32_e64 v4, v52, v4, s[64:65]
	v_lshlrev_b32_e32 v4, 2, v4
	s_waitcnt lgkmcnt(0)
	v_add_f32_e32 v2, v2, v3
	ds_bpermute_b32 v3, v4, v2
	v_xor_b32_e32 v4, 4, v52
	v_cmp_lt_i32_e64 s[64:65], v4, v53
	v_cndmask_b32_e64 v4, v52, v4, s[64:65]
	v_lshlrev_b32_e32 v4, 2, v4
	s_waitcnt lgkmcnt(0)
	v_add_f32_e32 v2, v2, v3
	ds_bpermute_b32 v3, v4, v2
	v_xor_b32_e32 v4, 2, v52
	v_cmp_lt_i32_e64 s[64:65], v4, v53
	v_cndmask_b32_e64 v4, v52, v4, s[64:65]
	v_lshlrev_b32_e32 v4, 2, v4
	s_waitcnt lgkmcnt(0)
	v_add_f32_e32 v2, v2, v3
	ds_bpermute_b32 v3, v4, v2
	v_xor_b32_e32 v4, 1, v52
	v_cmp_lt_i32_e64 s[64:65], v4, v53
	v_cndmask_b32_e64 v4, v52, v4, s[64:65]
	v_cmp_lt_i32_e64 s[64:65], 0, v39
	s_waitcnt lgkmcnt(0)
	v_add_f32_e32 v2, v2, v3
	v_lshlrev_b32_e32 v3, 2, v4
	ds_bpermute_b32 v3, v3, v2
	s_and_saveexec_b64 s[66:67], s[64:65]
	s_cbranch_execz .LBB853_52
; %bb.33:
	s_waitcnt lgkmcnt(0)
	v_add_f32_e32 v2, v2, v3
	v_mov_b32_e32 v3, s69
	v_add_co_u32_e64 v0, s[64:65], s68, v0
	v_addc_co_u32_e64 v1, s[64:65], v3, v1, s[64:65]
	s_and_saveexec_b64 s[64:65], s[28:29]
	s_cbranch_execz .LBB853_37
; %bb.34:
	s_xor_b64 s[28:29], s[56:57], -1
	v_mov_b32_e32 v3, 0
	s_and_saveexec_b64 s[56:57], s[28:29]
; %bb.35:
	v_fma_f32 v3, -v2, v38, v40
	v_bfe_u32 v4, v3, 16, 1
	s_movk_i32 s28, 0x7fff
	v_add3_u32 v4, v3, v4, s28
	v_lshrrev_b32_e32 v4, 16, v4
	v_mov_b32_e32 v5, 0x7fc0
	v_cmp_o_f32_e64 s[28:29], v3, v3
	v_cndmask_b32_e64 v3, v5, v4, s[28:29]
; %bb.36:
	s_or_b64 exec, exec, s[56:57]
	global_store_short v[0:1], v3, off
.LBB853_37:
	s_or_b64 exec, exec, s[64:65]
	s_xor_b64 s[4:5], s[4:5], -1
	s_xor_b64 s[72:73], s[34:35], -1
	;; [unrolled: 1-line block ×15, first 2 shown]
	s_and_saveexec_b64 s[48:49], s[26:27]
	s_cbranch_execnz .LBB853_53
; %bb.38:
	s_or_b64 exec, exec, s[48:49]
	s_and_saveexec_b64 s[26:27], s[24:25]
	s_cbranch_execnz .LBB853_56
.LBB853_39:
	s_or_b64 exec, exec, s[26:27]
	s_and_saveexec_b64 s[24:25], s[22:23]
	s_cbranch_execnz .LBB853_59
.LBB853_40:
	s_or_b64 exec, exec, s[24:25]
	s_and_saveexec_b64 s[22:23], s[20:21]
	s_cbranch_execnz .LBB853_62
.LBB853_41:
	s_or_b64 exec, exec, s[22:23]
	s_and_saveexec_b64 s[20:21], s[18:19]
	s_cbranch_execnz .LBB853_65
.LBB853_42:
	s_or_b64 exec, exec, s[20:21]
	s_and_saveexec_b64 s[18:19], s[16:17]
	s_cbranch_execnz .LBB853_68
.LBB853_43:
	s_or_b64 exec, exec, s[18:19]
	s_and_saveexec_b64 s[16:17], s[14:15]
	s_cbranch_execnz .LBB853_71
.LBB853_44:
	s_or_b64 exec, exec, s[16:17]
	s_and_saveexec_b64 s[14:15], s[12:13]
	s_cbranch_execnz .LBB853_74
.LBB853_45:
	s_or_b64 exec, exec, s[14:15]
	s_and_saveexec_b64 s[12:13], s[10:11]
	s_cbranch_execnz .LBB853_77
.LBB853_46:
	s_or_b64 exec, exec, s[12:13]
	s_and_saveexec_b64 s[10:11], s[8:9]
	s_cbranch_execnz .LBB853_80
.LBB853_47:
	s_or_b64 exec, exec, s[10:11]
	s_and_saveexec_b64 s[8:9], s[6:7]
	s_cbranch_execnz .LBB853_83
.LBB853_48:
	s_or_b64 exec, exec, s[8:9]
	s_and_saveexec_b64 s[6:7], s[30:31]
	s_cbranch_execnz .LBB853_86
.LBB853_49:
	s_or_b64 exec, exec, s[6:7]
	s_and_saveexec_b64 s[4:5], s[2:3]
	s_cbranch_execnz .LBB853_89
.LBB853_50:
	s_or_b64 exec, exec, s[4:5]
	s_and_saveexec_b64 s[2:3], s[0:1]
	s_cbranch_execnz .LBB853_92
.LBB853_51:
	s_or_b64 exec, exec, s[2:3]
	s_and_b64 exec, exec, vcc
	s_cbranch_execnz .LBB853_95
.LBB853_52:
	s_endpgm
.LBB853_53:
	v_mov_b32_e32 v3, 0
	s_and_saveexec_b64 s[26:27], s[4:5]
; %bb.54:
	v_fma_f32 v3, -v2, v33, v37
	v_bfe_u32 v4, v3, 16, 1
	s_movk_i32 s4, 0x7fff
	v_add3_u32 v4, v3, v4, s4
	v_lshrrev_b32_e32 v4, 16, v4
	v_mov_b32_e32 v5, 0x7fc0
	v_cmp_o_f32_e64 s[4:5], v3, v3
	v_cndmask_b32_e64 v3, v5, v4, s[4:5]
; %bb.55:
	s_or_b64 exec, exec, s[26:27]
	global_store_short v[0:1], v3, off offset:64
	s_or_b64 exec, exec, s[48:49]
	s_and_saveexec_b64 s[26:27], s[24:25]
	s_cbranch_execz .LBB853_39
.LBB853_56:
	v_mov_b32_e32 v3, 0
	s_and_saveexec_b64 s[24:25], s[72:73]
; %bb.57:
	v_fma_f32 v3, -v2, v35, v36
	v_bfe_u32 v4, v3, 16, 1
	s_movk_i32 s4, 0x7fff
	v_add3_u32 v4, v3, v4, s4
	v_lshrrev_b32_e32 v4, 16, v4
	v_mov_b32_e32 v5, 0x7fc0
	v_cmp_o_f32_e64 s[4:5], v3, v3
	v_cndmask_b32_e64 v3, v5, v4, s[4:5]
; %bb.58:
	s_or_b64 exec, exec, s[24:25]
	global_store_short v[0:1], v3, off offset:128
	s_or_b64 exec, exec, s[26:27]
	s_and_saveexec_b64 s[24:25], s[22:23]
	s_cbranch_execz .LBB853_40
.LBB853_59:
	v_mov_b32_e32 v3, 0
	s_and_saveexec_b64 s[22:23], s[70:71]
; %bb.60:
	v_fma_f32 v3, -v2, v29, v34
	v_bfe_u32 v4, v3, 16, 1
	s_movk_i32 s4, 0x7fff
	v_add3_u32 v4, v3, v4, s4
	v_lshrrev_b32_e32 v4, 16, v4
	v_mov_b32_e32 v5, 0x7fc0
	v_cmp_o_f32_e64 s[4:5], v3, v3
	v_cndmask_b32_e64 v3, v5, v4, s[4:5]
; %bb.61:
	s_or_b64 exec, exec, s[22:23]
	global_store_short v[0:1], v3, off offset:192
	s_or_b64 exec, exec, s[24:25]
	s_and_saveexec_b64 s[22:23], s[20:21]
	s_cbranch_execz .LBB853_41
.LBB853_62:
	v_mov_b32_e32 v3, 0
	s_and_saveexec_b64 s[20:21], s[68:69]
; %bb.63:
	v_fma_f32 v3, -v2, v31, v32
	v_bfe_u32 v4, v3, 16, 1
	s_movk_i32 s4, 0x7fff
	v_add3_u32 v4, v3, v4, s4
	v_lshrrev_b32_e32 v4, 16, v4
	v_mov_b32_e32 v5, 0x7fc0
	v_cmp_o_f32_e64 s[4:5], v3, v3
	v_cndmask_b32_e64 v3, v5, v4, s[4:5]
; %bb.64:
	s_or_b64 exec, exec, s[20:21]
	global_store_short v[0:1], v3, off offset:256
	s_or_b64 exec, exec, s[22:23]
	s_and_saveexec_b64 s[20:21], s[18:19]
	s_cbranch_execz .LBB853_42
.LBB853_65:
	v_mov_b32_e32 v3, 0
	s_and_saveexec_b64 s[18:19], s[66:67]
; %bb.66:
	v_fma_f32 v3, -v2, v25, v30
	v_bfe_u32 v4, v3, 16, 1
	s_movk_i32 s4, 0x7fff
	v_add3_u32 v4, v3, v4, s4
	v_lshrrev_b32_e32 v4, 16, v4
	v_mov_b32_e32 v5, 0x7fc0
	v_cmp_o_f32_e64 s[4:5], v3, v3
	v_cndmask_b32_e64 v3, v5, v4, s[4:5]
; %bb.67:
	s_or_b64 exec, exec, s[18:19]
	global_store_short v[0:1], v3, off offset:320
	s_or_b64 exec, exec, s[20:21]
	s_and_saveexec_b64 s[18:19], s[16:17]
	s_cbranch_execz .LBB853_43
.LBB853_68:
	v_mov_b32_e32 v3, 0
	s_and_saveexec_b64 s[16:17], s[64:65]
; %bb.69:
	v_fma_f32 v3, -v2, v27, v28
	v_bfe_u32 v4, v3, 16, 1
	s_movk_i32 s4, 0x7fff
	v_add3_u32 v4, v3, v4, s4
	v_lshrrev_b32_e32 v4, 16, v4
	v_mov_b32_e32 v5, 0x7fc0
	v_cmp_o_f32_e64 s[4:5], v3, v3
	v_cndmask_b32_e64 v3, v5, v4, s[4:5]
; %bb.70:
	s_or_b64 exec, exec, s[16:17]
	global_store_short v[0:1], v3, off offset:384
	s_or_b64 exec, exec, s[18:19]
	s_and_saveexec_b64 s[16:17], s[14:15]
	s_cbranch_execz .LBB853_44
.LBB853_71:
	v_mov_b32_e32 v3, 0
	s_and_saveexec_b64 s[14:15], s[56:57]
; %bb.72:
	v_fma_f32 v3, -v2, v21, v26
	v_bfe_u32 v4, v3, 16, 1
	s_movk_i32 s4, 0x7fff
	v_add3_u32 v4, v3, v4, s4
	v_lshrrev_b32_e32 v4, 16, v4
	v_mov_b32_e32 v5, 0x7fc0
	v_cmp_o_f32_e64 s[4:5], v3, v3
	v_cndmask_b32_e64 v3, v5, v4, s[4:5]
; %bb.73:
	s_or_b64 exec, exec, s[14:15]
	global_store_short v[0:1], v3, off offset:448
	s_or_b64 exec, exec, s[16:17]
	s_and_saveexec_b64 s[14:15], s[12:13]
	s_cbranch_execz .LBB853_45
.LBB853_74:
	v_mov_b32_e32 v3, 0
	s_and_saveexec_b64 s[12:13], s[46:47]
; %bb.75:
	v_fma_f32 v3, -v2, v23, v24
	v_bfe_u32 v4, v3, 16, 1
	s_movk_i32 s4, 0x7fff
	v_add3_u32 v4, v3, v4, s4
	v_lshrrev_b32_e32 v4, 16, v4
	v_mov_b32_e32 v5, 0x7fc0
	v_cmp_o_f32_e64 s[4:5], v3, v3
	v_cndmask_b32_e64 v3, v5, v4, s[4:5]
; %bb.76:
	s_or_b64 exec, exec, s[12:13]
	global_store_short v[0:1], v3, off offset:512
	s_or_b64 exec, exec, s[14:15]
	s_and_saveexec_b64 s[12:13], s[10:11]
	s_cbranch_execz .LBB853_46
.LBB853_77:
	v_mov_b32_e32 v3, 0
	s_and_saveexec_b64 s[10:11], s[44:45]
; %bb.78:
	v_fma_f32 v3, -v2, v17, v22
	v_bfe_u32 v4, v3, 16, 1
	s_movk_i32 s4, 0x7fff
	v_add3_u32 v4, v3, v4, s4
	v_lshrrev_b32_e32 v4, 16, v4
	v_mov_b32_e32 v5, 0x7fc0
	v_cmp_o_f32_e64 s[4:5], v3, v3
	v_cndmask_b32_e64 v3, v5, v4, s[4:5]
; %bb.79:
	s_or_b64 exec, exec, s[10:11]
	global_store_short v[0:1], v3, off offset:576
	s_or_b64 exec, exec, s[12:13]
	s_and_saveexec_b64 s[10:11], s[8:9]
	s_cbranch_execz .LBB853_47
.LBB853_80:
	v_mov_b32_e32 v3, 0
	s_and_saveexec_b64 s[8:9], s[42:43]
; %bb.81:
	v_fma_f32 v3, -v2, v19, v20
	v_bfe_u32 v4, v3, 16, 1
	s_movk_i32 s4, 0x7fff
	v_add3_u32 v4, v3, v4, s4
	v_lshrrev_b32_e32 v4, 16, v4
	v_mov_b32_e32 v5, 0x7fc0
	v_cmp_o_f32_e64 s[4:5], v3, v3
	v_cndmask_b32_e64 v3, v5, v4, s[4:5]
; %bb.82:
	s_or_b64 exec, exec, s[8:9]
	global_store_short v[0:1], v3, off offset:640
	s_or_b64 exec, exec, s[10:11]
	s_and_saveexec_b64 s[8:9], s[6:7]
	s_cbranch_execz .LBB853_48
.LBB853_83:
	v_mov_b32_e32 v3, 0
	s_and_saveexec_b64 s[6:7], s[40:41]
; %bb.84:
	v_fma_f32 v3, -v2, v13, v18
	v_bfe_u32 v4, v3, 16, 1
	s_movk_i32 s4, 0x7fff
	v_add3_u32 v4, v3, v4, s4
	v_lshrrev_b32_e32 v4, 16, v4
	v_mov_b32_e32 v5, 0x7fc0
	v_cmp_o_f32_e64 s[4:5], v3, v3
	v_cndmask_b32_e64 v3, v5, v4, s[4:5]
; %bb.85:
	s_or_b64 exec, exec, s[6:7]
	global_store_short v[0:1], v3, off offset:704
	s_or_b64 exec, exec, s[8:9]
	s_and_saveexec_b64 s[6:7], s[30:31]
	s_cbranch_execz .LBB853_49
.LBB853_86:
	v_mov_b32_e32 v3, 0
	s_and_saveexec_b64 s[8:9], s[38:39]
; %bb.87:
	v_fma_f32 v3, -v2, v15, v16
	v_bfe_u32 v4, v3, 16, 1
	s_movk_i32 s4, 0x7fff
	v_add3_u32 v4, v3, v4, s4
	v_lshrrev_b32_e32 v4, 16, v4
	v_mov_b32_e32 v5, 0x7fc0
	v_cmp_o_f32_e64 s[4:5], v3, v3
	v_cndmask_b32_e64 v3, v5, v4, s[4:5]
; %bb.88:
	s_or_b64 exec, exec, s[8:9]
	global_store_short v[0:1], v3, off offset:768
	s_or_b64 exec, exec, s[6:7]
	s_and_saveexec_b64 s[4:5], s[2:3]
	s_cbranch_execz .LBB853_50
.LBB853_89:
	v_mov_b32_e32 v3, 0
	s_and_saveexec_b64 s[6:7], s[36:37]
; %bb.90:
	v_fma_f32 v3, -v2, v10, v14
	v_bfe_u32 v4, v3, 16, 1
	s_movk_i32 s2, 0x7fff
	v_add3_u32 v4, v3, v4, s2
	v_lshrrev_b32_e32 v4, 16, v4
	v_mov_b32_e32 v5, 0x7fc0
	v_cmp_o_f32_e64 s[2:3], v3, v3
	v_cndmask_b32_e64 v3, v5, v4, s[2:3]
; %bb.91:
	s_or_b64 exec, exec, s[6:7]
	global_store_short v[0:1], v3, off offset:832
	s_or_b64 exec, exec, s[4:5]
	s_and_saveexec_b64 s[2:3], s[0:1]
	s_cbranch_execz .LBB853_51
.LBB853_92:
	v_mov_b32_e32 v3, 0
	s_and_saveexec_b64 s[4:5], s[34:35]
; %bb.93:
	v_fma_f32 v3, -v2, v11, v12
	v_bfe_u32 v4, v3, 16, 1
	s_movk_i32 s0, 0x7fff
	v_add3_u32 v4, v3, v4, s0
	v_lshrrev_b32_e32 v4, 16, v4
	v_mov_b32_e32 v5, 0x7fc0
	v_cmp_o_f32_e64 s[0:1], v3, v3
	v_cndmask_b32_e64 v3, v5, v4, s[0:1]
; %bb.94:
	s_or_b64 exec, exec, s[4:5]
	global_store_short v[0:1], v3, off offset:896
	s_or_b64 exec, exec, s[2:3]
	s_and_b64 exec, exec, vcc
	s_cbranch_execz .LBB853_52
.LBB853_95:
	v_mov_b32_e32 v3, 0
	s_and_saveexec_b64 s[0:1], s[28:29]
; %bb.96:
	v_fma_f32 v2, -v2, v9, v8
	v_bfe_u32 v3, v2, 16, 1
	s_movk_i32 s2, 0x7fff
	v_add3_u32 v3, v2, v3, s2
	v_lshrrev_b32_e32 v3, 16, v3
	v_mov_b32_e32 v4, 0x7fc0
	v_cmp_o_f32_e32 vcc, v2, v2
	v_cndmask_b32_e32 v3, v4, v3, vcc
; %bb.97:
	s_or_b64 exec, exec, s[0:1]
	global_store_short v[0:1], v3, off offset:960
	s_endpgm
	.section	.rodata,"a",@progbits
	.p2align	6, 0x0
	.amdhsa_kernel _ZN12_GLOBAL__N_121softmax_warp_backwardIN3c108BFloat16ES2_fLi9ELb0ELb1ELi32EEEvPT0_PKT_S7_iiiPKb
		.amdhsa_group_segment_fixed_size 0
		.amdhsa_private_segment_fixed_size 0
		.amdhsa_kernarg_size 304
		.amdhsa_user_sgpr_count 6
		.amdhsa_user_sgpr_private_segment_buffer 1
		.amdhsa_user_sgpr_dispatch_ptr 0
		.amdhsa_user_sgpr_queue_ptr 0
		.amdhsa_user_sgpr_kernarg_segment_ptr 1
		.amdhsa_user_sgpr_dispatch_id 0
		.amdhsa_user_sgpr_flat_scratch_init 0
		.amdhsa_user_sgpr_kernarg_preload_length 0
		.amdhsa_user_sgpr_kernarg_preload_offset 0
		.amdhsa_user_sgpr_private_segment_size 0
		.amdhsa_uses_dynamic_stack 0
		.amdhsa_system_sgpr_private_segment_wavefront_offset 0
		.amdhsa_system_sgpr_workgroup_id_x 1
		.amdhsa_system_sgpr_workgroup_id_y 0
		.amdhsa_system_sgpr_workgroup_id_z 0
		.amdhsa_system_sgpr_workgroup_info 0
		.amdhsa_system_vgpr_workitem_id 1
		.amdhsa_next_free_vgpr 55
		.amdhsa_next_free_sgpr 74
		.amdhsa_accum_offset 56
		.amdhsa_reserve_vcc 1
		.amdhsa_reserve_flat_scratch 0
		.amdhsa_float_round_mode_32 0
		.amdhsa_float_round_mode_16_64 0
		.amdhsa_float_denorm_mode_32 3
		.amdhsa_float_denorm_mode_16_64 3
		.amdhsa_dx10_clamp 1
		.amdhsa_ieee_mode 1
		.amdhsa_fp16_overflow 0
		.amdhsa_tg_split 0
		.amdhsa_exception_fp_ieee_invalid_op 0
		.amdhsa_exception_fp_denorm_src 0
		.amdhsa_exception_fp_ieee_div_zero 0
		.amdhsa_exception_fp_ieee_overflow 0
		.amdhsa_exception_fp_ieee_underflow 0
		.amdhsa_exception_fp_ieee_inexact 0
		.amdhsa_exception_int_div_zero 0
	.end_amdhsa_kernel
	.section	.text._ZN12_GLOBAL__N_121softmax_warp_backwardIN3c108BFloat16ES2_fLi9ELb0ELb1ELi32EEEvPT0_PKT_S7_iiiPKb,"axG",@progbits,_ZN12_GLOBAL__N_121softmax_warp_backwardIN3c108BFloat16ES2_fLi9ELb0ELb1ELi32EEEvPT0_PKT_S7_iiiPKb,comdat
.Lfunc_end853:
	.size	_ZN12_GLOBAL__N_121softmax_warp_backwardIN3c108BFloat16ES2_fLi9ELb0ELb1ELi32EEEvPT0_PKT_S7_iiiPKb, .Lfunc_end853-_ZN12_GLOBAL__N_121softmax_warp_backwardIN3c108BFloat16ES2_fLi9ELb0ELb1ELi32EEEvPT0_PKT_S7_iiiPKb
                                        ; -- End function
	.section	.AMDGPU.csdata,"",@progbits
; Kernel info:
; codeLenInByte = 3760
; NumSgprs: 78
; NumVgprs: 55
; NumAgprs: 0
; TotalNumVgprs: 55
; ScratchSize: 0
; MemoryBound: 0
; FloatMode: 240
; IeeeMode: 1
; LDSByteSize: 0 bytes/workgroup (compile time only)
; SGPRBlocks: 9
; VGPRBlocks: 6
; NumSGPRsForWavesPerEU: 78
; NumVGPRsForWavesPerEU: 55
; AccumOffset: 56
; Occupancy: 8
; WaveLimiterHint : 0
; COMPUTE_PGM_RSRC2:SCRATCH_EN: 0
; COMPUTE_PGM_RSRC2:USER_SGPR: 6
; COMPUTE_PGM_RSRC2:TRAP_HANDLER: 0
; COMPUTE_PGM_RSRC2:TGID_X_EN: 1
; COMPUTE_PGM_RSRC2:TGID_Y_EN: 0
; COMPUTE_PGM_RSRC2:TGID_Z_EN: 0
; COMPUTE_PGM_RSRC2:TIDIG_COMP_CNT: 1
; COMPUTE_PGM_RSRC3_GFX90A:ACCUM_OFFSET: 13
; COMPUTE_PGM_RSRC3_GFX90A:TG_SPLIT: 0
	.section	.text._ZN12_GLOBAL__N_121softmax_warp_backwardIN3c108BFloat16ES2_fLi10ELb0ELb1ELi64EEEvPT0_PKT_S7_iiiPKb,"axG",@progbits,_ZN12_GLOBAL__N_121softmax_warp_backwardIN3c108BFloat16ES2_fLi10ELb0ELb1ELi64EEEvPT0_PKT_S7_iiiPKb,comdat
	.globl	_ZN12_GLOBAL__N_121softmax_warp_backwardIN3c108BFloat16ES2_fLi10ELb0ELb1ELi64EEEvPT0_PKT_S7_iiiPKb ; -- Begin function _ZN12_GLOBAL__N_121softmax_warp_backwardIN3c108BFloat16ES2_fLi10ELb0ELb1ELi64EEEvPT0_PKT_S7_iiiPKb
	.p2align	8
	.type	_ZN12_GLOBAL__N_121softmax_warp_backwardIN3c108BFloat16ES2_fLi10ELb0ELb1ELi64EEEvPT0_PKT_S7_iiiPKb,@function
_ZN12_GLOBAL__N_121softmax_warp_backwardIN3c108BFloat16ES2_fLi10ELb0ELb1ELi64EEEvPT0_PKT_S7_iiiPKb: ; @_ZN12_GLOBAL__N_121softmax_warp_backwardIN3c108BFloat16ES2_fLi10ELb0ELb1ELi64EEEvPT0_PKT_S7_iiiPKb
; %bb.0:
	s_load_dword s2, s[4:5], 0x3c
	s_load_dwordx4 s[36:39], s[4:5], 0x18
	s_load_dwordx4 s[68:71], s[4:5], 0x0
	s_load_dwordx2 s[0:1], s[4:5], 0x10
	v_bfe_u32 v1, v0, 10, 10
	s_waitcnt lgkmcnt(0)
	s_lshr_b32 s2, s2, 16
	s_mul_i32 s6, s6, s2
	v_and_b32_e32 v10, 0x3ff, v0
	v_add_u32_e32 v1, s6, v1
	v_and_b32_e32 v8, 63, v10
	v_mad_u64_u32 v[2:3], s[2:3], v1, s37, v[8:9]
	v_ashrrev_i32_e32 v3, 31, v2
	v_sub_u32_e32 v38, s36, v1
	v_lshlrev_b64 v[0:1], 1, v[2:3]
	v_mov_b32_e32 v5, s71
	v_add_co_u32_e32 v4, vcc, s70, v0
	v_addc_co_u32_e32 v5, vcc, v5, v1, vcc
	v_mov_b32_e32 v7, s1
	v_add_co_u32_e32 v6, vcc, s0, v0
	v_cmp_lt_i32_e64 s[34:35], 0, v38
	v_cmp_gt_i32_e64 s[28:29], s38, v8
	v_addc_co_u32_e32 v7, vcc, v7, v1, vcc
	s_and_b64 s[2:3], s[34:35], s[28:29]
	v_mov_b32_e32 v33, 0
	v_mov_b32_e32 v39, 0
	;; [unrolled: 1-line block ×3, first 2 shown]
	s_and_saveexec_b64 s[0:1], s[2:3]
	s_cbranch_execz .LBB854_2
; %bb.1:
	global_load_ushort v9, v[6:7], off
	global_load_ushort v11, v[4:5], off
	s_waitcnt vmcnt(1)
	v_lshlrev_b32_e32 v39, 16, v9
	s_waitcnt vmcnt(0)
	v_lshlrev_b32_e32 v40, 16, v11
.LBB854_2:
	s_or_b64 exec, exec, s[0:1]
	v_or_b32_e32 v9, 64, v8
	v_cmp_gt_i32_e64 s[26:27], s38, v9
	s_and_b64 s[2:3], s[34:35], s[26:27]
	v_mov_b32_e32 v37, 0
	s_and_saveexec_b64 s[0:1], s[2:3]
	s_cbranch_execz .LBB854_4
; %bb.3:
	global_load_ushort v9, v[6:7], off offset:128
	global_load_ushort v11, v[4:5], off offset:128
	s_waitcnt vmcnt(1)
	v_lshlrev_b32_e32 v33, 16, v9
	s_waitcnt vmcnt(0)
	v_lshlrev_b32_e32 v37, 16, v11
.LBB854_4:
	s_or_b64 exec, exec, s[0:1]
	v_or_b32_e32 v9, 0x80, v8
	v_cmp_gt_i32_e64 s[24:25], s38, v9
	s_and_b64 s[2:3], s[34:35], s[24:25]
	v_mov_b32_e32 v29, 0
	v_mov_b32_e32 v35, 0
	v_mov_b32_e32 v36, 0
	s_and_saveexec_b64 s[0:1], s[2:3]
	s_cbranch_execz .LBB854_6
; %bb.5:
	global_load_ushort v9, v[6:7], off offset:256
	global_load_ushort v11, v[4:5], off offset:256
	s_waitcnt vmcnt(1)
	v_lshlrev_b32_e32 v35, 16, v9
	s_waitcnt vmcnt(0)
	v_lshlrev_b32_e32 v36, 16, v11
.LBB854_6:
	s_or_b64 exec, exec, s[0:1]
	v_or_b32_e32 v9, 0xc0, v8
	v_cmp_gt_i32_e64 s[22:23], s38, v9
	s_and_b64 s[2:3], s[34:35], s[22:23]
	v_mov_b32_e32 v34, 0
	s_and_saveexec_b64 s[0:1], s[2:3]
	s_cbranch_execz .LBB854_8
; %bb.7:
	global_load_ushort v9, v[6:7], off offset:384
	global_load_ushort v11, v[4:5], off offset:384
	s_waitcnt vmcnt(1)
	v_lshlrev_b32_e32 v29, 16, v9
	s_waitcnt vmcnt(0)
	v_lshlrev_b32_e32 v34, 16, v11
.LBB854_8:
	s_or_b64 exec, exec, s[0:1]
	v_or_b32_e32 v9, 0x100, v8
	v_cmp_gt_i32_e64 s[20:21], s38, v9
	s_and_b64 s[2:3], s[34:35], s[20:21]
	v_mov_b32_e32 v25, 0
	v_mov_b32_e32 v31, 0
	v_mov_b32_e32 v32, 0
	s_and_saveexec_b64 s[0:1], s[2:3]
	s_cbranch_execz .LBB854_10
; %bb.9:
	global_load_ushort v9, v[6:7], off offset:512
	global_load_ushort v11, v[4:5], off offset:512
	s_waitcnt vmcnt(1)
	v_lshlrev_b32_e32 v31, 16, v9
	s_waitcnt vmcnt(0)
	v_lshlrev_b32_e32 v32, 16, v11
.LBB854_10:
	;; [unrolled: 32-line block ×7, first 2 shown]
	s_or_b64 exec, exec, s[36:37]
	v_or_b32_e32 v10, 0x3c0, v10
	v_cmp_gt_i32_e32 vcc, s38, v10
	s_and_b64 s[36:37], s[34:35], vcc
	v_mov_b32_e32 v10, 0
	s_and_saveexec_b64 s[34:35], s[36:37]
	s_cbranch_execz .LBB854_32
; %bb.31:
	global_load_ushort v8, v[6:7], off offset:1920
	global_load_ushort v10, v[4:5], off offset:1920
	s_waitcnt vmcnt(1)
	v_lshlrev_b32_e32 v8, 16, v8
	s_waitcnt vmcnt(0)
	v_lshlrev_b32_e32 v10, 16, v10
.LBB854_32:
	s_or_b64 exec, exec, s[34:35]
	s_load_dwordx2 s[4:5], s[4:5], 0x28
	v_mbcnt_lo_u32_b32 v52, -1, 0
	v_mbcnt_hi_u32_b32 v52, -1, v52
	v_and_b32_e32 v53, 64, v52
	v_xor_b32_e32 v54, 32, v52
	s_waitcnt lgkmcnt(0)
	v_mov_b32_e32 v4, s5
	v_add_co_u32_e64 v2, s[4:5], s4, v2
	v_addc_co_u32_e64 v3, s[4:5], v4, v3, s[4:5]
	global_load_ubyte v4, v[2:3], off
	global_load_ubyte v5, v[2:3], off offset:64
	global_load_ubyte v6, v[2:3], off offset:128
	;; [unrolled: 1-line block ×14, first 2 shown]
	s_nop 0
	global_load_ubyte v2, v[2:3], off offset:960
	v_add_f32_e32 v3, 0, v40
	v_add_u32_e32 v53, 64, v53
	v_cmp_lt_i32_e64 s[4:5], v54, v53
	v_cndmask_b32_e64 v54, v52, v54, s[4:5]
	v_lshlrev_b32_e32 v54, 2, v54
	s_waitcnt vmcnt(15)
	v_and_b32_e32 v4, 1, v4
	v_cmp_eq_u32_e64 s[56:57], 1, v4
	s_waitcnt vmcnt(14)
	v_and_b32_e32 v5, 1, v5
	v_cndmask_b32_e64 v3, v3, 0, s[56:57]
	v_add_f32_e32 v4, v3, v37
	v_cmp_eq_u32_e64 s[4:5], 1, v5
	s_waitcnt vmcnt(13)
	v_and_b32_e32 v6, 1, v6
	v_cndmask_b32_e64 v3, v4, v3, s[4:5]
	v_add_f32_e32 v4, v3, v36
	;; [unrolled: 5-line block ×15, first 2 shown]
	v_cmp_eq_u32_e64 s[62:63], 1, v2
	v_cndmask_b32_e64 v2, v4, v3, s[62:63]
	ds_bpermute_b32 v3, v54, v2
	v_xor_b32_e32 v4, 16, v52
	v_cmp_lt_i32_e64 s[64:65], v4, v53
	v_cndmask_b32_e64 v4, v52, v4, s[64:65]
	v_lshlrev_b32_e32 v4, 2, v4
	s_waitcnt lgkmcnt(0)
	v_add_f32_e32 v2, v2, v3
	ds_bpermute_b32 v3, v4, v2
	v_xor_b32_e32 v4, 8, v52
	v_cmp_lt_i32_e64 s[64:65], v4, v53
	v_cndmask_b32_e64 v4, v52, v4, s[64:65]
	v_lshlrev_b32_e32 v4, 2, v4
	s_waitcnt lgkmcnt(0)
	v_add_f32_e32 v2, v2, v3
	;; [unrolled: 7-line block ×4, first 2 shown]
	ds_bpermute_b32 v3, v4, v2
	v_xor_b32_e32 v4, 1, v52
	v_cmp_lt_i32_e64 s[64:65], v4, v53
	v_cndmask_b32_e64 v4, v52, v4, s[64:65]
	v_cmp_lt_i32_e64 s[64:65], 0, v38
	s_waitcnt lgkmcnt(0)
	v_add_f32_e32 v2, v2, v3
	v_lshlrev_b32_e32 v3, 2, v4
	ds_bpermute_b32 v3, v3, v2
	s_and_saveexec_b64 s[66:67], s[64:65]
	s_cbranch_execz .LBB854_52
; %bb.33:
	s_waitcnt lgkmcnt(0)
	v_add_f32_e32 v2, v2, v3
	v_mov_b32_e32 v3, s69
	v_add_co_u32_e64 v0, s[64:65], s68, v0
	v_addc_co_u32_e64 v1, s[64:65], v3, v1, s[64:65]
	s_and_saveexec_b64 s[64:65], s[28:29]
	s_cbranch_execz .LBB854_37
; %bb.34:
	s_xor_b64 s[28:29], s[56:57], -1
	v_mov_b32_e32 v3, 0
	s_and_saveexec_b64 s[56:57], s[28:29]
; %bb.35:
	v_fma_f32 v3, -v2, v39, v40
	v_bfe_u32 v4, v3, 16, 1
	s_movk_i32 s28, 0x7fff
	v_add3_u32 v4, v3, v4, s28
	v_lshrrev_b32_e32 v4, 16, v4
	v_mov_b32_e32 v5, 0x7fc0
	v_cmp_o_f32_e64 s[28:29], v3, v3
	v_cndmask_b32_e64 v3, v5, v4, s[28:29]
; %bb.36:
	s_or_b64 exec, exec, s[56:57]
	global_store_short v[0:1], v3, off
.LBB854_37:
	s_or_b64 exec, exec, s[64:65]
	s_xor_b64 s[4:5], s[4:5], -1
	s_xor_b64 s[72:73], s[34:35], -1
	;; [unrolled: 1-line block ×15, first 2 shown]
	s_and_saveexec_b64 s[48:49], s[26:27]
	s_cbranch_execnz .LBB854_53
; %bb.38:
	s_or_b64 exec, exec, s[48:49]
	s_and_saveexec_b64 s[26:27], s[24:25]
	s_cbranch_execnz .LBB854_56
.LBB854_39:
	s_or_b64 exec, exec, s[26:27]
	s_and_saveexec_b64 s[24:25], s[22:23]
	s_cbranch_execnz .LBB854_59
.LBB854_40:
	s_or_b64 exec, exec, s[24:25]
	s_and_saveexec_b64 s[22:23], s[20:21]
	s_cbranch_execnz .LBB854_62
.LBB854_41:
	s_or_b64 exec, exec, s[22:23]
	s_and_saveexec_b64 s[20:21], s[18:19]
	s_cbranch_execnz .LBB854_65
.LBB854_42:
	s_or_b64 exec, exec, s[20:21]
	s_and_saveexec_b64 s[18:19], s[16:17]
	s_cbranch_execnz .LBB854_68
.LBB854_43:
	s_or_b64 exec, exec, s[18:19]
	s_and_saveexec_b64 s[16:17], s[14:15]
	s_cbranch_execnz .LBB854_71
.LBB854_44:
	s_or_b64 exec, exec, s[16:17]
	s_and_saveexec_b64 s[14:15], s[12:13]
	s_cbranch_execnz .LBB854_74
.LBB854_45:
	s_or_b64 exec, exec, s[14:15]
	s_and_saveexec_b64 s[12:13], s[10:11]
	s_cbranch_execnz .LBB854_77
.LBB854_46:
	s_or_b64 exec, exec, s[12:13]
	s_and_saveexec_b64 s[10:11], s[8:9]
	s_cbranch_execnz .LBB854_80
.LBB854_47:
	s_or_b64 exec, exec, s[10:11]
	s_and_saveexec_b64 s[8:9], s[6:7]
	s_cbranch_execnz .LBB854_83
.LBB854_48:
	s_or_b64 exec, exec, s[8:9]
	s_and_saveexec_b64 s[6:7], s[30:31]
	s_cbranch_execnz .LBB854_86
.LBB854_49:
	s_or_b64 exec, exec, s[6:7]
	s_and_saveexec_b64 s[4:5], s[2:3]
	s_cbranch_execnz .LBB854_89
.LBB854_50:
	s_or_b64 exec, exec, s[4:5]
	s_and_saveexec_b64 s[2:3], s[0:1]
	s_cbranch_execnz .LBB854_92
.LBB854_51:
	s_or_b64 exec, exec, s[2:3]
	s_and_b64 exec, exec, vcc
	s_cbranch_execnz .LBB854_95
.LBB854_52:
	s_endpgm
.LBB854_53:
	v_mov_b32_e32 v3, 0
	s_and_saveexec_b64 s[26:27], s[4:5]
; %bb.54:
	v_fma_f32 v3, -v2, v33, v37
	v_bfe_u32 v4, v3, 16, 1
	s_movk_i32 s4, 0x7fff
	v_add3_u32 v4, v3, v4, s4
	v_lshrrev_b32_e32 v4, 16, v4
	v_mov_b32_e32 v5, 0x7fc0
	v_cmp_o_f32_e64 s[4:5], v3, v3
	v_cndmask_b32_e64 v3, v5, v4, s[4:5]
; %bb.55:
	s_or_b64 exec, exec, s[26:27]
	global_store_short v[0:1], v3, off offset:128
	s_or_b64 exec, exec, s[48:49]
	s_and_saveexec_b64 s[26:27], s[24:25]
	s_cbranch_execz .LBB854_39
.LBB854_56:
	v_mov_b32_e32 v3, 0
	s_and_saveexec_b64 s[24:25], s[72:73]
; %bb.57:
	v_fma_f32 v3, -v2, v35, v36
	v_bfe_u32 v4, v3, 16, 1
	s_movk_i32 s4, 0x7fff
	v_add3_u32 v4, v3, v4, s4
	v_lshrrev_b32_e32 v4, 16, v4
	v_mov_b32_e32 v5, 0x7fc0
	v_cmp_o_f32_e64 s[4:5], v3, v3
	v_cndmask_b32_e64 v3, v5, v4, s[4:5]
; %bb.58:
	s_or_b64 exec, exec, s[24:25]
	global_store_short v[0:1], v3, off offset:256
	s_or_b64 exec, exec, s[26:27]
	s_and_saveexec_b64 s[24:25], s[22:23]
	s_cbranch_execz .LBB854_40
.LBB854_59:
	v_mov_b32_e32 v3, 0
	s_and_saveexec_b64 s[22:23], s[70:71]
; %bb.60:
	v_fma_f32 v3, -v2, v29, v34
	v_bfe_u32 v4, v3, 16, 1
	s_movk_i32 s4, 0x7fff
	v_add3_u32 v4, v3, v4, s4
	v_lshrrev_b32_e32 v4, 16, v4
	v_mov_b32_e32 v5, 0x7fc0
	v_cmp_o_f32_e64 s[4:5], v3, v3
	v_cndmask_b32_e64 v3, v5, v4, s[4:5]
; %bb.61:
	s_or_b64 exec, exec, s[22:23]
	global_store_short v[0:1], v3, off offset:384
	s_or_b64 exec, exec, s[24:25]
	s_and_saveexec_b64 s[22:23], s[20:21]
	s_cbranch_execz .LBB854_41
.LBB854_62:
	v_mov_b32_e32 v3, 0
	s_and_saveexec_b64 s[20:21], s[68:69]
; %bb.63:
	v_fma_f32 v3, -v2, v31, v32
	v_bfe_u32 v4, v3, 16, 1
	s_movk_i32 s4, 0x7fff
	v_add3_u32 v4, v3, v4, s4
	v_lshrrev_b32_e32 v4, 16, v4
	v_mov_b32_e32 v5, 0x7fc0
	v_cmp_o_f32_e64 s[4:5], v3, v3
	v_cndmask_b32_e64 v3, v5, v4, s[4:5]
; %bb.64:
	s_or_b64 exec, exec, s[20:21]
	global_store_short v[0:1], v3, off offset:512
	s_or_b64 exec, exec, s[22:23]
	s_and_saveexec_b64 s[20:21], s[18:19]
	s_cbranch_execz .LBB854_42
.LBB854_65:
	v_mov_b32_e32 v3, 0
	s_and_saveexec_b64 s[18:19], s[66:67]
; %bb.66:
	v_fma_f32 v3, -v2, v25, v30
	v_bfe_u32 v4, v3, 16, 1
	s_movk_i32 s4, 0x7fff
	v_add3_u32 v4, v3, v4, s4
	v_lshrrev_b32_e32 v4, 16, v4
	v_mov_b32_e32 v5, 0x7fc0
	v_cmp_o_f32_e64 s[4:5], v3, v3
	v_cndmask_b32_e64 v3, v5, v4, s[4:5]
; %bb.67:
	s_or_b64 exec, exec, s[18:19]
	global_store_short v[0:1], v3, off offset:640
	s_or_b64 exec, exec, s[20:21]
	s_and_saveexec_b64 s[18:19], s[16:17]
	s_cbranch_execz .LBB854_43
.LBB854_68:
	v_mov_b32_e32 v3, 0
	s_and_saveexec_b64 s[16:17], s[64:65]
; %bb.69:
	v_fma_f32 v3, -v2, v27, v28
	v_bfe_u32 v4, v3, 16, 1
	s_movk_i32 s4, 0x7fff
	v_add3_u32 v4, v3, v4, s4
	v_lshrrev_b32_e32 v4, 16, v4
	v_mov_b32_e32 v5, 0x7fc0
	v_cmp_o_f32_e64 s[4:5], v3, v3
	v_cndmask_b32_e64 v3, v5, v4, s[4:5]
; %bb.70:
	s_or_b64 exec, exec, s[16:17]
	global_store_short v[0:1], v3, off offset:768
	s_or_b64 exec, exec, s[18:19]
	s_and_saveexec_b64 s[16:17], s[14:15]
	s_cbranch_execz .LBB854_44
.LBB854_71:
	v_mov_b32_e32 v3, 0
	s_and_saveexec_b64 s[14:15], s[56:57]
; %bb.72:
	v_fma_f32 v3, -v2, v21, v26
	v_bfe_u32 v4, v3, 16, 1
	s_movk_i32 s4, 0x7fff
	v_add3_u32 v4, v3, v4, s4
	v_lshrrev_b32_e32 v4, 16, v4
	v_mov_b32_e32 v5, 0x7fc0
	v_cmp_o_f32_e64 s[4:5], v3, v3
	v_cndmask_b32_e64 v3, v5, v4, s[4:5]
; %bb.73:
	s_or_b64 exec, exec, s[14:15]
	global_store_short v[0:1], v3, off offset:896
	s_or_b64 exec, exec, s[16:17]
	s_and_saveexec_b64 s[14:15], s[12:13]
	s_cbranch_execz .LBB854_45
.LBB854_74:
	v_mov_b32_e32 v3, 0
	s_and_saveexec_b64 s[12:13], s[46:47]
; %bb.75:
	v_fma_f32 v3, -v2, v23, v24
	v_bfe_u32 v4, v3, 16, 1
	s_movk_i32 s4, 0x7fff
	v_add3_u32 v4, v3, v4, s4
	v_lshrrev_b32_e32 v4, 16, v4
	v_mov_b32_e32 v5, 0x7fc0
	v_cmp_o_f32_e64 s[4:5], v3, v3
	v_cndmask_b32_e64 v3, v5, v4, s[4:5]
; %bb.76:
	s_or_b64 exec, exec, s[12:13]
	global_store_short v[0:1], v3, off offset:1024
	s_or_b64 exec, exec, s[14:15]
	s_and_saveexec_b64 s[12:13], s[10:11]
	s_cbranch_execz .LBB854_46
.LBB854_77:
	v_mov_b32_e32 v3, 0
	s_and_saveexec_b64 s[10:11], s[44:45]
; %bb.78:
	v_fma_f32 v3, -v2, v17, v22
	v_bfe_u32 v4, v3, 16, 1
	s_movk_i32 s4, 0x7fff
	v_add3_u32 v4, v3, v4, s4
	v_lshrrev_b32_e32 v4, 16, v4
	v_mov_b32_e32 v5, 0x7fc0
	v_cmp_o_f32_e64 s[4:5], v3, v3
	v_cndmask_b32_e64 v3, v5, v4, s[4:5]
; %bb.79:
	s_or_b64 exec, exec, s[10:11]
	global_store_short v[0:1], v3, off offset:1152
	s_or_b64 exec, exec, s[12:13]
	s_and_saveexec_b64 s[10:11], s[8:9]
	s_cbranch_execz .LBB854_47
.LBB854_80:
	v_mov_b32_e32 v3, 0
	s_and_saveexec_b64 s[8:9], s[42:43]
; %bb.81:
	v_fma_f32 v3, -v2, v19, v20
	v_bfe_u32 v4, v3, 16, 1
	s_movk_i32 s4, 0x7fff
	v_add3_u32 v4, v3, v4, s4
	v_lshrrev_b32_e32 v4, 16, v4
	v_mov_b32_e32 v5, 0x7fc0
	v_cmp_o_f32_e64 s[4:5], v3, v3
	v_cndmask_b32_e64 v3, v5, v4, s[4:5]
; %bb.82:
	s_or_b64 exec, exec, s[8:9]
	global_store_short v[0:1], v3, off offset:1280
	s_or_b64 exec, exec, s[10:11]
	s_and_saveexec_b64 s[8:9], s[6:7]
	s_cbranch_execz .LBB854_48
.LBB854_83:
	v_mov_b32_e32 v3, 0
	s_and_saveexec_b64 s[6:7], s[40:41]
; %bb.84:
	v_fma_f32 v3, -v2, v13, v18
	v_bfe_u32 v4, v3, 16, 1
	s_movk_i32 s4, 0x7fff
	v_add3_u32 v4, v3, v4, s4
	v_lshrrev_b32_e32 v4, 16, v4
	v_mov_b32_e32 v5, 0x7fc0
	v_cmp_o_f32_e64 s[4:5], v3, v3
	v_cndmask_b32_e64 v3, v5, v4, s[4:5]
; %bb.85:
	s_or_b64 exec, exec, s[6:7]
	global_store_short v[0:1], v3, off offset:1408
	s_or_b64 exec, exec, s[8:9]
	s_and_saveexec_b64 s[6:7], s[30:31]
	s_cbranch_execz .LBB854_49
.LBB854_86:
	v_mov_b32_e32 v3, 0
	s_and_saveexec_b64 s[8:9], s[38:39]
; %bb.87:
	v_fma_f32 v3, -v2, v15, v16
	v_bfe_u32 v4, v3, 16, 1
	s_movk_i32 s4, 0x7fff
	v_add3_u32 v4, v3, v4, s4
	v_lshrrev_b32_e32 v4, 16, v4
	v_mov_b32_e32 v5, 0x7fc0
	v_cmp_o_f32_e64 s[4:5], v3, v3
	v_cndmask_b32_e64 v3, v5, v4, s[4:5]
; %bb.88:
	s_or_b64 exec, exec, s[8:9]
	global_store_short v[0:1], v3, off offset:1536
	s_or_b64 exec, exec, s[6:7]
	s_and_saveexec_b64 s[4:5], s[2:3]
	s_cbranch_execz .LBB854_50
.LBB854_89:
	v_mov_b32_e32 v3, 0
	s_and_saveexec_b64 s[6:7], s[36:37]
; %bb.90:
	v_fma_f32 v3, -v2, v9, v14
	v_bfe_u32 v4, v3, 16, 1
	s_movk_i32 s2, 0x7fff
	v_add3_u32 v4, v3, v4, s2
	v_lshrrev_b32_e32 v4, 16, v4
	v_mov_b32_e32 v5, 0x7fc0
	v_cmp_o_f32_e64 s[2:3], v3, v3
	v_cndmask_b32_e64 v3, v5, v4, s[2:3]
; %bb.91:
	s_or_b64 exec, exec, s[6:7]
	global_store_short v[0:1], v3, off offset:1664
	s_or_b64 exec, exec, s[4:5]
	s_and_saveexec_b64 s[2:3], s[0:1]
	s_cbranch_execz .LBB854_51
.LBB854_92:
	v_mov_b32_e32 v3, 0
	s_and_saveexec_b64 s[4:5], s[34:35]
; %bb.93:
	v_fma_f32 v3, -v2, v11, v12
	v_bfe_u32 v4, v3, 16, 1
	s_movk_i32 s0, 0x7fff
	v_add3_u32 v4, v3, v4, s0
	v_lshrrev_b32_e32 v4, 16, v4
	v_mov_b32_e32 v5, 0x7fc0
	v_cmp_o_f32_e64 s[0:1], v3, v3
	v_cndmask_b32_e64 v3, v5, v4, s[0:1]
; %bb.94:
	s_or_b64 exec, exec, s[4:5]
	global_store_short v[0:1], v3, off offset:1792
	s_or_b64 exec, exec, s[2:3]
	s_and_b64 exec, exec, vcc
	s_cbranch_execz .LBB854_52
.LBB854_95:
	v_mov_b32_e32 v3, 0
	s_and_saveexec_b64 s[0:1], s[28:29]
; %bb.96:
	v_fma_f32 v2, -v2, v8, v10
	v_bfe_u32 v3, v2, 16, 1
	s_movk_i32 s2, 0x7fff
	v_add3_u32 v3, v2, v3, s2
	v_lshrrev_b32_e32 v3, 16, v3
	v_mov_b32_e32 v4, 0x7fc0
	v_cmp_o_f32_e32 vcc, v2, v2
	v_cndmask_b32_e32 v3, v4, v3, vcc
; %bb.97:
	s_or_b64 exec, exec, s[0:1]
	global_store_short v[0:1], v3, off offset:1920
	s_endpgm
	.section	.rodata,"a",@progbits
	.p2align	6, 0x0
	.amdhsa_kernel _ZN12_GLOBAL__N_121softmax_warp_backwardIN3c108BFloat16ES2_fLi10ELb0ELb1ELi64EEEvPT0_PKT_S7_iiiPKb
		.amdhsa_group_segment_fixed_size 0
		.amdhsa_private_segment_fixed_size 0
		.amdhsa_kernarg_size 304
		.amdhsa_user_sgpr_count 6
		.amdhsa_user_sgpr_private_segment_buffer 1
		.amdhsa_user_sgpr_dispatch_ptr 0
		.amdhsa_user_sgpr_queue_ptr 0
		.amdhsa_user_sgpr_kernarg_segment_ptr 1
		.amdhsa_user_sgpr_dispatch_id 0
		.amdhsa_user_sgpr_flat_scratch_init 0
		.amdhsa_user_sgpr_kernarg_preload_length 0
		.amdhsa_user_sgpr_kernarg_preload_offset 0
		.amdhsa_user_sgpr_private_segment_size 0
		.amdhsa_uses_dynamic_stack 0
		.amdhsa_system_sgpr_private_segment_wavefront_offset 0
		.amdhsa_system_sgpr_workgroup_id_x 1
		.amdhsa_system_sgpr_workgroup_id_y 0
		.amdhsa_system_sgpr_workgroup_id_z 0
		.amdhsa_system_sgpr_workgroup_info 0
		.amdhsa_system_vgpr_workitem_id 1
		.amdhsa_next_free_vgpr 55
		.amdhsa_next_free_sgpr 74
		.amdhsa_accum_offset 56
		.amdhsa_reserve_vcc 1
		.amdhsa_reserve_flat_scratch 0
		.amdhsa_float_round_mode_32 0
		.amdhsa_float_round_mode_16_64 0
		.amdhsa_float_denorm_mode_32 3
		.amdhsa_float_denorm_mode_16_64 3
		.amdhsa_dx10_clamp 1
		.amdhsa_ieee_mode 1
		.amdhsa_fp16_overflow 0
		.amdhsa_tg_split 0
		.amdhsa_exception_fp_ieee_invalid_op 0
		.amdhsa_exception_fp_denorm_src 0
		.amdhsa_exception_fp_ieee_div_zero 0
		.amdhsa_exception_fp_ieee_overflow 0
		.amdhsa_exception_fp_ieee_underflow 0
		.amdhsa_exception_fp_ieee_inexact 0
		.amdhsa_exception_int_div_zero 0
	.end_amdhsa_kernel
	.section	.text._ZN12_GLOBAL__N_121softmax_warp_backwardIN3c108BFloat16ES2_fLi10ELb0ELb1ELi64EEEvPT0_PKT_S7_iiiPKb,"axG",@progbits,_ZN12_GLOBAL__N_121softmax_warp_backwardIN3c108BFloat16ES2_fLi10ELb0ELb1ELi64EEEvPT0_PKT_S7_iiiPKb,comdat
.Lfunc_end854:
	.size	_ZN12_GLOBAL__N_121softmax_warp_backwardIN3c108BFloat16ES2_fLi10ELb0ELb1ELi64EEEvPT0_PKT_S7_iiiPKb, .Lfunc_end854-_ZN12_GLOBAL__N_121softmax_warp_backwardIN3c108BFloat16ES2_fLi10ELb0ELb1ELi64EEEvPT0_PKT_S7_iiiPKb
                                        ; -- End function
	.section	.AMDGPU.csdata,"",@progbits
; Kernel info:
; codeLenInByte = 3808
; NumSgprs: 78
; NumVgprs: 55
; NumAgprs: 0
; TotalNumVgprs: 55
; ScratchSize: 0
; MemoryBound: 0
; FloatMode: 240
; IeeeMode: 1
; LDSByteSize: 0 bytes/workgroup (compile time only)
; SGPRBlocks: 9
; VGPRBlocks: 6
; NumSGPRsForWavesPerEU: 78
; NumVGPRsForWavesPerEU: 55
; AccumOffset: 56
; Occupancy: 8
; WaveLimiterHint : 0
; COMPUTE_PGM_RSRC2:SCRATCH_EN: 0
; COMPUTE_PGM_RSRC2:USER_SGPR: 6
; COMPUTE_PGM_RSRC2:TRAP_HANDLER: 0
; COMPUTE_PGM_RSRC2:TGID_X_EN: 1
; COMPUTE_PGM_RSRC2:TGID_Y_EN: 0
; COMPUTE_PGM_RSRC2:TGID_Z_EN: 0
; COMPUTE_PGM_RSRC2:TIDIG_COMP_CNT: 1
; COMPUTE_PGM_RSRC3_GFX90A:ACCUM_OFFSET: 13
; COMPUTE_PGM_RSRC3_GFX90A:TG_SPLIT: 0
	.section	.text._ZN12_GLOBAL__N_121softmax_warp_backwardIN3c108BFloat16ES2_fLi10ELb0ELb1ELi32EEEvPT0_PKT_S7_iiiPKb,"axG",@progbits,_ZN12_GLOBAL__N_121softmax_warp_backwardIN3c108BFloat16ES2_fLi10ELb0ELb1ELi32EEEvPT0_PKT_S7_iiiPKb,comdat
	.globl	_ZN12_GLOBAL__N_121softmax_warp_backwardIN3c108BFloat16ES2_fLi10ELb0ELb1ELi32EEEvPT0_PKT_S7_iiiPKb ; -- Begin function _ZN12_GLOBAL__N_121softmax_warp_backwardIN3c108BFloat16ES2_fLi10ELb0ELb1ELi32EEEvPT0_PKT_S7_iiiPKb
	.p2align	8
	.type	_ZN12_GLOBAL__N_121softmax_warp_backwardIN3c108BFloat16ES2_fLi10ELb0ELb1ELi32EEEvPT0_PKT_S7_iiiPKb,@function
_ZN12_GLOBAL__N_121softmax_warp_backwardIN3c108BFloat16ES2_fLi10ELb0ELb1ELi32EEEvPT0_PKT_S7_iiiPKb: ; @_ZN12_GLOBAL__N_121softmax_warp_backwardIN3c108BFloat16ES2_fLi10ELb0ELb1ELi32EEEvPT0_PKT_S7_iiiPKb
; %bb.0:
	s_load_dword s7, s[4:5], 0x3c
	s_load_dwordx4 s[0:3], s[4:5], 0x18
	s_load_dwordx4 s[12:15], s[4:5], 0x0
	s_load_dwordx2 s[8:9], s[4:5], 0x10
	v_bfe_u32 v1, v0, 10, 10
	s_waitcnt lgkmcnt(0)
	s_lshr_b32 s3, s7, 16
	s_mul_i32 s6, s6, s3
	v_and_b32_e32 v10, 0x3ff, v0
	v_add_u32_e32 v1, s6, v1
	v_and_b32_e32 v8, 31, v10
	v_sub_u32_e32 v71, s0, v1
	v_mad_u64_u32 v[2:3], s[0:1], v1, s1, v[8:9]
	v_ashrrev_i32_e32 v3, 31, v2
	v_lshlrev_b64 v[0:1], 1, v[2:3]
	v_mov_b32_e32 v5, s15
	v_add_co_u32_e32 v4, vcc, s14, v0
	v_addc_co_u32_e32 v5, vcc, v5, v1, vcc
	s_mov_b64 s[0:1], s[12:13]
                                        ; implicit-def: $vgpr73 : SGPR spill to VGPR lane
	v_mov_b32_e32 v7, s9
	v_add_co_u32_e32 v6, vcc, s8, v0
	v_writelane_b32 v73, s0, 0
	v_addc_co_u32_e32 v7, vcc, v7, v1, vcc
	v_writelane_b32 v73, s1, 1
	v_cmp_lt_i32_e32 vcc, 0, v71
	v_cmp_gt_i32_e64 s[62:63], s2, v8
	v_writelane_b32 v73, s2, 2
	s_and_b64 s[6:7], vcc, s[62:63]
	v_mov_b32_e32 v65, 0
	v_mov_b32_e32 v70, 0
	;; [unrolled: 1-line block ×3, first 2 shown]
	v_writelane_b32 v73, s3, 3
	s_and_saveexec_b64 s[0:1], s[6:7]
	s_cbranch_execz .LBB855_2
; %bb.1:
	global_load_ushort v9, v[6:7], off
	global_load_ushort v11, v[4:5], off
	s_waitcnt vmcnt(1)
	v_lshlrev_b32_e32 v70, 16, v9
	s_waitcnt vmcnt(0)
	v_lshlrev_b32_e32 v72, 16, v11
.LBB855_2:
	s_or_b64 exec, exec, s[0:1]
	v_or_b32_e32 v9, 32, v8
	v_cmp_gt_i32_e64 s[60:61], s2, v9
	s_and_b64 s[6:7], vcc, s[60:61]
	v_mov_b32_e32 v69, 0
	s_and_saveexec_b64 s[0:1], s[6:7]
	s_cbranch_execz .LBB855_4
; %bb.3:
	global_load_ushort v9, v[6:7], off offset:64
	global_load_ushort v11, v[4:5], off offset:64
	s_waitcnt vmcnt(1)
	v_lshlrev_b32_e32 v65, 16, v9
	s_waitcnt vmcnt(0)
	v_lshlrev_b32_e32 v69, 16, v11
.LBB855_4:
	s_or_b64 exec, exec, s[0:1]
	v_or_b32_e32 v9, 64, v8
	v_cmp_gt_i32_e64 s[58:59], s2, v9
	s_and_b64 s[6:7], vcc, s[58:59]
	v_mov_b32_e32 v61, 0
	v_mov_b32_e32 v67, 0
	v_mov_b32_e32 v68, 0
	s_and_saveexec_b64 s[0:1], s[6:7]
	s_cbranch_execz .LBB855_6
; %bb.5:
	global_load_ushort v9, v[6:7], off offset:128
	global_load_ushort v11, v[4:5], off offset:128
	s_waitcnt vmcnt(1)
	v_lshlrev_b32_e32 v67, 16, v9
	s_waitcnt vmcnt(0)
	v_lshlrev_b32_e32 v68, 16, v11
.LBB855_6:
	s_or_b64 exec, exec, s[0:1]
	v_or_b32_e32 v9, 0x60, v8
	v_cmp_gt_i32_e64 s[56:57], s2, v9
	s_and_b64 s[6:7], vcc, s[56:57]
	v_mov_b32_e32 v66, 0
	s_and_saveexec_b64 s[0:1], s[6:7]
	s_cbranch_execz .LBB855_8
; %bb.7:
	global_load_ushort v9, v[6:7], off offset:192
	global_load_ushort v11, v[4:5], off offset:192
	s_waitcnt vmcnt(1)
	v_lshlrev_b32_e32 v61, 16, v9
	s_waitcnt vmcnt(0)
	v_lshlrev_b32_e32 v66, 16, v11
.LBB855_8:
	s_or_b64 exec, exec, s[0:1]
	v_or_b32_e32 v9, 0x80, v8
	v_cmp_gt_i32_e64 s[54:55], s2, v9
	s_and_b64 s[6:7], vcc, s[54:55]
	v_mov_b32_e32 v57, 0
	v_mov_b32_e32 v63, 0
	v_mov_b32_e32 v64, 0
	s_and_saveexec_b64 s[0:1], s[6:7]
	s_cbranch_execz .LBB855_10
; %bb.9:
	global_load_ushort v9, v[6:7], off offset:256
	global_load_ushort v11, v[4:5], off offset:256
	s_waitcnt vmcnt(1)
	v_lshlrev_b32_e32 v63, 16, v9
	s_waitcnt vmcnt(0)
	v_lshlrev_b32_e32 v64, 16, v11
.LBB855_10:
	;; [unrolled: 32-line block ×5, first 2 shown]
	s_or_b64 exec, exec, s[0:1]
	v_or_b32_e32 v9, 0x160, v8
	v_cmp_gt_i32_e64 s[0:1], s2, v9
	v_writelane_b32 v73, s0, 4
	s_and_b64 s[6:7], vcc, s[0:1]
	v_mov_b32_e32 v50, 0
	v_writelane_b32 v73, s1, 5
	s_and_saveexec_b64 s[0:1], s[6:7]
	s_cbranch_execz .LBB855_24
; %bb.23:
	global_load_ushort v9, v[6:7], off offset:704
	global_load_ushort v11, v[4:5], off offset:704
	s_waitcnt vmcnt(1)
	v_lshlrev_b32_e32 v45, 16, v9
	s_waitcnt vmcnt(0)
	v_lshlrev_b32_e32 v50, 16, v11
.LBB855_24:
	s_or_b64 exec, exec, s[0:1]
	v_or_b32_e32 v9, 0x180, v8
	v_cmp_gt_i32_e64 s[0:1], s2, v9
	v_writelane_b32 v73, s0, 6
	s_and_b64 s[6:7], vcc, s[0:1]
	v_mov_b32_e32 v41, 0
	v_mov_b32_e32 v47, 0
	v_mov_b32_e32 v48, 0
	v_writelane_b32 v73, s1, 7
	s_and_saveexec_b64 s[0:1], s[6:7]
	s_cbranch_execz .LBB855_26
; %bb.25:
	global_load_ushort v9, v[6:7], off offset:768
	global_load_ushort v11, v[4:5], off offset:768
	s_waitcnt vmcnt(1)
	v_lshlrev_b32_e32 v47, 16, v9
	s_waitcnt vmcnt(0)
	v_lshlrev_b32_e32 v48, 16, v11
.LBB855_26:
	s_or_b64 exec, exec, s[0:1]
	v_or_b32_e32 v9, 0x1a0, v8
	v_cmp_gt_i32_e64 s[0:1], s2, v9
	v_writelane_b32 v73, s0, 8
	s_and_b64 s[6:7], vcc, s[0:1]
	v_mov_b32_e32 v46, 0
	v_writelane_b32 v73, s1, 9
	s_and_saveexec_b64 s[0:1], s[6:7]
	s_cbranch_execz .LBB855_28
; %bb.27:
	global_load_ushort v9, v[6:7], off offset:832
	global_load_ushort v11, v[4:5], off offset:832
	s_waitcnt vmcnt(1)
	v_lshlrev_b32_e32 v41, 16, v9
	s_waitcnt vmcnt(0)
	v_lshlrev_b32_e32 v46, 16, v11
.LBB855_28:
	s_or_b64 exec, exec, s[0:1]
	v_or_b32_e32 v9, 0x1c0, v8
	v_cmp_gt_i32_e64 s[0:1], s2, v9
	v_writelane_b32 v73, s0, 10
	s_and_b64 s[6:7], vcc, s[0:1]
	v_mov_b32_e32 v37, 0
	v_mov_b32_e32 v43, 0
	v_mov_b32_e32 v44, 0
	v_writelane_b32 v73, s1, 11
	s_and_saveexec_b64 s[0:1], s[6:7]
	s_cbranch_execz .LBB855_30
; %bb.29:
	global_load_ushort v9, v[6:7], off offset:896
	global_load_ushort v11, v[4:5], off offset:896
	s_waitcnt vmcnt(1)
	v_lshlrev_b32_e32 v43, 16, v9
	s_waitcnt vmcnt(0)
	v_lshlrev_b32_e32 v44, 16, v11
.LBB855_30:
	;; [unrolled: 36-line block ×9, first 2 shown]
	s_or_b64 exec, exec, s[0:1]
	v_or_b32_e32 v11, 0x3a0, v8
	v_cmp_gt_i32_e64 s[0:1], s2, v11
	v_writelane_b32 v73, s0, 40
	s_and_b64 s[6:7], vcc, s[0:1]
	v_mov_b32_e32 v14, 0
	v_writelane_b32 v73, s1, 41
	s_and_saveexec_b64 s[0:1], s[6:7]
	s_cbranch_execz .LBB855_60
; %bb.59:
	global_load_ushort v9, v[6:7], off offset:1856
	global_load_ushort v11, v[4:5], off offset:1856
	s_waitcnt vmcnt(1)
	v_lshlrev_b32_e32 v9, 16, v9
	s_waitcnt vmcnt(0)
	v_lshlrev_b32_e32 v14, 16, v11
.LBB855_60:
	s_or_b64 exec, exec, s[0:1]
	v_or_b32_e32 v8, 0x3c0, v8
	v_cmp_gt_i32_e64 s[26:27], s2, v8
	s_and_b64 s[6:7], vcc, s[26:27]
	v_mov_b32_e32 v8, 0
	v_mov_b32_e32 v11, 0
	;; [unrolled: 1-line block ×3, first 2 shown]
	s_and_saveexec_b64 s[0:1], s[6:7]
	s_cbranch_execz .LBB855_62
; %bb.61:
	global_load_ushort v11, v[6:7], off offset:1920
	global_load_ushort v12, v[4:5], off offset:1920
	s_waitcnt vmcnt(1)
	v_lshlrev_b32_e32 v11, 16, v11
	s_waitcnt vmcnt(0)
	v_lshlrev_b32_e32 v12, 16, v12
.LBB855_62:
	s_or_b64 exec, exec, s[0:1]
	v_or_b32_e32 v10, 0x3e0, v10
	v_cmp_gt_i32_e64 s[36:37], s2, v10
	s_and_b64 s[2:3], vcc, s[36:37]
	v_mov_b32_e32 v10, 0
	s_and_saveexec_b64 s[0:1], s[2:3]
	s_cbranch_execz .LBB855_64
; %bb.63:
	global_load_ushort v6, v[6:7], off offset:1984
	s_nop 0
	global_load_ushort v4, v[4:5], off offset:1984
	s_waitcnt vmcnt(1)
	v_lshlrev_b32_e32 v8, 16, v6
	s_waitcnt vmcnt(0)
	v_lshlrev_b32_e32 v10, 16, v4
.LBB855_64:
	s_or_b64 exec, exec, s[0:1]
	s_load_dwordx2 s[0:1], s[4:5], 0x28
	s_waitcnt lgkmcnt(0)
	v_add_co_u32_e32 v2, vcc, s0, v2
	v_mov_b32_e32 v4, s1
	v_addc_co_u32_e32 v3, vcc, v4, v3, vcc
	global_load_ubyte v4, v[2:3], off
	global_load_ubyte v5, v[2:3], off offset:32
	s_waitcnt vmcnt(1)
	v_and_b32_e32 v4, 1, v4
	v_cmp_eq_u32_e64 s[66:67], 1, v4
	v_add_f32_e32 v4, 0, v72
	v_cndmask_b32_e64 v4, v4, 0, s[66:67]
	s_waitcnt vmcnt(0)
	v_and_b32_e32 v5, 1, v5
	v_cmp_eq_u32_e64 s[64:65], 1, v5
	v_add_f32_e32 v5, v4, v69
	v_cndmask_b32_e64 v4, v5, v4, s[64:65]
	global_load_ubyte v5, v[2:3], off offset:64
	s_waitcnt vmcnt(0)
	v_and_b32_e32 v5, 1, v5
	v_cmp_eq_u32_e64 s[68:69], 1, v5
	v_add_f32_e32 v5, v4, v68
	v_cndmask_b32_e64 v4, v5, v4, s[68:69]
	global_load_ubyte v5, v[2:3], off offset:96
	;; [unrolled: 6-line block ×29, first 2 shown]
	s_waitcnt vmcnt(0)
	v_and_b32_e32 v5, 1, v5
	global_load_ubyte v2, v[2:3], off offset:992
	v_cmp_eq_u32_e64 s[28:29], 1, v5
	v_add_f32_e32 v5, v4, v12
	v_cndmask_b32_e64 v4, v5, v4, s[28:29]
	v_mbcnt_lo_u32_b32 v3, -1, 0
	v_mbcnt_hi_u32_b32 v3, -1, v3
	v_xor_b32_e32 v5, 16, v3
	s_waitcnt vmcnt(0)
	v_and_b32_e32 v2, 1, v2
	v_cmp_eq_u32_e64 s[30:31], 1, v2
	v_add_f32_e32 v2, v4, v10
	v_cndmask_b32_e64 v2, v2, v4, s[30:31]
	v_and_b32_e32 v4, 0x60, v3
	v_add_u32_e32 v4, 32, v4
	v_cmp_lt_i32_e32 vcc, v5, v4
	v_cndmask_b32_e32 v5, v3, v5, vcc
	v_lshlrev_b32_e32 v5, 2, v5
	ds_bpermute_b32 v5, v5, v2
	s_waitcnt lgkmcnt(0)
	v_add_f32_e32 v2, v2, v5
	v_xor_b32_e32 v5, 8, v3
	v_cmp_lt_i32_e32 vcc, v5, v4
	v_cndmask_b32_e32 v5, v3, v5, vcc
	v_lshlrev_b32_e32 v5, 2, v5
	ds_bpermute_b32 v5, v5, v2
	s_waitcnt lgkmcnt(0)
	v_add_f32_e32 v2, v2, v5
	v_xor_b32_e32 v5, 4, v3
	;; [unrolled: 7-line block ×4, first 2 shown]
	v_cmp_lt_i32_e32 vcc, v5, v4
	v_cndmask_b32_e32 v3, v3, v5, vcc
	v_lshlrev_b32_e32 v3, 2, v3
	ds_bpermute_b32 v3, v3, v2
	v_cmp_lt_i32_e32 vcc, 0, v71
	s_and_saveexec_b64 s[34:35], vcc
	s_cbranch_execz .LBB855_193
; %bb.65:
	v_writelane_b32 v73, s26, 42
	v_writelane_b32 v73, s27, 43
	s_mov_b64 s[26:27], s[36:37]
	v_readlane_b32 s36, v73, 0
	v_readlane_b32 s37, v73, 1
	s_waitcnt lgkmcnt(0)
	v_add_f32_e32 v2, v2, v3
	v_mov_b32_e32 v3, s37
	v_add_co_u32_e32 v0, vcc, s36, v0
	v_addc_co_u32_e32 v1, vcc, v3, v1, vcc
	v_readlane_b32 s38, v73, 2
	v_readlane_b32 s39, v73, 3
	s_and_saveexec_b64 s[34:35], s[62:63]
	s_cbranch_execz .LBB855_69
; %bb.66:
	s_xor_b64 s[38:39], s[66:67], -1
	v_mov_b32_e32 v3, 0
	s_and_saveexec_b64 s[36:37], s[38:39]
; %bb.67:
	v_fma_f32 v3, -v2, v70, v72
	v_bfe_u32 v4, v3, 16, 1
	s_movk_i32 s33, 0x7fff
	v_add3_u32 v4, v3, v4, s33
	v_lshrrev_b32_e32 v4, 16, v4
	v_mov_b32_e32 v5, 0x7fc0
	v_cmp_o_f32_e32 vcc, v3, v3
	v_cndmask_b32_e32 v3, v5, v4, vcc
; %bb.68:
	s_or_b64 exec, exec, s[36:37]
	global_store_short v[0:1], v3, off
.LBB855_69:
	s_or_b64 exec, exec, s[34:35]
	s_xor_b64 vcc, s[64:65], -1
	s_xor_b64 s[38:39], s[68:69], -1
	s_xor_b64 s[36:37], s[70:71], -1
	;; [unrolled: 1-line block ×30, first 2 shown]
	s_and_saveexec_b64 s[20:21], s[60:61]
	s_cbranch_execnz .LBB855_79
; %bb.70:
	s_or_b64 exec, exec, s[20:21]
	s_and_saveexec_b64 s[20:21], s[58:59]
	s_cbranch_execnz .LBB855_82
.LBB855_71:
	s_or_b64 exec, exec, s[20:21]
	s_and_saveexec_b64 s[20:21], s[56:57]
	s_cbranch_execnz .LBB855_85
.LBB855_72:
	s_or_b64 exec, exec, s[20:21]
	s_and_saveexec_b64 s[20:21], s[54:55]
	s_cbranch_execnz .LBB855_88
.LBB855_73:
	s_or_b64 exec, exec, s[20:21]
	s_and_saveexec_b64 s[20:21], s[52:53]
	s_cbranch_execnz .LBB855_91
.LBB855_74:
	s_or_b64 exec, exec, s[20:21]
	s_and_saveexec_b64 s[20:21], s[50:51]
	s_cbranch_execnz .LBB855_94
.LBB855_75:
	s_or_b64 exec, exec, s[20:21]
	s_and_saveexec_b64 s[20:21], s[48:49]
	s_cbranch_execnz .LBB855_97
.LBB855_76:
	s_or_b64 exec, exec, s[20:21]
	s_and_saveexec_b64 s[20:21], s[46:47]
	s_cbranch_execnz .LBB855_100
.LBB855_77:
	s_or_b64 exec, exec, s[20:21]
	s_and_saveexec_b64 s[20:21], s[44:45]
	s_cbranch_execnz .LBB855_103
.LBB855_78:
	s_or_b64 exec, exec, s[20:21]
	s_and_saveexec_b64 s[20:21], s[42:43]
	s_cbranch_execnz .LBB855_106
	s_branch .LBB855_109
.LBB855_79:
	v_mov_b32_e32 v3, 0
	s_and_saveexec_b64 s[22:23], vcc
; %bb.80:
	v_fma_f32 v3, -v2, v65, v69
	v_bfe_u32 v4, v3, 16, 1
	s_movk_i32 s24, 0x7fff
	v_add3_u32 v4, v3, v4, s24
	v_lshrrev_b32_e32 v4, 16, v4
	v_mov_b32_e32 v5, 0x7fc0
	v_cmp_o_f32_e32 vcc, v3, v3
	v_cndmask_b32_e32 v3, v5, v4, vcc
; %bb.81:
	s_or_b64 exec, exec, s[22:23]
	global_store_short v[0:1], v3, off offset:64
	s_or_b64 exec, exec, s[20:21]
	s_and_saveexec_b64 s[20:21], s[58:59]
	s_cbranch_execz .LBB855_71
.LBB855_82:
	v_mov_b32_e32 v3, 0
	s_and_saveexec_b64 s[22:23], s[38:39]
; %bb.83:
	v_fma_f32 v3, -v2, v67, v68
	v_bfe_u32 v4, v3, 16, 1
	s_movk_i32 s24, 0x7fff
	v_add3_u32 v4, v3, v4, s24
	v_lshrrev_b32_e32 v4, 16, v4
	v_mov_b32_e32 v5, 0x7fc0
	v_cmp_o_f32_e32 vcc, v3, v3
	v_cndmask_b32_e32 v3, v5, v4, vcc
; %bb.84:
	s_or_b64 exec, exec, s[22:23]
	global_store_short v[0:1], v3, off offset:128
	s_or_b64 exec, exec, s[20:21]
	s_and_saveexec_b64 s[20:21], s[56:57]
	s_cbranch_execz .LBB855_72
.LBB855_85:
	v_mov_b32_e32 v3, 0
	s_and_saveexec_b64 s[22:23], s[36:37]
; %bb.86:
	v_fma_f32 v3, -v2, v61, v66
	v_bfe_u32 v4, v3, 16, 1
	s_movk_i32 s24, 0x7fff
	v_add3_u32 v4, v3, v4, s24
	v_lshrrev_b32_e32 v4, 16, v4
	v_mov_b32_e32 v5, 0x7fc0
	v_cmp_o_f32_e32 vcc, v3, v3
	v_cndmask_b32_e32 v3, v5, v4, vcc
; %bb.87:
	s_or_b64 exec, exec, s[22:23]
	global_store_short v[0:1], v3, off offset:192
	s_or_b64 exec, exec, s[20:21]
	s_and_saveexec_b64 s[20:21], s[54:55]
	s_cbranch_execz .LBB855_73
.LBB855_88:
	v_mov_b32_e32 v3, 0
	s_and_saveexec_b64 s[22:23], s[34:35]
; %bb.89:
	v_fma_f32 v3, -v2, v63, v64
	v_bfe_u32 v4, v3, 16, 1
	s_movk_i32 s24, 0x7fff
	v_add3_u32 v4, v3, v4, s24
	v_lshrrev_b32_e32 v4, 16, v4
	v_mov_b32_e32 v5, 0x7fc0
	v_cmp_o_f32_e32 vcc, v3, v3
	v_cndmask_b32_e32 v3, v5, v4, vcc
; %bb.90:
	s_or_b64 exec, exec, s[22:23]
	global_store_short v[0:1], v3, off offset:256
	s_or_b64 exec, exec, s[20:21]
	s_and_saveexec_b64 s[20:21], s[52:53]
	s_cbranch_execz .LBB855_74
.LBB855_91:
	v_mov_b32_e32 v3, 0
	s_and_saveexec_b64 s[22:23], s[72:73]
; %bb.92:
	v_fma_f32 v3, -v2, v57, v62
	v_bfe_u32 v4, v3, 16, 1
	s_movk_i32 s24, 0x7fff
	v_add3_u32 v4, v3, v4, s24
	v_lshrrev_b32_e32 v4, 16, v4
	v_mov_b32_e32 v5, 0x7fc0
	v_cmp_o_f32_e32 vcc, v3, v3
	v_cndmask_b32_e32 v3, v5, v4, vcc
; %bb.93:
	s_or_b64 exec, exec, s[22:23]
	global_store_short v[0:1], v3, off offset:320
	s_or_b64 exec, exec, s[20:21]
	s_and_saveexec_b64 s[20:21], s[50:51]
	s_cbranch_execz .LBB855_75
.LBB855_94:
	v_mov_b32_e32 v3, 0
	s_and_saveexec_b64 s[22:23], s[70:71]
; %bb.95:
	v_fma_f32 v3, -v2, v59, v60
	v_bfe_u32 v4, v3, 16, 1
	s_movk_i32 s24, 0x7fff
	v_add3_u32 v4, v3, v4, s24
	v_lshrrev_b32_e32 v4, 16, v4
	v_mov_b32_e32 v5, 0x7fc0
	v_cmp_o_f32_e32 vcc, v3, v3
	v_cndmask_b32_e32 v3, v5, v4, vcc
; %bb.96:
	s_or_b64 exec, exec, s[22:23]
	global_store_short v[0:1], v3, off offset:384
	s_or_b64 exec, exec, s[20:21]
	s_and_saveexec_b64 s[20:21], s[48:49]
	s_cbranch_execz .LBB855_76
.LBB855_97:
	v_mov_b32_e32 v3, 0
	s_and_saveexec_b64 s[22:23], s[68:69]
; %bb.98:
	v_fma_f32 v3, -v2, v53, v58
	v_bfe_u32 v4, v3, 16, 1
	s_movk_i32 s24, 0x7fff
	v_add3_u32 v4, v3, v4, s24
	v_lshrrev_b32_e32 v4, 16, v4
	v_mov_b32_e32 v5, 0x7fc0
	v_cmp_o_f32_e32 vcc, v3, v3
	v_cndmask_b32_e32 v3, v5, v4, vcc
; %bb.99:
	s_or_b64 exec, exec, s[22:23]
	global_store_short v[0:1], v3, off offset:448
	s_or_b64 exec, exec, s[20:21]
	s_and_saveexec_b64 s[20:21], s[46:47]
	s_cbranch_execz .LBB855_77
.LBB855_100:
	v_mov_b32_e32 v3, 0
	s_and_saveexec_b64 s[22:23], s[66:67]
; %bb.101:
	v_fma_f32 v3, -v2, v55, v56
	v_bfe_u32 v4, v3, 16, 1
	s_movk_i32 s24, 0x7fff
	v_add3_u32 v4, v3, v4, s24
	v_lshrrev_b32_e32 v4, 16, v4
	v_mov_b32_e32 v5, 0x7fc0
	v_cmp_o_f32_e32 vcc, v3, v3
	v_cndmask_b32_e32 v3, v5, v4, vcc
; %bb.102:
	s_or_b64 exec, exec, s[22:23]
	global_store_short v[0:1], v3, off offset:512
	s_or_b64 exec, exec, s[20:21]
	s_and_saveexec_b64 s[20:21], s[44:45]
	s_cbranch_execz .LBB855_78
.LBB855_103:
	v_mov_b32_e32 v3, 0
	s_and_saveexec_b64 s[22:23], s[64:65]
; %bb.104:
	v_fma_f32 v3, -v2, v49, v54
	v_bfe_u32 v4, v3, 16, 1
	s_movk_i32 s24, 0x7fff
	v_add3_u32 v4, v3, v4, s24
	v_lshrrev_b32_e32 v4, 16, v4
	v_mov_b32_e32 v5, 0x7fc0
	v_cmp_o_f32_e32 vcc, v3, v3
	v_cndmask_b32_e32 v3, v5, v4, vcc
; %bb.105:
	s_or_b64 exec, exec, s[22:23]
	global_store_short v[0:1], v3, off offset:576
	s_or_b64 exec, exec, s[20:21]
	s_and_saveexec_b64 s[20:21], s[42:43]
	s_cbranch_execz .LBB855_109
.LBB855_106:
	v_mov_b32_e32 v3, 0
	s_and_saveexec_b64 s[22:23], s[62:63]
; %bb.107:
	v_fma_f32 v3, -v2, v51, v52
	v_bfe_u32 v4, v3, 16, 1
	s_movk_i32 s24, 0x7fff
	v_add3_u32 v4, v3, v4, s24
	v_lshrrev_b32_e32 v4, 16, v4
	v_mov_b32_e32 v5, 0x7fc0
	v_cmp_o_f32_e32 vcc, v3, v3
	v_cndmask_b32_e32 v3, v5, v4, vcc
; %bb.108:
	s_or_b64 exec, exec, s[22:23]
	global_store_short v[0:1], v3, off offset:640
.LBB855_109:
	s_or_b64 exec, exec, s[20:21]
	s_mov_b64 s[20:21], exec
	v_readlane_b32 s22, v73, 4
	v_readlane_b32 s23, v73, 5
	s_and_b64 s[22:23], s[20:21], s[22:23]
	s_mov_b64 exec, s[22:23]
	s_cbranch_execz .LBB855_113
; %bb.110:
	v_mov_b32_e32 v3, 0
	s_and_saveexec_b64 s[22:23], s[86:87]
; %bb.111:
	v_fma_f32 v3, -v2, v45, v50
	v_bfe_u32 v4, v3, 16, 1
	s_movk_i32 s24, 0x7fff
	v_add3_u32 v4, v3, v4, s24
	v_lshrrev_b32_e32 v4, 16, v4
	v_mov_b32_e32 v5, 0x7fc0
	v_cmp_o_f32_e32 vcc, v3, v3
	v_cndmask_b32_e32 v3, v5, v4, vcc
; %bb.112:
	s_or_b64 exec, exec, s[22:23]
	global_store_short v[0:1], v3, off offset:704
.LBB855_113:
	s_or_b64 exec, exec, s[20:21]
	s_mov_b64 s[20:21], exec
	v_readlane_b32 s22, v73, 6
	v_readlane_b32 s23, v73, 7
	s_and_b64 s[22:23], s[20:21], s[22:23]
	s_mov_b64 exec, s[22:23]
	s_cbranch_execz .LBB855_117
; %bb.114:
	v_mov_b32_e32 v3, 0
	s_and_saveexec_b64 s[22:23], s[84:85]
; %bb.115:
	v_fma_f32 v3, -v2, v47, v48
	v_bfe_u32 v4, v3, 16, 1
	s_movk_i32 s24, 0x7fff
	v_add3_u32 v4, v3, v4, s24
	v_lshrrev_b32_e32 v4, 16, v4
	v_mov_b32_e32 v5, 0x7fc0
	v_cmp_o_f32_e32 vcc, v3, v3
	v_cndmask_b32_e32 v3, v5, v4, vcc
; %bb.116:
	s_or_b64 exec, exec, s[22:23]
	global_store_short v[0:1], v3, off offset:768
.LBB855_117:
	;; [unrolled: 23-line block ×20, first 2 shown]
	s_or_b64 exec, exec, s[0:1]
	s_and_b64 exec, exec, s[26:27]
	s_cbranch_execz .LBB855_193
; %bb.190:
	v_mov_b32_e32 v3, 0
	s_and_saveexec_b64 s[0:1], s[16:17]
; %bb.191:
	v_fma_f32 v2, -v2, v8, v10
	v_bfe_u32 v3, v2, 16, 1
	s_movk_i32 s2, 0x7fff
	v_add3_u32 v3, v2, v3, s2
	v_lshrrev_b32_e32 v3, 16, v3
	v_mov_b32_e32 v4, 0x7fc0
	v_cmp_o_f32_e32 vcc, v2, v2
	v_cndmask_b32_e32 v3, v4, v3, vcc
; %bb.192:
	s_or_b64 exec, exec, s[0:1]
	global_store_short v[0:1], v3, off offset:1984
.LBB855_193:
	s_endpgm
	.section	.rodata,"a",@progbits
	.p2align	6, 0x0
	.amdhsa_kernel _ZN12_GLOBAL__N_121softmax_warp_backwardIN3c108BFloat16ES2_fLi10ELb0ELb1ELi32EEEvPT0_PKT_S7_iiiPKb
		.amdhsa_group_segment_fixed_size 0
		.amdhsa_private_segment_fixed_size 0
		.amdhsa_kernarg_size 304
		.amdhsa_user_sgpr_count 6
		.amdhsa_user_sgpr_private_segment_buffer 1
		.amdhsa_user_sgpr_dispatch_ptr 0
		.amdhsa_user_sgpr_queue_ptr 0
		.amdhsa_user_sgpr_kernarg_segment_ptr 1
		.amdhsa_user_sgpr_dispatch_id 0
		.amdhsa_user_sgpr_flat_scratch_init 0
		.amdhsa_user_sgpr_kernarg_preload_length 0
		.amdhsa_user_sgpr_kernarg_preload_offset 0
		.amdhsa_user_sgpr_private_segment_size 0
		.amdhsa_uses_dynamic_stack 0
		.amdhsa_system_sgpr_private_segment_wavefront_offset 0
		.amdhsa_system_sgpr_workgroup_id_x 1
		.amdhsa_system_sgpr_workgroup_id_y 0
		.amdhsa_system_sgpr_workgroup_id_z 0
		.amdhsa_system_sgpr_workgroup_info 0
		.amdhsa_system_vgpr_workitem_id 1
		.amdhsa_next_free_vgpr 74
		.amdhsa_next_free_sgpr 96
		.amdhsa_accum_offset 76
		.amdhsa_reserve_vcc 1
		.amdhsa_reserve_flat_scratch 0
		.amdhsa_float_round_mode_32 0
		.amdhsa_float_round_mode_16_64 0
		.amdhsa_float_denorm_mode_32 3
		.amdhsa_float_denorm_mode_16_64 3
		.amdhsa_dx10_clamp 1
		.amdhsa_ieee_mode 1
		.amdhsa_fp16_overflow 0
		.amdhsa_tg_split 0
		.amdhsa_exception_fp_ieee_invalid_op 0
		.amdhsa_exception_fp_denorm_src 0
		.amdhsa_exception_fp_ieee_div_zero 0
		.amdhsa_exception_fp_ieee_overflow 0
		.amdhsa_exception_fp_ieee_underflow 0
		.amdhsa_exception_fp_ieee_inexact 0
		.amdhsa_exception_int_div_zero 0
	.end_amdhsa_kernel
	.section	.text._ZN12_GLOBAL__N_121softmax_warp_backwardIN3c108BFloat16ES2_fLi10ELb0ELb1ELi32EEEvPT0_PKT_S7_iiiPKb,"axG",@progbits,_ZN12_GLOBAL__N_121softmax_warp_backwardIN3c108BFloat16ES2_fLi10ELb0ELb1ELi32EEEvPT0_PKT_S7_iiiPKb,comdat
.Lfunc_end855:
	.size	_ZN12_GLOBAL__N_121softmax_warp_backwardIN3c108BFloat16ES2_fLi10ELb0ELb1ELi32EEEvPT0_PKT_S7_iiiPKb, .Lfunc_end855-_ZN12_GLOBAL__N_121softmax_warp_backwardIN3c108BFloat16ES2_fLi10ELb0ELb1ELi32EEEvPT0_PKT_S7_iiiPKb
                                        ; -- End function
	.section	.AMDGPU.csdata,"",@progbits
; Kernel info:
; codeLenInByte = 7472
; NumSgprs: 100
; NumVgprs: 74
; NumAgprs: 0
; TotalNumVgprs: 74
; ScratchSize: 0
; MemoryBound: 0
; FloatMode: 240
; IeeeMode: 1
; LDSByteSize: 0 bytes/workgroup (compile time only)
; SGPRBlocks: 12
; VGPRBlocks: 9
; NumSGPRsForWavesPerEU: 100
; NumVGPRsForWavesPerEU: 74
; AccumOffset: 76
; Occupancy: 6
; WaveLimiterHint : 0
; COMPUTE_PGM_RSRC2:SCRATCH_EN: 0
; COMPUTE_PGM_RSRC2:USER_SGPR: 6
; COMPUTE_PGM_RSRC2:TRAP_HANDLER: 0
; COMPUTE_PGM_RSRC2:TGID_X_EN: 1
; COMPUTE_PGM_RSRC2:TGID_Y_EN: 0
; COMPUTE_PGM_RSRC2:TGID_Z_EN: 0
; COMPUTE_PGM_RSRC2:TIDIG_COMP_CNT: 1
; COMPUTE_PGM_RSRC3_GFX90A:ACCUM_OFFSET: 18
; COMPUTE_PGM_RSRC3_GFX90A:TG_SPLIT: 0
	.text
	.p2alignl 6, 3212836864
	.fill 256, 4, 3212836864
	.type	__hip_cuid_347deb0df9af9385,@object ; @__hip_cuid_347deb0df9af9385
	.section	.bss,"aw",@nobits
	.globl	__hip_cuid_347deb0df9af9385
__hip_cuid_347deb0df9af9385:
	.byte	0                               ; 0x0
	.size	__hip_cuid_347deb0df9af9385, 1

	.ident	"AMD clang version 19.0.0git (https://github.com/RadeonOpenCompute/llvm-project roc-6.4.0 25133 c7fe45cf4b819c5991fe208aaa96edf142730f1d)"
	.section	".note.GNU-stack","",@progbits
	.addrsig
	.addrsig_sym __hip_cuid_347deb0df9af9385
	.amdgpu_metadata
---
amdhsa.kernels:
  - .agpr_count:     0
    .args:
      - .address_space:  global
        .offset:         0
        .size:           8
        .value_kind:     global_buffer
      - .address_space:  global
        .offset:         8
        .size:           8
        .value_kind:     global_buffer
      - .offset:         16
        .size:           4
        .value_kind:     by_value
      - .offset:         20
        .size:           4
        .value_kind:     by_value
      - .offset:         24
        .size:           4
        .value_kind:     by_value
      - .address_space:  global
        .offset:         32
        .size:           8
        .value_kind:     global_buffer
      - .offset:         40
        .size:           4
        .value_kind:     by_value
      - .offset:         44
        .size:           1
        .value_kind:     by_value
      - .offset:         48
        .size:           4
        .value_kind:     hidden_block_count_x
      - .offset:         52
        .size:           4
        .value_kind:     hidden_block_count_y
      - .offset:         56
        .size:           4
        .value_kind:     hidden_block_count_z
      - .offset:         60
        .size:           2
        .value_kind:     hidden_group_size_x
      - .offset:         62
        .size:           2
        .value_kind:     hidden_group_size_y
      - .offset:         64
        .size:           2
        .value_kind:     hidden_group_size_z
      - .offset:         66
        .size:           2
        .value_kind:     hidden_remainder_x
      - .offset:         68
        .size:           2
        .value_kind:     hidden_remainder_y
      - .offset:         70
        .size:           2
        .value_kind:     hidden_remainder_z
      - .offset:         88
        .size:           8
        .value_kind:     hidden_global_offset_x
      - .offset:         96
        .size:           8
        .value_kind:     hidden_global_offset_y
      - .offset:         104
        .size:           8
        .value_kind:     hidden_global_offset_z
      - .offset:         112
        .size:           2
        .value_kind:     hidden_grid_dims
    .group_segment_fixed_size: 0
    .kernarg_segment_align: 8
    .kernarg_segment_size: 304
    .language:       OpenCL C
    .language_version:
      - 2
      - 0
    .max_flat_workgroup_size: 1024
    .name:           _ZN12_GLOBAL__N_120softmax_warp_forwardIdddLi0ELb1ELb0ELi64EEEvPT0_PKT_iiiPKbib
    .private_segment_fixed_size: 0
    .sgpr_count:     20
    .sgpr_spill_count: 0
    .symbol:         _ZN12_GLOBAL__N_120softmax_warp_forwardIdddLi0ELb1ELb0ELi64EEEvPT0_PKT_iiiPKbib.kd
    .uniform_work_group_size: 1
    .uses_dynamic_stack: false
    .vgpr_count:     32
    .vgpr_spill_count: 0
    .wavefront_size: 64
  - .agpr_count:     0
    .args:
      - .address_space:  global
        .offset:         0
        .size:           8
        .value_kind:     global_buffer
      - .address_space:  global
        .offset:         8
        .size:           8
        .value_kind:     global_buffer
      - .offset:         16
        .size:           4
        .value_kind:     by_value
      - .offset:         20
        .size:           4
        .value_kind:     by_value
      - .offset:         24
        .size:           4
        .value_kind:     by_value
      - .address_space:  global
        .offset:         32
        .size:           8
        .value_kind:     global_buffer
      - .offset:         40
        .size:           4
        .value_kind:     by_value
      - .offset:         44
        .size:           1
        .value_kind:     by_value
      - .offset:         48
        .size:           4
        .value_kind:     hidden_block_count_x
      - .offset:         52
        .size:           4
        .value_kind:     hidden_block_count_y
      - .offset:         56
        .size:           4
        .value_kind:     hidden_block_count_z
      - .offset:         60
        .size:           2
        .value_kind:     hidden_group_size_x
      - .offset:         62
        .size:           2
        .value_kind:     hidden_group_size_y
      - .offset:         64
        .size:           2
        .value_kind:     hidden_group_size_z
      - .offset:         66
        .size:           2
        .value_kind:     hidden_remainder_x
      - .offset:         68
        .size:           2
        .value_kind:     hidden_remainder_y
      - .offset:         70
        .size:           2
        .value_kind:     hidden_remainder_z
      - .offset:         88
        .size:           8
        .value_kind:     hidden_global_offset_x
      - .offset:         96
        .size:           8
        .value_kind:     hidden_global_offset_y
      - .offset:         104
        .size:           8
        .value_kind:     hidden_global_offset_z
      - .offset:         112
        .size:           2
        .value_kind:     hidden_grid_dims
    .group_segment_fixed_size: 0
    .kernarg_segment_align: 8
    .kernarg_segment_size: 304
    .language:       OpenCL C
    .language_version:
      - 2
      - 0
    .max_flat_workgroup_size: 1024
    .name:           _ZN12_GLOBAL__N_120softmax_warp_forwardIdddLi0ELb1ELb0ELi32EEEvPT0_PKT_iiiPKbib
    .private_segment_fixed_size: 0
    .sgpr_count:     20
    .sgpr_spill_count: 0
    .symbol:         _ZN12_GLOBAL__N_120softmax_warp_forwardIdddLi0ELb1ELb0ELi32EEEvPT0_PKT_iiiPKbib.kd
    .uniform_work_group_size: 1
    .uses_dynamic_stack: false
    .vgpr_count:     32
    .vgpr_spill_count: 0
    .wavefront_size: 64
  - .agpr_count:     0
    .args:
      - .address_space:  global
        .offset:         0
        .size:           8
        .value_kind:     global_buffer
      - .address_space:  global
        .offset:         8
        .size:           8
        .value_kind:     global_buffer
      - .offset:         16
        .size:           4
        .value_kind:     by_value
      - .offset:         20
        .size:           4
        .value_kind:     by_value
      - .offset:         24
        .size:           4
        .value_kind:     by_value
      - .address_space:  global
        .offset:         32
        .size:           8
        .value_kind:     global_buffer
      - .offset:         40
        .size:           4
        .value_kind:     by_value
      - .offset:         44
        .size:           1
        .value_kind:     by_value
      - .offset:         48
        .size:           4
        .value_kind:     hidden_block_count_x
      - .offset:         52
        .size:           4
        .value_kind:     hidden_block_count_y
      - .offset:         56
        .size:           4
        .value_kind:     hidden_block_count_z
      - .offset:         60
        .size:           2
        .value_kind:     hidden_group_size_x
      - .offset:         62
        .size:           2
        .value_kind:     hidden_group_size_y
      - .offset:         64
        .size:           2
        .value_kind:     hidden_group_size_z
      - .offset:         66
        .size:           2
        .value_kind:     hidden_remainder_x
      - .offset:         68
        .size:           2
        .value_kind:     hidden_remainder_y
      - .offset:         70
        .size:           2
        .value_kind:     hidden_remainder_z
      - .offset:         88
        .size:           8
        .value_kind:     hidden_global_offset_x
      - .offset:         96
        .size:           8
        .value_kind:     hidden_global_offset_y
      - .offset:         104
        .size:           8
        .value_kind:     hidden_global_offset_z
      - .offset:         112
        .size:           2
        .value_kind:     hidden_grid_dims
    .group_segment_fixed_size: 0
    .kernarg_segment_align: 8
    .kernarg_segment_size: 304
    .language:       OpenCL C
    .language_version:
      - 2
      - 0
    .max_flat_workgroup_size: 1024
    .name:           _ZN12_GLOBAL__N_120softmax_warp_forwardIdddLi1ELb1ELb0ELi64EEEvPT0_PKT_iiiPKbib
    .private_segment_fixed_size: 0
    .sgpr_count:     44
    .sgpr_spill_count: 0
    .symbol:         _ZN12_GLOBAL__N_120softmax_warp_forwardIdddLi1ELb1ELb0ELi64EEEvPT0_PKT_iiiPKbib.kd
    .uniform_work_group_size: 1
    .uses_dynamic_stack: false
    .vgpr_count:     36
    .vgpr_spill_count: 0
    .wavefront_size: 64
  - .agpr_count:     0
    .args:
      - .address_space:  global
        .offset:         0
        .size:           8
        .value_kind:     global_buffer
      - .address_space:  global
        .offset:         8
        .size:           8
        .value_kind:     global_buffer
      - .offset:         16
        .size:           4
        .value_kind:     by_value
      - .offset:         20
        .size:           4
        .value_kind:     by_value
      - .offset:         24
        .size:           4
        .value_kind:     by_value
      - .address_space:  global
        .offset:         32
        .size:           8
        .value_kind:     global_buffer
      - .offset:         40
        .size:           4
        .value_kind:     by_value
      - .offset:         44
        .size:           1
        .value_kind:     by_value
      - .offset:         48
        .size:           4
        .value_kind:     hidden_block_count_x
      - .offset:         52
        .size:           4
        .value_kind:     hidden_block_count_y
      - .offset:         56
        .size:           4
        .value_kind:     hidden_block_count_z
      - .offset:         60
        .size:           2
        .value_kind:     hidden_group_size_x
      - .offset:         62
        .size:           2
        .value_kind:     hidden_group_size_y
      - .offset:         64
        .size:           2
        .value_kind:     hidden_group_size_z
      - .offset:         66
        .size:           2
        .value_kind:     hidden_remainder_x
      - .offset:         68
        .size:           2
        .value_kind:     hidden_remainder_y
      - .offset:         70
        .size:           2
        .value_kind:     hidden_remainder_z
      - .offset:         88
        .size:           8
        .value_kind:     hidden_global_offset_x
      - .offset:         96
        .size:           8
        .value_kind:     hidden_global_offset_y
      - .offset:         104
        .size:           8
        .value_kind:     hidden_global_offset_z
      - .offset:         112
        .size:           2
        .value_kind:     hidden_grid_dims
    .group_segment_fixed_size: 0
    .kernarg_segment_align: 8
    .kernarg_segment_size: 304
    .language:       OpenCL C
    .language_version:
      - 2
      - 0
    .max_flat_workgroup_size: 1024
    .name:           _ZN12_GLOBAL__N_120softmax_warp_forwardIdddLi1ELb1ELb0ELi32EEEvPT0_PKT_iiiPKbib
    .private_segment_fixed_size: 0
    .sgpr_count:     44
    .sgpr_spill_count: 0
    .symbol:         _ZN12_GLOBAL__N_120softmax_warp_forwardIdddLi1ELb1ELb0ELi32EEEvPT0_PKT_iiiPKbib.kd
    .uniform_work_group_size: 1
    .uses_dynamic_stack: false
    .vgpr_count:     36
    .vgpr_spill_count: 0
    .wavefront_size: 64
  - .agpr_count:     0
    .args:
      - .address_space:  global
        .offset:         0
        .size:           8
        .value_kind:     global_buffer
      - .address_space:  global
        .offset:         8
        .size:           8
        .value_kind:     global_buffer
      - .offset:         16
        .size:           4
        .value_kind:     by_value
      - .offset:         20
        .size:           4
        .value_kind:     by_value
      - .offset:         24
        .size:           4
        .value_kind:     by_value
      - .address_space:  global
        .offset:         32
        .size:           8
        .value_kind:     global_buffer
      - .offset:         40
        .size:           4
        .value_kind:     by_value
      - .offset:         44
        .size:           1
        .value_kind:     by_value
      - .offset:         48
        .size:           4
        .value_kind:     hidden_block_count_x
      - .offset:         52
        .size:           4
        .value_kind:     hidden_block_count_y
      - .offset:         56
        .size:           4
        .value_kind:     hidden_block_count_z
      - .offset:         60
        .size:           2
        .value_kind:     hidden_group_size_x
      - .offset:         62
        .size:           2
        .value_kind:     hidden_group_size_y
      - .offset:         64
        .size:           2
        .value_kind:     hidden_group_size_z
      - .offset:         66
        .size:           2
        .value_kind:     hidden_remainder_x
      - .offset:         68
        .size:           2
        .value_kind:     hidden_remainder_y
      - .offset:         70
        .size:           2
        .value_kind:     hidden_remainder_z
      - .offset:         88
        .size:           8
        .value_kind:     hidden_global_offset_x
      - .offset:         96
        .size:           8
        .value_kind:     hidden_global_offset_y
      - .offset:         104
        .size:           8
        .value_kind:     hidden_global_offset_z
      - .offset:         112
        .size:           2
        .value_kind:     hidden_grid_dims
    .group_segment_fixed_size: 0
    .kernarg_segment_align: 8
    .kernarg_segment_size: 304
    .language:       OpenCL C
    .language_version:
      - 2
      - 0
    .max_flat_workgroup_size: 1024
    .name:           _ZN12_GLOBAL__N_120softmax_warp_forwardIdddLi2ELb1ELb0ELi64EEEvPT0_PKT_iiiPKbib
    .private_segment_fixed_size: 0
    .sgpr_count:     44
    .sgpr_spill_count: 0
    .symbol:         _ZN12_GLOBAL__N_120softmax_warp_forwardIdddLi2ELb1ELb0ELi64EEEvPT0_PKT_iiiPKbib.kd
    .uniform_work_group_size: 1
    .uses_dynamic_stack: false
    .vgpr_count:     36
    .vgpr_spill_count: 0
    .wavefront_size: 64
  - .agpr_count:     0
    .args:
      - .address_space:  global
        .offset:         0
        .size:           8
        .value_kind:     global_buffer
      - .address_space:  global
        .offset:         8
        .size:           8
        .value_kind:     global_buffer
      - .offset:         16
        .size:           4
        .value_kind:     by_value
      - .offset:         20
        .size:           4
        .value_kind:     by_value
      - .offset:         24
        .size:           4
        .value_kind:     by_value
      - .address_space:  global
        .offset:         32
        .size:           8
        .value_kind:     global_buffer
      - .offset:         40
        .size:           4
        .value_kind:     by_value
      - .offset:         44
        .size:           1
        .value_kind:     by_value
      - .offset:         48
        .size:           4
        .value_kind:     hidden_block_count_x
      - .offset:         52
        .size:           4
        .value_kind:     hidden_block_count_y
      - .offset:         56
        .size:           4
        .value_kind:     hidden_block_count_z
      - .offset:         60
        .size:           2
        .value_kind:     hidden_group_size_x
      - .offset:         62
        .size:           2
        .value_kind:     hidden_group_size_y
      - .offset:         64
        .size:           2
        .value_kind:     hidden_group_size_z
      - .offset:         66
        .size:           2
        .value_kind:     hidden_remainder_x
      - .offset:         68
        .size:           2
        .value_kind:     hidden_remainder_y
      - .offset:         70
        .size:           2
        .value_kind:     hidden_remainder_z
      - .offset:         88
        .size:           8
        .value_kind:     hidden_global_offset_x
      - .offset:         96
        .size:           8
        .value_kind:     hidden_global_offset_y
      - .offset:         104
        .size:           8
        .value_kind:     hidden_global_offset_z
      - .offset:         112
        .size:           2
        .value_kind:     hidden_grid_dims
    .group_segment_fixed_size: 0
    .kernarg_segment_align: 8
    .kernarg_segment_size: 304
    .language:       OpenCL C
    .language_version:
      - 2
      - 0
    .max_flat_workgroup_size: 1024
    .name:           _ZN12_GLOBAL__N_120softmax_warp_forwardIdddLi2ELb1ELb0ELi32EEEvPT0_PKT_iiiPKbib
    .private_segment_fixed_size: 0
    .sgpr_count:     44
    .sgpr_spill_count: 0
    .symbol:         _ZN12_GLOBAL__N_120softmax_warp_forwardIdddLi2ELb1ELb0ELi32EEEvPT0_PKT_iiiPKbib.kd
    .uniform_work_group_size: 1
    .uses_dynamic_stack: false
    .vgpr_count:     36
    .vgpr_spill_count: 0
    .wavefront_size: 64
  - .agpr_count:     0
    .args:
      - .address_space:  global
        .offset:         0
        .size:           8
        .value_kind:     global_buffer
      - .address_space:  global
        .offset:         8
        .size:           8
        .value_kind:     global_buffer
      - .offset:         16
        .size:           4
        .value_kind:     by_value
      - .offset:         20
        .size:           4
        .value_kind:     by_value
      - .offset:         24
        .size:           4
        .value_kind:     by_value
      - .address_space:  global
        .offset:         32
        .size:           8
        .value_kind:     global_buffer
      - .offset:         40
        .size:           4
        .value_kind:     by_value
      - .offset:         44
        .size:           1
        .value_kind:     by_value
      - .offset:         48
        .size:           4
        .value_kind:     hidden_block_count_x
      - .offset:         52
        .size:           4
        .value_kind:     hidden_block_count_y
      - .offset:         56
        .size:           4
        .value_kind:     hidden_block_count_z
      - .offset:         60
        .size:           2
        .value_kind:     hidden_group_size_x
      - .offset:         62
        .size:           2
        .value_kind:     hidden_group_size_y
      - .offset:         64
        .size:           2
        .value_kind:     hidden_group_size_z
      - .offset:         66
        .size:           2
        .value_kind:     hidden_remainder_x
      - .offset:         68
        .size:           2
        .value_kind:     hidden_remainder_y
      - .offset:         70
        .size:           2
        .value_kind:     hidden_remainder_z
      - .offset:         88
        .size:           8
        .value_kind:     hidden_global_offset_x
      - .offset:         96
        .size:           8
        .value_kind:     hidden_global_offset_y
      - .offset:         104
        .size:           8
        .value_kind:     hidden_global_offset_z
      - .offset:         112
        .size:           2
        .value_kind:     hidden_grid_dims
    .group_segment_fixed_size: 0
    .kernarg_segment_align: 8
    .kernarg_segment_size: 304
    .language:       OpenCL C
    .language_version:
      - 2
      - 0
    .max_flat_workgroup_size: 1024
    .name:           _ZN12_GLOBAL__N_120softmax_warp_forwardIdddLi3ELb1ELb0ELi64EEEvPT0_PKT_iiiPKbib
    .private_segment_fixed_size: 0
    .sgpr_count:     44
    .sgpr_spill_count: 0
    .symbol:         _ZN12_GLOBAL__N_120softmax_warp_forwardIdddLi3ELb1ELb0ELi64EEEvPT0_PKT_iiiPKbib.kd
    .uniform_work_group_size: 1
    .uses_dynamic_stack: false
    .vgpr_count:     36
    .vgpr_spill_count: 0
    .wavefront_size: 64
  - .agpr_count:     0
    .args:
      - .address_space:  global
        .offset:         0
        .size:           8
        .value_kind:     global_buffer
      - .address_space:  global
        .offset:         8
        .size:           8
        .value_kind:     global_buffer
      - .offset:         16
        .size:           4
        .value_kind:     by_value
      - .offset:         20
        .size:           4
        .value_kind:     by_value
      - .offset:         24
        .size:           4
        .value_kind:     by_value
      - .address_space:  global
        .offset:         32
        .size:           8
        .value_kind:     global_buffer
      - .offset:         40
        .size:           4
        .value_kind:     by_value
      - .offset:         44
        .size:           1
        .value_kind:     by_value
      - .offset:         48
        .size:           4
        .value_kind:     hidden_block_count_x
      - .offset:         52
        .size:           4
        .value_kind:     hidden_block_count_y
      - .offset:         56
        .size:           4
        .value_kind:     hidden_block_count_z
      - .offset:         60
        .size:           2
        .value_kind:     hidden_group_size_x
      - .offset:         62
        .size:           2
        .value_kind:     hidden_group_size_y
      - .offset:         64
        .size:           2
        .value_kind:     hidden_group_size_z
      - .offset:         66
        .size:           2
        .value_kind:     hidden_remainder_x
      - .offset:         68
        .size:           2
        .value_kind:     hidden_remainder_y
      - .offset:         70
        .size:           2
        .value_kind:     hidden_remainder_z
      - .offset:         88
        .size:           8
        .value_kind:     hidden_global_offset_x
      - .offset:         96
        .size:           8
        .value_kind:     hidden_global_offset_y
      - .offset:         104
        .size:           8
        .value_kind:     hidden_global_offset_z
      - .offset:         112
        .size:           2
        .value_kind:     hidden_grid_dims
    .group_segment_fixed_size: 0
    .kernarg_segment_align: 8
    .kernarg_segment_size: 304
    .language:       OpenCL C
    .language_version:
      - 2
      - 0
    .max_flat_workgroup_size: 1024
    .name:           _ZN12_GLOBAL__N_120softmax_warp_forwardIdddLi3ELb1ELb0ELi32EEEvPT0_PKT_iiiPKbib
    .private_segment_fixed_size: 0
    .sgpr_count:     44
    .sgpr_spill_count: 0
    .symbol:         _ZN12_GLOBAL__N_120softmax_warp_forwardIdddLi3ELb1ELb0ELi32EEEvPT0_PKT_iiiPKbib.kd
    .uniform_work_group_size: 1
    .uses_dynamic_stack: false
    .vgpr_count:     36
    .vgpr_spill_count: 0
    .wavefront_size: 64
  - .agpr_count:     0
    .args:
      - .address_space:  global
        .offset:         0
        .size:           8
        .value_kind:     global_buffer
      - .address_space:  global
        .offset:         8
        .size:           8
        .value_kind:     global_buffer
      - .offset:         16
        .size:           4
        .value_kind:     by_value
      - .offset:         20
        .size:           4
        .value_kind:     by_value
      - .offset:         24
        .size:           4
        .value_kind:     by_value
      - .address_space:  global
        .offset:         32
        .size:           8
        .value_kind:     global_buffer
      - .offset:         40
        .size:           4
        .value_kind:     by_value
      - .offset:         44
        .size:           1
        .value_kind:     by_value
      - .offset:         48
        .size:           4
        .value_kind:     hidden_block_count_x
      - .offset:         52
        .size:           4
        .value_kind:     hidden_block_count_y
      - .offset:         56
        .size:           4
        .value_kind:     hidden_block_count_z
      - .offset:         60
        .size:           2
        .value_kind:     hidden_group_size_x
      - .offset:         62
        .size:           2
        .value_kind:     hidden_group_size_y
      - .offset:         64
        .size:           2
        .value_kind:     hidden_group_size_z
      - .offset:         66
        .size:           2
        .value_kind:     hidden_remainder_x
      - .offset:         68
        .size:           2
        .value_kind:     hidden_remainder_y
      - .offset:         70
        .size:           2
        .value_kind:     hidden_remainder_z
      - .offset:         88
        .size:           8
        .value_kind:     hidden_global_offset_x
      - .offset:         96
        .size:           8
        .value_kind:     hidden_global_offset_y
      - .offset:         104
        .size:           8
        .value_kind:     hidden_global_offset_z
      - .offset:         112
        .size:           2
        .value_kind:     hidden_grid_dims
    .group_segment_fixed_size: 0
    .kernarg_segment_align: 8
    .kernarg_segment_size: 304
    .language:       OpenCL C
    .language_version:
      - 2
      - 0
    .max_flat_workgroup_size: 1024
    .name:           _ZN12_GLOBAL__N_120softmax_warp_forwardIdddLi4ELb1ELb0ELi64EEEvPT0_PKT_iiiPKbib
    .private_segment_fixed_size: 0
    .sgpr_count:     44
    .sgpr_spill_count: 0
    .symbol:         _ZN12_GLOBAL__N_120softmax_warp_forwardIdddLi4ELb1ELb0ELi64EEEvPT0_PKT_iiiPKbib.kd
    .uniform_work_group_size: 1
    .uses_dynamic_stack: false
    .vgpr_count:     36
    .vgpr_spill_count: 0
    .wavefront_size: 64
  - .agpr_count:     0
    .args:
      - .address_space:  global
        .offset:         0
        .size:           8
        .value_kind:     global_buffer
      - .address_space:  global
        .offset:         8
        .size:           8
        .value_kind:     global_buffer
      - .offset:         16
        .size:           4
        .value_kind:     by_value
      - .offset:         20
        .size:           4
        .value_kind:     by_value
      - .offset:         24
        .size:           4
        .value_kind:     by_value
      - .address_space:  global
        .offset:         32
        .size:           8
        .value_kind:     global_buffer
      - .offset:         40
        .size:           4
        .value_kind:     by_value
      - .offset:         44
        .size:           1
        .value_kind:     by_value
      - .offset:         48
        .size:           4
        .value_kind:     hidden_block_count_x
      - .offset:         52
        .size:           4
        .value_kind:     hidden_block_count_y
      - .offset:         56
        .size:           4
        .value_kind:     hidden_block_count_z
      - .offset:         60
        .size:           2
        .value_kind:     hidden_group_size_x
      - .offset:         62
        .size:           2
        .value_kind:     hidden_group_size_y
      - .offset:         64
        .size:           2
        .value_kind:     hidden_group_size_z
      - .offset:         66
        .size:           2
        .value_kind:     hidden_remainder_x
      - .offset:         68
        .size:           2
        .value_kind:     hidden_remainder_y
      - .offset:         70
        .size:           2
        .value_kind:     hidden_remainder_z
      - .offset:         88
        .size:           8
        .value_kind:     hidden_global_offset_x
      - .offset:         96
        .size:           8
        .value_kind:     hidden_global_offset_y
      - .offset:         104
        .size:           8
        .value_kind:     hidden_global_offset_z
      - .offset:         112
        .size:           2
        .value_kind:     hidden_grid_dims
    .group_segment_fixed_size: 0
    .kernarg_segment_align: 8
    .kernarg_segment_size: 304
    .language:       OpenCL C
    .language_version:
      - 2
      - 0
    .max_flat_workgroup_size: 1024
    .name:           _ZN12_GLOBAL__N_120softmax_warp_forwardIdddLi4ELb1ELb0ELi32EEEvPT0_PKT_iiiPKbib
    .private_segment_fixed_size: 0
    .sgpr_count:     44
    .sgpr_spill_count: 0
    .symbol:         _ZN12_GLOBAL__N_120softmax_warp_forwardIdddLi4ELb1ELb0ELi32EEEvPT0_PKT_iiiPKbib.kd
    .uniform_work_group_size: 1
    .uses_dynamic_stack: false
    .vgpr_count:     36
    .vgpr_spill_count: 0
    .wavefront_size: 64
  - .agpr_count:     0
    .args:
      - .address_space:  global
        .offset:         0
        .size:           8
        .value_kind:     global_buffer
      - .address_space:  global
        .offset:         8
        .size:           8
        .value_kind:     global_buffer
      - .offset:         16
        .size:           4
        .value_kind:     by_value
      - .offset:         20
        .size:           4
        .value_kind:     by_value
      - .offset:         24
        .size:           4
        .value_kind:     by_value
      - .address_space:  global
        .offset:         32
        .size:           8
        .value_kind:     global_buffer
      - .offset:         40
        .size:           4
        .value_kind:     by_value
      - .offset:         44
        .size:           1
        .value_kind:     by_value
      - .offset:         48
        .size:           4
        .value_kind:     hidden_block_count_x
      - .offset:         52
        .size:           4
        .value_kind:     hidden_block_count_y
      - .offset:         56
        .size:           4
        .value_kind:     hidden_block_count_z
      - .offset:         60
        .size:           2
        .value_kind:     hidden_group_size_x
      - .offset:         62
        .size:           2
        .value_kind:     hidden_group_size_y
      - .offset:         64
        .size:           2
        .value_kind:     hidden_group_size_z
      - .offset:         66
        .size:           2
        .value_kind:     hidden_remainder_x
      - .offset:         68
        .size:           2
        .value_kind:     hidden_remainder_y
      - .offset:         70
        .size:           2
        .value_kind:     hidden_remainder_z
      - .offset:         88
        .size:           8
        .value_kind:     hidden_global_offset_x
      - .offset:         96
        .size:           8
        .value_kind:     hidden_global_offset_y
      - .offset:         104
        .size:           8
        .value_kind:     hidden_global_offset_z
      - .offset:         112
        .size:           2
        .value_kind:     hidden_grid_dims
    .group_segment_fixed_size: 0
    .kernarg_segment_align: 8
    .kernarg_segment_size: 304
    .language:       OpenCL C
    .language_version:
      - 2
      - 0
    .max_flat_workgroup_size: 1024
    .name:           _ZN12_GLOBAL__N_120softmax_warp_forwardIdddLi5ELb1ELb0ELi64EEEvPT0_PKT_iiiPKbib
    .private_segment_fixed_size: 0
    .sgpr_count:     44
    .sgpr_spill_count: 0
    .symbol:         _ZN12_GLOBAL__N_120softmax_warp_forwardIdddLi5ELb1ELb0ELi64EEEvPT0_PKT_iiiPKbib.kd
    .uniform_work_group_size: 1
    .uses_dynamic_stack: false
    .vgpr_count:     36
    .vgpr_spill_count: 0
    .wavefront_size: 64
  - .agpr_count:     0
    .args:
      - .address_space:  global
        .offset:         0
        .size:           8
        .value_kind:     global_buffer
      - .address_space:  global
        .offset:         8
        .size:           8
        .value_kind:     global_buffer
      - .offset:         16
        .size:           4
        .value_kind:     by_value
      - .offset:         20
        .size:           4
        .value_kind:     by_value
      - .offset:         24
        .size:           4
        .value_kind:     by_value
      - .address_space:  global
        .offset:         32
        .size:           8
        .value_kind:     global_buffer
      - .offset:         40
        .size:           4
        .value_kind:     by_value
      - .offset:         44
        .size:           1
        .value_kind:     by_value
      - .offset:         48
        .size:           4
        .value_kind:     hidden_block_count_x
      - .offset:         52
        .size:           4
        .value_kind:     hidden_block_count_y
      - .offset:         56
        .size:           4
        .value_kind:     hidden_block_count_z
      - .offset:         60
        .size:           2
        .value_kind:     hidden_group_size_x
      - .offset:         62
        .size:           2
        .value_kind:     hidden_group_size_y
      - .offset:         64
        .size:           2
        .value_kind:     hidden_group_size_z
      - .offset:         66
        .size:           2
        .value_kind:     hidden_remainder_x
      - .offset:         68
        .size:           2
        .value_kind:     hidden_remainder_y
      - .offset:         70
        .size:           2
        .value_kind:     hidden_remainder_z
      - .offset:         88
        .size:           8
        .value_kind:     hidden_global_offset_x
      - .offset:         96
        .size:           8
        .value_kind:     hidden_global_offset_y
      - .offset:         104
        .size:           8
        .value_kind:     hidden_global_offset_z
      - .offset:         112
        .size:           2
        .value_kind:     hidden_grid_dims
    .group_segment_fixed_size: 0
    .kernarg_segment_align: 8
    .kernarg_segment_size: 304
    .language:       OpenCL C
    .language_version:
      - 2
      - 0
    .max_flat_workgroup_size: 1024
    .name:           _ZN12_GLOBAL__N_120softmax_warp_forwardIdddLi5ELb1ELb0ELi32EEEvPT0_PKT_iiiPKbib
    .private_segment_fixed_size: 0
    .sgpr_count:     44
    .sgpr_spill_count: 0
    .symbol:         _ZN12_GLOBAL__N_120softmax_warp_forwardIdddLi5ELb1ELb0ELi32EEEvPT0_PKT_iiiPKbib.kd
    .uniform_work_group_size: 1
    .uses_dynamic_stack: false
    .vgpr_count:     36
    .vgpr_spill_count: 0
    .wavefront_size: 64
  - .agpr_count:     0
    .args:
      - .address_space:  global
        .offset:         0
        .size:           8
        .value_kind:     global_buffer
      - .address_space:  global
        .offset:         8
        .size:           8
        .value_kind:     global_buffer
      - .offset:         16
        .size:           4
        .value_kind:     by_value
      - .offset:         20
        .size:           4
        .value_kind:     by_value
      - .offset:         24
        .size:           4
        .value_kind:     by_value
      - .address_space:  global
        .offset:         32
        .size:           8
        .value_kind:     global_buffer
      - .offset:         40
        .size:           4
        .value_kind:     by_value
      - .offset:         44
        .size:           1
        .value_kind:     by_value
      - .offset:         48
        .size:           4
        .value_kind:     hidden_block_count_x
      - .offset:         52
        .size:           4
        .value_kind:     hidden_block_count_y
      - .offset:         56
        .size:           4
        .value_kind:     hidden_block_count_z
      - .offset:         60
        .size:           2
        .value_kind:     hidden_group_size_x
      - .offset:         62
        .size:           2
        .value_kind:     hidden_group_size_y
      - .offset:         64
        .size:           2
        .value_kind:     hidden_group_size_z
      - .offset:         66
        .size:           2
        .value_kind:     hidden_remainder_x
      - .offset:         68
        .size:           2
        .value_kind:     hidden_remainder_y
      - .offset:         70
        .size:           2
        .value_kind:     hidden_remainder_z
      - .offset:         88
        .size:           8
        .value_kind:     hidden_global_offset_x
      - .offset:         96
        .size:           8
        .value_kind:     hidden_global_offset_y
      - .offset:         104
        .size:           8
        .value_kind:     hidden_global_offset_z
      - .offset:         112
        .size:           2
        .value_kind:     hidden_grid_dims
    .group_segment_fixed_size: 0
    .kernarg_segment_align: 8
    .kernarg_segment_size: 304
    .language:       OpenCL C
    .language_version:
      - 2
      - 0
    .max_flat_workgroup_size: 1024
    .name:           _ZN12_GLOBAL__N_120softmax_warp_forwardIdddLi6ELb1ELb0ELi64EEEvPT0_PKT_iiiPKbib
    .private_segment_fixed_size: 0
    .sgpr_count:     44
    .sgpr_spill_count: 0
    .symbol:         _ZN12_GLOBAL__N_120softmax_warp_forwardIdddLi6ELb1ELb0ELi64EEEvPT0_PKT_iiiPKbib.kd
    .uniform_work_group_size: 1
    .uses_dynamic_stack: false
    .vgpr_count:     36
    .vgpr_spill_count: 0
    .wavefront_size: 64
  - .agpr_count:     0
    .args:
      - .address_space:  global
        .offset:         0
        .size:           8
        .value_kind:     global_buffer
      - .address_space:  global
        .offset:         8
        .size:           8
        .value_kind:     global_buffer
      - .offset:         16
        .size:           4
        .value_kind:     by_value
      - .offset:         20
        .size:           4
        .value_kind:     by_value
      - .offset:         24
        .size:           4
        .value_kind:     by_value
      - .address_space:  global
        .offset:         32
        .size:           8
        .value_kind:     global_buffer
      - .offset:         40
        .size:           4
        .value_kind:     by_value
      - .offset:         44
        .size:           1
        .value_kind:     by_value
      - .offset:         48
        .size:           4
        .value_kind:     hidden_block_count_x
      - .offset:         52
        .size:           4
        .value_kind:     hidden_block_count_y
      - .offset:         56
        .size:           4
        .value_kind:     hidden_block_count_z
      - .offset:         60
        .size:           2
        .value_kind:     hidden_group_size_x
      - .offset:         62
        .size:           2
        .value_kind:     hidden_group_size_y
      - .offset:         64
        .size:           2
        .value_kind:     hidden_group_size_z
      - .offset:         66
        .size:           2
        .value_kind:     hidden_remainder_x
      - .offset:         68
        .size:           2
        .value_kind:     hidden_remainder_y
      - .offset:         70
        .size:           2
        .value_kind:     hidden_remainder_z
      - .offset:         88
        .size:           8
        .value_kind:     hidden_global_offset_x
      - .offset:         96
        .size:           8
        .value_kind:     hidden_global_offset_y
      - .offset:         104
        .size:           8
        .value_kind:     hidden_global_offset_z
      - .offset:         112
        .size:           2
        .value_kind:     hidden_grid_dims
    .group_segment_fixed_size: 0
    .kernarg_segment_align: 8
    .kernarg_segment_size: 304
    .language:       OpenCL C
    .language_version:
      - 2
      - 0
    .max_flat_workgroup_size: 1024
    .name:           _ZN12_GLOBAL__N_120softmax_warp_forwardIdddLi6ELb1ELb0ELi32EEEvPT0_PKT_iiiPKbib
    .private_segment_fixed_size: 0
    .sgpr_count:     46
    .sgpr_spill_count: 0
    .symbol:         _ZN12_GLOBAL__N_120softmax_warp_forwardIdddLi6ELb1ELb0ELi32EEEvPT0_PKT_iiiPKbib.kd
    .uniform_work_group_size: 1
    .uses_dynamic_stack: false
    .vgpr_count:     32
    .vgpr_spill_count: 0
    .wavefront_size: 64
  - .agpr_count:     0
    .args:
      - .address_space:  global
        .offset:         0
        .size:           8
        .value_kind:     global_buffer
      - .address_space:  global
        .offset:         8
        .size:           8
        .value_kind:     global_buffer
      - .offset:         16
        .size:           4
        .value_kind:     by_value
      - .offset:         20
        .size:           4
        .value_kind:     by_value
      - .offset:         24
        .size:           4
        .value_kind:     by_value
      - .address_space:  global
        .offset:         32
        .size:           8
        .value_kind:     global_buffer
      - .offset:         40
        .size:           4
        .value_kind:     by_value
      - .offset:         44
        .size:           1
        .value_kind:     by_value
      - .offset:         48
        .size:           4
        .value_kind:     hidden_block_count_x
      - .offset:         52
        .size:           4
        .value_kind:     hidden_block_count_y
      - .offset:         56
        .size:           4
        .value_kind:     hidden_block_count_z
      - .offset:         60
        .size:           2
        .value_kind:     hidden_group_size_x
      - .offset:         62
        .size:           2
        .value_kind:     hidden_group_size_y
      - .offset:         64
        .size:           2
        .value_kind:     hidden_group_size_z
      - .offset:         66
        .size:           2
        .value_kind:     hidden_remainder_x
      - .offset:         68
        .size:           2
        .value_kind:     hidden_remainder_y
      - .offset:         70
        .size:           2
        .value_kind:     hidden_remainder_z
      - .offset:         88
        .size:           8
        .value_kind:     hidden_global_offset_x
      - .offset:         96
        .size:           8
        .value_kind:     hidden_global_offset_y
      - .offset:         104
        .size:           8
        .value_kind:     hidden_global_offset_z
      - .offset:         112
        .size:           2
        .value_kind:     hidden_grid_dims
    .group_segment_fixed_size: 0
    .kernarg_segment_align: 8
    .kernarg_segment_size: 304
    .language:       OpenCL C
    .language_version:
      - 2
      - 0
    .max_flat_workgroup_size: 1024
    .name:           _ZN12_GLOBAL__N_120softmax_warp_forwardIdddLi7ELb1ELb0ELi64EEEvPT0_PKT_iiiPKbib
    .private_segment_fixed_size: 0
    .sgpr_count:     46
    .sgpr_spill_count: 0
    .symbol:         _ZN12_GLOBAL__N_120softmax_warp_forwardIdddLi7ELb1ELb0ELi64EEEvPT0_PKT_iiiPKbib.kd
    .uniform_work_group_size: 1
    .uses_dynamic_stack: false
    .vgpr_count:     32
    .vgpr_spill_count: 0
    .wavefront_size: 64
  - .agpr_count:     0
    .args:
      - .address_space:  global
        .offset:         0
        .size:           8
        .value_kind:     global_buffer
      - .address_space:  global
        .offset:         8
        .size:           8
        .value_kind:     global_buffer
      - .offset:         16
        .size:           4
        .value_kind:     by_value
      - .offset:         20
        .size:           4
        .value_kind:     by_value
      - .offset:         24
        .size:           4
        .value_kind:     by_value
      - .address_space:  global
        .offset:         32
        .size:           8
        .value_kind:     global_buffer
      - .offset:         40
        .size:           4
        .value_kind:     by_value
      - .offset:         44
        .size:           1
        .value_kind:     by_value
      - .offset:         48
        .size:           4
        .value_kind:     hidden_block_count_x
      - .offset:         52
        .size:           4
        .value_kind:     hidden_block_count_y
      - .offset:         56
        .size:           4
        .value_kind:     hidden_block_count_z
      - .offset:         60
        .size:           2
        .value_kind:     hidden_group_size_x
      - .offset:         62
        .size:           2
        .value_kind:     hidden_group_size_y
      - .offset:         64
        .size:           2
        .value_kind:     hidden_group_size_z
      - .offset:         66
        .size:           2
        .value_kind:     hidden_remainder_x
      - .offset:         68
        .size:           2
        .value_kind:     hidden_remainder_y
      - .offset:         70
        .size:           2
        .value_kind:     hidden_remainder_z
      - .offset:         88
        .size:           8
        .value_kind:     hidden_global_offset_x
      - .offset:         96
        .size:           8
        .value_kind:     hidden_global_offset_y
      - .offset:         104
        .size:           8
        .value_kind:     hidden_global_offset_z
      - .offset:         112
        .size:           2
        .value_kind:     hidden_grid_dims
    .group_segment_fixed_size: 0
    .kernarg_segment_align: 8
    .kernarg_segment_size: 304
    .language:       OpenCL C
    .language_version:
      - 2
      - 0
    .max_flat_workgroup_size: 1024
    .name:           _ZN12_GLOBAL__N_120softmax_warp_forwardIdddLi7ELb1ELb0ELi32EEEvPT0_PKT_iiiPKbib
    .private_segment_fixed_size: 0
    .sgpr_count:     50
    .sgpr_spill_count: 0
    .symbol:         _ZN12_GLOBAL__N_120softmax_warp_forwardIdddLi7ELb1ELb0ELi32EEEvPT0_PKT_iiiPKbib.kd
    .uniform_work_group_size: 1
    .uses_dynamic_stack: false
    .vgpr_count:     40
    .vgpr_spill_count: 0
    .wavefront_size: 64
  - .agpr_count:     0
    .args:
      - .address_space:  global
        .offset:         0
        .size:           8
        .value_kind:     global_buffer
      - .address_space:  global
        .offset:         8
        .size:           8
        .value_kind:     global_buffer
      - .offset:         16
        .size:           4
        .value_kind:     by_value
      - .offset:         20
        .size:           4
        .value_kind:     by_value
      - .offset:         24
        .size:           4
        .value_kind:     by_value
      - .address_space:  global
        .offset:         32
        .size:           8
        .value_kind:     global_buffer
      - .offset:         40
        .size:           4
        .value_kind:     by_value
      - .offset:         44
        .size:           1
        .value_kind:     by_value
      - .offset:         48
        .size:           4
        .value_kind:     hidden_block_count_x
      - .offset:         52
        .size:           4
        .value_kind:     hidden_block_count_y
      - .offset:         56
        .size:           4
        .value_kind:     hidden_block_count_z
      - .offset:         60
        .size:           2
        .value_kind:     hidden_group_size_x
      - .offset:         62
        .size:           2
        .value_kind:     hidden_group_size_y
      - .offset:         64
        .size:           2
        .value_kind:     hidden_group_size_z
      - .offset:         66
        .size:           2
        .value_kind:     hidden_remainder_x
      - .offset:         68
        .size:           2
        .value_kind:     hidden_remainder_y
      - .offset:         70
        .size:           2
        .value_kind:     hidden_remainder_z
      - .offset:         88
        .size:           8
        .value_kind:     hidden_global_offset_x
      - .offset:         96
        .size:           8
        .value_kind:     hidden_global_offset_y
      - .offset:         104
        .size:           8
        .value_kind:     hidden_global_offset_z
      - .offset:         112
        .size:           2
        .value_kind:     hidden_grid_dims
    .group_segment_fixed_size: 0
    .kernarg_segment_align: 8
    .kernarg_segment_size: 304
    .language:       OpenCL C
    .language_version:
      - 2
      - 0
    .max_flat_workgroup_size: 1024
    .name:           _ZN12_GLOBAL__N_120softmax_warp_forwardIdddLi8ELb1ELb0ELi64EEEvPT0_PKT_iiiPKbib
    .private_segment_fixed_size: 0
    .sgpr_count:     46
    .sgpr_spill_count: 0
    .symbol:         _ZN12_GLOBAL__N_120softmax_warp_forwardIdddLi8ELb1ELb0ELi64EEEvPT0_PKT_iiiPKbib.kd
    .uniform_work_group_size: 1
    .uses_dynamic_stack: false
    .vgpr_count:     30
    .vgpr_spill_count: 0
    .wavefront_size: 64
  - .agpr_count:     0
    .args:
      - .address_space:  global
        .offset:         0
        .size:           8
        .value_kind:     global_buffer
      - .address_space:  global
        .offset:         8
        .size:           8
        .value_kind:     global_buffer
      - .offset:         16
        .size:           4
        .value_kind:     by_value
      - .offset:         20
        .size:           4
        .value_kind:     by_value
      - .offset:         24
        .size:           4
        .value_kind:     by_value
      - .address_space:  global
        .offset:         32
        .size:           8
        .value_kind:     global_buffer
      - .offset:         40
        .size:           4
        .value_kind:     by_value
      - .offset:         44
        .size:           1
        .value_kind:     by_value
      - .offset:         48
        .size:           4
        .value_kind:     hidden_block_count_x
      - .offset:         52
        .size:           4
        .value_kind:     hidden_block_count_y
      - .offset:         56
        .size:           4
        .value_kind:     hidden_block_count_z
      - .offset:         60
        .size:           2
        .value_kind:     hidden_group_size_x
      - .offset:         62
        .size:           2
        .value_kind:     hidden_group_size_y
      - .offset:         64
        .size:           2
        .value_kind:     hidden_group_size_z
      - .offset:         66
        .size:           2
        .value_kind:     hidden_remainder_x
      - .offset:         68
        .size:           2
        .value_kind:     hidden_remainder_y
      - .offset:         70
        .size:           2
        .value_kind:     hidden_remainder_z
      - .offset:         88
        .size:           8
        .value_kind:     hidden_global_offset_x
      - .offset:         96
        .size:           8
        .value_kind:     hidden_global_offset_y
      - .offset:         104
        .size:           8
        .value_kind:     hidden_global_offset_z
      - .offset:         112
        .size:           2
        .value_kind:     hidden_grid_dims
    .group_segment_fixed_size: 0
    .kernarg_segment_align: 8
    .kernarg_segment_size: 304
    .language:       OpenCL C
    .language_version:
      - 2
      - 0
    .max_flat_workgroup_size: 1024
    .name:           _ZN12_GLOBAL__N_120softmax_warp_forwardIdddLi8ELb1ELb0ELi32EEEvPT0_PKT_iiiPKbib
    .private_segment_fixed_size: 0
    .sgpr_count:     54
    .sgpr_spill_count: 0
    .symbol:         _ZN12_GLOBAL__N_120softmax_warp_forwardIdddLi8ELb1ELb0ELi32EEEvPT0_PKT_iiiPKbib.kd
    .uniform_work_group_size: 1
    .uses_dynamic_stack: false
    .vgpr_count:     37
    .vgpr_spill_count: 0
    .wavefront_size: 64
  - .agpr_count:     0
    .args:
      - .address_space:  global
        .offset:         0
        .size:           8
        .value_kind:     global_buffer
      - .address_space:  global
        .offset:         8
        .size:           8
        .value_kind:     global_buffer
      - .offset:         16
        .size:           4
        .value_kind:     by_value
      - .offset:         20
        .size:           4
        .value_kind:     by_value
      - .offset:         24
        .size:           4
        .value_kind:     by_value
      - .address_space:  global
        .offset:         32
        .size:           8
        .value_kind:     global_buffer
      - .offset:         40
        .size:           4
        .value_kind:     by_value
      - .offset:         44
        .size:           1
        .value_kind:     by_value
      - .offset:         48
        .size:           4
        .value_kind:     hidden_block_count_x
      - .offset:         52
        .size:           4
        .value_kind:     hidden_block_count_y
      - .offset:         56
        .size:           4
        .value_kind:     hidden_block_count_z
      - .offset:         60
        .size:           2
        .value_kind:     hidden_group_size_x
      - .offset:         62
        .size:           2
        .value_kind:     hidden_group_size_y
      - .offset:         64
        .size:           2
        .value_kind:     hidden_group_size_z
      - .offset:         66
        .size:           2
        .value_kind:     hidden_remainder_x
      - .offset:         68
        .size:           2
        .value_kind:     hidden_remainder_y
      - .offset:         70
        .size:           2
        .value_kind:     hidden_remainder_z
      - .offset:         88
        .size:           8
        .value_kind:     hidden_global_offset_x
      - .offset:         96
        .size:           8
        .value_kind:     hidden_global_offset_y
      - .offset:         104
        .size:           8
        .value_kind:     hidden_global_offset_z
      - .offset:         112
        .size:           2
        .value_kind:     hidden_grid_dims
    .group_segment_fixed_size: 0
    .kernarg_segment_align: 8
    .kernarg_segment_size: 304
    .language:       OpenCL C
    .language_version:
      - 2
      - 0
    .max_flat_workgroup_size: 1024
    .name:           _ZN12_GLOBAL__N_120softmax_warp_forwardIdddLi9ELb1ELb0ELi64EEEvPT0_PKT_iiiPKbib
    .private_segment_fixed_size: 0
    .sgpr_count:     54
    .sgpr_spill_count: 0
    .symbol:         _ZN12_GLOBAL__N_120softmax_warp_forwardIdddLi9ELb1ELb0ELi64EEEvPT0_PKT_iiiPKbib.kd
    .uniform_work_group_size: 1
    .uses_dynamic_stack: false
    .vgpr_count:     38
    .vgpr_spill_count: 0
    .wavefront_size: 64
  - .agpr_count:     0
    .args:
      - .address_space:  global
        .offset:         0
        .size:           8
        .value_kind:     global_buffer
      - .address_space:  global
        .offset:         8
        .size:           8
        .value_kind:     global_buffer
      - .offset:         16
        .size:           4
        .value_kind:     by_value
      - .offset:         20
        .size:           4
        .value_kind:     by_value
      - .offset:         24
        .size:           4
        .value_kind:     by_value
      - .address_space:  global
        .offset:         32
        .size:           8
        .value_kind:     global_buffer
      - .offset:         40
        .size:           4
        .value_kind:     by_value
      - .offset:         44
        .size:           1
        .value_kind:     by_value
      - .offset:         48
        .size:           4
        .value_kind:     hidden_block_count_x
      - .offset:         52
        .size:           4
        .value_kind:     hidden_block_count_y
      - .offset:         56
        .size:           4
        .value_kind:     hidden_block_count_z
      - .offset:         60
        .size:           2
        .value_kind:     hidden_group_size_x
      - .offset:         62
        .size:           2
        .value_kind:     hidden_group_size_y
      - .offset:         64
        .size:           2
        .value_kind:     hidden_group_size_z
      - .offset:         66
        .size:           2
        .value_kind:     hidden_remainder_x
      - .offset:         68
        .size:           2
        .value_kind:     hidden_remainder_y
      - .offset:         70
        .size:           2
        .value_kind:     hidden_remainder_z
      - .offset:         88
        .size:           8
        .value_kind:     hidden_global_offset_x
      - .offset:         96
        .size:           8
        .value_kind:     hidden_global_offset_y
      - .offset:         104
        .size:           8
        .value_kind:     hidden_global_offset_z
      - .offset:         112
        .size:           2
        .value_kind:     hidden_grid_dims
    .group_segment_fixed_size: 0
    .kernarg_segment_align: 8
    .kernarg_segment_size: 304
    .language:       OpenCL C
    .language_version:
      - 2
      - 0
    .max_flat_workgroup_size: 1024
    .name:           _ZN12_GLOBAL__N_120softmax_warp_forwardIdddLi9ELb1ELb0ELi32EEEvPT0_PKT_iiiPKbib
    .private_segment_fixed_size: 0
    .sgpr_count:     70
    .sgpr_spill_count: 0
    .symbol:         _ZN12_GLOBAL__N_120softmax_warp_forwardIdddLi9ELb1ELb0ELi32EEEvPT0_PKT_iiiPKbib.kd
    .uniform_work_group_size: 1
    .uses_dynamic_stack: false
    .vgpr_count:     54
    .vgpr_spill_count: 0
    .wavefront_size: 64
  - .agpr_count:     0
    .args:
      - .address_space:  global
        .offset:         0
        .size:           8
        .value_kind:     global_buffer
      - .address_space:  global
        .offset:         8
        .size:           8
        .value_kind:     global_buffer
      - .offset:         16
        .size:           4
        .value_kind:     by_value
      - .offset:         20
        .size:           4
        .value_kind:     by_value
      - .offset:         24
        .size:           4
        .value_kind:     by_value
      - .address_space:  global
        .offset:         32
        .size:           8
        .value_kind:     global_buffer
      - .offset:         40
        .size:           4
        .value_kind:     by_value
      - .offset:         44
        .size:           1
        .value_kind:     by_value
      - .offset:         48
        .size:           4
        .value_kind:     hidden_block_count_x
      - .offset:         52
        .size:           4
        .value_kind:     hidden_block_count_y
      - .offset:         56
        .size:           4
        .value_kind:     hidden_block_count_z
      - .offset:         60
        .size:           2
        .value_kind:     hidden_group_size_x
      - .offset:         62
        .size:           2
        .value_kind:     hidden_group_size_y
      - .offset:         64
        .size:           2
        .value_kind:     hidden_group_size_z
      - .offset:         66
        .size:           2
        .value_kind:     hidden_remainder_x
      - .offset:         68
        .size:           2
        .value_kind:     hidden_remainder_y
      - .offset:         70
        .size:           2
        .value_kind:     hidden_remainder_z
      - .offset:         88
        .size:           8
        .value_kind:     hidden_global_offset_x
      - .offset:         96
        .size:           8
        .value_kind:     hidden_global_offset_y
      - .offset:         104
        .size:           8
        .value_kind:     hidden_global_offset_z
      - .offset:         112
        .size:           2
        .value_kind:     hidden_grid_dims
    .group_segment_fixed_size: 0
    .kernarg_segment_align: 8
    .kernarg_segment_size: 304
    .language:       OpenCL C
    .language_version:
      - 2
      - 0
    .max_flat_workgroup_size: 1024
    .name:           _ZN12_GLOBAL__N_120softmax_warp_forwardIdddLi10ELb1ELb0ELi64EEEvPT0_PKT_iiiPKbib
    .private_segment_fixed_size: 0
    .sgpr_count:     70
    .sgpr_spill_count: 0
    .symbol:         _ZN12_GLOBAL__N_120softmax_warp_forwardIdddLi10ELb1ELb0ELi64EEEvPT0_PKT_iiiPKbib.kd
    .uniform_work_group_size: 1
    .uses_dynamic_stack: false
    .vgpr_count:     54
    .vgpr_spill_count: 0
    .wavefront_size: 64
  - .agpr_count:     0
    .args:
      - .address_space:  global
        .offset:         0
        .size:           8
        .value_kind:     global_buffer
      - .address_space:  global
        .offset:         8
        .size:           8
        .value_kind:     global_buffer
      - .offset:         16
        .size:           4
        .value_kind:     by_value
      - .offset:         20
        .size:           4
        .value_kind:     by_value
      - .offset:         24
        .size:           4
        .value_kind:     by_value
      - .address_space:  global
        .offset:         32
        .size:           8
        .value_kind:     global_buffer
      - .offset:         40
        .size:           4
        .value_kind:     by_value
      - .offset:         44
        .size:           1
        .value_kind:     by_value
      - .offset:         48
        .size:           4
        .value_kind:     hidden_block_count_x
      - .offset:         52
        .size:           4
        .value_kind:     hidden_block_count_y
      - .offset:         56
        .size:           4
        .value_kind:     hidden_block_count_z
      - .offset:         60
        .size:           2
        .value_kind:     hidden_group_size_x
      - .offset:         62
        .size:           2
        .value_kind:     hidden_group_size_y
      - .offset:         64
        .size:           2
        .value_kind:     hidden_group_size_z
      - .offset:         66
        .size:           2
        .value_kind:     hidden_remainder_x
      - .offset:         68
        .size:           2
        .value_kind:     hidden_remainder_y
      - .offset:         70
        .size:           2
        .value_kind:     hidden_remainder_z
      - .offset:         88
        .size:           8
        .value_kind:     hidden_global_offset_x
      - .offset:         96
        .size:           8
        .value_kind:     hidden_global_offset_y
      - .offset:         104
        .size:           8
        .value_kind:     hidden_global_offset_z
      - .offset:         112
        .size:           2
        .value_kind:     hidden_grid_dims
    .group_segment_fixed_size: 0
    .kernarg_segment_align: 8
    .kernarg_segment_size: 304
    .language:       OpenCL C
    .language_version:
      - 2
      - 0
    .max_flat_workgroup_size: 1024
    .name:           _ZN12_GLOBAL__N_120softmax_warp_forwardIdddLi10ELb1ELb0ELi32EEEvPT0_PKT_iiiPKbib
    .private_segment_fixed_size: 0
    .sgpr_count:     100
    .sgpr_spill_count: 2
    .symbol:         _ZN12_GLOBAL__N_120softmax_warp_forwardIdddLi10ELb1ELb0ELi32EEEvPT0_PKT_iiiPKbib.kd
    .uniform_work_group_size: 1
    .uses_dynamic_stack: false
    .vgpr_count:     87
    .vgpr_spill_count: 0
    .wavefront_size: 64
  - .agpr_count:     0
    .args:
      - .address_space:  global
        .offset:         0
        .size:           8
        .value_kind:     global_buffer
      - .address_space:  global
        .offset:         8
        .size:           8
        .value_kind:     global_buffer
      - .offset:         16
        .size:           4
        .value_kind:     by_value
      - .offset:         20
        .size:           4
        .value_kind:     by_value
      - .offset:         24
        .size:           4
        .value_kind:     by_value
      - .address_space:  global
        .offset:         32
        .size:           8
        .value_kind:     global_buffer
      - .offset:         40
        .size:           4
        .value_kind:     by_value
      - .offset:         44
        .size:           1
        .value_kind:     by_value
      - .offset:         48
        .size:           4
        .value_kind:     hidden_block_count_x
      - .offset:         52
        .size:           4
        .value_kind:     hidden_block_count_y
      - .offset:         56
        .size:           4
        .value_kind:     hidden_block_count_z
      - .offset:         60
        .size:           2
        .value_kind:     hidden_group_size_x
      - .offset:         62
        .size:           2
        .value_kind:     hidden_group_size_y
      - .offset:         64
        .size:           2
        .value_kind:     hidden_group_size_z
      - .offset:         66
        .size:           2
        .value_kind:     hidden_remainder_x
      - .offset:         68
        .size:           2
        .value_kind:     hidden_remainder_y
      - .offset:         70
        .size:           2
        .value_kind:     hidden_remainder_z
      - .offset:         88
        .size:           8
        .value_kind:     hidden_global_offset_x
      - .offset:         96
        .size:           8
        .value_kind:     hidden_global_offset_y
      - .offset:         104
        .size:           8
        .value_kind:     hidden_global_offset_z
      - .offset:         112
        .size:           2
        .value_kind:     hidden_grid_dims
    .group_segment_fixed_size: 0
    .kernarg_segment_align: 8
    .kernarg_segment_size: 304
    .language:       OpenCL C
    .language_version:
      - 2
      - 0
    .max_flat_workgroup_size: 1024
    .name:           _ZN12_GLOBAL__N_120softmax_warp_forwardIdddLi11ELb1ELb0ELi64EEEvPT0_PKT_iiiPKbib
    .private_segment_fixed_size: 0
    .sgpr_count:     100
    .sgpr_spill_count: 2
    .symbol:         _ZN12_GLOBAL__N_120softmax_warp_forwardIdddLi11ELb1ELb0ELi64EEEvPT0_PKT_iiiPKbib.kd
    .uniform_work_group_size: 1
    .uses_dynamic_stack: false
    .vgpr_count:     89
    .vgpr_spill_count: 0
    .wavefront_size: 64
  - .agpr_count:     0
    .args:
      - .address_space:  global
        .offset:         0
        .size:           8
        .value_kind:     global_buffer
      - .address_space:  global
        .offset:         8
        .size:           8
        .value_kind:     global_buffer
      - .offset:         16
        .size:           4
        .value_kind:     by_value
      - .offset:         20
        .size:           4
        .value_kind:     by_value
      - .offset:         24
        .size:           4
        .value_kind:     by_value
      - .address_space:  global
        .offset:         32
        .size:           8
        .value_kind:     global_buffer
      - .offset:         40
        .size:           4
        .value_kind:     by_value
      - .offset:         44
        .size:           1
        .value_kind:     by_value
      - .offset:         48
        .size:           4
        .value_kind:     hidden_block_count_x
      - .offset:         52
        .size:           4
        .value_kind:     hidden_block_count_y
      - .offset:         56
        .size:           4
        .value_kind:     hidden_block_count_z
      - .offset:         60
        .size:           2
        .value_kind:     hidden_group_size_x
      - .offset:         62
        .size:           2
        .value_kind:     hidden_group_size_y
      - .offset:         64
        .size:           2
        .value_kind:     hidden_group_size_z
      - .offset:         66
        .size:           2
        .value_kind:     hidden_remainder_x
      - .offset:         68
        .size:           2
        .value_kind:     hidden_remainder_y
      - .offset:         70
        .size:           2
        .value_kind:     hidden_remainder_z
      - .offset:         88
        .size:           8
        .value_kind:     hidden_global_offset_x
      - .offset:         96
        .size:           8
        .value_kind:     hidden_global_offset_y
      - .offset:         104
        .size:           8
        .value_kind:     hidden_global_offset_z
      - .offset:         112
        .size:           2
        .value_kind:     hidden_grid_dims
    .group_segment_fixed_size: 0
    .kernarg_segment_align: 8
    .kernarg_segment_size: 304
    .language:       OpenCL C
    .language_version:
      - 2
      - 0
    .max_flat_workgroup_size: 1024
    .name:           _ZN12_GLOBAL__N_120softmax_warp_forwardIdddLi11ELb1ELb0ELi32EEEvPT0_PKT_iiiPKbib
    .private_segment_fixed_size: 260
    .sgpr_count:     104
    .sgpr_spill_count: 66
    .symbol:         _ZN12_GLOBAL__N_120softmax_warp_forwardIdddLi11ELb1ELb0ELi32EEEvPT0_PKT_iiiPKbib.kd
    .uniform_work_group_size: 1
    .uses_dynamic_stack: false
    .vgpr_count:     128
    .vgpr_spill_count: 74
    .wavefront_size: 64
  - .agpr_count:     0
    .args:
      - .address_space:  global
        .offset:         0
        .size:           8
        .value_kind:     global_buffer
      - .address_space:  global
        .offset:         8
        .size:           8
        .value_kind:     global_buffer
      - .offset:         16
        .size:           8
        .value_kind:     by_value
      - .offset:         24
        .size:           4
        .value_kind:     hidden_block_count_x
      - .offset:         28
        .size:           4
        .value_kind:     hidden_block_count_y
      - .offset:         32
        .size:           4
        .value_kind:     hidden_block_count_z
      - .offset:         36
        .size:           2
        .value_kind:     hidden_group_size_x
      - .offset:         38
        .size:           2
        .value_kind:     hidden_group_size_y
      - .offset:         40
        .size:           2
        .value_kind:     hidden_group_size_z
      - .offset:         42
        .size:           2
        .value_kind:     hidden_remainder_x
      - .offset:         44
        .size:           2
        .value_kind:     hidden_remainder_y
      - .offset:         46
        .size:           2
        .value_kind:     hidden_remainder_z
      - .offset:         64
        .size:           8
        .value_kind:     hidden_global_offset_x
      - .offset:         72
        .size:           8
        .value_kind:     hidden_global_offset_y
      - .offset:         80
        .size:           8
        .value_kind:     hidden_global_offset_z
      - .offset:         88
        .size:           2
        .value_kind:     hidden_grid_dims
      - .offset:         144
        .size:           4
        .value_kind:     hidden_dynamic_lds_size
    .group_segment_fixed_size: 0
    .kernarg_segment_align: 8
    .kernarg_segment_size: 280
    .language:       OpenCL C
    .language_version:
      - 2
      - 0
    .max_flat_workgroup_size: 1024
    .name:           _ZN2at6native12_GLOBAL__N_122cunn_SoftMaxForwardRegIdddNS1_25LogSoftMaxForwardEpilogueElLi1EEEvPT1_PKT_T3_
    .private_segment_fixed_size: 0
    .sgpr_count:     22
    .sgpr_spill_count: 0
    .symbol:         _ZN2at6native12_GLOBAL__N_122cunn_SoftMaxForwardRegIdddNS1_25LogSoftMaxForwardEpilogueElLi1EEEvPT1_PKT_T3_.kd
    .uniform_work_group_size: 1
    .uses_dynamic_stack: false
    .vgpr_count:     28
    .vgpr_spill_count: 0
    .wavefront_size: 64
  - .agpr_count:     0
    .args:
      - .address_space:  global
        .offset:         0
        .size:           8
        .value_kind:     global_buffer
      - .address_space:  global
        .offset:         8
        .size:           8
        .value_kind:     global_buffer
      - .offset:         16
        .size:           8
        .value_kind:     by_value
      - .offset:         24
        .size:           4
        .value_kind:     hidden_block_count_x
      - .offset:         28
        .size:           4
        .value_kind:     hidden_block_count_y
      - .offset:         32
        .size:           4
        .value_kind:     hidden_block_count_z
      - .offset:         36
        .size:           2
        .value_kind:     hidden_group_size_x
      - .offset:         38
        .size:           2
        .value_kind:     hidden_group_size_y
      - .offset:         40
        .size:           2
        .value_kind:     hidden_group_size_z
      - .offset:         42
        .size:           2
        .value_kind:     hidden_remainder_x
      - .offset:         44
        .size:           2
        .value_kind:     hidden_remainder_y
      - .offset:         46
        .size:           2
        .value_kind:     hidden_remainder_z
      - .offset:         64
        .size:           8
        .value_kind:     hidden_global_offset_x
      - .offset:         72
        .size:           8
        .value_kind:     hidden_global_offset_y
      - .offset:         80
        .size:           8
        .value_kind:     hidden_global_offset_z
      - .offset:         88
        .size:           2
        .value_kind:     hidden_grid_dims
      - .offset:         144
        .size:           4
        .value_kind:     hidden_dynamic_lds_size
    .group_segment_fixed_size: 0
    .kernarg_segment_align: 8
    .kernarg_segment_size: 280
    .language:       OpenCL C
    .language_version:
      - 2
      - 0
    .max_flat_workgroup_size: 1024
    .name:           _ZN2at6native12_GLOBAL__N_122cunn_SoftMaxForwardRegIdddNS1_25LogSoftMaxForwardEpilogueElLi2EEEvPT1_PKT_T3_
    .private_segment_fixed_size: 0
    .sgpr_count:     25
    .sgpr_spill_count: 0
    .symbol:         _ZN2at6native12_GLOBAL__N_122cunn_SoftMaxForwardRegIdddNS1_25LogSoftMaxForwardEpilogueElLi2EEEvPT1_PKT_T3_.kd
    .uniform_work_group_size: 1
    .uses_dynamic_stack: false
    .vgpr_count:     30
    .vgpr_spill_count: 0
    .wavefront_size: 64
  - .agpr_count:     0
    .args:
      - .address_space:  global
        .offset:         0
        .size:           8
        .value_kind:     global_buffer
      - .address_space:  global
        .offset:         8
        .size:           8
        .value_kind:     global_buffer
      - .offset:         16
        .size:           8
        .value_kind:     by_value
      - .offset:         24
        .size:           4
        .value_kind:     hidden_block_count_x
      - .offset:         28
        .size:           4
        .value_kind:     hidden_block_count_y
      - .offset:         32
        .size:           4
        .value_kind:     hidden_block_count_z
      - .offset:         36
        .size:           2
        .value_kind:     hidden_group_size_x
      - .offset:         38
        .size:           2
        .value_kind:     hidden_group_size_y
      - .offset:         40
        .size:           2
        .value_kind:     hidden_group_size_z
      - .offset:         42
        .size:           2
        .value_kind:     hidden_remainder_x
      - .offset:         44
        .size:           2
        .value_kind:     hidden_remainder_y
      - .offset:         46
        .size:           2
        .value_kind:     hidden_remainder_z
      - .offset:         64
        .size:           8
        .value_kind:     hidden_global_offset_x
      - .offset:         72
        .size:           8
        .value_kind:     hidden_global_offset_y
      - .offset:         80
        .size:           8
        .value_kind:     hidden_global_offset_z
      - .offset:         88
        .size:           2
        .value_kind:     hidden_grid_dims
      - .offset:         144
        .size:           4
        .value_kind:     hidden_dynamic_lds_size
    .group_segment_fixed_size: 0
    .kernarg_segment_align: 8
    .kernarg_segment_size: 280
    .language:       OpenCL C
    .language_version:
      - 2
      - 0
    .max_flat_workgroup_size: 1024
    .name:           _ZN2at6native12_GLOBAL__N_122cunn_SoftMaxForwardRegIdddNS1_25LogSoftMaxForwardEpilogueElLi3EEEvPT1_PKT_T3_
    .private_segment_fixed_size: 0
    .sgpr_count:     27
    .sgpr_spill_count: 0
    .symbol:         _ZN2at6native12_GLOBAL__N_122cunn_SoftMaxForwardRegIdddNS1_25LogSoftMaxForwardEpilogueElLi3EEEvPT1_PKT_T3_.kd
    .uniform_work_group_size: 1
    .uses_dynamic_stack: false
    .vgpr_count:     34
    .vgpr_spill_count: 0
    .wavefront_size: 64
  - .agpr_count:     0
    .args:
      - .address_space:  global
        .offset:         0
        .size:           8
        .value_kind:     global_buffer
      - .address_space:  global
        .offset:         8
        .size:           8
        .value_kind:     global_buffer
      - .offset:         16
        .size:           8
        .value_kind:     by_value
      - .offset:         24
        .size:           4
        .value_kind:     hidden_block_count_x
      - .offset:         28
        .size:           4
        .value_kind:     hidden_block_count_y
      - .offset:         32
        .size:           4
        .value_kind:     hidden_block_count_z
      - .offset:         36
        .size:           2
        .value_kind:     hidden_group_size_x
      - .offset:         38
        .size:           2
        .value_kind:     hidden_group_size_y
      - .offset:         40
        .size:           2
        .value_kind:     hidden_group_size_z
      - .offset:         42
        .size:           2
        .value_kind:     hidden_remainder_x
      - .offset:         44
        .size:           2
        .value_kind:     hidden_remainder_y
      - .offset:         46
        .size:           2
        .value_kind:     hidden_remainder_z
      - .offset:         64
        .size:           8
        .value_kind:     hidden_global_offset_x
      - .offset:         72
        .size:           8
        .value_kind:     hidden_global_offset_y
      - .offset:         80
        .size:           8
        .value_kind:     hidden_global_offset_z
      - .offset:         88
        .size:           2
        .value_kind:     hidden_grid_dims
      - .offset:         144
        .size:           4
        .value_kind:     hidden_dynamic_lds_size
    .group_segment_fixed_size: 0
    .kernarg_segment_align: 8
    .kernarg_segment_size: 280
    .language:       OpenCL C
    .language_version:
      - 2
      - 0
    .max_flat_workgroup_size: 1024
    .name:           _ZN2at6native12_GLOBAL__N_122cunn_SoftMaxForwardRegIdddNS1_25LogSoftMaxForwardEpilogueElLi4EEEvPT1_PKT_T3_
    .private_segment_fixed_size: 0
    .sgpr_count:     29
    .sgpr_spill_count: 0
    .symbol:         _ZN2at6native12_GLOBAL__N_122cunn_SoftMaxForwardRegIdddNS1_25LogSoftMaxForwardEpilogueElLi4EEEvPT1_PKT_T3_.kd
    .uniform_work_group_size: 1
    .uses_dynamic_stack: false
    .vgpr_count:     38
    .vgpr_spill_count: 0
    .wavefront_size: 64
  - .agpr_count:     0
    .args:
      - .address_space:  global
        .offset:         0
        .size:           8
        .value_kind:     global_buffer
      - .address_space:  global
        .offset:         8
        .size:           8
        .value_kind:     global_buffer
      - .offset:         16
        .size:           8
        .value_kind:     by_value
      - .offset:         24
        .size:           4
        .value_kind:     hidden_block_count_x
      - .offset:         28
        .size:           4
        .value_kind:     hidden_block_count_y
      - .offset:         32
        .size:           4
        .value_kind:     hidden_block_count_z
      - .offset:         36
        .size:           2
        .value_kind:     hidden_group_size_x
      - .offset:         38
        .size:           2
        .value_kind:     hidden_group_size_y
      - .offset:         40
        .size:           2
        .value_kind:     hidden_group_size_z
      - .offset:         42
        .size:           2
        .value_kind:     hidden_remainder_x
      - .offset:         44
        .size:           2
        .value_kind:     hidden_remainder_y
      - .offset:         46
        .size:           2
        .value_kind:     hidden_remainder_z
      - .offset:         64
        .size:           8
        .value_kind:     hidden_global_offset_x
      - .offset:         72
        .size:           8
        .value_kind:     hidden_global_offset_y
      - .offset:         80
        .size:           8
        .value_kind:     hidden_global_offset_z
      - .offset:         88
        .size:           2
        .value_kind:     hidden_grid_dims
      - .offset:         144
        .size:           4
        .value_kind:     hidden_dynamic_lds_size
    .group_segment_fixed_size: 0
    .kernarg_segment_align: 8
    .kernarg_segment_size: 280
    .language:       OpenCL C
    .language_version:
      - 2
      - 0
    .max_flat_workgroup_size: 1024
    .name:           _ZN2at6native12_GLOBAL__N_122cunn_SoftMaxForwardRegIdddNS1_25LogSoftMaxForwardEpilogueElLi5EEEvPT1_PKT_T3_
    .private_segment_fixed_size: 0
    .sgpr_count:     31
    .sgpr_spill_count: 0
    .symbol:         _ZN2at6native12_GLOBAL__N_122cunn_SoftMaxForwardRegIdddNS1_25LogSoftMaxForwardEpilogueElLi5EEEvPT1_PKT_T3_.kd
    .uniform_work_group_size: 1
    .uses_dynamic_stack: false
    .vgpr_count:     42
    .vgpr_spill_count: 0
    .wavefront_size: 64
  - .agpr_count:     0
    .args:
      - .address_space:  global
        .offset:         0
        .size:           8
        .value_kind:     global_buffer
      - .address_space:  global
        .offset:         8
        .size:           8
        .value_kind:     global_buffer
      - .offset:         16
        .size:           8
        .value_kind:     by_value
      - .offset:         24
        .size:           4
        .value_kind:     hidden_block_count_x
      - .offset:         28
        .size:           4
        .value_kind:     hidden_block_count_y
      - .offset:         32
        .size:           4
        .value_kind:     hidden_block_count_z
      - .offset:         36
        .size:           2
        .value_kind:     hidden_group_size_x
      - .offset:         38
        .size:           2
        .value_kind:     hidden_group_size_y
      - .offset:         40
        .size:           2
        .value_kind:     hidden_group_size_z
      - .offset:         42
        .size:           2
        .value_kind:     hidden_remainder_x
      - .offset:         44
        .size:           2
        .value_kind:     hidden_remainder_y
      - .offset:         46
        .size:           2
        .value_kind:     hidden_remainder_z
      - .offset:         64
        .size:           8
        .value_kind:     hidden_global_offset_x
      - .offset:         72
        .size:           8
        .value_kind:     hidden_global_offset_y
      - .offset:         80
        .size:           8
        .value_kind:     hidden_global_offset_z
      - .offset:         88
        .size:           2
        .value_kind:     hidden_grid_dims
      - .offset:         144
        .size:           4
        .value_kind:     hidden_dynamic_lds_size
    .group_segment_fixed_size: 0
    .kernarg_segment_align: 8
    .kernarg_segment_size: 280
    .language:       OpenCL C
    .language_version:
      - 2
      - 0
    .max_flat_workgroup_size: 1024
    .name:           _ZN2at6native12_GLOBAL__N_122cunn_SoftMaxForwardRegIdddNS1_25LogSoftMaxForwardEpilogueElLi6EEEvPT1_PKT_T3_
    .private_segment_fixed_size: 0
    .sgpr_count:     33
    .sgpr_spill_count: 0
    .symbol:         _ZN2at6native12_GLOBAL__N_122cunn_SoftMaxForwardRegIdddNS1_25LogSoftMaxForwardEpilogueElLi6EEEvPT1_PKT_T3_.kd
    .uniform_work_group_size: 1
    .uses_dynamic_stack: false
    .vgpr_count:     46
    .vgpr_spill_count: 0
    .wavefront_size: 64
  - .agpr_count:     0
    .args:
      - .address_space:  global
        .offset:         0
        .size:           8
        .value_kind:     global_buffer
      - .address_space:  global
        .offset:         8
        .size:           8
        .value_kind:     global_buffer
      - .offset:         16
        .size:           8
        .value_kind:     by_value
      - .offset:         24
        .size:           4
        .value_kind:     hidden_block_count_x
      - .offset:         28
        .size:           4
        .value_kind:     hidden_block_count_y
      - .offset:         32
        .size:           4
        .value_kind:     hidden_block_count_z
      - .offset:         36
        .size:           2
        .value_kind:     hidden_group_size_x
      - .offset:         38
        .size:           2
        .value_kind:     hidden_group_size_y
      - .offset:         40
        .size:           2
        .value_kind:     hidden_group_size_z
      - .offset:         42
        .size:           2
        .value_kind:     hidden_remainder_x
      - .offset:         44
        .size:           2
        .value_kind:     hidden_remainder_y
      - .offset:         46
        .size:           2
        .value_kind:     hidden_remainder_z
      - .offset:         64
        .size:           8
        .value_kind:     hidden_global_offset_x
      - .offset:         72
        .size:           8
        .value_kind:     hidden_global_offset_y
      - .offset:         80
        .size:           8
        .value_kind:     hidden_global_offset_z
      - .offset:         88
        .size:           2
        .value_kind:     hidden_grid_dims
      - .offset:         144
        .size:           4
        .value_kind:     hidden_dynamic_lds_size
    .group_segment_fixed_size: 0
    .kernarg_segment_align: 8
    .kernarg_segment_size: 280
    .language:       OpenCL C
    .language_version:
      - 2
      - 0
    .max_flat_workgroup_size: 1024
    .name:           _ZN2at6native12_GLOBAL__N_122cunn_SoftMaxForwardRegIdddNS1_25LogSoftMaxForwardEpilogueElLi7EEEvPT1_PKT_T3_
    .private_segment_fixed_size: 0
    .sgpr_count:     35
    .sgpr_spill_count: 0
    .symbol:         _ZN2at6native12_GLOBAL__N_122cunn_SoftMaxForwardRegIdddNS1_25LogSoftMaxForwardEpilogueElLi7EEEvPT1_PKT_T3_.kd
    .uniform_work_group_size: 1
    .uses_dynamic_stack: false
    .vgpr_count:     50
    .vgpr_spill_count: 0
    .wavefront_size: 64
  - .agpr_count:     0
    .args:
      - .address_space:  global
        .offset:         0
        .size:           8
        .value_kind:     global_buffer
      - .address_space:  global
        .offset:         8
        .size:           8
        .value_kind:     global_buffer
      - .offset:         16
        .size:           8
        .value_kind:     by_value
      - .offset:         24
        .size:           4
        .value_kind:     hidden_block_count_x
      - .offset:         28
        .size:           4
        .value_kind:     hidden_block_count_y
      - .offset:         32
        .size:           4
        .value_kind:     hidden_block_count_z
      - .offset:         36
        .size:           2
        .value_kind:     hidden_group_size_x
      - .offset:         38
        .size:           2
        .value_kind:     hidden_group_size_y
      - .offset:         40
        .size:           2
        .value_kind:     hidden_group_size_z
      - .offset:         42
        .size:           2
        .value_kind:     hidden_remainder_x
      - .offset:         44
        .size:           2
        .value_kind:     hidden_remainder_y
      - .offset:         46
        .size:           2
        .value_kind:     hidden_remainder_z
      - .offset:         64
        .size:           8
        .value_kind:     hidden_global_offset_x
      - .offset:         72
        .size:           8
        .value_kind:     hidden_global_offset_y
      - .offset:         80
        .size:           8
        .value_kind:     hidden_global_offset_z
      - .offset:         88
        .size:           2
        .value_kind:     hidden_grid_dims
      - .offset:         144
        .size:           4
        .value_kind:     hidden_dynamic_lds_size
    .group_segment_fixed_size: 0
    .kernarg_segment_align: 8
    .kernarg_segment_size: 280
    .language:       OpenCL C
    .language_version:
      - 2
      - 0
    .max_flat_workgroup_size: 1024
    .name:           _ZN2at6native12_GLOBAL__N_122cunn_SoftMaxForwardRegIdddNS1_25LogSoftMaxForwardEpilogueElLi8EEEvPT1_PKT_T3_
    .private_segment_fixed_size: 0
    .sgpr_count:     38
    .sgpr_spill_count: 0
    .symbol:         _ZN2at6native12_GLOBAL__N_122cunn_SoftMaxForwardRegIdddNS1_25LogSoftMaxForwardEpilogueElLi8EEEvPT1_PKT_T3_.kd
    .uniform_work_group_size: 1
    .uses_dynamic_stack: false
    .vgpr_count:     54
    .vgpr_spill_count: 0
    .wavefront_size: 64
  - .agpr_count:     0
    .args:
      - .address_space:  global
        .offset:         0
        .size:           8
        .value_kind:     global_buffer
      - .address_space:  global
        .offset:         8
        .size:           8
        .value_kind:     global_buffer
      - .offset:         16
        .size:           8
        .value_kind:     by_value
      - .offset:         24
        .size:           4
        .value_kind:     hidden_block_count_x
      - .offset:         28
        .size:           4
        .value_kind:     hidden_block_count_y
      - .offset:         32
        .size:           4
        .value_kind:     hidden_block_count_z
      - .offset:         36
        .size:           2
        .value_kind:     hidden_group_size_x
      - .offset:         38
        .size:           2
        .value_kind:     hidden_group_size_y
      - .offset:         40
        .size:           2
        .value_kind:     hidden_group_size_z
      - .offset:         42
        .size:           2
        .value_kind:     hidden_remainder_x
      - .offset:         44
        .size:           2
        .value_kind:     hidden_remainder_y
      - .offset:         46
        .size:           2
        .value_kind:     hidden_remainder_z
      - .offset:         64
        .size:           8
        .value_kind:     hidden_global_offset_x
      - .offset:         72
        .size:           8
        .value_kind:     hidden_global_offset_y
      - .offset:         80
        .size:           8
        .value_kind:     hidden_global_offset_z
      - .offset:         88
        .size:           2
        .value_kind:     hidden_grid_dims
      - .offset:         144
        .size:           4
        .value_kind:     hidden_dynamic_lds_size
    .group_segment_fixed_size: 0
    .kernarg_segment_align: 8
    .kernarg_segment_size: 280
    .language:       OpenCL C
    .language_version:
      - 2
      - 0
    .max_flat_workgroup_size: 1024
    .name:           _ZN2at6native12_GLOBAL__N_122cunn_SoftMaxForwardRegIdddNS1_25LogSoftMaxForwardEpilogueElLi9EEEvPT1_PKT_T3_
    .private_segment_fixed_size: 0
    .sgpr_count:     40
    .sgpr_spill_count: 0
    .symbol:         _ZN2at6native12_GLOBAL__N_122cunn_SoftMaxForwardRegIdddNS1_25LogSoftMaxForwardEpilogueElLi9EEEvPT1_PKT_T3_.kd
    .uniform_work_group_size: 1
    .uses_dynamic_stack: false
    .vgpr_count:     58
    .vgpr_spill_count: 0
    .wavefront_size: 64
  - .agpr_count:     0
    .args:
      - .address_space:  global
        .offset:         0
        .size:           8
        .value_kind:     global_buffer
      - .address_space:  global
        .offset:         8
        .size:           8
        .value_kind:     global_buffer
      - .offset:         16
        .size:           8
        .value_kind:     by_value
      - .offset:         24
        .size:           4
        .value_kind:     hidden_block_count_x
      - .offset:         28
        .size:           4
        .value_kind:     hidden_block_count_y
      - .offset:         32
        .size:           4
        .value_kind:     hidden_block_count_z
      - .offset:         36
        .size:           2
        .value_kind:     hidden_group_size_x
      - .offset:         38
        .size:           2
        .value_kind:     hidden_group_size_y
      - .offset:         40
        .size:           2
        .value_kind:     hidden_group_size_z
      - .offset:         42
        .size:           2
        .value_kind:     hidden_remainder_x
      - .offset:         44
        .size:           2
        .value_kind:     hidden_remainder_y
      - .offset:         46
        .size:           2
        .value_kind:     hidden_remainder_z
      - .offset:         64
        .size:           8
        .value_kind:     hidden_global_offset_x
      - .offset:         72
        .size:           8
        .value_kind:     hidden_global_offset_y
      - .offset:         80
        .size:           8
        .value_kind:     hidden_global_offset_z
      - .offset:         88
        .size:           2
        .value_kind:     hidden_grid_dims
      - .offset:         144
        .size:           4
        .value_kind:     hidden_dynamic_lds_size
    .group_segment_fixed_size: 0
    .kernarg_segment_align: 8
    .kernarg_segment_size: 280
    .language:       OpenCL C
    .language_version:
      - 2
      - 0
    .max_flat_workgroup_size: 1024
    .name:           _ZN2at6native12_GLOBAL__N_123cunn_SoftMaxForwardSmemILi2EdddNS1_25LogSoftMaxForwardEpilogueElEEvPT2_PKT0_T4_
    .private_segment_fixed_size: 0
    .sgpr_count:     65
    .sgpr_spill_count: 0
    .symbol:         _ZN2at6native12_GLOBAL__N_123cunn_SoftMaxForwardSmemILi2EdddNS1_25LogSoftMaxForwardEpilogueElEEvPT2_PKT0_T4_.kd
    .uniform_work_group_size: 1
    .uses_dynamic_stack: false
    .vgpr_count:     36
    .vgpr_spill_count: 0
    .wavefront_size: 64
  - .agpr_count:     0
    .args:
      - .address_space:  global
        .offset:         0
        .size:           8
        .value_kind:     global_buffer
      - .address_space:  global
        .offset:         8
        .size:           8
        .value_kind:     global_buffer
      - .offset:         16
        .size:           4
        .value_kind:     by_value
      - .offset:         24
        .size:           4
        .value_kind:     hidden_block_count_x
      - .offset:         28
        .size:           4
        .value_kind:     hidden_block_count_y
      - .offset:         32
        .size:           4
        .value_kind:     hidden_block_count_z
      - .offset:         36
        .size:           2
        .value_kind:     hidden_group_size_x
      - .offset:         38
        .size:           2
        .value_kind:     hidden_group_size_y
      - .offset:         40
        .size:           2
        .value_kind:     hidden_group_size_z
      - .offset:         42
        .size:           2
        .value_kind:     hidden_remainder_x
      - .offset:         44
        .size:           2
        .value_kind:     hidden_remainder_y
      - .offset:         46
        .size:           2
        .value_kind:     hidden_remainder_z
      - .offset:         64
        .size:           8
        .value_kind:     hidden_global_offset_x
      - .offset:         72
        .size:           8
        .value_kind:     hidden_global_offset_y
      - .offset:         80
        .size:           8
        .value_kind:     hidden_global_offset_z
      - .offset:         88
        .size:           2
        .value_kind:     hidden_grid_dims
      - .offset:         144
        .size:           4
        .value_kind:     hidden_dynamic_lds_size
    .group_segment_fixed_size: 0
    .kernarg_segment_align: 8
    .kernarg_segment_size: 280
    .language:       OpenCL C
    .language_version:
      - 2
      - 0
    .max_flat_workgroup_size: 1024
    .name:           _ZN2at6native12_GLOBAL__N_119cunn_SoftMaxForwardILi2EdddNS1_25LogSoftMaxForwardEpilogueEEEvPT2_PKT0_i
    .private_segment_fixed_size: 0
    .sgpr_count:     70
    .sgpr_spill_count: 0
    .symbol:         _ZN2at6native12_GLOBAL__N_119cunn_SoftMaxForwardILi2EdddNS1_25LogSoftMaxForwardEpilogueEEEvPT2_PKT0_i.kd
    .uniform_work_group_size: 1
    .uses_dynamic_stack: false
    .vgpr_count:     44
    .vgpr_spill_count: 0
    .wavefront_size: 64
  - .agpr_count:     0
    .args:
      - .address_space:  global
        .offset:         0
        .size:           8
        .value_kind:     global_buffer
      - .address_space:  global
        .offset:         8
        .size:           8
        .value_kind:     global_buffer
      - .offset:         16
        .size:           4
        .value_kind:     by_value
      - .offset:         20
        .size:           4
        .value_kind:     by_value
      - .offset:         24
        .size:           4
        .value_kind:     by_value
      - .address_space:  global
        .offset:         32
        .size:           8
        .value_kind:     global_buffer
      - .offset:         40
        .size:           4
        .value_kind:     by_value
      - .offset:         44
        .size:           1
        .value_kind:     by_value
      - .offset:         48
        .size:           4
        .value_kind:     hidden_block_count_x
      - .offset:         52
        .size:           4
        .value_kind:     hidden_block_count_y
      - .offset:         56
        .size:           4
        .value_kind:     hidden_block_count_z
      - .offset:         60
        .size:           2
        .value_kind:     hidden_group_size_x
      - .offset:         62
        .size:           2
        .value_kind:     hidden_group_size_y
      - .offset:         64
        .size:           2
        .value_kind:     hidden_group_size_z
      - .offset:         66
        .size:           2
        .value_kind:     hidden_remainder_x
      - .offset:         68
        .size:           2
        .value_kind:     hidden_remainder_y
      - .offset:         70
        .size:           2
        .value_kind:     hidden_remainder_z
      - .offset:         88
        .size:           8
        .value_kind:     hidden_global_offset_x
      - .offset:         96
        .size:           8
        .value_kind:     hidden_global_offset_y
      - .offset:         104
        .size:           8
        .value_kind:     hidden_global_offset_z
      - .offset:         112
        .size:           2
        .value_kind:     hidden_grid_dims
    .group_segment_fixed_size: 0
    .kernarg_segment_align: 8
    .kernarg_segment_size: 304
    .language:       OpenCL C
    .language_version:
      - 2
      - 0
    .max_flat_workgroup_size: 1024
    .name:           _ZN12_GLOBAL__N_120softmax_warp_forwardIfffLi0ELb1ELb0ELi64EEEvPT0_PKT_iiiPKbib
    .private_segment_fixed_size: 0
    .sgpr_count:     20
    .sgpr_spill_count: 0
    .symbol:         _ZN12_GLOBAL__N_120softmax_warp_forwardIfffLi0ELb1ELb0ELi64EEEvPT0_PKT_iiiPKbib.kd
    .uniform_work_group_size: 1
    .uses_dynamic_stack: false
    .vgpr_count:     11
    .vgpr_spill_count: 0
    .wavefront_size: 64
  - .agpr_count:     0
    .args:
      - .address_space:  global
        .offset:         0
        .size:           8
        .value_kind:     global_buffer
      - .address_space:  global
        .offset:         8
        .size:           8
        .value_kind:     global_buffer
      - .offset:         16
        .size:           4
        .value_kind:     by_value
      - .offset:         20
        .size:           4
        .value_kind:     by_value
      - .offset:         24
        .size:           4
        .value_kind:     by_value
      - .address_space:  global
        .offset:         32
        .size:           8
        .value_kind:     global_buffer
      - .offset:         40
        .size:           4
        .value_kind:     by_value
      - .offset:         44
        .size:           1
        .value_kind:     by_value
      - .offset:         48
        .size:           4
        .value_kind:     hidden_block_count_x
      - .offset:         52
        .size:           4
        .value_kind:     hidden_block_count_y
      - .offset:         56
        .size:           4
        .value_kind:     hidden_block_count_z
      - .offset:         60
        .size:           2
        .value_kind:     hidden_group_size_x
      - .offset:         62
        .size:           2
        .value_kind:     hidden_group_size_y
      - .offset:         64
        .size:           2
        .value_kind:     hidden_group_size_z
      - .offset:         66
        .size:           2
        .value_kind:     hidden_remainder_x
      - .offset:         68
        .size:           2
        .value_kind:     hidden_remainder_y
      - .offset:         70
        .size:           2
        .value_kind:     hidden_remainder_z
      - .offset:         88
        .size:           8
        .value_kind:     hidden_global_offset_x
      - .offset:         96
        .size:           8
        .value_kind:     hidden_global_offset_y
      - .offset:         104
        .size:           8
        .value_kind:     hidden_global_offset_z
      - .offset:         112
        .size:           2
        .value_kind:     hidden_grid_dims
    .group_segment_fixed_size: 0
    .kernarg_segment_align: 8
    .kernarg_segment_size: 304
    .language:       OpenCL C
    .language_version:
      - 2
      - 0
    .max_flat_workgroup_size: 1024
    .name:           _ZN12_GLOBAL__N_120softmax_warp_forwardIfffLi0ELb1ELb0ELi32EEEvPT0_PKT_iiiPKbib
    .private_segment_fixed_size: 0
    .sgpr_count:     20
    .sgpr_spill_count: 0
    .symbol:         _ZN12_GLOBAL__N_120softmax_warp_forwardIfffLi0ELb1ELb0ELi32EEEvPT0_PKT_iiiPKbib.kd
    .uniform_work_group_size: 1
    .uses_dynamic_stack: false
    .vgpr_count:     11
    .vgpr_spill_count: 0
    .wavefront_size: 64
  - .agpr_count:     0
    .args:
      - .address_space:  global
        .offset:         0
        .size:           8
        .value_kind:     global_buffer
      - .address_space:  global
        .offset:         8
        .size:           8
        .value_kind:     global_buffer
      - .offset:         16
        .size:           4
        .value_kind:     by_value
      - .offset:         20
        .size:           4
        .value_kind:     by_value
      - .offset:         24
        .size:           4
        .value_kind:     by_value
      - .address_space:  global
        .offset:         32
        .size:           8
        .value_kind:     global_buffer
      - .offset:         40
        .size:           4
        .value_kind:     by_value
      - .offset:         44
        .size:           1
        .value_kind:     by_value
      - .offset:         48
        .size:           4
        .value_kind:     hidden_block_count_x
      - .offset:         52
        .size:           4
        .value_kind:     hidden_block_count_y
      - .offset:         56
        .size:           4
        .value_kind:     hidden_block_count_z
      - .offset:         60
        .size:           2
        .value_kind:     hidden_group_size_x
      - .offset:         62
        .size:           2
        .value_kind:     hidden_group_size_y
      - .offset:         64
        .size:           2
        .value_kind:     hidden_group_size_z
      - .offset:         66
        .size:           2
        .value_kind:     hidden_remainder_x
      - .offset:         68
        .size:           2
        .value_kind:     hidden_remainder_y
      - .offset:         70
        .size:           2
        .value_kind:     hidden_remainder_z
      - .offset:         88
        .size:           8
        .value_kind:     hidden_global_offset_x
      - .offset:         96
        .size:           8
        .value_kind:     hidden_global_offset_y
      - .offset:         104
        .size:           8
        .value_kind:     hidden_global_offset_z
      - .offset:         112
        .size:           2
        .value_kind:     hidden_grid_dims
    .group_segment_fixed_size: 0
    .kernarg_segment_align: 8
    .kernarg_segment_size: 304
    .language:       OpenCL C
    .language_version:
      - 2
      - 0
    .max_flat_workgroup_size: 1024
    .name:           _ZN12_GLOBAL__N_120softmax_warp_forwardIfffLi1ELb1ELb0ELi64EEEvPT0_PKT_iiiPKbib
    .private_segment_fixed_size: 0
    .sgpr_count:     20
    .sgpr_spill_count: 0
    .symbol:         _ZN12_GLOBAL__N_120softmax_warp_forwardIfffLi1ELb1ELb0ELi64EEEvPT0_PKT_iiiPKbib.kd
    .uniform_work_group_size: 1
    .uses_dynamic_stack: false
    .vgpr_count:     14
    .vgpr_spill_count: 0
    .wavefront_size: 64
  - .agpr_count:     0
    .args:
      - .address_space:  global
        .offset:         0
        .size:           8
        .value_kind:     global_buffer
      - .address_space:  global
        .offset:         8
        .size:           8
        .value_kind:     global_buffer
      - .offset:         16
        .size:           4
        .value_kind:     by_value
      - .offset:         20
        .size:           4
        .value_kind:     by_value
      - .offset:         24
        .size:           4
        .value_kind:     by_value
      - .address_space:  global
        .offset:         32
        .size:           8
        .value_kind:     global_buffer
      - .offset:         40
        .size:           4
        .value_kind:     by_value
      - .offset:         44
        .size:           1
        .value_kind:     by_value
      - .offset:         48
        .size:           4
        .value_kind:     hidden_block_count_x
      - .offset:         52
        .size:           4
        .value_kind:     hidden_block_count_y
      - .offset:         56
        .size:           4
        .value_kind:     hidden_block_count_z
      - .offset:         60
        .size:           2
        .value_kind:     hidden_group_size_x
      - .offset:         62
        .size:           2
        .value_kind:     hidden_group_size_y
      - .offset:         64
        .size:           2
        .value_kind:     hidden_group_size_z
      - .offset:         66
        .size:           2
        .value_kind:     hidden_remainder_x
      - .offset:         68
        .size:           2
        .value_kind:     hidden_remainder_y
      - .offset:         70
        .size:           2
        .value_kind:     hidden_remainder_z
      - .offset:         88
        .size:           8
        .value_kind:     hidden_global_offset_x
      - .offset:         96
        .size:           8
        .value_kind:     hidden_global_offset_y
      - .offset:         104
        .size:           8
        .value_kind:     hidden_global_offset_z
      - .offset:         112
        .size:           2
        .value_kind:     hidden_grid_dims
    .group_segment_fixed_size: 0
    .kernarg_segment_align: 8
    .kernarg_segment_size: 304
    .language:       OpenCL C
    .language_version:
      - 2
      - 0
    .max_flat_workgroup_size: 1024
    .name:           _ZN12_GLOBAL__N_120softmax_warp_forwardIfffLi1ELb1ELb0ELi32EEEvPT0_PKT_iiiPKbib
    .private_segment_fixed_size: 0
    .sgpr_count:     20
    .sgpr_spill_count: 0
    .symbol:         _ZN12_GLOBAL__N_120softmax_warp_forwardIfffLi1ELb1ELb0ELi32EEEvPT0_PKT_iiiPKbib.kd
    .uniform_work_group_size: 1
    .uses_dynamic_stack: false
    .vgpr_count:     14
    .vgpr_spill_count: 0
    .wavefront_size: 64
  - .agpr_count:     0
    .args:
      - .address_space:  global
        .offset:         0
        .size:           8
        .value_kind:     global_buffer
      - .address_space:  global
        .offset:         8
        .size:           8
        .value_kind:     global_buffer
      - .offset:         16
        .size:           4
        .value_kind:     by_value
      - .offset:         20
        .size:           4
        .value_kind:     by_value
      - .offset:         24
        .size:           4
        .value_kind:     by_value
      - .address_space:  global
        .offset:         32
        .size:           8
        .value_kind:     global_buffer
      - .offset:         40
        .size:           4
        .value_kind:     by_value
      - .offset:         44
        .size:           1
        .value_kind:     by_value
      - .offset:         48
        .size:           4
        .value_kind:     hidden_block_count_x
      - .offset:         52
        .size:           4
        .value_kind:     hidden_block_count_y
      - .offset:         56
        .size:           4
        .value_kind:     hidden_block_count_z
      - .offset:         60
        .size:           2
        .value_kind:     hidden_group_size_x
      - .offset:         62
        .size:           2
        .value_kind:     hidden_group_size_y
      - .offset:         64
        .size:           2
        .value_kind:     hidden_group_size_z
      - .offset:         66
        .size:           2
        .value_kind:     hidden_remainder_x
      - .offset:         68
        .size:           2
        .value_kind:     hidden_remainder_y
      - .offset:         70
        .size:           2
        .value_kind:     hidden_remainder_z
      - .offset:         88
        .size:           8
        .value_kind:     hidden_global_offset_x
      - .offset:         96
        .size:           8
        .value_kind:     hidden_global_offset_y
      - .offset:         104
        .size:           8
        .value_kind:     hidden_global_offset_z
      - .offset:         112
        .size:           2
        .value_kind:     hidden_grid_dims
    .group_segment_fixed_size: 0
    .kernarg_segment_align: 8
    .kernarg_segment_size: 304
    .language:       OpenCL C
    .language_version:
      - 2
      - 0
    .max_flat_workgroup_size: 1024
    .name:           _ZN12_GLOBAL__N_120softmax_warp_forwardIfffLi2ELb1ELb0ELi64EEEvPT0_PKT_iiiPKbib
    .private_segment_fixed_size: 0
    .sgpr_count:     20
    .sgpr_spill_count: 0
    .symbol:         _ZN12_GLOBAL__N_120softmax_warp_forwardIfffLi2ELb1ELb0ELi64EEEvPT0_PKT_iiiPKbib.kd
    .uniform_work_group_size: 1
    .uses_dynamic_stack: false
    .vgpr_count:     15
    .vgpr_spill_count: 0
    .wavefront_size: 64
  - .agpr_count:     0
    .args:
      - .address_space:  global
        .offset:         0
        .size:           8
        .value_kind:     global_buffer
      - .address_space:  global
        .offset:         8
        .size:           8
        .value_kind:     global_buffer
      - .offset:         16
        .size:           4
        .value_kind:     by_value
      - .offset:         20
        .size:           4
        .value_kind:     by_value
      - .offset:         24
        .size:           4
        .value_kind:     by_value
      - .address_space:  global
        .offset:         32
        .size:           8
        .value_kind:     global_buffer
      - .offset:         40
        .size:           4
        .value_kind:     by_value
      - .offset:         44
        .size:           1
        .value_kind:     by_value
      - .offset:         48
        .size:           4
        .value_kind:     hidden_block_count_x
      - .offset:         52
        .size:           4
        .value_kind:     hidden_block_count_y
      - .offset:         56
        .size:           4
        .value_kind:     hidden_block_count_z
      - .offset:         60
        .size:           2
        .value_kind:     hidden_group_size_x
      - .offset:         62
        .size:           2
        .value_kind:     hidden_group_size_y
      - .offset:         64
        .size:           2
        .value_kind:     hidden_group_size_z
      - .offset:         66
        .size:           2
        .value_kind:     hidden_remainder_x
      - .offset:         68
        .size:           2
        .value_kind:     hidden_remainder_y
      - .offset:         70
        .size:           2
        .value_kind:     hidden_remainder_z
      - .offset:         88
        .size:           8
        .value_kind:     hidden_global_offset_x
      - .offset:         96
        .size:           8
        .value_kind:     hidden_global_offset_y
      - .offset:         104
        .size:           8
        .value_kind:     hidden_global_offset_z
      - .offset:         112
        .size:           2
        .value_kind:     hidden_grid_dims
    .group_segment_fixed_size: 0
    .kernarg_segment_align: 8
    .kernarg_segment_size: 304
    .language:       OpenCL C
    .language_version:
      - 2
      - 0
    .max_flat_workgroup_size: 1024
    .name:           _ZN12_GLOBAL__N_120softmax_warp_forwardIfffLi2ELb1ELb0ELi32EEEvPT0_PKT_iiiPKbib
    .private_segment_fixed_size: 0
    .sgpr_count:     20
    .sgpr_spill_count: 0
    .symbol:         _ZN12_GLOBAL__N_120softmax_warp_forwardIfffLi2ELb1ELb0ELi32EEEvPT0_PKT_iiiPKbib.kd
    .uniform_work_group_size: 1
    .uses_dynamic_stack: false
    .vgpr_count:     15
    .vgpr_spill_count: 0
    .wavefront_size: 64
  - .agpr_count:     0
    .args:
      - .address_space:  global
        .offset:         0
        .size:           8
        .value_kind:     global_buffer
      - .address_space:  global
        .offset:         8
        .size:           8
        .value_kind:     global_buffer
      - .offset:         16
        .size:           4
        .value_kind:     by_value
      - .offset:         20
        .size:           4
        .value_kind:     by_value
      - .offset:         24
        .size:           4
        .value_kind:     by_value
      - .address_space:  global
        .offset:         32
        .size:           8
        .value_kind:     global_buffer
      - .offset:         40
        .size:           4
        .value_kind:     by_value
      - .offset:         44
        .size:           1
        .value_kind:     by_value
      - .offset:         48
        .size:           4
        .value_kind:     hidden_block_count_x
      - .offset:         52
        .size:           4
        .value_kind:     hidden_block_count_y
      - .offset:         56
        .size:           4
        .value_kind:     hidden_block_count_z
      - .offset:         60
        .size:           2
        .value_kind:     hidden_group_size_x
      - .offset:         62
        .size:           2
        .value_kind:     hidden_group_size_y
      - .offset:         64
        .size:           2
        .value_kind:     hidden_group_size_z
      - .offset:         66
        .size:           2
        .value_kind:     hidden_remainder_x
      - .offset:         68
        .size:           2
        .value_kind:     hidden_remainder_y
      - .offset:         70
        .size:           2
        .value_kind:     hidden_remainder_z
      - .offset:         88
        .size:           8
        .value_kind:     hidden_global_offset_x
      - .offset:         96
        .size:           8
        .value_kind:     hidden_global_offset_y
      - .offset:         104
        .size:           8
        .value_kind:     hidden_global_offset_z
      - .offset:         112
        .size:           2
        .value_kind:     hidden_grid_dims
    .group_segment_fixed_size: 0
    .kernarg_segment_align: 8
    .kernarg_segment_size: 304
    .language:       OpenCL C
    .language_version:
      - 2
      - 0
    .max_flat_workgroup_size: 1024
    .name:           _ZN12_GLOBAL__N_120softmax_warp_forwardIfffLi3ELb1ELb0ELi64EEEvPT0_PKT_iiiPKbib
    .private_segment_fixed_size: 0
    .sgpr_count:     20
    .sgpr_spill_count: 0
    .symbol:         _ZN12_GLOBAL__N_120softmax_warp_forwardIfffLi3ELb1ELb0ELi64EEEvPT0_PKT_iiiPKbib.kd
    .uniform_work_group_size: 1
    .uses_dynamic_stack: false
    .vgpr_count:     16
    .vgpr_spill_count: 0
    .wavefront_size: 64
  - .agpr_count:     0
    .args:
      - .address_space:  global
        .offset:         0
        .size:           8
        .value_kind:     global_buffer
      - .address_space:  global
        .offset:         8
        .size:           8
        .value_kind:     global_buffer
      - .offset:         16
        .size:           4
        .value_kind:     by_value
      - .offset:         20
        .size:           4
        .value_kind:     by_value
      - .offset:         24
        .size:           4
        .value_kind:     by_value
      - .address_space:  global
        .offset:         32
        .size:           8
        .value_kind:     global_buffer
      - .offset:         40
        .size:           4
        .value_kind:     by_value
      - .offset:         44
        .size:           1
        .value_kind:     by_value
      - .offset:         48
        .size:           4
        .value_kind:     hidden_block_count_x
      - .offset:         52
        .size:           4
        .value_kind:     hidden_block_count_y
      - .offset:         56
        .size:           4
        .value_kind:     hidden_block_count_z
      - .offset:         60
        .size:           2
        .value_kind:     hidden_group_size_x
      - .offset:         62
        .size:           2
        .value_kind:     hidden_group_size_y
      - .offset:         64
        .size:           2
        .value_kind:     hidden_group_size_z
      - .offset:         66
        .size:           2
        .value_kind:     hidden_remainder_x
      - .offset:         68
        .size:           2
        .value_kind:     hidden_remainder_y
      - .offset:         70
        .size:           2
        .value_kind:     hidden_remainder_z
      - .offset:         88
        .size:           8
        .value_kind:     hidden_global_offset_x
      - .offset:         96
        .size:           8
        .value_kind:     hidden_global_offset_y
      - .offset:         104
        .size:           8
        .value_kind:     hidden_global_offset_z
      - .offset:         112
        .size:           2
        .value_kind:     hidden_grid_dims
    .group_segment_fixed_size: 0
    .kernarg_segment_align: 8
    .kernarg_segment_size: 304
    .language:       OpenCL C
    .language_version:
      - 2
      - 0
    .max_flat_workgroup_size: 1024
    .name:           _ZN12_GLOBAL__N_120softmax_warp_forwardIfffLi3ELb1ELb0ELi32EEEvPT0_PKT_iiiPKbib
    .private_segment_fixed_size: 0
    .sgpr_count:     20
    .sgpr_spill_count: 0
    .symbol:         _ZN12_GLOBAL__N_120softmax_warp_forwardIfffLi3ELb1ELb0ELi32EEEvPT0_PKT_iiiPKbib.kd
    .uniform_work_group_size: 1
    .uses_dynamic_stack: false
    .vgpr_count:     16
    .vgpr_spill_count: 0
    .wavefront_size: 64
  - .agpr_count:     0
    .args:
      - .address_space:  global
        .offset:         0
        .size:           8
        .value_kind:     global_buffer
      - .address_space:  global
        .offset:         8
        .size:           8
        .value_kind:     global_buffer
      - .offset:         16
        .size:           4
        .value_kind:     by_value
      - .offset:         20
        .size:           4
        .value_kind:     by_value
      - .offset:         24
        .size:           4
        .value_kind:     by_value
      - .address_space:  global
        .offset:         32
        .size:           8
        .value_kind:     global_buffer
      - .offset:         40
        .size:           4
        .value_kind:     by_value
      - .offset:         44
        .size:           1
        .value_kind:     by_value
      - .offset:         48
        .size:           4
        .value_kind:     hidden_block_count_x
      - .offset:         52
        .size:           4
        .value_kind:     hidden_block_count_y
      - .offset:         56
        .size:           4
        .value_kind:     hidden_block_count_z
      - .offset:         60
        .size:           2
        .value_kind:     hidden_group_size_x
      - .offset:         62
        .size:           2
        .value_kind:     hidden_group_size_y
      - .offset:         64
        .size:           2
        .value_kind:     hidden_group_size_z
      - .offset:         66
        .size:           2
        .value_kind:     hidden_remainder_x
      - .offset:         68
        .size:           2
        .value_kind:     hidden_remainder_y
      - .offset:         70
        .size:           2
        .value_kind:     hidden_remainder_z
      - .offset:         88
        .size:           8
        .value_kind:     hidden_global_offset_x
      - .offset:         96
        .size:           8
        .value_kind:     hidden_global_offset_y
      - .offset:         104
        .size:           8
        .value_kind:     hidden_global_offset_z
      - .offset:         112
        .size:           2
        .value_kind:     hidden_grid_dims
    .group_segment_fixed_size: 0
    .kernarg_segment_align: 8
    .kernarg_segment_size: 304
    .language:       OpenCL C
    .language_version:
      - 2
      - 0
    .max_flat_workgroup_size: 1024
    .name:           _ZN12_GLOBAL__N_120softmax_warp_forwardIfffLi4ELb1ELb0ELi64EEEvPT0_PKT_iiiPKbib
    .private_segment_fixed_size: 0
    .sgpr_count:     20
    .sgpr_spill_count: 0
    .symbol:         _ZN12_GLOBAL__N_120softmax_warp_forwardIfffLi4ELb1ELb0ELi64EEEvPT0_PKT_iiiPKbib.kd
    .uniform_work_group_size: 1
    .uses_dynamic_stack: false
    .vgpr_count:     17
    .vgpr_spill_count: 0
    .wavefront_size: 64
  - .agpr_count:     0
    .args:
      - .address_space:  global
        .offset:         0
        .size:           8
        .value_kind:     global_buffer
      - .address_space:  global
        .offset:         8
        .size:           8
        .value_kind:     global_buffer
      - .offset:         16
        .size:           4
        .value_kind:     by_value
      - .offset:         20
        .size:           4
        .value_kind:     by_value
      - .offset:         24
        .size:           4
        .value_kind:     by_value
      - .address_space:  global
        .offset:         32
        .size:           8
        .value_kind:     global_buffer
      - .offset:         40
        .size:           4
        .value_kind:     by_value
      - .offset:         44
        .size:           1
        .value_kind:     by_value
      - .offset:         48
        .size:           4
        .value_kind:     hidden_block_count_x
      - .offset:         52
        .size:           4
        .value_kind:     hidden_block_count_y
      - .offset:         56
        .size:           4
        .value_kind:     hidden_block_count_z
      - .offset:         60
        .size:           2
        .value_kind:     hidden_group_size_x
      - .offset:         62
        .size:           2
        .value_kind:     hidden_group_size_y
      - .offset:         64
        .size:           2
        .value_kind:     hidden_group_size_z
      - .offset:         66
        .size:           2
        .value_kind:     hidden_remainder_x
      - .offset:         68
        .size:           2
        .value_kind:     hidden_remainder_y
      - .offset:         70
        .size:           2
        .value_kind:     hidden_remainder_z
      - .offset:         88
        .size:           8
        .value_kind:     hidden_global_offset_x
      - .offset:         96
        .size:           8
        .value_kind:     hidden_global_offset_y
      - .offset:         104
        .size:           8
        .value_kind:     hidden_global_offset_z
      - .offset:         112
        .size:           2
        .value_kind:     hidden_grid_dims
    .group_segment_fixed_size: 0
    .kernarg_segment_align: 8
    .kernarg_segment_size: 304
    .language:       OpenCL C
    .language_version:
      - 2
      - 0
    .max_flat_workgroup_size: 1024
    .name:           _ZN12_GLOBAL__N_120softmax_warp_forwardIfffLi4ELb1ELb0ELi32EEEvPT0_PKT_iiiPKbib
    .private_segment_fixed_size: 0
    .sgpr_count:     20
    .sgpr_spill_count: 0
    .symbol:         _ZN12_GLOBAL__N_120softmax_warp_forwardIfffLi4ELb1ELb0ELi32EEEvPT0_PKT_iiiPKbib.kd
    .uniform_work_group_size: 1
    .uses_dynamic_stack: false
    .vgpr_count:     17
    .vgpr_spill_count: 0
    .wavefront_size: 64
  - .agpr_count:     0
    .args:
      - .address_space:  global
        .offset:         0
        .size:           8
        .value_kind:     global_buffer
      - .address_space:  global
        .offset:         8
        .size:           8
        .value_kind:     global_buffer
      - .offset:         16
        .size:           4
        .value_kind:     by_value
      - .offset:         20
        .size:           4
        .value_kind:     by_value
      - .offset:         24
        .size:           4
        .value_kind:     by_value
      - .address_space:  global
        .offset:         32
        .size:           8
        .value_kind:     global_buffer
      - .offset:         40
        .size:           4
        .value_kind:     by_value
      - .offset:         44
        .size:           1
        .value_kind:     by_value
      - .offset:         48
        .size:           4
        .value_kind:     hidden_block_count_x
      - .offset:         52
        .size:           4
        .value_kind:     hidden_block_count_y
      - .offset:         56
        .size:           4
        .value_kind:     hidden_block_count_z
      - .offset:         60
        .size:           2
        .value_kind:     hidden_group_size_x
      - .offset:         62
        .size:           2
        .value_kind:     hidden_group_size_y
      - .offset:         64
        .size:           2
        .value_kind:     hidden_group_size_z
      - .offset:         66
        .size:           2
        .value_kind:     hidden_remainder_x
      - .offset:         68
        .size:           2
        .value_kind:     hidden_remainder_y
      - .offset:         70
        .size:           2
        .value_kind:     hidden_remainder_z
      - .offset:         88
        .size:           8
        .value_kind:     hidden_global_offset_x
      - .offset:         96
        .size:           8
        .value_kind:     hidden_global_offset_y
      - .offset:         104
        .size:           8
        .value_kind:     hidden_global_offset_z
      - .offset:         112
        .size:           2
        .value_kind:     hidden_grid_dims
    .group_segment_fixed_size: 0
    .kernarg_segment_align: 8
    .kernarg_segment_size: 304
    .language:       OpenCL C
    .language_version:
      - 2
      - 0
    .max_flat_workgroup_size: 1024
    .name:           _ZN12_GLOBAL__N_120softmax_warp_forwardIfffLi5ELb1ELb0ELi64EEEvPT0_PKT_iiiPKbib
    .private_segment_fixed_size: 0
    .sgpr_count:     20
    .sgpr_spill_count: 0
    .symbol:         _ZN12_GLOBAL__N_120softmax_warp_forwardIfffLi5ELb1ELb0ELi64EEEvPT0_PKT_iiiPKbib.kd
    .uniform_work_group_size: 1
    .uses_dynamic_stack: false
    .vgpr_count:     18
    .vgpr_spill_count: 0
    .wavefront_size: 64
  - .agpr_count:     0
    .args:
      - .address_space:  global
        .offset:         0
        .size:           8
        .value_kind:     global_buffer
      - .address_space:  global
        .offset:         8
        .size:           8
        .value_kind:     global_buffer
      - .offset:         16
        .size:           4
        .value_kind:     by_value
      - .offset:         20
        .size:           4
        .value_kind:     by_value
      - .offset:         24
        .size:           4
        .value_kind:     by_value
      - .address_space:  global
        .offset:         32
        .size:           8
        .value_kind:     global_buffer
      - .offset:         40
        .size:           4
        .value_kind:     by_value
      - .offset:         44
        .size:           1
        .value_kind:     by_value
      - .offset:         48
        .size:           4
        .value_kind:     hidden_block_count_x
      - .offset:         52
        .size:           4
        .value_kind:     hidden_block_count_y
      - .offset:         56
        .size:           4
        .value_kind:     hidden_block_count_z
      - .offset:         60
        .size:           2
        .value_kind:     hidden_group_size_x
      - .offset:         62
        .size:           2
        .value_kind:     hidden_group_size_y
      - .offset:         64
        .size:           2
        .value_kind:     hidden_group_size_z
      - .offset:         66
        .size:           2
        .value_kind:     hidden_remainder_x
      - .offset:         68
        .size:           2
        .value_kind:     hidden_remainder_y
      - .offset:         70
        .size:           2
        .value_kind:     hidden_remainder_z
      - .offset:         88
        .size:           8
        .value_kind:     hidden_global_offset_x
      - .offset:         96
        .size:           8
        .value_kind:     hidden_global_offset_y
      - .offset:         104
        .size:           8
        .value_kind:     hidden_global_offset_z
      - .offset:         112
        .size:           2
        .value_kind:     hidden_grid_dims
    .group_segment_fixed_size: 0
    .kernarg_segment_align: 8
    .kernarg_segment_size: 304
    .language:       OpenCL C
    .language_version:
      - 2
      - 0
    .max_flat_workgroup_size: 1024
    .name:           _ZN12_GLOBAL__N_120softmax_warp_forwardIfffLi5ELb1ELb0ELi32EEEvPT0_PKT_iiiPKbib
    .private_segment_fixed_size: 0
    .sgpr_count:     20
    .sgpr_spill_count: 0
    .symbol:         _ZN12_GLOBAL__N_120softmax_warp_forwardIfffLi5ELb1ELb0ELi32EEEvPT0_PKT_iiiPKbib.kd
    .uniform_work_group_size: 1
    .uses_dynamic_stack: false
    .vgpr_count:     18
    .vgpr_spill_count: 0
    .wavefront_size: 64
  - .agpr_count:     0
    .args:
      - .address_space:  global
        .offset:         0
        .size:           8
        .value_kind:     global_buffer
      - .address_space:  global
        .offset:         8
        .size:           8
        .value_kind:     global_buffer
      - .offset:         16
        .size:           4
        .value_kind:     by_value
      - .offset:         20
        .size:           4
        .value_kind:     by_value
      - .offset:         24
        .size:           4
        .value_kind:     by_value
      - .address_space:  global
        .offset:         32
        .size:           8
        .value_kind:     global_buffer
      - .offset:         40
        .size:           4
        .value_kind:     by_value
      - .offset:         44
        .size:           1
        .value_kind:     by_value
      - .offset:         48
        .size:           4
        .value_kind:     hidden_block_count_x
      - .offset:         52
        .size:           4
        .value_kind:     hidden_block_count_y
      - .offset:         56
        .size:           4
        .value_kind:     hidden_block_count_z
      - .offset:         60
        .size:           2
        .value_kind:     hidden_group_size_x
      - .offset:         62
        .size:           2
        .value_kind:     hidden_group_size_y
      - .offset:         64
        .size:           2
        .value_kind:     hidden_group_size_z
      - .offset:         66
        .size:           2
        .value_kind:     hidden_remainder_x
      - .offset:         68
        .size:           2
        .value_kind:     hidden_remainder_y
      - .offset:         70
        .size:           2
        .value_kind:     hidden_remainder_z
      - .offset:         88
        .size:           8
        .value_kind:     hidden_global_offset_x
      - .offset:         96
        .size:           8
        .value_kind:     hidden_global_offset_y
      - .offset:         104
        .size:           8
        .value_kind:     hidden_global_offset_z
      - .offset:         112
        .size:           2
        .value_kind:     hidden_grid_dims
    .group_segment_fixed_size: 0
    .kernarg_segment_align: 8
    .kernarg_segment_size: 304
    .language:       OpenCL C
    .language_version:
      - 2
      - 0
    .max_flat_workgroup_size: 1024
    .name:           _ZN12_GLOBAL__N_120softmax_warp_forwardIfffLi6ELb1ELb0ELi64EEEvPT0_PKT_iiiPKbib
    .private_segment_fixed_size: 0
    .sgpr_count:     20
    .sgpr_spill_count: 0
    .symbol:         _ZN12_GLOBAL__N_120softmax_warp_forwardIfffLi6ELb1ELb0ELi64EEEvPT0_PKT_iiiPKbib.kd
    .uniform_work_group_size: 1
    .uses_dynamic_stack: false
    .vgpr_count:     19
    .vgpr_spill_count: 0
    .wavefront_size: 64
  - .agpr_count:     0
    .args:
      - .address_space:  global
        .offset:         0
        .size:           8
        .value_kind:     global_buffer
      - .address_space:  global
        .offset:         8
        .size:           8
        .value_kind:     global_buffer
      - .offset:         16
        .size:           4
        .value_kind:     by_value
      - .offset:         20
        .size:           4
        .value_kind:     by_value
      - .offset:         24
        .size:           4
        .value_kind:     by_value
      - .address_space:  global
        .offset:         32
        .size:           8
        .value_kind:     global_buffer
      - .offset:         40
        .size:           4
        .value_kind:     by_value
      - .offset:         44
        .size:           1
        .value_kind:     by_value
      - .offset:         48
        .size:           4
        .value_kind:     hidden_block_count_x
      - .offset:         52
        .size:           4
        .value_kind:     hidden_block_count_y
      - .offset:         56
        .size:           4
        .value_kind:     hidden_block_count_z
      - .offset:         60
        .size:           2
        .value_kind:     hidden_group_size_x
      - .offset:         62
        .size:           2
        .value_kind:     hidden_group_size_y
      - .offset:         64
        .size:           2
        .value_kind:     hidden_group_size_z
      - .offset:         66
        .size:           2
        .value_kind:     hidden_remainder_x
      - .offset:         68
        .size:           2
        .value_kind:     hidden_remainder_y
      - .offset:         70
        .size:           2
        .value_kind:     hidden_remainder_z
      - .offset:         88
        .size:           8
        .value_kind:     hidden_global_offset_x
      - .offset:         96
        .size:           8
        .value_kind:     hidden_global_offset_y
      - .offset:         104
        .size:           8
        .value_kind:     hidden_global_offset_z
      - .offset:         112
        .size:           2
        .value_kind:     hidden_grid_dims
    .group_segment_fixed_size: 0
    .kernarg_segment_align: 8
    .kernarg_segment_size: 304
    .language:       OpenCL C
    .language_version:
      - 2
      - 0
    .max_flat_workgroup_size: 1024
    .name:           _ZN12_GLOBAL__N_120softmax_warp_forwardIfffLi6ELb1ELb0ELi32EEEvPT0_PKT_iiiPKbib
    .private_segment_fixed_size: 0
    .sgpr_count:     20
    .sgpr_spill_count: 0
    .symbol:         _ZN12_GLOBAL__N_120softmax_warp_forwardIfffLi6ELb1ELb0ELi32EEEvPT0_PKT_iiiPKbib.kd
    .uniform_work_group_size: 1
    .uses_dynamic_stack: false
    .vgpr_count:     23
    .vgpr_spill_count: 0
    .wavefront_size: 64
  - .agpr_count:     0
    .args:
      - .address_space:  global
        .offset:         0
        .size:           8
        .value_kind:     global_buffer
      - .address_space:  global
        .offset:         8
        .size:           8
        .value_kind:     global_buffer
      - .offset:         16
        .size:           4
        .value_kind:     by_value
      - .offset:         20
        .size:           4
        .value_kind:     by_value
      - .offset:         24
        .size:           4
        .value_kind:     by_value
      - .address_space:  global
        .offset:         32
        .size:           8
        .value_kind:     global_buffer
      - .offset:         40
        .size:           4
        .value_kind:     by_value
      - .offset:         44
        .size:           1
        .value_kind:     by_value
      - .offset:         48
        .size:           4
        .value_kind:     hidden_block_count_x
      - .offset:         52
        .size:           4
        .value_kind:     hidden_block_count_y
      - .offset:         56
        .size:           4
        .value_kind:     hidden_block_count_z
      - .offset:         60
        .size:           2
        .value_kind:     hidden_group_size_x
      - .offset:         62
        .size:           2
        .value_kind:     hidden_group_size_y
      - .offset:         64
        .size:           2
        .value_kind:     hidden_group_size_z
      - .offset:         66
        .size:           2
        .value_kind:     hidden_remainder_x
      - .offset:         68
        .size:           2
        .value_kind:     hidden_remainder_y
      - .offset:         70
        .size:           2
        .value_kind:     hidden_remainder_z
      - .offset:         88
        .size:           8
        .value_kind:     hidden_global_offset_x
      - .offset:         96
        .size:           8
        .value_kind:     hidden_global_offset_y
      - .offset:         104
        .size:           8
        .value_kind:     hidden_global_offset_z
      - .offset:         112
        .size:           2
        .value_kind:     hidden_grid_dims
    .group_segment_fixed_size: 0
    .kernarg_segment_align: 8
    .kernarg_segment_size: 304
    .language:       OpenCL C
    .language_version:
      - 2
      - 0
    .max_flat_workgroup_size: 1024
    .name:           _ZN12_GLOBAL__N_120softmax_warp_forwardIfffLi7ELb1ELb0ELi64EEEvPT0_PKT_iiiPKbib
    .private_segment_fixed_size: 0
    .sgpr_count:     20
    .sgpr_spill_count: 0
    .symbol:         _ZN12_GLOBAL__N_120softmax_warp_forwardIfffLi7ELb1ELb0ELi64EEEvPT0_PKT_iiiPKbib.kd
    .uniform_work_group_size: 1
    .uses_dynamic_stack: false
    .vgpr_count:     24
    .vgpr_spill_count: 0
    .wavefront_size: 64
  - .agpr_count:     0
    .args:
      - .address_space:  global
        .offset:         0
        .size:           8
        .value_kind:     global_buffer
      - .address_space:  global
        .offset:         8
        .size:           8
        .value_kind:     global_buffer
      - .offset:         16
        .size:           4
        .value_kind:     by_value
      - .offset:         20
        .size:           4
        .value_kind:     by_value
      - .offset:         24
        .size:           4
        .value_kind:     by_value
      - .address_space:  global
        .offset:         32
        .size:           8
        .value_kind:     global_buffer
      - .offset:         40
        .size:           4
        .value_kind:     by_value
      - .offset:         44
        .size:           1
        .value_kind:     by_value
      - .offset:         48
        .size:           4
        .value_kind:     hidden_block_count_x
      - .offset:         52
        .size:           4
        .value_kind:     hidden_block_count_y
      - .offset:         56
        .size:           4
        .value_kind:     hidden_block_count_z
      - .offset:         60
        .size:           2
        .value_kind:     hidden_group_size_x
      - .offset:         62
        .size:           2
        .value_kind:     hidden_group_size_y
      - .offset:         64
        .size:           2
        .value_kind:     hidden_group_size_z
      - .offset:         66
        .size:           2
        .value_kind:     hidden_remainder_x
      - .offset:         68
        .size:           2
        .value_kind:     hidden_remainder_y
      - .offset:         70
        .size:           2
        .value_kind:     hidden_remainder_z
      - .offset:         88
        .size:           8
        .value_kind:     hidden_global_offset_x
      - .offset:         96
        .size:           8
        .value_kind:     hidden_global_offset_y
      - .offset:         104
        .size:           8
        .value_kind:     hidden_global_offset_z
      - .offset:         112
        .size:           2
        .value_kind:     hidden_grid_dims
    .group_segment_fixed_size: 0
    .kernarg_segment_align: 8
    .kernarg_segment_size: 304
    .language:       OpenCL C
    .language_version:
      - 2
      - 0
    .max_flat_workgroup_size: 1024
    .name:           _ZN12_GLOBAL__N_120softmax_warp_forwardIfffLi7ELb1ELb0ELi32EEEvPT0_PKT_iiiPKbib
    .private_segment_fixed_size: 0
    .sgpr_count:     24
    .sgpr_spill_count: 0
    .symbol:         _ZN12_GLOBAL__N_120softmax_warp_forwardIfffLi7ELb1ELb0ELi32EEEvPT0_PKT_iiiPKbib.kd
    .uniform_work_group_size: 1
    .uses_dynamic_stack: false
    .vgpr_count:     29
    .vgpr_spill_count: 0
    .wavefront_size: 64
  - .agpr_count:     0
    .args:
      - .address_space:  global
        .offset:         0
        .size:           8
        .value_kind:     global_buffer
      - .address_space:  global
        .offset:         8
        .size:           8
        .value_kind:     global_buffer
      - .offset:         16
        .size:           4
        .value_kind:     by_value
      - .offset:         20
        .size:           4
        .value_kind:     by_value
      - .offset:         24
        .size:           4
        .value_kind:     by_value
      - .address_space:  global
        .offset:         32
        .size:           8
        .value_kind:     global_buffer
      - .offset:         40
        .size:           4
        .value_kind:     by_value
      - .offset:         44
        .size:           1
        .value_kind:     by_value
      - .offset:         48
        .size:           4
        .value_kind:     hidden_block_count_x
      - .offset:         52
        .size:           4
        .value_kind:     hidden_block_count_y
      - .offset:         56
        .size:           4
        .value_kind:     hidden_block_count_z
      - .offset:         60
        .size:           2
        .value_kind:     hidden_group_size_x
      - .offset:         62
        .size:           2
        .value_kind:     hidden_group_size_y
      - .offset:         64
        .size:           2
        .value_kind:     hidden_group_size_z
      - .offset:         66
        .size:           2
        .value_kind:     hidden_remainder_x
      - .offset:         68
        .size:           2
        .value_kind:     hidden_remainder_y
      - .offset:         70
        .size:           2
        .value_kind:     hidden_remainder_z
      - .offset:         88
        .size:           8
        .value_kind:     hidden_global_offset_x
      - .offset:         96
        .size:           8
        .value_kind:     hidden_global_offset_y
      - .offset:         104
        .size:           8
        .value_kind:     hidden_global_offset_z
      - .offset:         112
        .size:           2
        .value_kind:     hidden_grid_dims
    .group_segment_fixed_size: 0
    .kernarg_segment_align: 8
    .kernarg_segment_size: 304
    .language:       OpenCL C
    .language_version:
      - 2
      - 0
    .max_flat_workgroup_size: 1024
    .name:           _ZN12_GLOBAL__N_120softmax_warp_forwardIfffLi8ELb1ELb0ELi64EEEvPT0_PKT_iiiPKbib
    .private_segment_fixed_size: 0
    .sgpr_count:     20
    .sgpr_spill_count: 0
    .symbol:         _ZN12_GLOBAL__N_120softmax_warp_forwardIfffLi8ELb1ELb0ELi64EEEvPT0_PKT_iiiPKbib.kd
    .uniform_work_group_size: 1
    .uses_dynamic_stack: false
    .vgpr_count:     20
    .vgpr_spill_count: 0
    .wavefront_size: 64
  - .agpr_count:     0
    .args:
      - .address_space:  global
        .offset:         0
        .size:           8
        .value_kind:     global_buffer
      - .address_space:  global
        .offset:         8
        .size:           8
        .value_kind:     global_buffer
      - .offset:         16
        .size:           4
        .value_kind:     by_value
      - .offset:         20
        .size:           4
        .value_kind:     by_value
      - .offset:         24
        .size:           4
        .value_kind:     by_value
      - .address_space:  global
        .offset:         32
        .size:           8
        .value_kind:     global_buffer
      - .offset:         40
        .size:           4
        .value_kind:     by_value
      - .offset:         44
        .size:           1
        .value_kind:     by_value
      - .offset:         48
        .size:           4
        .value_kind:     hidden_block_count_x
      - .offset:         52
        .size:           4
        .value_kind:     hidden_block_count_y
      - .offset:         56
        .size:           4
        .value_kind:     hidden_block_count_z
      - .offset:         60
        .size:           2
        .value_kind:     hidden_group_size_x
      - .offset:         62
        .size:           2
        .value_kind:     hidden_group_size_y
      - .offset:         64
        .size:           2
        .value_kind:     hidden_group_size_z
      - .offset:         66
        .size:           2
        .value_kind:     hidden_remainder_x
      - .offset:         68
        .size:           2
        .value_kind:     hidden_remainder_y
      - .offset:         70
        .size:           2
        .value_kind:     hidden_remainder_z
      - .offset:         88
        .size:           8
        .value_kind:     hidden_global_offset_x
      - .offset:         96
        .size:           8
        .value_kind:     hidden_global_offset_y
      - .offset:         104
        .size:           8
        .value_kind:     hidden_global_offset_z
      - .offset:         112
        .size:           2
        .value_kind:     hidden_grid_dims
    .group_segment_fixed_size: 0
    .kernarg_segment_align: 8
    .kernarg_segment_size: 304
    .language:       OpenCL C
    .language_version:
      - 2
      - 0
    .max_flat_workgroup_size: 1024
    .name:           _ZN12_GLOBAL__N_120softmax_warp_forwardIfffLi8ELb1ELb0ELi32EEEvPT0_PKT_iiiPKbib
    .private_segment_fixed_size: 0
    .sgpr_count:     28
    .sgpr_spill_count: 0
    .symbol:         _ZN12_GLOBAL__N_120softmax_warp_forwardIfffLi8ELb1ELb0ELi32EEEvPT0_PKT_iiiPKbib.kd
    .uniform_work_group_size: 1
    .uses_dynamic_stack: false
    .vgpr_count:     23
    .vgpr_spill_count: 0
    .wavefront_size: 64
  - .agpr_count:     0
    .args:
      - .address_space:  global
        .offset:         0
        .size:           8
        .value_kind:     global_buffer
      - .address_space:  global
        .offset:         8
        .size:           8
        .value_kind:     global_buffer
      - .offset:         16
        .size:           4
        .value_kind:     by_value
      - .offset:         20
        .size:           4
        .value_kind:     by_value
      - .offset:         24
        .size:           4
        .value_kind:     by_value
      - .address_space:  global
        .offset:         32
        .size:           8
        .value_kind:     global_buffer
      - .offset:         40
        .size:           4
        .value_kind:     by_value
      - .offset:         44
        .size:           1
        .value_kind:     by_value
      - .offset:         48
        .size:           4
        .value_kind:     hidden_block_count_x
      - .offset:         52
        .size:           4
        .value_kind:     hidden_block_count_y
      - .offset:         56
        .size:           4
        .value_kind:     hidden_block_count_z
      - .offset:         60
        .size:           2
        .value_kind:     hidden_group_size_x
      - .offset:         62
        .size:           2
        .value_kind:     hidden_group_size_y
      - .offset:         64
        .size:           2
        .value_kind:     hidden_group_size_z
      - .offset:         66
        .size:           2
        .value_kind:     hidden_remainder_x
      - .offset:         68
        .size:           2
        .value_kind:     hidden_remainder_y
      - .offset:         70
        .size:           2
        .value_kind:     hidden_remainder_z
      - .offset:         88
        .size:           8
        .value_kind:     hidden_global_offset_x
      - .offset:         96
        .size:           8
        .value_kind:     hidden_global_offset_y
      - .offset:         104
        .size:           8
        .value_kind:     hidden_global_offset_z
      - .offset:         112
        .size:           2
        .value_kind:     hidden_grid_dims
    .group_segment_fixed_size: 0
    .kernarg_segment_align: 8
    .kernarg_segment_size: 304
    .language:       OpenCL C
    .language_version:
      - 2
      - 0
    .max_flat_workgroup_size: 1024
    .name:           _ZN12_GLOBAL__N_120softmax_warp_forwardIfffLi9ELb1ELb0ELi64EEEvPT0_PKT_iiiPKbib
    .private_segment_fixed_size: 0
    .sgpr_count:     28
    .sgpr_spill_count: 0
    .symbol:         _ZN12_GLOBAL__N_120softmax_warp_forwardIfffLi9ELb1ELb0ELi64EEEvPT0_PKT_iiiPKbib.kd
    .uniform_work_group_size: 1
    .uses_dynamic_stack: false
    .vgpr_count:     24
    .vgpr_spill_count: 0
    .wavefront_size: 64
  - .agpr_count:     0
    .args:
      - .address_space:  global
        .offset:         0
        .size:           8
        .value_kind:     global_buffer
      - .address_space:  global
        .offset:         8
        .size:           8
        .value_kind:     global_buffer
      - .offset:         16
        .size:           4
        .value_kind:     by_value
      - .offset:         20
        .size:           4
        .value_kind:     by_value
      - .offset:         24
        .size:           4
        .value_kind:     by_value
      - .address_space:  global
        .offset:         32
        .size:           8
        .value_kind:     global_buffer
      - .offset:         40
        .size:           4
        .value_kind:     by_value
      - .offset:         44
        .size:           1
        .value_kind:     by_value
      - .offset:         48
        .size:           4
        .value_kind:     hidden_block_count_x
      - .offset:         52
        .size:           4
        .value_kind:     hidden_block_count_y
      - .offset:         56
        .size:           4
        .value_kind:     hidden_block_count_z
      - .offset:         60
        .size:           2
        .value_kind:     hidden_group_size_x
      - .offset:         62
        .size:           2
        .value_kind:     hidden_group_size_y
      - .offset:         64
        .size:           2
        .value_kind:     hidden_group_size_z
      - .offset:         66
        .size:           2
        .value_kind:     hidden_remainder_x
      - .offset:         68
        .size:           2
        .value_kind:     hidden_remainder_y
      - .offset:         70
        .size:           2
        .value_kind:     hidden_remainder_z
      - .offset:         88
        .size:           8
        .value_kind:     hidden_global_offset_x
      - .offset:         96
        .size:           8
        .value_kind:     hidden_global_offset_y
      - .offset:         104
        .size:           8
        .value_kind:     hidden_global_offset_z
      - .offset:         112
        .size:           2
        .value_kind:     hidden_grid_dims
    .group_segment_fixed_size: 0
    .kernarg_segment_align: 8
    .kernarg_segment_size: 304
    .language:       OpenCL C
    .language_version:
      - 2
      - 0
    .max_flat_workgroup_size: 1024
    .name:           _ZN12_GLOBAL__N_120softmax_warp_forwardIfffLi9ELb1ELb0ELi32EEEvPT0_PKT_iiiPKbib
    .private_segment_fixed_size: 0
    .sgpr_count:     48
    .sgpr_spill_count: 0
    .symbol:         _ZN12_GLOBAL__N_120softmax_warp_forwardIfffLi9ELb1ELb0ELi32EEEvPT0_PKT_iiiPKbib.kd
    .uniform_work_group_size: 1
    .uses_dynamic_stack: false
    .vgpr_count:     31
    .vgpr_spill_count: 0
    .wavefront_size: 64
  - .agpr_count:     0
    .args:
      - .address_space:  global
        .offset:         0
        .size:           8
        .value_kind:     global_buffer
      - .address_space:  global
        .offset:         8
        .size:           8
        .value_kind:     global_buffer
      - .offset:         16
        .size:           4
        .value_kind:     by_value
      - .offset:         20
        .size:           4
        .value_kind:     by_value
      - .offset:         24
        .size:           4
        .value_kind:     by_value
      - .address_space:  global
        .offset:         32
        .size:           8
        .value_kind:     global_buffer
      - .offset:         40
        .size:           4
        .value_kind:     by_value
      - .offset:         44
        .size:           1
        .value_kind:     by_value
      - .offset:         48
        .size:           4
        .value_kind:     hidden_block_count_x
      - .offset:         52
        .size:           4
        .value_kind:     hidden_block_count_y
      - .offset:         56
        .size:           4
        .value_kind:     hidden_block_count_z
      - .offset:         60
        .size:           2
        .value_kind:     hidden_group_size_x
      - .offset:         62
        .size:           2
        .value_kind:     hidden_group_size_y
      - .offset:         64
        .size:           2
        .value_kind:     hidden_group_size_z
      - .offset:         66
        .size:           2
        .value_kind:     hidden_remainder_x
      - .offset:         68
        .size:           2
        .value_kind:     hidden_remainder_y
      - .offset:         70
        .size:           2
        .value_kind:     hidden_remainder_z
      - .offset:         88
        .size:           8
        .value_kind:     hidden_global_offset_x
      - .offset:         96
        .size:           8
        .value_kind:     hidden_global_offset_y
      - .offset:         104
        .size:           8
        .value_kind:     hidden_global_offset_z
      - .offset:         112
        .size:           2
        .value_kind:     hidden_grid_dims
    .group_segment_fixed_size: 0
    .kernarg_segment_align: 8
    .kernarg_segment_size: 304
    .language:       OpenCL C
    .language_version:
      - 2
      - 0
    .max_flat_workgroup_size: 1024
    .name:           _ZN12_GLOBAL__N_120softmax_warp_forwardIfffLi10ELb1ELb0ELi64EEEvPT0_PKT_iiiPKbib
    .private_segment_fixed_size: 0
    .sgpr_count:     48
    .sgpr_spill_count: 0
    .symbol:         _ZN12_GLOBAL__N_120softmax_warp_forwardIfffLi10ELb1ELb0ELi64EEEvPT0_PKT_iiiPKbib.kd
    .uniform_work_group_size: 1
    .uses_dynamic_stack: false
    .vgpr_count:     32
    .vgpr_spill_count: 0
    .wavefront_size: 64
  - .agpr_count:     0
    .args:
      - .address_space:  global
        .offset:         0
        .size:           8
        .value_kind:     global_buffer
      - .address_space:  global
        .offset:         8
        .size:           8
        .value_kind:     global_buffer
      - .offset:         16
        .size:           4
        .value_kind:     by_value
      - .offset:         20
        .size:           4
        .value_kind:     by_value
      - .offset:         24
        .size:           4
        .value_kind:     by_value
      - .address_space:  global
        .offset:         32
        .size:           8
        .value_kind:     global_buffer
      - .offset:         40
        .size:           4
        .value_kind:     by_value
      - .offset:         44
        .size:           1
        .value_kind:     by_value
      - .offset:         48
        .size:           4
        .value_kind:     hidden_block_count_x
      - .offset:         52
        .size:           4
        .value_kind:     hidden_block_count_y
      - .offset:         56
        .size:           4
        .value_kind:     hidden_block_count_z
      - .offset:         60
        .size:           2
        .value_kind:     hidden_group_size_x
      - .offset:         62
        .size:           2
        .value_kind:     hidden_group_size_y
      - .offset:         64
        .size:           2
        .value_kind:     hidden_group_size_z
      - .offset:         66
        .size:           2
        .value_kind:     hidden_remainder_x
      - .offset:         68
        .size:           2
        .value_kind:     hidden_remainder_y
      - .offset:         70
        .size:           2
        .value_kind:     hidden_remainder_z
      - .offset:         88
        .size:           8
        .value_kind:     hidden_global_offset_x
      - .offset:         96
        .size:           8
        .value_kind:     hidden_global_offset_y
      - .offset:         104
        .size:           8
        .value_kind:     hidden_global_offset_z
      - .offset:         112
        .size:           2
        .value_kind:     hidden_grid_dims
    .group_segment_fixed_size: 0
    .kernarg_segment_align: 8
    .kernarg_segment_size: 304
    .language:       OpenCL C
    .language_version:
      - 2
      - 0
    .max_flat_workgroup_size: 1024
    .name:           _ZN12_GLOBAL__N_120softmax_warp_forwardIfffLi10ELb1ELb0ELi32EEEvPT0_PKT_iiiPKbib
    .private_segment_fixed_size: 0
    .sgpr_count:     80
    .sgpr_spill_count: 0
    .symbol:         _ZN12_GLOBAL__N_120softmax_warp_forwardIfffLi10ELb1ELb0ELi32EEEvPT0_PKT_iiiPKbib.kd
    .uniform_work_group_size: 1
    .uses_dynamic_stack: false
    .vgpr_count:     47
    .vgpr_spill_count: 0
    .wavefront_size: 64
  - .agpr_count:     0
    .args:
      - .address_space:  global
        .offset:         0
        .size:           8
        .value_kind:     global_buffer
      - .address_space:  global
        .offset:         8
        .size:           8
        .value_kind:     global_buffer
      - .offset:         16
        .size:           4
        .value_kind:     by_value
      - .offset:         20
        .size:           4
        .value_kind:     by_value
      - .offset:         24
        .size:           4
        .value_kind:     by_value
      - .address_space:  global
        .offset:         32
        .size:           8
        .value_kind:     global_buffer
      - .offset:         40
        .size:           4
        .value_kind:     by_value
      - .offset:         44
        .size:           1
        .value_kind:     by_value
      - .offset:         48
        .size:           4
        .value_kind:     hidden_block_count_x
      - .offset:         52
        .size:           4
        .value_kind:     hidden_block_count_y
      - .offset:         56
        .size:           4
        .value_kind:     hidden_block_count_z
      - .offset:         60
        .size:           2
        .value_kind:     hidden_group_size_x
      - .offset:         62
        .size:           2
        .value_kind:     hidden_group_size_y
      - .offset:         64
        .size:           2
        .value_kind:     hidden_group_size_z
      - .offset:         66
        .size:           2
        .value_kind:     hidden_remainder_x
      - .offset:         68
        .size:           2
        .value_kind:     hidden_remainder_y
      - .offset:         70
        .size:           2
        .value_kind:     hidden_remainder_z
      - .offset:         88
        .size:           8
        .value_kind:     hidden_global_offset_x
      - .offset:         96
        .size:           8
        .value_kind:     hidden_global_offset_y
      - .offset:         104
        .size:           8
        .value_kind:     hidden_global_offset_z
      - .offset:         112
        .size:           2
        .value_kind:     hidden_grid_dims
    .group_segment_fixed_size: 0
    .kernarg_segment_align: 8
    .kernarg_segment_size: 304
    .language:       OpenCL C
    .language_version:
      - 2
      - 0
    .max_flat_workgroup_size: 1024
    .name:           _ZN12_GLOBAL__N_120softmax_warp_forwardIfffLi11ELb1ELb0ELi64EEEvPT0_PKT_iiiPKbib
    .private_segment_fixed_size: 0
    .sgpr_count:     80
    .sgpr_spill_count: 0
    .symbol:         _ZN12_GLOBAL__N_120softmax_warp_forwardIfffLi11ELb1ELb0ELi64EEEvPT0_PKT_iiiPKbib.kd
    .uniform_work_group_size: 1
    .uses_dynamic_stack: false
    .vgpr_count:     48
    .vgpr_spill_count: 0
    .wavefront_size: 64
  - .agpr_count:     0
    .args:
      - .address_space:  global
        .offset:         0
        .size:           8
        .value_kind:     global_buffer
      - .address_space:  global
        .offset:         8
        .size:           8
        .value_kind:     global_buffer
      - .offset:         16
        .size:           4
        .value_kind:     by_value
      - .offset:         20
        .size:           4
        .value_kind:     by_value
      - .offset:         24
        .size:           4
        .value_kind:     by_value
      - .address_space:  global
        .offset:         32
        .size:           8
        .value_kind:     global_buffer
      - .offset:         40
        .size:           4
        .value_kind:     by_value
      - .offset:         44
        .size:           1
        .value_kind:     by_value
      - .offset:         48
        .size:           4
        .value_kind:     hidden_block_count_x
      - .offset:         52
        .size:           4
        .value_kind:     hidden_block_count_y
      - .offset:         56
        .size:           4
        .value_kind:     hidden_block_count_z
      - .offset:         60
        .size:           2
        .value_kind:     hidden_group_size_x
      - .offset:         62
        .size:           2
        .value_kind:     hidden_group_size_y
      - .offset:         64
        .size:           2
        .value_kind:     hidden_group_size_z
      - .offset:         66
        .size:           2
        .value_kind:     hidden_remainder_x
      - .offset:         68
        .size:           2
        .value_kind:     hidden_remainder_y
      - .offset:         70
        .size:           2
        .value_kind:     hidden_remainder_z
      - .offset:         88
        .size:           8
        .value_kind:     hidden_global_offset_x
      - .offset:         96
        .size:           8
        .value_kind:     hidden_global_offset_y
      - .offset:         104
        .size:           8
        .value_kind:     hidden_global_offset_z
      - .offset:         112
        .size:           2
        .value_kind:     hidden_grid_dims
    .group_segment_fixed_size: 0
    .kernarg_segment_align: 8
    .kernarg_segment_size: 304
    .language:       OpenCL C
    .language_version:
      - 2
      - 0
    .max_flat_workgroup_size: 1024
    .name:           _ZN12_GLOBAL__N_120softmax_warp_forwardIfffLi11ELb1ELb0ELi32EEEvPT0_PKT_iiiPKbib
    .private_segment_fixed_size: 0
    .sgpr_count:     100
    .sgpr_spill_count: 40
    .symbol:         _ZN12_GLOBAL__N_120softmax_warp_forwardIfffLi11ELb1ELb0ELi32EEEvPT0_PKT_iiiPKbib.kd
    .uniform_work_group_size: 1
    .uses_dynamic_stack: false
    .vgpr_count:     80
    .vgpr_spill_count: 0
    .wavefront_size: 64
  - .agpr_count:     0
    .args:
      - .address_space:  global
        .offset:         0
        .size:           8
        .value_kind:     global_buffer
      - .address_space:  global
        .offset:         8
        .size:           8
        .value_kind:     global_buffer
      - .offset:         16
        .size:           8
        .value_kind:     by_value
      - .offset:         24
        .size:           4
        .value_kind:     hidden_block_count_x
      - .offset:         28
        .size:           4
        .value_kind:     hidden_block_count_y
      - .offset:         32
        .size:           4
        .value_kind:     hidden_block_count_z
      - .offset:         36
        .size:           2
        .value_kind:     hidden_group_size_x
      - .offset:         38
        .size:           2
        .value_kind:     hidden_group_size_y
      - .offset:         40
        .size:           2
        .value_kind:     hidden_group_size_z
      - .offset:         42
        .size:           2
        .value_kind:     hidden_remainder_x
      - .offset:         44
        .size:           2
        .value_kind:     hidden_remainder_y
      - .offset:         46
        .size:           2
        .value_kind:     hidden_remainder_z
      - .offset:         64
        .size:           8
        .value_kind:     hidden_global_offset_x
      - .offset:         72
        .size:           8
        .value_kind:     hidden_global_offset_y
      - .offset:         80
        .size:           8
        .value_kind:     hidden_global_offset_z
      - .offset:         88
        .size:           2
        .value_kind:     hidden_grid_dims
      - .offset:         144
        .size:           4
        .value_kind:     hidden_dynamic_lds_size
    .group_segment_fixed_size: 0
    .kernarg_segment_align: 8
    .kernarg_segment_size: 280
    .language:       OpenCL C
    .language_version:
      - 2
      - 0
    .max_flat_workgroup_size: 1024
    .name:           _ZN2at6native12_GLOBAL__N_122cunn_SoftMaxForwardRegIfffNS1_25LogSoftMaxForwardEpilogueElLi1EEEvPT1_PKT_T3_
    .private_segment_fixed_size: 0
    .sgpr_count:     20
    .sgpr_spill_count: 0
    .symbol:         _ZN2at6native12_GLOBAL__N_122cunn_SoftMaxForwardRegIfffNS1_25LogSoftMaxForwardEpilogueElLi1EEEvPT1_PKT_T3_.kd
    .uniform_work_group_size: 1
    .uses_dynamic_stack: false
    .vgpr_count:     14
    .vgpr_spill_count: 0
    .wavefront_size: 64
  - .agpr_count:     0
    .args:
      - .address_space:  global
        .offset:         0
        .size:           8
        .value_kind:     global_buffer
      - .address_space:  global
        .offset:         8
        .size:           8
        .value_kind:     global_buffer
      - .offset:         16
        .size:           8
        .value_kind:     by_value
      - .offset:         24
        .size:           4
        .value_kind:     hidden_block_count_x
      - .offset:         28
        .size:           4
        .value_kind:     hidden_block_count_y
      - .offset:         32
        .size:           4
        .value_kind:     hidden_block_count_z
      - .offset:         36
        .size:           2
        .value_kind:     hidden_group_size_x
      - .offset:         38
        .size:           2
        .value_kind:     hidden_group_size_y
      - .offset:         40
        .size:           2
        .value_kind:     hidden_group_size_z
      - .offset:         42
        .size:           2
        .value_kind:     hidden_remainder_x
      - .offset:         44
        .size:           2
        .value_kind:     hidden_remainder_y
      - .offset:         46
        .size:           2
        .value_kind:     hidden_remainder_z
      - .offset:         64
        .size:           8
        .value_kind:     hidden_global_offset_x
      - .offset:         72
        .size:           8
        .value_kind:     hidden_global_offset_y
      - .offset:         80
        .size:           8
        .value_kind:     hidden_global_offset_z
      - .offset:         88
        .size:           2
        .value_kind:     hidden_grid_dims
      - .offset:         144
        .size:           4
        .value_kind:     hidden_dynamic_lds_size
    .group_segment_fixed_size: 0
    .kernarg_segment_align: 8
    .kernarg_segment_size: 280
    .language:       OpenCL C
    .language_version:
      - 2
      - 0
    .max_flat_workgroup_size: 1024
    .name:           _ZN2at6native12_GLOBAL__N_122cunn_SoftMaxForwardRegIfffNS1_25LogSoftMaxForwardEpilogueElLi2EEEvPT1_PKT_T3_
    .private_segment_fixed_size: 0
    .sgpr_count:     23
    .sgpr_spill_count: 0
    .symbol:         _ZN2at6native12_GLOBAL__N_122cunn_SoftMaxForwardRegIfffNS1_25LogSoftMaxForwardEpilogueElLi2EEEvPT1_PKT_T3_.kd
    .uniform_work_group_size: 1
    .uses_dynamic_stack: false
    .vgpr_count:     18
    .vgpr_spill_count: 0
    .wavefront_size: 64
  - .agpr_count:     0
    .args:
      - .address_space:  global
        .offset:         0
        .size:           8
        .value_kind:     global_buffer
      - .address_space:  global
        .offset:         8
        .size:           8
        .value_kind:     global_buffer
      - .offset:         16
        .size:           8
        .value_kind:     by_value
      - .offset:         24
        .size:           4
        .value_kind:     hidden_block_count_x
      - .offset:         28
        .size:           4
        .value_kind:     hidden_block_count_y
      - .offset:         32
        .size:           4
        .value_kind:     hidden_block_count_z
      - .offset:         36
        .size:           2
        .value_kind:     hidden_group_size_x
      - .offset:         38
        .size:           2
        .value_kind:     hidden_group_size_y
      - .offset:         40
        .size:           2
        .value_kind:     hidden_group_size_z
      - .offset:         42
        .size:           2
        .value_kind:     hidden_remainder_x
      - .offset:         44
        .size:           2
        .value_kind:     hidden_remainder_y
      - .offset:         46
        .size:           2
        .value_kind:     hidden_remainder_z
      - .offset:         64
        .size:           8
        .value_kind:     hidden_global_offset_x
      - .offset:         72
        .size:           8
        .value_kind:     hidden_global_offset_y
      - .offset:         80
        .size:           8
        .value_kind:     hidden_global_offset_z
      - .offset:         88
        .size:           2
        .value_kind:     hidden_grid_dims
      - .offset:         144
        .size:           4
        .value_kind:     hidden_dynamic_lds_size
    .group_segment_fixed_size: 0
    .kernarg_segment_align: 8
    .kernarg_segment_size: 280
    .language:       OpenCL C
    .language_version:
      - 2
      - 0
    .max_flat_workgroup_size: 1024
    .name:           _ZN2at6native12_GLOBAL__N_122cunn_SoftMaxForwardRegIfffNS1_25LogSoftMaxForwardEpilogueElLi3EEEvPT1_PKT_T3_
    .private_segment_fixed_size: 0
    .sgpr_count:     25
    .sgpr_spill_count: 0
    .symbol:         _ZN2at6native12_GLOBAL__N_122cunn_SoftMaxForwardRegIfffNS1_25LogSoftMaxForwardEpilogueElLi3EEEvPT1_PKT_T3_.kd
    .uniform_work_group_size: 1
    .uses_dynamic_stack: false
    .vgpr_count:     21
    .vgpr_spill_count: 0
    .wavefront_size: 64
  - .agpr_count:     0
    .args:
      - .address_space:  global
        .offset:         0
        .size:           8
        .value_kind:     global_buffer
      - .address_space:  global
        .offset:         8
        .size:           8
        .value_kind:     global_buffer
      - .offset:         16
        .size:           8
        .value_kind:     by_value
      - .offset:         24
        .size:           4
        .value_kind:     hidden_block_count_x
      - .offset:         28
        .size:           4
        .value_kind:     hidden_block_count_y
      - .offset:         32
        .size:           4
        .value_kind:     hidden_block_count_z
      - .offset:         36
        .size:           2
        .value_kind:     hidden_group_size_x
      - .offset:         38
        .size:           2
        .value_kind:     hidden_group_size_y
      - .offset:         40
        .size:           2
        .value_kind:     hidden_group_size_z
      - .offset:         42
        .size:           2
        .value_kind:     hidden_remainder_x
      - .offset:         44
        .size:           2
        .value_kind:     hidden_remainder_y
      - .offset:         46
        .size:           2
        .value_kind:     hidden_remainder_z
      - .offset:         64
        .size:           8
        .value_kind:     hidden_global_offset_x
      - .offset:         72
        .size:           8
        .value_kind:     hidden_global_offset_y
      - .offset:         80
        .size:           8
        .value_kind:     hidden_global_offset_z
      - .offset:         88
        .size:           2
        .value_kind:     hidden_grid_dims
      - .offset:         144
        .size:           4
        .value_kind:     hidden_dynamic_lds_size
    .group_segment_fixed_size: 0
    .kernarg_segment_align: 8
    .kernarg_segment_size: 280
    .language:       OpenCL C
    .language_version:
      - 2
      - 0
    .max_flat_workgroup_size: 1024
    .name:           _ZN2at6native12_GLOBAL__N_122cunn_SoftMaxForwardRegIfffNS1_25LogSoftMaxForwardEpilogueElLi4EEEvPT1_PKT_T3_
    .private_segment_fixed_size: 0
    .sgpr_count:     27
    .sgpr_spill_count: 0
    .symbol:         _ZN2at6native12_GLOBAL__N_122cunn_SoftMaxForwardRegIfffNS1_25LogSoftMaxForwardEpilogueElLi4EEEvPT1_PKT_T3_.kd
    .uniform_work_group_size: 1
    .uses_dynamic_stack: false
    .vgpr_count:     24
    .vgpr_spill_count: 0
    .wavefront_size: 64
  - .agpr_count:     0
    .args:
      - .address_space:  global
        .offset:         0
        .size:           8
        .value_kind:     global_buffer
      - .address_space:  global
        .offset:         8
        .size:           8
        .value_kind:     global_buffer
      - .offset:         16
        .size:           8
        .value_kind:     by_value
      - .offset:         24
        .size:           4
        .value_kind:     hidden_block_count_x
      - .offset:         28
        .size:           4
        .value_kind:     hidden_block_count_y
      - .offset:         32
        .size:           4
        .value_kind:     hidden_block_count_z
      - .offset:         36
        .size:           2
        .value_kind:     hidden_group_size_x
      - .offset:         38
        .size:           2
        .value_kind:     hidden_group_size_y
      - .offset:         40
        .size:           2
        .value_kind:     hidden_group_size_z
      - .offset:         42
        .size:           2
        .value_kind:     hidden_remainder_x
      - .offset:         44
        .size:           2
        .value_kind:     hidden_remainder_y
      - .offset:         46
        .size:           2
        .value_kind:     hidden_remainder_z
      - .offset:         64
        .size:           8
        .value_kind:     hidden_global_offset_x
      - .offset:         72
        .size:           8
        .value_kind:     hidden_global_offset_y
      - .offset:         80
        .size:           8
        .value_kind:     hidden_global_offset_z
      - .offset:         88
        .size:           2
        .value_kind:     hidden_grid_dims
      - .offset:         144
        .size:           4
        .value_kind:     hidden_dynamic_lds_size
    .group_segment_fixed_size: 0
    .kernarg_segment_align: 8
    .kernarg_segment_size: 280
    .language:       OpenCL C
    .language_version:
      - 2
      - 0
    .max_flat_workgroup_size: 1024
    .name:           _ZN2at6native12_GLOBAL__N_122cunn_SoftMaxForwardRegIfffNS1_25LogSoftMaxForwardEpilogueElLi5EEEvPT1_PKT_T3_
    .private_segment_fixed_size: 0
    .sgpr_count:     29
    .sgpr_spill_count: 0
    .symbol:         _ZN2at6native12_GLOBAL__N_122cunn_SoftMaxForwardRegIfffNS1_25LogSoftMaxForwardEpilogueElLi5EEEvPT1_PKT_T3_.kd
    .uniform_work_group_size: 1
    .uses_dynamic_stack: false
    .vgpr_count:     26
    .vgpr_spill_count: 0
    .wavefront_size: 64
  - .agpr_count:     0
    .args:
      - .address_space:  global
        .offset:         0
        .size:           8
        .value_kind:     global_buffer
      - .address_space:  global
        .offset:         8
        .size:           8
        .value_kind:     global_buffer
      - .offset:         16
        .size:           8
        .value_kind:     by_value
      - .offset:         24
        .size:           4
        .value_kind:     hidden_block_count_x
      - .offset:         28
        .size:           4
        .value_kind:     hidden_block_count_y
      - .offset:         32
        .size:           4
        .value_kind:     hidden_block_count_z
      - .offset:         36
        .size:           2
        .value_kind:     hidden_group_size_x
      - .offset:         38
        .size:           2
        .value_kind:     hidden_group_size_y
      - .offset:         40
        .size:           2
        .value_kind:     hidden_group_size_z
      - .offset:         42
        .size:           2
        .value_kind:     hidden_remainder_x
      - .offset:         44
        .size:           2
        .value_kind:     hidden_remainder_y
      - .offset:         46
        .size:           2
        .value_kind:     hidden_remainder_z
      - .offset:         64
        .size:           8
        .value_kind:     hidden_global_offset_x
      - .offset:         72
        .size:           8
        .value_kind:     hidden_global_offset_y
      - .offset:         80
        .size:           8
        .value_kind:     hidden_global_offset_z
      - .offset:         88
        .size:           2
        .value_kind:     hidden_grid_dims
      - .offset:         144
        .size:           4
        .value_kind:     hidden_dynamic_lds_size
    .group_segment_fixed_size: 0
    .kernarg_segment_align: 8
    .kernarg_segment_size: 280
    .language:       OpenCL C
    .language_version:
      - 2
      - 0
    .max_flat_workgroup_size: 1024
    .name:           _ZN2at6native12_GLOBAL__N_122cunn_SoftMaxForwardRegIfffNS1_25LogSoftMaxForwardEpilogueElLi6EEEvPT1_PKT_T3_
    .private_segment_fixed_size: 0
    .sgpr_count:     31
    .sgpr_spill_count: 0
    .symbol:         _ZN2at6native12_GLOBAL__N_122cunn_SoftMaxForwardRegIfffNS1_25LogSoftMaxForwardEpilogueElLi6EEEvPT1_PKT_T3_.kd
    .uniform_work_group_size: 1
    .uses_dynamic_stack: false
    .vgpr_count:     28
    .vgpr_spill_count: 0
    .wavefront_size: 64
  - .agpr_count:     0
    .args:
      - .address_space:  global
        .offset:         0
        .size:           8
        .value_kind:     global_buffer
      - .address_space:  global
        .offset:         8
        .size:           8
        .value_kind:     global_buffer
      - .offset:         16
        .size:           8
        .value_kind:     by_value
      - .offset:         24
        .size:           4
        .value_kind:     hidden_block_count_x
      - .offset:         28
        .size:           4
        .value_kind:     hidden_block_count_y
      - .offset:         32
        .size:           4
        .value_kind:     hidden_block_count_z
      - .offset:         36
        .size:           2
        .value_kind:     hidden_group_size_x
      - .offset:         38
        .size:           2
        .value_kind:     hidden_group_size_y
      - .offset:         40
        .size:           2
        .value_kind:     hidden_group_size_z
      - .offset:         42
        .size:           2
        .value_kind:     hidden_remainder_x
      - .offset:         44
        .size:           2
        .value_kind:     hidden_remainder_y
      - .offset:         46
        .size:           2
        .value_kind:     hidden_remainder_z
      - .offset:         64
        .size:           8
        .value_kind:     hidden_global_offset_x
      - .offset:         72
        .size:           8
        .value_kind:     hidden_global_offset_y
      - .offset:         80
        .size:           8
        .value_kind:     hidden_global_offset_z
      - .offset:         88
        .size:           2
        .value_kind:     hidden_grid_dims
      - .offset:         144
        .size:           4
        .value_kind:     hidden_dynamic_lds_size
    .group_segment_fixed_size: 0
    .kernarg_segment_align: 8
    .kernarg_segment_size: 280
    .language:       OpenCL C
    .language_version:
      - 2
      - 0
    .max_flat_workgroup_size: 1024
    .name:           _ZN2at6native12_GLOBAL__N_122cunn_SoftMaxForwardRegIfffNS1_25LogSoftMaxForwardEpilogueElLi7EEEvPT1_PKT_T3_
    .private_segment_fixed_size: 0
    .sgpr_count:     33
    .sgpr_spill_count: 0
    .symbol:         _ZN2at6native12_GLOBAL__N_122cunn_SoftMaxForwardRegIfffNS1_25LogSoftMaxForwardEpilogueElLi7EEEvPT1_PKT_T3_.kd
    .uniform_work_group_size: 1
    .uses_dynamic_stack: false
    .vgpr_count:     30
    .vgpr_spill_count: 0
    .wavefront_size: 64
  - .agpr_count:     0
    .args:
      - .address_space:  global
        .offset:         0
        .size:           8
        .value_kind:     global_buffer
      - .address_space:  global
        .offset:         8
        .size:           8
        .value_kind:     global_buffer
      - .offset:         16
        .size:           8
        .value_kind:     by_value
      - .offset:         24
        .size:           4
        .value_kind:     hidden_block_count_x
      - .offset:         28
        .size:           4
        .value_kind:     hidden_block_count_y
      - .offset:         32
        .size:           4
        .value_kind:     hidden_block_count_z
      - .offset:         36
        .size:           2
        .value_kind:     hidden_group_size_x
      - .offset:         38
        .size:           2
        .value_kind:     hidden_group_size_y
      - .offset:         40
        .size:           2
        .value_kind:     hidden_group_size_z
      - .offset:         42
        .size:           2
        .value_kind:     hidden_remainder_x
      - .offset:         44
        .size:           2
        .value_kind:     hidden_remainder_y
      - .offset:         46
        .size:           2
        .value_kind:     hidden_remainder_z
      - .offset:         64
        .size:           8
        .value_kind:     hidden_global_offset_x
      - .offset:         72
        .size:           8
        .value_kind:     hidden_global_offset_y
      - .offset:         80
        .size:           8
        .value_kind:     hidden_global_offset_z
      - .offset:         88
        .size:           2
        .value_kind:     hidden_grid_dims
      - .offset:         144
        .size:           4
        .value_kind:     hidden_dynamic_lds_size
    .group_segment_fixed_size: 0
    .kernarg_segment_align: 8
    .kernarg_segment_size: 280
    .language:       OpenCL C
    .language_version:
      - 2
      - 0
    .max_flat_workgroup_size: 1024
    .name:           _ZN2at6native12_GLOBAL__N_122cunn_SoftMaxForwardRegIfffNS1_25LogSoftMaxForwardEpilogueElLi8EEEvPT1_PKT_T3_
    .private_segment_fixed_size: 0
    .sgpr_count:     35
    .sgpr_spill_count: 0
    .symbol:         _ZN2at6native12_GLOBAL__N_122cunn_SoftMaxForwardRegIfffNS1_25LogSoftMaxForwardEpilogueElLi8EEEvPT1_PKT_T3_.kd
    .uniform_work_group_size: 1
    .uses_dynamic_stack: false
    .vgpr_count:     32
    .vgpr_spill_count: 0
    .wavefront_size: 64
  - .agpr_count:     0
    .args:
      - .address_space:  global
        .offset:         0
        .size:           8
        .value_kind:     global_buffer
      - .address_space:  global
        .offset:         8
        .size:           8
        .value_kind:     global_buffer
      - .offset:         16
        .size:           8
        .value_kind:     by_value
      - .offset:         24
        .size:           4
        .value_kind:     hidden_block_count_x
      - .offset:         28
        .size:           4
        .value_kind:     hidden_block_count_y
      - .offset:         32
        .size:           4
        .value_kind:     hidden_block_count_z
      - .offset:         36
        .size:           2
        .value_kind:     hidden_group_size_x
      - .offset:         38
        .size:           2
        .value_kind:     hidden_group_size_y
      - .offset:         40
        .size:           2
        .value_kind:     hidden_group_size_z
      - .offset:         42
        .size:           2
        .value_kind:     hidden_remainder_x
      - .offset:         44
        .size:           2
        .value_kind:     hidden_remainder_y
      - .offset:         46
        .size:           2
        .value_kind:     hidden_remainder_z
      - .offset:         64
        .size:           8
        .value_kind:     hidden_global_offset_x
      - .offset:         72
        .size:           8
        .value_kind:     hidden_global_offset_y
      - .offset:         80
        .size:           8
        .value_kind:     hidden_global_offset_z
      - .offset:         88
        .size:           2
        .value_kind:     hidden_grid_dims
      - .offset:         144
        .size:           4
        .value_kind:     hidden_dynamic_lds_size
    .group_segment_fixed_size: 0
    .kernarg_segment_align: 8
    .kernarg_segment_size: 280
    .language:       OpenCL C
    .language_version:
      - 2
      - 0
    .max_flat_workgroup_size: 1024
    .name:           _ZN2at6native12_GLOBAL__N_122cunn_SoftMaxForwardRegIfffNS1_25LogSoftMaxForwardEpilogueElLi9EEEvPT1_PKT_T3_
    .private_segment_fixed_size: 0
    .sgpr_count:     38
    .sgpr_spill_count: 0
    .symbol:         _ZN2at6native12_GLOBAL__N_122cunn_SoftMaxForwardRegIfffNS1_25LogSoftMaxForwardEpilogueElLi9EEEvPT1_PKT_T3_.kd
    .uniform_work_group_size: 1
    .uses_dynamic_stack: false
    .vgpr_count:     34
    .vgpr_spill_count: 0
    .wavefront_size: 64
  - .agpr_count:     0
    .args:
      - .address_space:  global
        .offset:         0
        .size:           8
        .value_kind:     global_buffer
      - .address_space:  global
        .offset:         8
        .size:           8
        .value_kind:     global_buffer
      - .offset:         16
        .size:           8
        .value_kind:     by_value
      - .offset:         24
        .size:           4
        .value_kind:     hidden_block_count_x
      - .offset:         28
        .size:           4
        .value_kind:     hidden_block_count_y
      - .offset:         32
        .size:           4
        .value_kind:     hidden_block_count_z
      - .offset:         36
        .size:           2
        .value_kind:     hidden_group_size_x
      - .offset:         38
        .size:           2
        .value_kind:     hidden_group_size_y
      - .offset:         40
        .size:           2
        .value_kind:     hidden_group_size_z
      - .offset:         42
        .size:           2
        .value_kind:     hidden_remainder_x
      - .offset:         44
        .size:           2
        .value_kind:     hidden_remainder_y
      - .offset:         46
        .size:           2
        .value_kind:     hidden_remainder_z
      - .offset:         64
        .size:           8
        .value_kind:     hidden_global_offset_x
      - .offset:         72
        .size:           8
        .value_kind:     hidden_global_offset_y
      - .offset:         80
        .size:           8
        .value_kind:     hidden_global_offset_z
      - .offset:         88
        .size:           2
        .value_kind:     hidden_grid_dims
      - .offset:         144
        .size:           4
        .value_kind:     hidden_dynamic_lds_size
    .group_segment_fixed_size: 0
    .kernarg_segment_align: 8
    .kernarg_segment_size: 280
    .language:       OpenCL C
    .language_version:
      - 2
      - 0
    .max_flat_workgroup_size: 1024
    .name:           _ZN2at6native12_GLOBAL__N_123cunn_SoftMaxForwardSmemILi4EfffNS1_25LogSoftMaxForwardEpilogueElEEvPT2_PKT0_T4_
    .private_segment_fixed_size: 0
    .sgpr_count:     38
    .sgpr_spill_count: 0
    .symbol:         _ZN2at6native12_GLOBAL__N_123cunn_SoftMaxForwardSmemILi4EfffNS1_25LogSoftMaxForwardEpilogueElEEvPT2_PKT0_T4_.kd
    .uniform_work_group_size: 1
    .uses_dynamic_stack: false
    .vgpr_count:     34
    .vgpr_spill_count: 0
    .wavefront_size: 64
  - .agpr_count:     0
    .args:
      - .address_space:  global
        .offset:         0
        .size:           8
        .value_kind:     global_buffer
      - .address_space:  global
        .offset:         8
        .size:           8
        .value_kind:     global_buffer
      - .offset:         16
        .size:           4
        .value_kind:     by_value
      - .offset:         24
        .size:           4
        .value_kind:     hidden_block_count_x
      - .offset:         28
        .size:           4
        .value_kind:     hidden_block_count_y
      - .offset:         32
        .size:           4
        .value_kind:     hidden_block_count_z
      - .offset:         36
        .size:           2
        .value_kind:     hidden_group_size_x
      - .offset:         38
        .size:           2
        .value_kind:     hidden_group_size_y
      - .offset:         40
        .size:           2
        .value_kind:     hidden_group_size_z
      - .offset:         42
        .size:           2
        .value_kind:     hidden_remainder_x
      - .offset:         44
        .size:           2
        .value_kind:     hidden_remainder_y
      - .offset:         46
        .size:           2
        .value_kind:     hidden_remainder_z
      - .offset:         64
        .size:           8
        .value_kind:     hidden_global_offset_x
      - .offset:         72
        .size:           8
        .value_kind:     hidden_global_offset_y
      - .offset:         80
        .size:           8
        .value_kind:     hidden_global_offset_z
      - .offset:         88
        .size:           2
        .value_kind:     hidden_grid_dims
      - .offset:         144
        .size:           4
        .value_kind:     hidden_dynamic_lds_size
    .group_segment_fixed_size: 0
    .kernarg_segment_align: 8
    .kernarg_segment_size: 280
    .language:       OpenCL C
    .language_version:
      - 2
      - 0
    .max_flat_workgroup_size: 1024
    .name:           _ZN2at6native12_GLOBAL__N_119cunn_SoftMaxForwardILi4EfffNS1_25LogSoftMaxForwardEpilogueEEEvPT2_PKT0_i
    .private_segment_fixed_size: 0
    .sgpr_count:     43
    .sgpr_spill_count: 0
    .symbol:         _ZN2at6native12_GLOBAL__N_119cunn_SoftMaxForwardILi4EfffNS1_25LogSoftMaxForwardEpilogueEEEvPT2_PKT0_i.kd
    .uniform_work_group_size: 1
    .uses_dynamic_stack: false
    .vgpr_count:     32
    .vgpr_spill_count: 0
    .wavefront_size: 64
  - .agpr_count:     0
    .args:
      - .address_space:  global
        .offset:         0
        .size:           8
        .value_kind:     global_buffer
      - .address_space:  global
        .offset:         8
        .size:           8
        .value_kind:     global_buffer
      - .offset:         16
        .size:           4
        .value_kind:     by_value
      - .offset:         20
        .size:           4
        .value_kind:     by_value
      - .offset:         24
        .size:           4
        .value_kind:     by_value
      - .address_space:  global
        .offset:         32
        .size:           8
        .value_kind:     global_buffer
      - .offset:         40
        .size:           4
        .value_kind:     by_value
      - .offset:         44
        .size:           1
        .value_kind:     by_value
      - .offset:         48
        .size:           4
        .value_kind:     hidden_block_count_x
      - .offset:         52
        .size:           4
        .value_kind:     hidden_block_count_y
      - .offset:         56
        .size:           4
        .value_kind:     hidden_block_count_z
      - .offset:         60
        .size:           2
        .value_kind:     hidden_group_size_x
      - .offset:         62
        .size:           2
        .value_kind:     hidden_group_size_y
      - .offset:         64
        .size:           2
        .value_kind:     hidden_group_size_z
      - .offset:         66
        .size:           2
        .value_kind:     hidden_remainder_x
      - .offset:         68
        .size:           2
        .value_kind:     hidden_remainder_y
      - .offset:         70
        .size:           2
        .value_kind:     hidden_remainder_z
      - .offset:         88
        .size:           8
        .value_kind:     hidden_global_offset_x
      - .offset:         96
        .size:           8
        .value_kind:     hidden_global_offset_y
      - .offset:         104
        .size:           8
        .value_kind:     hidden_global_offset_z
      - .offset:         112
        .size:           2
        .value_kind:     hidden_grid_dims
    .group_segment_fixed_size: 0
    .kernarg_segment_align: 8
    .kernarg_segment_size: 304
    .language:       OpenCL C
    .language_version:
      - 2
      - 0
    .max_flat_workgroup_size: 1024
    .name:           _ZN12_GLOBAL__N_120softmax_warp_forwardIN3c104HalfES2_fLi0ELb1ELb0ELi64EEEvPT0_PKT_iiiPKbib
    .private_segment_fixed_size: 0
    .sgpr_count:     20
    .sgpr_spill_count: 0
    .symbol:         _ZN12_GLOBAL__N_120softmax_warp_forwardIN3c104HalfES2_fLi0ELb1ELb0ELi64EEEvPT0_PKT_iiiPKbib.kd
    .uniform_work_group_size: 1
    .uses_dynamic_stack: false
    .vgpr_count:     11
    .vgpr_spill_count: 0
    .wavefront_size: 64
  - .agpr_count:     0
    .args:
      - .address_space:  global
        .offset:         0
        .size:           8
        .value_kind:     global_buffer
      - .address_space:  global
        .offset:         8
        .size:           8
        .value_kind:     global_buffer
      - .offset:         16
        .size:           4
        .value_kind:     by_value
      - .offset:         20
        .size:           4
        .value_kind:     by_value
      - .offset:         24
        .size:           4
        .value_kind:     by_value
      - .address_space:  global
        .offset:         32
        .size:           8
        .value_kind:     global_buffer
      - .offset:         40
        .size:           4
        .value_kind:     by_value
      - .offset:         44
        .size:           1
        .value_kind:     by_value
      - .offset:         48
        .size:           4
        .value_kind:     hidden_block_count_x
      - .offset:         52
        .size:           4
        .value_kind:     hidden_block_count_y
      - .offset:         56
        .size:           4
        .value_kind:     hidden_block_count_z
      - .offset:         60
        .size:           2
        .value_kind:     hidden_group_size_x
      - .offset:         62
        .size:           2
        .value_kind:     hidden_group_size_y
      - .offset:         64
        .size:           2
        .value_kind:     hidden_group_size_z
      - .offset:         66
        .size:           2
        .value_kind:     hidden_remainder_x
      - .offset:         68
        .size:           2
        .value_kind:     hidden_remainder_y
      - .offset:         70
        .size:           2
        .value_kind:     hidden_remainder_z
      - .offset:         88
        .size:           8
        .value_kind:     hidden_global_offset_x
      - .offset:         96
        .size:           8
        .value_kind:     hidden_global_offset_y
      - .offset:         104
        .size:           8
        .value_kind:     hidden_global_offset_z
      - .offset:         112
        .size:           2
        .value_kind:     hidden_grid_dims
    .group_segment_fixed_size: 0
    .kernarg_segment_align: 8
    .kernarg_segment_size: 304
    .language:       OpenCL C
    .language_version:
      - 2
      - 0
    .max_flat_workgroup_size: 1024
    .name:           _ZN12_GLOBAL__N_120softmax_warp_forwardIN3c104HalfES2_fLi0ELb1ELb0ELi32EEEvPT0_PKT_iiiPKbib
    .private_segment_fixed_size: 0
    .sgpr_count:     20
    .sgpr_spill_count: 0
    .symbol:         _ZN12_GLOBAL__N_120softmax_warp_forwardIN3c104HalfES2_fLi0ELb1ELb0ELi32EEEvPT0_PKT_iiiPKbib.kd
    .uniform_work_group_size: 1
    .uses_dynamic_stack: false
    .vgpr_count:     11
    .vgpr_spill_count: 0
    .wavefront_size: 64
  - .agpr_count:     0
    .args:
      - .address_space:  global
        .offset:         0
        .size:           8
        .value_kind:     global_buffer
      - .address_space:  global
        .offset:         8
        .size:           8
        .value_kind:     global_buffer
      - .offset:         16
        .size:           4
        .value_kind:     by_value
      - .offset:         20
        .size:           4
        .value_kind:     by_value
      - .offset:         24
        .size:           4
        .value_kind:     by_value
      - .address_space:  global
        .offset:         32
        .size:           8
        .value_kind:     global_buffer
      - .offset:         40
        .size:           4
        .value_kind:     by_value
      - .offset:         44
        .size:           1
        .value_kind:     by_value
      - .offset:         48
        .size:           4
        .value_kind:     hidden_block_count_x
      - .offset:         52
        .size:           4
        .value_kind:     hidden_block_count_y
      - .offset:         56
        .size:           4
        .value_kind:     hidden_block_count_z
      - .offset:         60
        .size:           2
        .value_kind:     hidden_group_size_x
      - .offset:         62
        .size:           2
        .value_kind:     hidden_group_size_y
      - .offset:         64
        .size:           2
        .value_kind:     hidden_group_size_z
      - .offset:         66
        .size:           2
        .value_kind:     hidden_remainder_x
      - .offset:         68
        .size:           2
        .value_kind:     hidden_remainder_y
      - .offset:         70
        .size:           2
        .value_kind:     hidden_remainder_z
      - .offset:         88
        .size:           8
        .value_kind:     hidden_global_offset_x
      - .offset:         96
        .size:           8
        .value_kind:     hidden_global_offset_y
      - .offset:         104
        .size:           8
        .value_kind:     hidden_global_offset_z
      - .offset:         112
        .size:           2
        .value_kind:     hidden_grid_dims
    .group_segment_fixed_size: 0
    .kernarg_segment_align: 8
    .kernarg_segment_size: 304
    .language:       OpenCL C
    .language_version:
      - 2
      - 0
    .max_flat_workgroup_size: 1024
    .name:           _ZN12_GLOBAL__N_120softmax_warp_forwardIN3c104HalfES2_fLi1ELb1ELb0ELi64EEEvPT0_PKT_iiiPKbib
    .private_segment_fixed_size: 0
    .sgpr_count:     20
    .sgpr_spill_count: 0
    .symbol:         _ZN12_GLOBAL__N_120softmax_warp_forwardIN3c104HalfES2_fLi1ELb1ELb0ELi64EEEvPT0_PKT_iiiPKbib.kd
    .uniform_work_group_size: 1
    .uses_dynamic_stack: false
    .vgpr_count:     14
    .vgpr_spill_count: 0
    .wavefront_size: 64
  - .agpr_count:     0
    .args:
      - .address_space:  global
        .offset:         0
        .size:           8
        .value_kind:     global_buffer
      - .address_space:  global
        .offset:         8
        .size:           8
        .value_kind:     global_buffer
      - .offset:         16
        .size:           4
        .value_kind:     by_value
      - .offset:         20
        .size:           4
        .value_kind:     by_value
      - .offset:         24
        .size:           4
        .value_kind:     by_value
      - .address_space:  global
        .offset:         32
        .size:           8
        .value_kind:     global_buffer
      - .offset:         40
        .size:           4
        .value_kind:     by_value
      - .offset:         44
        .size:           1
        .value_kind:     by_value
      - .offset:         48
        .size:           4
        .value_kind:     hidden_block_count_x
      - .offset:         52
        .size:           4
        .value_kind:     hidden_block_count_y
      - .offset:         56
        .size:           4
        .value_kind:     hidden_block_count_z
      - .offset:         60
        .size:           2
        .value_kind:     hidden_group_size_x
      - .offset:         62
        .size:           2
        .value_kind:     hidden_group_size_y
      - .offset:         64
        .size:           2
        .value_kind:     hidden_group_size_z
      - .offset:         66
        .size:           2
        .value_kind:     hidden_remainder_x
      - .offset:         68
        .size:           2
        .value_kind:     hidden_remainder_y
      - .offset:         70
        .size:           2
        .value_kind:     hidden_remainder_z
      - .offset:         88
        .size:           8
        .value_kind:     hidden_global_offset_x
      - .offset:         96
        .size:           8
        .value_kind:     hidden_global_offset_y
      - .offset:         104
        .size:           8
        .value_kind:     hidden_global_offset_z
      - .offset:         112
        .size:           2
        .value_kind:     hidden_grid_dims
    .group_segment_fixed_size: 0
    .kernarg_segment_align: 8
    .kernarg_segment_size: 304
    .language:       OpenCL C
    .language_version:
      - 2
      - 0
    .max_flat_workgroup_size: 1024
    .name:           _ZN12_GLOBAL__N_120softmax_warp_forwardIN3c104HalfES2_fLi1ELb1ELb0ELi32EEEvPT0_PKT_iiiPKbib
    .private_segment_fixed_size: 0
    .sgpr_count:     20
    .sgpr_spill_count: 0
    .symbol:         _ZN12_GLOBAL__N_120softmax_warp_forwardIN3c104HalfES2_fLi1ELb1ELb0ELi32EEEvPT0_PKT_iiiPKbib.kd
    .uniform_work_group_size: 1
    .uses_dynamic_stack: false
    .vgpr_count:     14
    .vgpr_spill_count: 0
    .wavefront_size: 64
  - .agpr_count:     0
    .args:
      - .address_space:  global
        .offset:         0
        .size:           8
        .value_kind:     global_buffer
      - .address_space:  global
        .offset:         8
        .size:           8
        .value_kind:     global_buffer
      - .offset:         16
        .size:           4
        .value_kind:     by_value
      - .offset:         20
        .size:           4
        .value_kind:     by_value
      - .offset:         24
        .size:           4
        .value_kind:     by_value
      - .address_space:  global
        .offset:         32
        .size:           8
        .value_kind:     global_buffer
      - .offset:         40
        .size:           4
        .value_kind:     by_value
      - .offset:         44
        .size:           1
        .value_kind:     by_value
      - .offset:         48
        .size:           4
        .value_kind:     hidden_block_count_x
      - .offset:         52
        .size:           4
        .value_kind:     hidden_block_count_y
      - .offset:         56
        .size:           4
        .value_kind:     hidden_block_count_z
      - .offset:         60
        .size:           2
        .value_kind:     hidden_group_size_x
      - .offset:         62
        .size:           2
        .value_kind:     hidden_group_size_y
      - .offset:         64
        .size:           2
        .value_kind:     hidden_group_size_z
      - .offset:         66
        .size:           2
        .value_kind:     hidden_remainder_x
      - .offset:         68
        .size:           2
        .value_kind:     hidden_remainder_y
      - .offset:         70
        .size:           2
        .value_kind:     hidden_remainder_z
      - .offset:         88
        .size:           8
        .value_kind:     hidden_global_offset_x
      - .offset:         96
        .size:           8
        .value_kind:     hidden_global_offset_y
      - .offset:         104
        .size:           8
        .value_kind:     hidden_global_offset_z
      - .offset:         112
        .size:           2
        .value_kind:     hidden_grid_dims
    .group_segment_fixed_size: 0
    .kernarg_segment_align: 8
    .kernarg_segment_size: 304
    .language:       OpenCL C
    .language_version:
      - 2
      - 0
    .max_flat_workgroup_size: 1024
    .name:           _ZN12_GLOBAL__N_120softmax_warp_forwardIN3c104HalfES2_fLi2ELb1ELb0ELi64EEEvPT0_PKT_iiiPKbib
    .private_segment_fixed_size: 0
    .sgpr_count:     20
    .sgpr_spill_count: 0
    .symbol:         _ZN12_GLOBAL__N_120softmax_warp_forwardIN3c104HalfES2_fLi2ELb1ELb0ELi64EEEvPT0_PKT_iiiPKbib.kd
    .uniform_work_group_size: 1
    .uses_dynamic_stack: false
    .vgpr_count:     15
    .vgpr_spill_count: 0
    .wavefront_size: 64
  - .agpr_count:     0
    .args:
      - .address_space:  global
        .offset:         0
        .size:           8
        .value_kind:     global_buffer
      - .address_space:  global
        .offset:         8
        .size:           8
        .value_kind:     global_buffer
      - .offset:         16
        .size:           4
        .value_kind:     by_value
      - .offset:         20
        .size:           4
        .value_kind:     by_value
      - .offset:         24
        .size:           4
        .value_kind:     by_value
      - .address_space:  global
        .offset:         32
        .size:           8
        .value_kind:     global_buffer
      - .offset:         40
        .size:           4
        .value_kind:     by_value
      - .offset:         44
        .size:           1
        .value_kind:     by_value
      - .offset:         48
        .size:           4
        .value_kind:     hidden_block_count_x
      - .offset:         52
        .size:           4
        .value_kind:     hidden_block_count_y
      - .offset:         56
        .size:           4
        .value_kind:     hidden_block_count_z
      - .offset:         60
        .size:           2
        .value_kind:     hidden_group_size_x
      - .offset:         62
        .size:           2
        .value_kind:     hidden_group_size_y
      - .offset:         64
        .size:           2
        .value_kind:     hidden_group_size_z
      - .offset:         66
        .size:           2
        .value_kind:     hidden_remainder_x
      - .offset:         68
        .size:           2
        .value_kind:     hidden_remainder_y
      - .offset:         70
        .size:           2
        .value_kind:     hidden_remainder_z
      - .offset:         88
        .size:           8
        .value_kind:     hidden_global_offset_x
      - .offset:         96
        .size:           8
        .value_kind:     hidden_global_offset_y
      - .offset:         104
        .size:           8
        .value_kind:     hidden_global_offset_z
      - .offset:         112
        .size:           2
        .value_kind:     hidden_grid_dims
    .group_segment_fixed_size: 0
    .kernarg_segment_align: 8
    .kernarg_segment_size: 304
    .language:       OpenCL C
    .language_version:
      - 2
      - 0
    .max_flat_workgroup_size: 1024
    .name:           _ZN12_GLOBAL__N_120softmax_warp_forwardIN3c104HalfES2_fLi2ELb1ELb0ELi32EEEvPT0_PKT_iiiPKbib
    .private_segment_fixed_size: 0
    .sgpr_count:     20
    .sgpr_spill_count: 0
    .symbol:         _ZN12_GLOBAL__N_120softmax_warp_forwardIN3c104HalfES2_fLi2ELb1ELb0ELi32EEEvPT0_PKT_iiiPKbib.kd
    .uniform_work_group_size: 1
    .uses_dynamic_stack: false
    .vgpr_count:     15
    .vgpr_spill_count: 0
    .wavefront_size: 64
  - .agpr_count:     0
    .args:
      - .address_space:  global
        .offset:         0
        .size:           8
        .value_kind:     global_buffer
      - .address_space:  global
        .offset:         8
        .size:           8
        .value_kind:     global_buffer
      - .offset:         16
        .size:           4
        .value_kind:     by_value
      - .offset:         20
        .size:           4
        .value_kind:     by_value
      - .offset:         24
        .size:           4
        .value_kind:     by_value
      - .address_space:  global
        .offset:         32
        .size:           8
        .value_kind:     global_buffer
      - .offset:         40
        .size:           4
        .value_kind:     by_value
      - .offset:         44
        .size:           1
        .value_kind:     by_value
      - .offset:         48
        .size:           4
        .value_kind:     hidden_block_count_x
      - .offset:         52
        .size:           4
        .value_kind:     hidden_block_count_y
      - .offset:         56
        .size:           4
        .value_kind:     hidden_block_count_z
      - .offset:         60
        .size:           2
        .value_kind:     hidden_group_size_x
      - .offset:         62
        .size:           2
        .value_kind:     hidden_group_size_y
      - .offset:         64
        .size:           2
        .value_kind:     hidden_group_size_z
      - .offset:         66
        .size:           2
        .value_kind:     hidden_remainder_x
      - .offset:         68
        .size:           2
        .value_kind:     hidden_remainder_y
      - .offset:         70
        .size:           2
        .value_kind:     hidden_remainder_z
      - .offset:         88
        .size:           8
        .value_kind:     hidden_global_offset_x
      - .offset:         96
        .size:           8
        .value_kind:     hidden_global_offset_y
      - .offset:         104
        .size:           8
        .value_kind:     hidden_global_offset_z
      - .offset:         112
        .size:           2
        .value_kind:     hidden_grid_dims
    .group_segment_fixed_size: 0
    .kernarg_segment_align: 8
    .kernarg_segment_size: 304
    .language:       OpenCL C
    .language_version:
      - 2
      - 0
    .max_flat_workgroup_size: 1024
    .name:           _ZN12_GLOBAL__N_120softmax_warp_forwardIN3c104HalfES2_fLi3ELb1ELb0ELi64EEEvPT0_PKT_iiiPKbib
    .private_segment_fixed_size: 0
    .sgpr_count:     20
    .sgpr_spill_count: 0
    .symbol:         _ZN12_GLOBAL__N_120softmax_warp_forwardIN3c104HalfES2_fLi3ELb1ELb0ELi64EEEvPT0_PKT_iiiPKbib.kd
    .uniform_work_group_size: 1
    .uses_dynamic_stack: false
    .vgpr_count:     16
    .vgpr_spill_count: 0
    .wavefront_size: 64
  - .agpr_count:     0
    .args:
      - .address_space:  global
        .offset:         0
        .size:           8
        .value_kind:     global_buffer
      - .address_space:  global
        .offset:         8
        .size:           8
        .value_kind:     global_buffer
      - .offset:         16
        .size:           4
        .value_kind:     by_value
      - .offset:         20
        .size:           4
        .value_kind:     by_value
      - .offset:         24
        .size:           4
        .value_kind:     by_value
      - .address_space:  global
        .offset:         32
        .size:           8
        .value_kind:     global_buffer
      - .offset:         40
        .size:           4
        .value_kind:     by_value
      - .offset:         44
        .size:           1
        .value_kind:     by_value
      - .offset:         48
        .size:           4
        .value_kind:     hidden_block_count_x
      - .offset:         52
        .size:           4
        .value_kind:     hidden_block_count_y
      - .offset:         56
        .size:           4
        .value_kind:     hidden_block_count_z
      - .offset:         60
        .size:           2
        .value_kind:     hidden_group_size_x
      - .offset:         62
        .size:           2
        .value_kind:     hidden_group_size_y
      - .offset:         64
        .size:           2
        .value_kind:     hidden_group_size_z
      - .offset:         66
        .size:           2
        .value_kind:     hidden_remainder_x
      - .offset:         68
        .size:           2
        .value_kind:     hidden_remainder_y
      - .offset:         70
        .size:           2
        .value_kind:     hidden_remainder_z
      - .offset:         88
        .size:           8
        .value_kind:     hidden_global_offset_x
      - .offset:         96
        .size:           8
        .value_kind:     hidden_global_offset_y
      - .offset:         104
        .size:           8
        .value_kind:     hidden_global_offset_z
      - .offset:         112
        .size:           2
        .value_kind:     hidden_grid_dims
    .group_segment_fixed_size: 0
    .kernarg_segment_align: 8
    .kernarg_segment_size: 304
    .language:       OpenCL C
    .language_version:
      - 2
      - 0
    .max_flat_workgroup_size: 1024
    .name:           _ZN12_GLOBAL__N_120softmax_warp_forwardIN3c104HalfES2_fLi3ELb1ELb0ELi32EEEvPT0_PKT_iiiPKbib
    .private_segment_fixed_size: 0
    .sgpr_count:     20
    .sgpr_spill_count: 0
    .symbol:         _ZN12_GLOBAL__N_120softmax_warp_forwardIN3c104HalfES2_fLi3ELb1ELb0ELi32EEEvPT0_PKT_iiiPKbib.kd
    .uniform_work_group_size: 1
    .uses_dynamic_stack: false
    .vgpr_count:     16
    .vgpr_spill_count: 0
    .wavefront_size: 64
  - .agpr_count:     0
    .args:
      - .address_space:  global
        .offset:         0
        .size:           8
        .value_kind:     global_buffer
      - .address_space:  global
        .offset:         8
        .size:           8
        .value_kind:     global_buffer
      - .offset:         16
        .size:           4
        .value_kind:     by_value
      - .offset:         20
        .size:           4
        .value_kind:     by_value
      - .offset:         24
        .size:           4
        .value_kind:     by_value
      - .address_space:  global
        .offset:         32
        .size:           8
        .value_kind:     global_buffer
      - .offset:         40
        .size:           4
        .value_kind:     by_value
      - .offset:         44
        .size:           1
        .value_kind:     by_value
      - .offset:         48
        .size:           4
        .value_kind:     hidden_block_count_x
      - .offset:         52
        .size:           4
        .value_kind:     hidden_block_count_y
      - .offset:         56
        .size:           4
        .value_kind:     hidden_block_count_z
      - .offset:         60
        .size:           2
        .value_kind:     hidden_group_size_x
      - .offset:         62
        .size:           2
        .value_kind:     hidden_group_size_y
      - .offset:         64
        .size:           2
        .value_kind:     hidden_group_size_z
      - .offset:         66
        .size:           2
        .value_kind:     hidden_remainder_x
      - .offset:         68
        .size:           2
        .value_kind:     hidden_remainder_y
      - .offset:         70
        .size:           2
        .value_kind:     hidden_remainder_z
      - .offset:         88
        .size:           8
        .value_kind:     hidden_global_offset_x
      - .offset:         96
        .size:           8
        .value_kind:     hidden_global_offset_y
      - .offset:         104
        .size:           8
        .value_kind:     hidden_global_offset_z
      - .offset:         112
        .size:           2
        .value_kind:     hidden_grid_dims
    .group_segment_fixed_size: 0
    .kernarg_segment_align: 8
    .kernarg_segment_size: 304
    .language:       OpenCL C
    .language_version:
      - 2
      - 0
    .max_flat_workgroup_size: 1024
    .name:           _ZN12_GLOBAL__N_120softmax_warp_forwardIN3c104HalfES2_fLi4ELb1ELb0ELi64EEEvPT0_PKT_iiiPKbib
    .private_segment_fixed_size: 0
    .sgpr_count:     20
    .sgpr_spill_count: 0
    .symbol:         _ZN12_GLOBAL__N_120softmax_warp_forwardIN3c104HalfES2_fLi4ELb1ELb0ELi64EEEvPT0_PKT_iiiPKbib.kd
    .uniform_work_group_size: 1
    .uses_dynamic_stack: false
    .vgpr_count:     17
    .vgpr_spill_count: 0
    .wavefront_size: 64
  - .agpr_count:     0
    .args:
      - .address_space:  global
        .offset:         0
        .size:           8
        .value_kind:     global_buffer
      - .address_space:  global
        .offset:         8
        .size:           8
        .value_kind:     global_buffer
      - .offset:         16
        .size:           4
        .value_kind:     by_value
      - .offset:         20
        .size:           4
        .value_kind:     by_value
      - .offset:         24
        .size:           4
        .value_kind:     by_value
      - .address_space:  global
        .offset:         32
        .size:           8
        .value_kind:     global_buffer
      - .offset:         40
        .size:           4
        .value_kind:     by_value
      - .offset:         44
        .size:           1
        .value_kind:     by_value
      - .offset:         48
        .size:           4
        .value_kind:     hidden_block_count_x
      - .offset:         52
        .size:           4
        .value_kind:     hidden_block_count_y
      - .offset:         56
        .size:           4
        .value_kind:     hidden_block_count_z
      - .offset:         60
        .size:           2
        .value_kind:     hidden_group_size_x
      - .offset:         62
        .size:           2
        .value_kind:     hidden_group_size_y
      - .offset:         64
        .size:           2
        .value_kind:     hidden_group_size_z
      - .offset:         66
        .size:           2
        .value_kind:     hidden_remainder_x
      - .offset:         68
        .size:           2
        .value_kind:     hidden_remainder_y
      - .offset:         70
        .size:           2
        .value_kind:     hidden_remainder_z
      - .offset:         88
        .size:           8
        .value_kind:     hidden_global_offset_x
      - .offset:         96
        .size:           8
        .value_kind:     hidden_global_offset_y
      - .offset:         104
        .size:           8
        .value_kind:     hidden_global_offset_z
      - .offset:         112
        .size:           2
        .value_kind:     hidden_grid_dims
    .group_segment_fixed_size: 0
    .kernarg_segment_align: 8
    .kernarg_segment_size: 304
    .language:       OpenCL C
    .language_version:
      - 2
      - 0
    .max_flat_workgroup_size: 1024
    .name:           _ZN12_GLOBAL__N_120softmax_warp_forwardIN3c104HalfES2_fLi4ELb1ELb0ELi32EEEvPT0_PKT_iiiPKbib
    .private_segment_fixed_size: 0
    .sgpr_count:     20
    .sgpr_spill_count: 0
    .symbol:         _ZN12_GLOBAL__N_120softmax_warp_forwardIN3c104HalfES2_fLi4ELb1ELb0ELi32EEEvPT0_PKT_iiiPKbib.kd
    .uniform_work_group_size: 1
    .uses_dynamic_stack: false
    .vgpr_count:     17
    .vgpr_spill_count: 0
    .wavefront_size: 64
  - .agpr_count:     0
    .args:
      - .address_space:  global
        .offset:         0
        .size:           8
        .value_kind:     global_buffer
      - .address_space:  global
        .offset:         8
        .size:           8
        .value_kind:     global_buffer
      - .offset:         16
        .size:           4
        .value_kind:     by_value
      - .offset:         20
        .size:           4
        .value_kind:     by_value
      - .offset:         24
        .size:           4
        .value_kind:     by_value
      - .address_space:  global
        .offset:         32
        .size:           8
        .value_kind:     global_buffer
      - .offset:         40
        .size:           4
        .value_kind:     by_value
      - .offset:         44
        .size:           1
        .value_kind:     by_value
      - .offset:         48
        .size:           4
        .value_kind:     hidden_block_count_x
      - .offset:         52
        .size:           4
        .value_kind:     hidden_block_count_y
      - .offset:         56
        .size:           4
        .value_kind:     hidden_block_count_z
      - .offset:         60
        .size:           2
        .value_kind:     hidden_group_size_x
      - .offset:         62
        .size:           2
        .value_kind:     hidden_group_size_y
      - .offset:         64
        .size:           2
        .value_kind:     hidden_group_size_z
      - .offset:         66
        .size:           2
        .value_kind:     hidden_remainder_x
      - .offset:         68
        .size:           2
        .value_kind:     hidden_remainder_y
      - .offset:         70
        .size:           2
        .value_kind:     hidden_remainder_z
      - .offset:         88
        .size:           8
        .value_kind:     hidden_global_offset_x
      - .offset:         96
        .size:           8
        .value_kind:     hidden_global_offset_y
      - .offset:         104
        .size:           8
        .value_kind:     hidden_global_offset_z
      - .offset:         112
        .size:           2
        .value_kind:     hidden_grid_dims
    .group_segment_fixed_size: 0
    .kernarg_segment_align: 8
    .kernarg_segment_size: 304
    .language:       OpenCL C
    .language_version:
      - 2
      - 0
    .max_flat_workgroup_size: 1024
    .name:           _ZN12_GLOBAL__N_120softmax_warp_forwardIN3c104HalfES2_fLi5ELb1ELb0ELi64EEEvPT0_PKT_iiiPKbib
    .private_segment_fixed_size: 0
    .sgpr_count:     20
    .sgpr_spill_count: 0
    .symbol:         _ZN12_GLOBAL__N_120softmax_warp_forwardIN3c104HalfES2_fLi5ELb1ELb0ELi64EEEvPT0_PKT_iiiPKbib.kd
    .uniform_work_group_size: 1
    .uses_dynamic_stack: false
    .vgpr_count:     18
    .vgpr_spill_count: 0
    .wavefront_size: 64
  - .agpr_count:     0
    .args:
      - .address_space:  global
        .offset:         0
        .size:           8
        .value_kind:     global_buffer
      - .address_space:  global
        .offset:         8
        .size:           8
        .value_kind:     global_buffer
      - .offset:         16
        .size:           4
        .value_kind:     by_value
      - .offset:         20
        .size:           4
        .value_kind:     by_value
      - .offset:         24
        .size:           4
        .value_kind:     by_value
      - .address_space:  global
        .offset:         32
        .size:           8
        .value_kind:     global_buffer
      - .offset:         40
        .size:           4
        .value_kind:     by_value
      - .offset:         44
        .size:           1
        .value_kind:     by_value
      - .offset:         48
        .size:           4
        .value_kind:     hidden_block_count_x
      - .offset:         52
        .size:           4
        .value_kind:     hidden_block_count_y
      - .offset:         56
        .size:           4
        .value_kind:     hidden_block_count_z
      - .offset:         60
        .size:           2
        .value_kind:     hidden_group_size_x
      - .offset:         62
        .size:           2
        .value_kind:     hidden_group_size_y
      - .offset:         64
        .size:           2
        .value_kind:     hidden_group_size_z
      - .offset:         66
        .size:           2
        .value_kind:     hidden_remainder_x
      - .offset:         68
        .size:           2
        .value_kind:     hidden_remainder_y
      - .offset:         70
        .size:           2
        .value_kind:     hidden_remainder_z
      - .offset:         88
        .size:           8
        .value_kind:     hidden_global_offset_x
      - .offset:         96
        .size:           8
        .value_kind:     hidden_global_offset_y
      - .offset:         104
        .size:           8
        .value_kind:     hidden_global_offset_z
      - .offset:         112
        .size:           2
        .value_kind:     hidden_grid_dims
    .group_segment_fixed_size: 0
    .kernarg_segment_align: 8
    .kernarg_segment_size: 304
    .language:       OpenCL C
    .language_version:
      - 2
      - 0
    .max_flat_workgroup_size: 1024
    .name:           _ZN12_GLOBAL__N_120softmax_warp_forwardIN3c104HalfES2_fLi5ELb1ELb0ELi32EEEvPT0_PKT_iiiPKbib
    .private_segment_fixed_size: 0
    .sgpr_count:     20
    .sgpr_spill_count: 0
    .symbol:         _ZN12_GLOBAL__N_120softmax_warp_forwardIN3c104HalfES2_fLi5ELb1ELb0ELi32EEEvPT0_PKT_iiiPKbib.kd
    .uniform_work_group_size: 1
    .uses_dynamic_stack: false
    .vgpr_count:     18
    .vgpr_spill_count: 0
    .wavefront_size: 64
  - .agpr_count:     0
    .args:
      - .address_space:  global
        .offset:         0
        .size:           8
        .value_kind:     global_buffer
      - .address_space:  global
        .offset:         8
        .size:           8
        .value_kind:     global_buffer
      - .offset:         16
        .size:           4
        .value_kind:     by_value
      - .offset:         20
        .size:           4
        .value_kind:     by_value
      - .offset:         24
        .size:           4
        .value_kind:     by_value
      - .address_space:  global
        .offset:         32
        .size:           8
        .value_kind:     global_buffer
      - .offset:         40
        .size:           4
        .value_kind:     by_value
      - .offset:         44
        .size:           1
        .value_kind:     by_value
      - .offset:         48
        .size:           4
        .value_kind:     hidden_block_count_x
      - .offset:         52
        .size:           4
        .value_kind:     hidden_block_count_y
      - .offset:         56
        .size:           4
        .value_kind:     hidden_block_count_z
      - .offset:         60
        .size:           2
        .value_kind:     hidden_group_size_x
      - .offset:         62
        .size:           2
        .value_kind:     hidden_group_size_y
      - .offset:         64
        .size:           2
        .value_kind:     hidden_group_size_z
      - .offset:         66
        .size:           2
        .value_kind:     hidden_remainder_x
      - .offset:         68
        .size:           2
        .value_kind:     hidden_remainder_y
      - .offset:         70
        .size:           2
        .value_kind:     hidden_remainder_z
      - .offset:         88
        .size:           8
        .value_kind:     hidden_global_offset_x
      - .offset:         96
        .size:           8
        .value_kind:     hidden_global_offset_y
      - .offset:         104
        .size:           8
        .value_kind:     hidden_global_offset_z
      - .offset:         112
        .size:           2
        .value_kind:     hidden_grid_dims
    .group_segment_fixed_size: 0
    .kernarg_segment_align: 8
    .kernarg_segment_size: 304
    .language:       OpenCL C
    .language_version:
      - 2
      - 0
    .max_flat_workgroup_size: 1024
    .name:           _ZN12_GLOBAL__N_120softmax_warp_forwardIN3c104HalfES2_fLi6ELb1ELb0ELi64EEEvPT0_PKT_iiiPKbib
    .private_segment_fixed_size: 0
    .sgpr_count:     20
    .sgpr_spill_count: 0
    .symbol:         _ZN12_GLOBAL__N_120softmax_warp_forwardIN3c104HalfES2_fLi6ELb1ELb0ELi64EEEvPT0_PKT_iiiPKbib.kd
    .uniform_work_group_size: 1
    .uses_dynamic_stack: false
    .vgpr_count:     19
    .vgpr_spill_count: 0
    .wavefront_size: 64
  - .agpr_count:     0
    .args:
      - .address_space:  global
        .offset:         0
        .size:           8
        .value_kind:     global_buffer
      - .address_space:  global
        .offset:         8
        .size:           8
        .value_kind:     global_buffer
      - .offset:         16
        .size:           4
        .value_kind:     by_value
      - .offset:         20
        .size:           4
        .value_kind:     by_value
      - .offset:         24
        .size:           4
        .value_kind:     by_value
      - .address_space:  global
        .offset:         32
        .size:           8
        .value_kind:     global_buffer
      - .offset:         40
        .size:           4
        .value_kind:     by_value
      - .offset:         44
        .size:           1
        .value_kind:     by_value
      - .offset:         48
        .size:           4
        .value_kind:     hidden_block_count_x
      - .offset:         52
        .size:           4
        .value_kind:     hidden_block_count_y
      - .offset:         56
        .size:           4
        .value_kind:     hidden_block_count_z
      - .offset:         60
        .size:           2
        .value_kind:     hidden_group_size_x
      - .offset:         62
        .size:           2
        .value_kind:     hidden_group_size_y
      - .offset:         64
        .size:           2
        .value_kind:     hidden_group_size_z
      - .offset:         66
        .size:           2
        .value_kind:     hidden_remainder_x
      - .offset:         68
        .size:           2
        .value_kind:     hidden_remainder_y
      - .offset:         70
        .size:           2
        .value_kind:     hidden_remainder_z
      - .offset:         88
        .size:           8
        .value_kind:     hidden_global_offset_x
      - .offset:         96
        .size:           8
        .value_kind:     hidden_global_offset_y
      - .offset:         104
        .size:           8
        .value_kind:     hidden_global_offset_z
      - .offset:         112
        .size:           2
        .value_kind:     hidden_grid_dims
    .group_segment_fixed_size: 0
    .kernarg_segment_align: 8
    .kernarg_segment_size: 304
    .language:       OpenCL C
    .language_version:
      - 2
      - 0
    .max_flat_workgroup_size: 1024
    .name:           _ZN12_GLOBAL__N_120softmax_warp_forwardIN3c104HalfES2_fLi6ELb1ELb0ELi32EEEvPT0_PKT_iiiPKbib
    .private_segment_fixed_size: 0
    .sgpr_count:     20
    .sgpr_spill_count: 0
    .symbol:         _ZN12_GLOBAL__N_120softmax_warp_forwardIN3c104HalfES2_fLi6ELb1ELb0ELi32EEEvPT0_PKT_iiiPKbib.kd
    .uniform_work_group_size: 1
    .uses_dynamic_stack: false
    .vgpr_count:     23
    .vgpr_spill_count: 0
    .wavefront_size: 64
  - .agpr_count:     0
    .args:
      - .address_space:  global
        .offset:         0
        .size:           8
        .value_kind:     global_buffer
      - .address_space:  global
        .offset:         8
        .size:           8
        .value_kind:     global_buffer
      - .offset:         16
        .size:           4
        .value_kind:     by_value
      - .offset:         20
        .size:           4
        .value_kind:     by_value
      - .offset:         24
        .size:           4
        .value_kind:     by_value
      - .address_space:  global
        .offset:         32
        .size:           8
        .value_kind:     global_buffer
      - .offset:         40
        .size:           4
        .value_kind:     by_value
      - .offset:         44
        .size:           1
        .value_kind:     by_value
      - .offset:         48
        .size:           4
        .value_kind:     hidden_block_count_x
      - .offset:         52
        .size:           4
        .value_kind:     hidden_block_count_y
      - .offset:         56
        .size:           4
        .value_kind:     hidden_block_count_z
      - .offset:         60
        .size:           2
        .value_kind:     hidden_group_size_x
      - .offset:         62
        .size:           2
        .value_kind:     hidden_group_size_y
      - .offset:         64
        .size:           2
        .value_kind:     hidden_group_size_z
      - .offset:         66
        .size:           2
        .value_kind:     hidden_remainder_x
      - .offset:         68
        .size:           2
        .value_kind:     hidden_remainder_y
      - .offset:         70
        .size:           2
        .value_kind:     hidden_remainder_z
      - .offset:         88
        .size:           8
        .value_kind:     hidden_global_offset_x
      - .offset:         96
        .size:           8
        .value_kind:     hidden_global_offset_y
      - .offset:         104
        .size:           8
        .value_kind:     hidden_global_offset_z
      - .offset:         112
        .size:           2
        .value_kind:     hidden_grid_dims
    .group_segment_fixed_size: 0
    .kernarg_segment_align: 8
    .kernarg_segment_size: 304
    .language:       OpenCL C
    .language_version:
      - 2
      - 0
    .max_flat_workgroup_size: 1024
    .name:           _ZN12_GLOBAL__N_120softmax_warp_forwardIN3c104HalfES2_fLi7ELb1ELb0ELi64EEEvPT0_PKT_iiiPKbib
    .private_segment_fixed_size: 0
    .sgpr_count:     20
    .sgpr_spill_count: 0
    .symbol:         _ZN12_GLOBAL__N_120softmax_warp_forwardIN3c104HalfES2_fLi7ELb1ELb0ELi64EEEvPT0_PKT_iiiPKbib.kd
    .uniform_work_group_size: 1
    .uses_dynamic_stack: false
    .vgpr_count:     24
    .vgpr_spill_count: 0
    .wavefront_size: 64
  - .agpr_count:     0
    .args:
      - .address_space:  global
        .offset:         0
        .size:           8
        .value_kind:     global_buffer
      - .address_space:  global
        .offset:         8
        .size:           8
        .value_kind:     global_buffer
      - .offset:         16
        .size:           4
        .value_kind:     by_value
      - .offset:         20
        .size:           4
        .value_kind:     by_value
      - .offset:         24
        .size:           4
        .value_kind:     by_value
      - .address_space:  global
        .offset:         32
        .size:           8
        .value_kind:     global_buffer
      - .offset:         40
        .size:           4
        .value_kind:     by_value
      - .offset:         44
        .size:           1
        .value_kind:     by_value
      - .offset:         48
        .size:           4
        .value_kind:     hidden_block_count_x
      - .offset:         52
        .size:           4
        .value_kind:     hidden_block_count_y
      - .offset:         56
        .size:           4
        .value_kind:     hidden_block_count_z
      - .offset:         60
        .size:           2
        .value_kind:     hidden_group_size_x
      - .offset:         62
        .size:           2
        .value_kind:     hidden_group_size_y
      - .offset:         64
        .size:           2
        .value_kind:     hidden_group_size_z
      - .offset:         66
        .size:           2
        .value_kind:     hidden_remainder_x
      - .offset:         68
        .size:           2
        .value_kind:     hidden_remainder_y
      - .offset:         70
        .size:           2
        .value_kind:     hidden_remainder_z
      - .offset:         88
        .size:           8
        .value_kind:     hidden_global_offset_x
      - .offset:         96
        .size:           8
        .value_kind:     hidden_global_offset_y
      - .offset:         104
        .size:           8
        .value_kind:     hidden_global_offset_z
      - .offset:         112
        .size:           2
        .value_kind:     hidden_grid_dims
    .group_segment_fixed_size: 0
    .kernarg_segment_align: 8
    .kernarg_segment_size: 304
    .language:       OpenCL C
    .language_version:
      - 2
      - 0
    .max_flat_workgroup_size: 1024
    .name:           _ZN12_GLOBAL__N_120softmax_warp_forwardIN3c104HalfES2_fLi7ELb1ELb0ELi32EEEvPT0_PKT_iiiPKbib
    .private_segment_fixed_size: 0
    .sgpr_count:     24
    .sgpr_spill_count: 0
    .symbol:         _ZN12_GLOBAL__N_120softmax_warp_forwardIN3c104HalfES2_fLi7ELb1ELb0ELi32EEEvPT0_PKT_iiiPKbib.kd
    .uniform_work_group_size: 1
    .uses_dynamic_stack: false
    .vgpr_count:     29
    .vgpr_spill_count: 0
    .wavefront_size: 64
  - .agpr_count:     0
    .args:
      - .address_space:  global
        .offset:         0
        .size:           8
        .value_kind:     global_buffer
      - .address_space:  global
        .offset:         8
        .size:           8
        .value_kind:     global_buffer
      - .offset:         16
        .size:           4
        .value_kind:     by_value
      - .offset:         20
        .size:           4
        .value_kind:     by_value
      - .offset:         24
        .size:           4
        .value_kind:     by_value
      - .address_space:  global
        .offset:         32
        .size:           8
        .value_kind:     global_buffer
      - .offset:         40
        .size:           4
        .value_kind:     by_value
      - .offset:         44
        .size:           1
        .value_kind:     by_value
      - .offset:         48
        .size:           4
        .value_kind:     hidden_block_count_x
      - .offset:         52
        .size:           4
        .value_kind:     hidden_block_count_y
      - .offset:         56
        .size:           4
        .value_kind:     hidden_block_count_z
      - .offset:         60
        .size:           2
        .value_kind:     hidden_group_size_x
      - .offset:         62
        .size:           2
        .value_kind:     hidden_group_size_y
      - .offset:         64
        .size:           2
        .value_kind:     hidden_group_size_z
      - .offset:         66
        .size:           2
        .value_kind:     hidden_remainder_x
      - .offset:         68
        .size:           2
        .value_kind:     hidden_remainder_y
      - .offset:         70
        .size:           2
        .value_kind:     hidden_remainder_z
      - .offset:         88
        .size:           8
        .value_kind:     hidden_global_offset_x
      - .offset:         96
        .size:           8
        .value_kind:     hidden_global_offset_y
      - .offset:         104
        .size:           8
        .value_kind:     hidden_global_offset_z
      - .offset:         112
        .size:           2
        .value_kind:     hidden_grid_dims
    .group_segment_fixed_size: 0
    .kernarg_segment_align: 8
    .kernarg_segment_size: 304
    .language:       OpenCL C
    .language_version:
      - 2
      - 0
    .max_flat_workgroup_size: 1024
    .name:           _ZN12_GLOBAL__N_120softmax_warp_forwardIN3c104HalfES2_fLi8ELb1ELb0ELi64EEEvPT0_PKT_iiiPKbib
    .private_segment_fixed_size: 0
    .sgpr_count:     20
    .sgpr_spill_count: 0
    .symbol:         _ZN12_GLOBAL__N_120softmax_warp_forwardIN3c104HalfES2_fLi8ELb1ELb0ELi64EEEvPT0_PKT_iiiPKbib.kd
    .uniform_work_group_size: 1
    .uses_dynamic_stack: false
    .vgpr_count:     20
    .vgpr_spill_count: 0
    .wavefront_size: 64
  - .agpr_count:     0
    .args:
      - .address_space:  global
        .offset:         0
        .size:           8
        .value_kind:     global_buffer
      - .address_space:  global
        .offset:         8
        .size:           8
        .value_kind:     global_buffer
      - .offset:         16
        .size:           4
        .value_kind:     by_value
      - .offset:         20
        .size:           4
        .value_kind:     by_value
      - .offset:         24
        .size:           4
        .value_kind:     by_value
      - .address_space:  global
        .offset:         32
        .size:           8
        .value_kind:     global_buffer
      - .offset:         40
        .size:           4
        .value_kind:     by_value
      - .offset:         44
        .size:           1
        .value_kind:     by_value
      - .offset:         48
        .size:           4
        .value_kind:     hidden_block_count_x
      - .offset:         52
        .size:           4
        .value_kind:     hidden_block_count_y
      - .offset:         56
        .size:           4
        .value_kind:     hidden_block_count_z
      - .offset:         60
        .size:           2
        .value_kind:     hidden_group_size_x
      - .offset:         62
        .size:           2
        .value_kind:     hidden_group_size_y
      - .offset:         64
        .size:           2
        .value_kind:     hidden_group_size_z
      - .offset:         66
        .size:           2
        .value_kind:     hidden_remainder_x
      - .offset:         68
        .size:           2
        .value_kind:     hidden_remainder_y
      - .offset:         70
        .size:           2
        .value_kind:     hidden_remainder_z
      - .offset:         88
        .size:           8
        .value_kind:     hidden_global_offset_x
      - .offset:         96
        .size:           8
        .value_kind:     hidden_global_offset_y
      - .offset:         104
        .size:           8
        .value_kind:     hidden_global_offset_z
      - .offset:         112
        .size:           2
        .value_kind:     hidden_grid_dims
    .group_segment_fixed_size: 0
    .kernarg_segment_align: 8
    .kernarg_segment_size: 304
    .language:       OpenCL C
    .language_version:
      - 2
      - 0
    .max_flat_workgroup_size: 1024
    .name:           _ZN12_GLOBAL__N_120softmax_warp_forwardIN3c104HalfES2_fLi8ELb1ELb0ELi32EEEvPT0_PKT_iiiPKbib
    .private_segment_fixed_size: 0
    .sgpr_count:     28
    .sgpr_spill_count: 0
    .symbol:         _ZN12_GLOBAL__N_120softmax_warp_forwardIN3c104HalfES2_fLi8ELb1ELb0ELi32EEEvPT0_PKT_iiiPKbib.kd
    .uniform_work_group_size: 1
    .uses_dynamic_stack: false
    .vgpr_count:     23
    .vgpr_spill_count: 0
    .wavefront_size: 64
  - .agpr_count:     0
    .args:
      - .address_space:  global
        .offset:         0
        .size:           8
        .value_kind:     global_buffer
      - .address_space:  global
        .offset:         8
        .size:           8
        .value_kind:     global_buffer
      - .offset:         16
        .size:           4
        .value_kind:     by_value
      - .offset:         20
        .size:           4
        .value_kind:     by_value
      - .offset:         24
        .size:           4
        .value_kind:     by_value
      - .address_space:  global
        .offset:         32
        .size:           8
        .value_kind:     global_buffer
      - .offset:         40
        .size:           4
        .value_kind:     by_value
      - .offset:         44
        .size:           1
        .value_kind:     by_value
      - .offset:         48
        .size:           4
        .value_kind:     hidden_block_count_x
      - .offset:         52
        .size:           4
        .value_kind:     hidden_block_count_y
      - .offset:         56
        .size:           4
        .value_kind:     hidden_block_count_z
      - .offset:         60
        .size:           2
        .value_kind:     hidden_group_size_x
      - .offset:         62
        .size:           2
        .value_kind:     hidden_group_size_y
      - .offset:         64
        .size:           2
        .value_kind:     hidden_group_size_z
      - .offset:         66
        .size:           2
        .value_kind:     hidden_remainder_x
      - .offset:         68
        .size:           2
        .value_kind:     hidden_remainder_y
      - .offset:         70
        .size:           2
        .value_kind:     hidden_remainder_z
      - .offset:         88
        .size:           8
        .value_kind:     hidden_global_offset_x
      - .offset:         96
        .size:           8
        .value_kind:     hidden_global_offset_y
      - .offset:         104
        .size:           8
        .value_kind:     hidden_global_offset_z
      - .offset:         112
        .size:           2
        .value_kind:     hidden_grid_dims
    .group_segment_fixed_size: 0
    .kernarg_segment_align: 8
    .kernarg_segment_size: 304
    .language:       OpenCL C
    .language_version:
      - 2
      - 0
    .max_flat_workgroup_size: 1024
    .name:           _ZN12_GLOBAL__N_120softmax_warp_forwardIN3c104HalfES2_fLi9ELb1ELb0ELi64EEEvPT0_PKT_iiiPKbib
    .private_segment_fixed_size: 0
    .sgpr_count:     28
    .sgpr_spill_count: 0
    .symbol:         _ZN12_GLOBAL__N_120softmax_warp_forwardIN3c104HalfES2_fLi9ELb1ELb0ELi64EEEvPT0_PKT_iiiPKbib.kd
    .uniform_work_group_size: 1
    .uses_dynamic_stack: false
    .vgpr_count:     24
    .vgpr_spill_count: 0
    .wavefront_size: 64
  - .agpr_count:     0
    .args:
      - .address_space:  global
        .offset:         0
        .size:           8
        .value_kind:     global_buffer
      - .address_space:  global
        .offset:         8
        .size:           8
        .value_kind:     global_buffer
      - .offset:         16
        .size:           4
        .value_kind:     by_value
      - .offset:         20
        .size:           4
        .value_kind:     by_value
      - .offset:         24
        .size:           4
        .value_kind:     by_value
      - .address_space:  global
        .offset:         32
        .size:           8
        .value_kind:     global_buffer
      - .offset:         40
        .size:           4
        .value_kind:     by_value
      - .offset:         44
        .size:           1
        .value_kind:     by_value
      - .offset:         48
        .size:           4
        .value_kind:     hidden_block_count_x
      - .offset:         52
        .size:           4
        .value_kind:     hidden_block_count_y
      - .offset:         56
        .size:           4
        .value_kind:     hidden_block_count_z
      - .offset:         60
        .size:           2
        .value_kind:     hidden_group_size_x
      - .offset:         62
        .size:           2
        .value_kind:     hidden_group_size_y
      - .offset:         64
        .size:           2
        .value_kind:     hidden_group_size_z
      - .offset:         66
        .size:           2
        .value_kind:     hidden_remainder_x
      - .offset:         68
        .size:           2
        .value_kind:     hidden_remainder_y
      - .offset:         70
        .size:           2
        .value_kind:     hidden_remainder_z
      - .offset:         88
        .size:           8
        .value_kind:     hidden_global_offset_x
      - .offset:         96
        .size:           8
        .value_kind:     hidden_global_offset_y
      - .offset:         104
        .size:           8
        .value_kind:     hidden_global_offset_z
      - .offset:         112
        .size:           2
        .value_kind:     hidden_grid_dims
    .group_segment_fixed_size: 0
    .kernarg_segment_align: 8
    .kernarg_segment_size: 304
    .language:       OpenCL C
    .language_version:
      - 2
      - 0
    .max_flat_workgroup_size: 1024
    .name:           _ZN12_GLOBAL__N_120softmax_warp_forwardIN3c104HalfES2_fLi9ELb1ELb0ELi32EEEvPT0_PKT_iiiPKbib
    .private_segment_fixed_size: 0
    .sgpr_count:     48
    .sgpr_spill_count: 0
    .symbol:         _ZN12_GLOBAL__N_120softmax_warp_forwardIN3c104HalfES2_fLi9ELb1ELb0ELi32EEEvPT0_PKT_iiiPKbib.kd
    .uniform_work_group_size: 1
    .uses_dynamic_stack: false
    .vgpr_count:     31
    .vgpr_spill_count: 0
    .wavefront_size: 64
  - .agpr_count:     0
    .args:
      - .address_space:  global
        .offset:         0
        .size:           8
        .value_kind:     global_buffer
      - .address_space:  global
        .offset:         8
        .size:           8
        .value_kind:     global_buffer
      - .offset:         16
        .size:           4
        .value_kind:     by_value
      - .offset:         20
        .size:           4
        .value_kind:     by_value
      - .offset:         24
        .size:           4
        .value_kind:     by_value
      - .address_space:  global
        .offset:         32
        .size:           8
        .value_kind:     global_buffer
      - .offset:         40
        .size:           4
        .value_kind:     by_value
      - .offset:         44
        .size:           1
        .value_kind:     by_value
      - .offset:         48
        .size:           4
        .value_kind:     hidden_block_count_x
      - .offset:         52
        .size:           4
        .value_kind:     hidden_block_count_y
      - .offset:         56
        .size:           4
        .value_kind:     hidden_block_count_z
      - .offset:         60
        .size:           2
        .value_kind:     hidden_group_size_x
      - .offset:         62
        .size:           2
        .value_kind:     hidden_group_size_y
      - .offset:         64
        .size:           2
        .value_kind:     hidden_group_size_z
      - .offset:         66
        .size:           2
        .value_kind:     hidden_remainder_x
      - .offset:         68
        .size:           2
        .value_kind:     hidden_remainder_y
      - .offset:         70
        .size:           2
        .value_kind:     hidden_remainder_z
      - .offset:         88
        .size:           8
        .value_kind:     hidden_global_offset_x
      - .offset:         96
        .size:           8
        .value_kind:     hidden_global_offset_y
      - .offset:         104
        .size:           8
        .value_kind:     hidden_global_offset_z
      - .offset:         112
        .size:           2
        .value_kind:     hidden_grid_dims
    .group_segment_fixed_size: 0
    .kernarg_segment_align: 8
    .kernarg_segment_size: 304
    .language:       OpenCL C
    .language_version:
      - 2
      - 0
    .max_flat_workgroup_size: 1024
    .name:           _ZN12_GLOBAL__N_120softmax_warp_forwardIN3c104HalfES2_fLi10ELb1ELb0ELi64EEEvPT0_PKT_iiiPKbib
    .private_segment_fixed_size: 0
    .sgpr_count:     48
    .sgpr_spill_count: 0
    .symbol:         _ZN12_GLOBAL__N_120softmax_warp_forwardIN3c104HalfES2_fLi10ELb1ELb0ELi64EEEvPT0_PKT_iiiPKbib.kd
    .uniform_work_group_size: 1
    .uses_dynamic_stack: false
    .vgpr_count:     32
    .vgpr_spill_count: 0
    .wavefront_size: 64
  - .agpr_count:     0
    .args:
      - .address_space:  global
        .offset:         0
        .size:           8
        .value_kind:     global_buffer
      - .address_space:  global
        .offset:         8
        .size:           8
        .value_kind:     global_buffer
      - .offset:         16
        .size:           4
        .value_kind:     by_value
      - .offset:         20
        .size:           4
        .value_kind:     by_value
      - .offset:         24
        .size:           4
        .value_kind:     by_value
      - .address_space:  global
        .offset:         32
        .size:           8
        .value_kind:     global_buffer
      - .offset:         40
        .size:           4
        .value_kind:     by_value
      - .offset:         44
        .size:           1
        .value_kind:     by_value
      - .offset:         48
        .size:           4
        .value_kind:     hidden_block_count_x
      - .offset:         52
        .size:           4
        .value_kind:     hidden_block_count_y
      - .offset:         56
        .size:           4
        .value_kind:     hidden_block_count_z
      - .offset:         60
        .size:           2
        .value_kind:     hidden_group_size_x
      - .offset:         62
        .size:           2
        .value_kind:     hidden_group_size_y
      - .offset:         64
        .size:           2
        .value_kind:     hidden_group_size_z
      - .offset:         66
        .size:           2
        .value_kind:     hidden_remainder_x
      - .offset:         68
        .size:           2
        .value_kind:     hidden_remainder_y
      - .offset:         70
        .size:           2
        .value_kind:     hidden_remainder_z
      - .offset:         88
        .size:           8
        .value_kind:     hidden_global_offset_x
      - .offset:         96
        .size:           8
        .value_kind:     hidden_global_offset_y
      - .offset:         104
        .size:           8
        .value_kind:     hidden_global_offset_z
      - .offset:         112
        .size:           2
        .value_kind:     hidden_grid_dims
    .group_segment_fixed_size: 0
    .kernarg_segment_align: 8
    .kernarg_segment_size: 304
    .language:       OpenCL C
    .language_version:
      - 2
      - 0
    .max_flat_workgroup_size: 1024
    .name:           _ZN12_GLOBAL__N_120softmax_warp_forwardIN3c104HalfES2_fLi10ELb1ELb0ELi32EEEvPT0_PKT_iiiPKbib
    .private_segment_fixed_size: 0
    .sgpr_count:     80
    .sgpr_spill_count: 0
    .symbol:         _ZN12_GLOBAL__N_120softmax_warp_forwardIN3c104HalfES2_fLi10ELb1ELb0ELi32EEEvPT0_PKT_iiiPKbib.kd
    .uniform_work_group_size: 1
    .uses_dynamic_stack: false
    .vgpr_count:     47
    .vgpr_spill_count: 0
    .wavefront_size: 64
  - .agpr_count:     0
    .args:
      - .address_space:  global
        .offset:         0
        .size:           8
        .value_kind:     global_buffer
      - .address_space:  global
        .offset:         8
        .size:           8
        .value_kind:     global_buffer
      - .offset:         16
        .size:           4
        .value_kind:     by_value
      - .offset:         20
        .size:           4
        .value_kind:     by_value
      - .offset:         24
        .size:           4
        .value_kind:     by_value
      - .address_space:  global
        .offset:         32
        .size:           8
        .value_kind:     global_buffer
      - .offset:         40
        .size:           4
        .value_kind:     by_value
      - .offset:         44
        .size:           1
        .value_kind:     by_value
      - .offset:         48
        .size:           4
        .value_kind:     hidden_block_count_x
      - .offset:         52
        .size:           4
        .value_kind:     hidden_block_count_y
      - .offset:         56
        .size:           4
        .value_kind:     hidden_block_count_z
      - .offset:         60
        .size:           2
        .value_kind:     hidden_group_size_x
      - .offset:         62
        .size:           2
        .value_kind:     hidden_group_size_y
      - .offset:         64
        .size:           2
        .value_kind:     hidden_group_size_z
      - .offset:         66
        .size:           2
        .value_kind:     hidden_remainder_x
      - .offset:         68
        .size:           2
        .value_kind:     hidden_remainder_y
      - .offset:         70
        .size:           2
        .value_kind:     hidden_remainder_z
      - .offset:         88
        .size:           8
        .value_kind:     hidden_global_offset_x
      - .offset:         96
        .size:           8
        .value_kind:     hidden_global_offset_y
      - .offset:         104
        .size:           8
        .value_kind:     hidden_global_offset_z
      - .offset:         112
        .size:           2
        .value_kind:     hidden_grid_dims
    .group_segment_fixed_size: 0
    .kernarg_segment_align: 8
    .kernarg_segment_size: 304
    .language:       OpenCL C
    .language_version:
      - 2
      - 0
    .max_flat_workgroup_size: 1024
    .name:           _ZN12_GLOBAL__N_120softmax_warp_forwardIN3c104HalfES2_fLi11ELb1ELb0ELi64EEEvPT0_PKT_iiiPKbib
    .private_segment_fixed_size: 0
    .sgpr_count:     80
    .sgpr_spill_count: 0
    .symbol:         _ZN12_GLOBAL__N_120softmax_warp_forwardIN3c104HalfES2_fLi11ELb1ELb0ELi64EEEvPT0_PKT_iiiPKbib.kd
    .uniform_work_group_size: 1
    .uses_dynamic_stack: false
    .vgpr_count:     48
    .vgpr_spill_count: 0
    .wavefront_size: 64
  - .agpr_count:     0
    .args:
      - .address_space:  global
        .offset:         0
        .size:           8
        .value_kind:     global_buffer
      - .address_space:  global
        .offset:         8
        .size:           8
        .value_kind:     global_buffer
      - .offset:         16
        .size:           4
        .value_kind:     by_value
      - .offset:         20
        .size:           4
        .value_kind:     by_value
      - .offset:         24
        .size:           4
        .value_kind:     by_value
      - .address_space:  global
        .offset:         32
        .size:           8
        .value_kind:     global_buffer
      - .offset:         40
        .size:           4
        .value_kind:     by_value
      - .offset:         44
        .size:           1
        .value_kind:     by_value
      - .offset:         48
        .size:           4
        .value_kind:     hidden_block_count_x
      - .offset:         52
        .size:           4
        .value_kind:     hidden_block_count_y
      - .offset:         56
        .size:           4
        .value_kind:     hidden_block_count_z
      - .offset:         60
        .size:           2
        .value_kind:     hidden_group_size_x
      - .offset:         62
        .size:           2
        .value_kind:     hidden_group_size_y
      - .offset:         64
        .size:           2
        .value_kind:     hidden_group_size_z
      - .offset:         66
        .size:           2
        .value_kind:     hidden_remainder_x
      - .offset:         68
        .size:           2
        .value_kind:     hidden_remainder_y
      - .offset:         70
        .size:           2
        .value_kind:     hidden_remainder_z
      - .offset:         88
        .size:           8
        .value_kind:     hidden_global_offset_x
      - .offset:         96
        .size:           8
        .value_kind:     hidden_global_offset_y
      - .offset:         104
        .size:           8
        .value_kind:     hidden_global_offset_z
      - .offset:         112
        .size:           2
        .value_kind:     hidden_grid_dims
    .group_segment_fixed_size: 0
    .kernarg_segment_align: 8
    .kernarg_segment_size: 304
    .language:       OpenCL C
    .language_version:
      - 2
      - 0
    .max_flat_workgroup_size: 1024
    .name:           _ZN12_GLOBAL__N_120softmax_warp_forwardIN3c104HalfES2_fLi11ELb1ELb0ELi32EEEvPT0_PKT_iiiPKbib
    .private_segment_fixed_size: 0
    .sgpr_count:     100
    .sgpr_spill_count: 40
    .symbol:         _ZN12_GLOBAL__N_120softmax_warp_forwardIN3c104HalfES2_fLi11ELb1ELb0ELi32EEEvPT0_PKT_iiiPKbib.kd
    .uniform_work_group_size: 1
    .uses_dynamic_stack: false
    .vgpr_count:     80
    .vgpr_spill_count: 0
    .wavefront_size: 64
  - .agpr_count:     0
    .args:
      - .address_space:  global
        .offset:         0
        .size:           8
        .value_kind:     global_buffer
      - .address_space:  global
        .offset:         8
        .size:           8
        .value_kind:     global_buffer
      - .offset:         16
        .size:           8
        .value_kind:     by_value
      - .offset:         24
        .size:           4
        .value_kind:     hidden_block_count_x
      - .offset:         28
        .size:           4
        .value_kind:     hidden_block_count_y
      - .offset:         32
        .size:           4
        .value_kind:     hidden_block_count_z
      - .offset:         36
        .size:           2
        .value_kind:     hidden_group_size_x
      - .offset:         38
        .size:           2
        .value_kind:     hidden_group_size_y
      - .offset:         40
        .size:           2
        .value_kind:     hidden_group_size_z
      - .offset:         42
        .size:           2
        .value_kind:     hidden_remainder_x
      - .offset:         44
        .size:           2
        .value_kind:     hidden_remainder_y
      - .offset:         46
        .size:           2
        .value_kind:     hidden_remainder_z
      - .offset:         64
        .size:           8
        .value_kind:     hidden_global_offset_x
      - .offset:         72
        .size:           8
        .value_kind:     hidden_global_offset_y
      - .offset:         80
        .size:           8
        .value_kind:     hidden_global_offset_z
      - .offset:         88
        .size:           2
        .value_kind:     hidden_grid_dims
      - .offset:         144
        .size:           4
        .value_kind:     hidden_dynamic_lds_size
    .group_segment_fixed_size: 0
    .kernarg_segment_align: 8
    .kernarg_segment_size: 280
    .language:       OpenCL C
    .language_version:
      - 2
      - 0
    .max_flat_workgroup_size: 1024
    .name:           _ZN2at6native12_GLOBAL__N_122cunn_SoftMaxForwardRegIN3c104HalfEfS4_NS1_25LogSoftMaxForwardEpilogueElLi1EEEvPT1_PKT_T3_
    .private_segment_fixed_size: 0
    .sgpr_count:     20
    .sgpr_spill_count: 0
    .symbol:         _ZN2at6native12_GLOBAL__N_122cunn_SoftMaxForwardRegIN3c104HalfEfS4_NS1_25LogSoftMaxForwardEpilogueElLi1EEEvPT1_PKT_T3_.kd
    .uniform_work_group_size: 1
    .uses_dynamic_stack: false
    .vgpr_count:     14
    .vgpr_spill_count: 0
    .wavefront_size: 64
  - .agpr_count:     0
    .args:
      - .address_space:  global
        .offset:         0
        .size:           8
        .value_kind:     global_buffer
      - .address_space:  global
        .offset:         8
        .size:           8
        .value_kind:     global_buffer
      - .offset:         16
        .size:           8
        .value_kind:     by_value
      - .offset:         24
        .size:           4
        .value_kind:     hidden_block_count_x
      - .offset:         28
        .size:           4
        .value_kind:     hidden_block_count_y
      - .offset:         32
        .size:           4
        .value_kind:     hidden_block_count_z
      - .offset:         36
        .size:           2
        .value_kind:     hidden_group_size_x
      - .offset:         38
        .size:           2
        .value_kind:     hidden_group_size_y
      - .offset:         40
        .size:           2
        .value_kind:     hidden_group_size_z
      - .offset:         42
        .size:           2
        .value_kind:     hidden_remainder_x
      - .offset:         44
        .size:           2
        .value_kind:     hidden_remainder_y
      - .offset:         46
        .size:           2
        .value_kind:     hidden_remainder_z
      - .offset:         64
        .size:           8
        .value_kind:     hidden_global_offset_x
      - .offset:         72
        .size:           8
        .value_kind:     hidden_global_offset_y
      - .offset:         80
        .size:           8
        .value_kind:     hidden_global_offset_z
      - .offset:         88
        .size:           2
        .value_kind:     hidden_grid_dims
      - .offset:         144
        .size:           4
        .value_kind:     hidden_dynamic_lds_size
    .group_segment_fixed_size: 0
    .kernarg_segment_align: 8
    .kernarg_segment_size: 280
    .language:       OpenCL C
    .language_version:
      - 2
      - 0
    .max_flat_workgroup_size: 1024
    .name:           _ZN2at6native12_GLOBAL__N_122cunn_SoftMaxForwardRegIN3c104HalfEfS4_NS1_25LogSoftMaxForwardEpilogueElLi2EEEvPT1_PKT_T3_
    .private_segment_fixed_size: 0
    .sgpr_count:     23
    .sgpr_spill_count: 0
    .symbol:         _ZN2at6native12_GLOBAL__N_122cunn_SoftMaxForwardRegIN3c104HalfEfS4_NS1_25LogSoftMaxForwardEpilogueElLi2EEEvPT1_PKT_T3_.kd
    .uniform_work_group_size: 1
    .uses_dynamic_stack: false
    .vgpr_count:     18
    .vgpr_spill_count: 0
    .wavefront_size: 64
  - .agpr_count:     0
    .args:
      - .address_space:  global
        .offset:         0
        .size:           8
        .value_kind:     global_buffer
      - .address_space:  global
        .offset:         8
        .size:           8
        .value_kind:     global_buffer
      - .offset:         16
        .size:           8
        .value_kind:     by_value
      - .offset:         24
        .size:           4
        .value_kind:     hidden_block_count_x
      - .offset:         28
        .size:           4
        .value_kind:     hidden_block_count_y
      - .offset:         32
        .size:           4
        .value_kind:     hidden_block_count_z
      - .offset:         36
        .size:           2
        .value_kind:     hidden_group_size_x
      - .offset:         38
        .size:           2
        .value_kind:     hidden_group_size_y
      - .offset:         40
        .size:           2
        .value_kind:     hidden_group_size_z
      - .offset:         42
        .size:           2
        .value_kind:     hidden_remainder_x
      - .offset:         44
        .size:           2
        .value_kind:     hidden_remainder_y
      - .offset:         46
        .size:           2
        .value_kind:     hidden_remainder_z
      - .offset:         64
        .size:           8
        .value_kind:     hidden_global_offset_x
      - .offset:         72
        .size:           8
        .value_kind:     hidden_global_offset_y
      - .offset:         80
        .size:           8
        .value_kind:     hidden_global_offset_z
      - .offset:         88
        .size:           2
        .value_kind:     hidden_grid_dims
      - .offset:         144
        .size:           4
        .value_kind:     hidden_dynamic_lds_size
    .group_segment_fixed_size: 0
    .kernarg_segment_align: 8
    .kernarg_segment_size: 280
    .language:       OpenCL C
    .language_version:
      - 2
      - 0
    .max_flat_workgroup_size: 1024
    .name:           _ZN2at6native12_GLOBAL__N_122cunn_SoftMaxForwardRegIN3c104HalfEfS4_NS1_25LogSoftMaxForwardEpilogueElLi3EEEvPT1_PKT_T3_
    .private_segment_fixed_size: 0
    .sgpr_count:     25
    .sgpr_spill_count: 0
    .symbol:         _ZN2at6native12_GLOBAL__N_122cunn_SoftMaxForwardRegIN3c104HalfEfS4_NS1_25LogSoftMaxForwardEpilogueElLi3EEEvPT1_PKT_T3_.kd
    .uniform_work_group_size: 1
    .uses_dynamic_stack: false
    .vgpr_count:     21
    .vgpr_spill_count: 0
    .wavefront_size: 64
  - .agpr_count:     0
    .args:
      - .address_space:  global
        .offset:         0
        .size:           8
        .value_kind:     global_buffer
      - .address_space:  global
        .offset:         8
        .size:           8
        .value_kind:     global_buffer
      - .offset:         16
        .size:           8
        .value_kind:     by_value
      - .offset:         24
        .size:           4
        .value_kind:     hidden_block_count_x
      - .offset:         28
        .size:           4
        .value_kind:     hidden_block_count_y
      - .offset:         32
        .size:           4
        .value_kind:     hidden_block_count_z
      - .offset:         36
        .size:           2
        .value_kind:     hidden_group_size_x
      - .offset:         38
        .size:           2
        .value_kind:     hidden_group_size_y
      - .offset:         40
        .size:           2
        .value_kind:     hidden_group_size_z
      - .offset:         42
        .size:           2
        .value_kind:     hidden_remainder_x
      - .offset:         44
        .size:           2
        .value_kind:     hidden_remainder_y
      - .offset:         46
        .size:           2
        .value_kind:     hidden_remainder_z
      - .offset:         64
        .size:           8
        .value_kind:     hidden_global_offset_x
      - .offset:         72
        .size:           8
        .value_kind:     hidden_global_offset_y
      - .offset:         80
        .size:           8
        .value_kind:     hidden_global_offset_z
      - .offset:         88
        .size:           2
        .value_kind:     hidden_grid_dims
      - .offset:         144
        .size:           4
        .value_kind:     hidden_dynamic_lds_size
    .group_segment_fixed_size: 0
    .kernarg_segment_align: 8
    .kernarg_segment_size: 280
    .language:       OpenCL C
    .language_version:
      - 2
      - 0
    .max_flat_workgroup_size: 1024
    .name:           _ZN2at6native12_GLOBAL__N_122cunn_SoftMaxForwardRegIN3c104HalfEfS4_NS1_25LogSoftMaxForwardEpilogueElLi4EEEvPT1_PKT_T3_
    .private_segment_fixed_size: 0
    .sgpr_count:     26
    .sgpr_spill_count: 0
    .symbol:         _ZN2at6native12_GLOBAL__N_122cunn_SoftMaxForwardRegIN3c104HalfEfS4_NS1_25LogSoftMaxForwardEpilogueElLi4EEEvPT1_PKT_T3_.kd
    .uniform_work_group_size: 1
    .uses_dynamic_stack: false
    .vgpr_count:     21
    .vgpr_spill_count: 0
    .wavefront_size: 64
  - .agpr_count:     0
    .args:
      - .address_space:  global
        .offset:         0
        .size:           8
        .value_kind:     global_buffer
      - .address_space:  global
        .offset:         8
        .size:           8
        .value_kind:     global_buffer
      - .offset:         16
        .size:           8
        .value_kind:     by_value
      - .offset:         24
        .size:           4
        .value_kind:     hidden_block_count_x
      - .offset:         28
        .size:           4
        .value_kind:     hidden_block_count_y
      - .offset:         32
        .size:           4
        .value_kind:     hidden_block_count_z
      - .offset:         36
        .size:           2
        .value_kind:     hidden_group_size_x
      - .offset:         38
        .size:           2
        .value_kind:     hidden_group_size_y
      - .offset:         40
        .size:           2
        .value_kind:     hidden_group_size_z
      - .offset:         42
        .size:           2
        .value_kind:     hidden_remainder_x
      - .offset:         44
        .size:           2
        .value_kind:     hidden_remainder_y
      - .offset:         46
        .size:           2
        .value_kind:     hidden_remainder_z
      - .offset:         64
        .size:           8
        .value_kind:     hidden_global_offset_x
      - .offset:         72
        .size:           8
        .value_kind:     hidden_global_offset_y
      - .offset:         80
        .size:           8
        .value_kind:     hidden_global_offset_z
      - .offset:         88
        .size:           2
        .value_kind:     hidden_grid_dims
      - .offset:         144
        .size:           4
        .value_kind:     hidden_dynamic_lds_size
    .group_segment_fixed_size: 0
    .kernarg_segment_align: 8
    .kernarg_segment_size: 280
    .language:       OpenCL C
    .language_version:
      - 2
      - 0
    .max_flat_workgroup_size: 1024
    .name:           _ZN2at6native12_GLOBAL__N_122cunn_SoftMaxForwardRegIN3c104HalfEfS4_NS1_25LogSoftMaxForwardEpilogueElLi5EEEvPT1_PKT_T3_
    .private_segment_fixed_size: 0
    .sgpr_count:     28
    .sgpr_spill_count: 0
    .symbol:         _ZN2at6native12_GLOBAL__N_122cunn_SoftMaxForwardRegIN3c104HalfEfS4_NS1_25LogSoftMaxForwardEpilogueElLi5EEEvPT1_PKT_T3_.kd
    .uniform_work_group_size: 1
    .uses_dynamic_stack: false
    .vgpr_count:     23
    .vgpr_spill_count: 0
    .wavefront_size: 64
  - .agpr_count:     0
    .args:
      - .address_space:  global
        .offset:         0
        .size:           8
        .value_kind:     global_buffer
      - .address_space:  global
        .offset:         8
        .size:           8
        .value_kind:     global_buffer
      - .offset:         16
        .size:           8
        .value_kind:     by_value
      - .offset:         24
        .size:           4
        .value_kind:     hidden_block_count_x
      - .offset:         28
        .size:           4
        .value_kind:     hidden_block_count_y
      - .offset:         32
        .size:           4
        .value_kind:     hidden_block_count_z
      - .offset:         36
        .size:           2
        .value_kind:     hidden_group_size_x
      - .offset:         38
        .size:           2
        .value_kind:     hidden_group_size_y
      - .offset:         40
        .size:           2
        .value_kind:     hidden_group_size_z
      - .offset:         42
        .size:           2
        .value_kind:     hidden_remainder_x
      - .offset:         44
        .size:           2
        .value_kind:     hidden_remainder_y
      - .offset:         46
        .size:           2
        .value_kind:     hidden_remainder_z
      - .offset:         64
        .size:           8
        .value_kind:     hidden_global_offset_x
      - .offset:         72
        .size:           8
        .value_kind:     hidden_global_offset_y
      - .offset:         80
        .size:           8
        .value_kind:     hidden_global_offset_z
      - .offset:         88
        .size:           2
        .value_kind:     hidden_grid_dims
      - .offset:         144
        .size:           4
        .value_kind:     hidden_dynamic_lds_size
    .group_segment_fixed_size: 0
    .kernarg_segment_align: 8
    .kernarg_segment_size: 280
    .language:       OpenCL C
    .language_version:
      - 2
      - 0
    .max_flat_workgroup_size: 1024
    .name:           _ZN2at6native12_GLOBAL__N_122cunn_SoftMaxForwardRegIN3c104HalfEfS4_NS1_25LogSoftMaxForwardEpilogueElLi6EEEvPT1_PKT_T3_
    .private_segment_fixed_size: 0
    .sgpr_count:     30
    .sgpr_spill_count: 0
    .symbol:         _ZN2at6native12_GLOBAL__N_122cunn_SoftMaxForwardRegIN3c104HalfEfS4_NS1_25LogSoftMaxForwardEpilogueElLi6EEEvPT1_PKT_T3_.kd
    .uniform_work_group_size: 1
    .uses_dynamic_stack: false
    .vgpr_count:     25
    .vgpr_spill_count: 0
    .wavefront_size: 64
  - .agpr_count:     0
    .args:
      - .address_space:  global
        .offset:         0
        .size:           8
        .value_kind:     global_buffer
      - .address_space:  global
        .offset:         8
        .size:           8
        .value_kind:     global_buffer
      - .offset:         16
        .size:           8
        .value_kind:     by_value
      - .offset:         24
        .size:           4
        .value_kind:     hidden_block_count_x
      - .offset:         28
        .size:           4
        .value_kind:     hidden_block_count_y
      - .offset:         32
        .size:           4
        .value_kind:     hidden_block_count_z
      - .offset:         36
        .size:           2
        .value_kind:     hidden_group_size_x
      - .offset:         38
        .size:           2
        .value_kind:     hidden_group_size_y
      - .offset:         40
        .size:           2
        .value_kind:     hidden_group_size_z
      - .offset:         42
        .size:           2
        .value_kind:     hidden_remainder_x
      - .offset:         44
        .size:           2
        .value_kind:     hidden_remainder_y
      - .offset:         46
        .size:           2
        .value_kind:     hidden_remainder_z
      - .offset:         64
        .size:           8
        .value_kind:     hidden_global_offset_x
      - .offset:         72
        .size:           8
        .value_kind:     hidden_global_offset_y
      - .offset:         80
        .size:           8
        .value_kind:     hidden_global_offset_z
      - .offset:         88
        .size:           2
        .value_kind:     hidden_grid_dims
      - .offset:         144
        .size:           4
        .value_kind:     hidden_dynamic_lds_size
    .group_segment_fixed_size: 0
    .kernarg_segment_align: 8
    .kernarg_segment_size: 280
    .language:       OpenCL C
    .language_version:
      - 2
      - 0
    .max_flat_workgroup_size: 1024
    .name:           _ZN2at6native12_GLOBAL__N_122cunn_SoftMaxForwardRegIN3c104HalfEfS4_NS1_25LogSoftMaxForwardEpilogueElLi7EEEvPT1_PKT_T3_
    .private_segment_fixed_size: 0
    .sgpr_count:     32
    .sgpr_spill_count: 0
    .symbol:         _ZN2at6native12_GLOBAL__N_122cunn_SoftMaxForwardRegIN3c104HalfEfS4_NS1_25LogSoftMaxForwardEpilogueElLi7EEEvPT1_PKT_T3_.kd
    .uniform_work_group_size: 1
    .uses_dynamic_stack: false
    .vgpr_count:     27
    .vgpr_spill_count: 0
    .wavefront_size: 64
  - .agpr_count:     0
    .args:
      - .address_space:  global
        .offset:         0
        .size:           8
        .value_kind:     global_buffer
      - .address_space:  global
        .offset:         8
        .size:           8
        .value_kind:     global_buffer
      - .offset:         16
        .size:           8
        .value_kind:     by_value
      - .offset:         24
        .size:           4
        .value_kind:     hidden_block_count_x
      - .offset:         28
        .size:           4
        .value_kind:     hidden_block_count_y
      - .offset:         32
        .size:           4
        .value_kind:     hidden_block_count_z
      - .offset:         36
        .size:           2
        .value_kind:     hidden_group_size_x
      - .offset:         38
        .size:           2
        .value_kind:     hidden_group_size_y
      - .offset:         40
        .size:           2
        .value_kind:     hidden_group_size_z
      - .offset:         42
        .size:           2
        .value_kind:     hidden_remainder_x
      - .offset:         44
        .size:           2
        .value_kind:     hidden_remainder_y
      - .offset:         46
        .size:           2
        .value_kind:     hidden_remainder_z
      - .offset:         64
        .size:           8
        .value_kind:     hidden_global_offset_x
      - .offset:         72
        .size:           8
        .value_kind:     hidden_global_offset_y
      - .offset:         80
        .size:           8
        .value_kind:     hidden_global_offset_z
      - .offset:         88
        .size:           2
        .value_kind:     hidden_grid_dims
      - .offset:         144
        .size:           4
        .value_kind:     hidden_dynamic_lds_size
    .group_segment_fixed_size: 0
    .kernarg_segment_align: 8
    .kernarg_segment_size: 280
    .language:       OpenCL C
    .language_version:
      - 2
      - 0
    .max_flat_workgroup_size: 1024
    .name:           _ZN2at6native12_GLOBAL__N_122cunn_SoftMaxForwardRegIN3c104HalfEfS4_NS1_25LogSoftMaxForwardEpilogueElLi8EEEvPT1_PKT_T3_
    .private_segment_fixed_size: 0
    .sgpr_count:     34
    .sgpr_spill_count: 0
    .symbol:         _ZN2at6native12_GLOBAL__N_122cunn_SoftMaxForwardRegIN3c104HalfEfS4_NS1_25LogSoftMaxForwardEpilogueElLi8EEEvPT1_PKT_T3_.kd
    .uniform_work_group_size: 1
    .uses_dynamic_stack: false
    .vgpr_count:     29
    .vgpr_spill_count: 0
    .wavefront_size: 64
  - .agpr_count:     0
    .args:
      - .address_space:  global
        .offset:         0
        .size:           8
        .value_kind:     global_buffer
      - .address_space:  global
        .offset:         8
        .size:           8
        .value_kind:     global_buffer
      - .offset:         16
        .size:           8
        .value_kind:     by_value
      - .offset:         24
        .size:           4
        .value_kind:     hidden_block_count_x
      - .offset:         28
        .size:           4
        .value_kind:     hidden_block_count_y
      - .offset:         32
        .size:           4
        .value_kind:     hidden_block_count_z
      - .offset:         36
        .size:           2
        .value_kind:     hidden_group_size_x
      - .offset:         38
        .size:           2
        .value_kind:     hidden_group_size_y
      - .offset:         40
        .size:           2
        .value_kind:     hidden_group_size_z
      - .offset:         42
        .size:           2
        .value_kind:     hidden_remainder_x
      - .offset:         44
        .size:           2
        .value_kind:     hidden_remainder_y
      - .offset:         46
        .size:           2
        .value_kind:     hidden_remainder_z
      - .offset:         64
        .size:           8
        .value_kind:     hidden_global_offset_x
      - .offset:         72
        .size:           8
        .value_kind:     hidden_global_offset_y
      - .offset:         80
        .size:           8
        .value_kind:     hidden_global_offset_z
      - .offset:         88
        .size:           2
        .value_kind:     hidden_grid_dims
      - .offset:         144
        .size:           4
        .value_kind:     hidden_dynamic_lds_size
    .group_segment_fixed_size: 0
    .kernarg_segment_align: 8
    .kernarg_segment_size: 280
    .language:       OpenCL C
    .language_version:
      - 2
      - 0
    .max_flat_workgroup_size: 1024
    .name:           _ZN2at6native12_GLOBAL__N_122cunn_SoftMaxForwardRegIN3c104HalfEfS4_NS1_25LogSoftMaxForwardEpilogueElLi9EEEvPT1_PKT_T3_
    .private_segment_fixed_size: 0
    .sgpr_count:     36
    .sgpr_spill_count: 0
    .symbol:         _ZN2at6native12_GLOBAL__N_122cunn_SoftMaxForwardRegIN3c104HalfEfS4_NS1_25LogSoftMaxForwardEpilogueElLi9EEEvPT1_PKT_T3_.kd
    .uniform_work_group_size: 1
    .uses_dynamic_stack: false
    .vgpr_count:     31
    .vgpr_spill_count: 0
    .wavefront_size: 64
  - .agpr_count:     0
    .args:
      - .address_space:  global
        .offset:         0
        .size:           8
        .value_kind:     global_buffer
      - .address_space:  global
        .offset:         8
        .size:           8
        .value_kind:     global_buffer
      - .offset:         16
        .size:           8
        .value_kind:     by_value
      - .offset:         24
        .size:           4
        .value_kind:     hidden_block_count_x
      - .offset:         28
        .size:           4
        .value_kind:     hidden_block_count_y
      - .offset:         32
        .size:           4
        .value_kind:     hidden_block_count_z
      - .offset:         36
        .size:           2
        .value_kind:     hidden_group_size_x
      - .offset:         38
        .size:           2
        .value_kind:     hidden_group_size_y
      - .offset:         40
        .size:           2
        .value_kind:     hidden_group_size_z
      - .offset:         42
        .size:           2
        .value_kind:     hidden_remainder_x
      - .offset:         44
        .size:           2
        .value_kind:     hidden_remainder_y
      - .offset:         46
        .size:           2
        .value_kind:     hidden_remainder_z
      - .offset:         64
        .size:           8
        .value_kind:     hidden_global_offset_x
      - .offset:         72
        .size:           8
        .value_kind:     hidden_global_offset_y
      - .offset:         80
        .size:           8
        .value_kind:     hidden_global_offset_z
      - .offset:         88
        .size:           2
        .value_kind:     hidden_grid_dims
      - .offset:         144
        .size:           4
        .value_kind:     hidden_dynamic_lds_size
    .group_segment_fixed_size: 0
    .kernarg_segment_align: 8
    .kernarg_segment_size: 280
    .language:       OpenCL C
    .language_version:
      - 2
      - 0
    .max_flat_workgroup_size: 1024
    .name:           _ZN2at6native12_GLOBAL__N_123cunn_SoftMaxForwardSmemILi8EN3c104HalfEfS4_NS1_25LogSoftMaxForwardEpilogueElEEvPT2_PKT0_T4_
    .private_segment_fixed_size: 0
    .sgpr_count:     46
    .sgpr_spill_count: 0
    .symbol:         _ZN2at6native12_GLOBAL__N_123cunn_SoftMaxForwardSmemILi8EN3c104HalfEfS4_NS1_25LogSoftMaxForwardEpilogueElEEvPT2_PKT0_T4_.kd
    .uniform_work_group_size: 1
    .uses_dynamic_stack: false
    .vgpr_count:     50
    .vgpr_spill_count: 0
    .wavefront_size: 64
  - .agpr_count:     0
    .args:
      - .address_space:  global
        .offset:         0
        .size:           8
        .value_kind:     global_buffer
      - .address_space:  global
        .offset:         8
        .size:           8
        .value_kind:     global_buffer
      - .offset:         16
        .size:           4
        .value_kind:     by_value
      - .offset:         24
        .size:           4
        .value_kind:     hidden_block_count_x
      - .offset:         28
        .size:           4
        .value_kind:     hidden_block_count_y
      - .offset:         32
        .size:           4
        .value_kind:     hidden_block_count_z
      - .offset:         36
        .size:           2
        .value_kind:     hidden_group_size_x
      - .offset:         38
        .size:           2
        .value_kind:     hidden_group_size_y
      - .offset:         40
        .size:           2
        .value_kind:     hidden_group_size_z
      - .offset:         42
        .size:           2
        .value_kind:     hidden_remainder_x
      - .offset:         44
        .size:           2
        .value_kind:     hidden_remainder_y
      - .offset:         46
        .size:           2
        .value_kind:     hidden_remainder_z
      - .offset:         64
        .size:           8
        .value_kind:     hidden_global_offset_x
      - .offset:         72
        .size:           8
        .value_kind:     hidden_global_offset_y
      - .offset:         80
        .size:           8
        .value_kind:     hidden_global_offset_z
      - .offset:         88
        .size:           2
        .value_kind:     hidden_grid_dims
      - .offset:         144
        .size:           4
        .value_kind:     hidden_dynamic_lds_size
    .group_segment_fixed_size: 0
    .kernarg_segment_align: 8
    .kernarg_segment_size: 280
    .language:       OpenCL C
    .language_version:
      - 2
      - 0
    .max_flat_workgroup_size: 1024
    .name:           _ZN2at6native12_GLOBAL__N_119cunn_SoftMaxForwardILi8EN3c104HalfEfS4_NS1_25LogSoftMaxForwardEpilogueEEEvPT2_PKT0_i
    .private_segment_fixed_size: 0
    .sgpr_count:     51
    .sgpr_spill_count: 0
    .symbol:         _ZN2at6native12_GLOBAL__N_119cunn_SoftMaxForwardILi8EN3c104HalfEfS4_NS1_25LogSoftMaxForwardEpilogueEEEvPT2_PKT0_i.kd
    .uniform_work_group_size: 1
    .uses_dynamic_stack: false
    .vgpr_count:     48
    .vgpr_spill_count: 0
    .wavefront_size: 64
  - .agpr_count:     0
    .args:
      - .address_space:  global
        .offset:         0
        .size:           8
        .value_kind:     global_buffer
      - .address_space:  global
        .offset:         8
        .size:           8
        .value_kind:     global_buffer
      - .offset:         16
        .size:           4
        .value_kind:     by_value
      - .offset:         20
        .size:           4
        .value_kind:     by_value
      - .offset:         24
        .size:           4
        .value_kind:     by_value
      - .address_space:  global
        .offset:         32
        .size:           8
        .value_kind:     global_buffer
      - .offset:         40
        .size:           4
        .value_kind:     by_value
      - .offset:         44
        .size:           1
        .value_kind:     by_value
      - .offset:         48
        .size:           4
        .value_kind:     hidden_block_count_x
      - .offset:         52
        .size:           4
        .value_kind:     hidden_block_count_y
      - .offset:         56
        .size:           4
        .value_kind:     hidden_block_count_z
      - .offset:         60
        .size:           2
        .value_kind:     hidden_group_size_x
      - .offset:         62
        .size:           2
        .value_kind:     hidden_group_size_y
      - .offset:         64
        .size:           2
        .value_kind:     hidden_group_size_z
      - .offset:         66
        .size:           2
        .value_kind:     hidden_remainder_x
      - .offset:         68
        .size:           2
        .value_kind:     hidden_remainder_y
      - .offset:         70
        .size:           2
        .value_kind:     hidden_remainder_z
      - .offset:         88
        .size:           8
        .value_kind:     hidden_global_offset_x
      - .offset:         96
        .size:           8
        .value_kind:     hidden_global_offset_y
      - .offset:         104
        .size:           8
        .value_kind:     hidden_global_offset_z
      - .offset:         112
        .size:           2
        .value_kind:     hidden_grid_dims
    .group_segment_fixed_size: 0
    .kernarg_segment_align: 8
    .kernarg_segment_size: 304
    .language:       OpenCL C
    .language_version:
      - 2
      - 0
    .max_flat_workgroup_size: 1024
    .name:           _ZN12_GLOBAL__N_120softmax_warp_forwardIN3c104HalfEffLi0ELb1ELb0ELi64EEEvPT0_PKT_iiiPKbib
    .private_segment_fixed_size: 0
    .sgpr_count:     20
    .sgpr_spill_count: 0
    .symbol:         _ZN12_GLOBAL__N_120softmax_warp_forwardIN3c104HalfEffLi0ELb1ELb0ELi64EEEvPT0_PKT_iiiPKbib.kd
    .uniform_work_group_size: 1
    .uses_dynamic_stack: false
    .vgpr_count:     11
    .vgpr_spill_count: 0
    .wavefront_size: 64
  - .agpr_count:     0
    .args:
      - .address_space:  global
        .offset:         0
        .size:           8
        .value_kind:     global_buffer
      - .address_space:  global
        .offset:         8
        .size:           8
        .value_kind:     global_buffer
      - .offset:         16
        .size:           4
        .value_kind:     by_value
      - .offset:         20
        .size:           4
        .value_kind:     by_value
      - .offset:         24
        .size:           4
        .value_kind:     by_value
      - .address_space:  global
        .offset:         32
        .size:           8
        .value_kind:     global_buffer
      - .offset:         40
        .size:           4
        .value_kind:     by_value
      - .offset:         44
        .size:           1
        .value_kind:     by_value
      - .offset:         48
        .size:           4
        .value_kind:     hidden_block_count_x
      - .offset:         52
        .size:           4
        .value_kind:     hidden_block_count_y
      - .offset:         56
        .size:           4
        .value_kind:     hidden_block_count_z
      - .offset:         60
        .size:           2
        .value_kind:     hidden_group_size_x
      - .offset:         62
        .size:           2
        .value_kind:     hidden_group_size_y
      - .offset:         64
        .size:           2
        .value_kind:     hidden_group_size_z
      - .offset:         66
        .size:           2
        .value_kind:     hidden_remainder_x
      - .offset:         68
        .size:           2
        .value_kind:     hidden_remainder_y
      - .offset:         70
        .size:           2
        .value_kind:     hidden_remainder_z
      - .offset:         88
        .size:           8
        .value_kind:     hidden_global_offset_x
      - .offset:         96
        .size:           8
        .value_kind:     hidden_global_offset_y
      - .offset:         104
        .size:           8
        .value_kind:     hidden_global_offset_z
      - .offset:         112
        .size:           2
        .value_kind:     hidden_grid_dims
    .group_segment_fixed_size: 0
    .kernarg_segment_align: 8
    .kernarg_segment_size: 304
    .language:       OpenCL C
    .language_version:
      - 2
      - 0
    .max_flat_workgroup_size: 1024
    .name:           _ZN12_GLOBAL__N_120softmax_warp_forwardIN3c104HalfEffLi0ELb1ELb0ELi32EEEvPT0_PKT_iiiPKbib
    .private_segment_fixed_size: 0
    .sgpr_count:     20
    .sgpr_spill_count: 0
    .symbol:         _ZN12_GLOBAL__N_120softmax_warp_forwardIN3c104HalfEffLi0ELb1ELb0ELi32EEEvPT0_PKT_iiiPKbib.kd
    .uniform_work_group_size: 1
    .uses_dynamic_stack: false
    .vgpr_count:     11
    .vgpr_spill_count: 0
    .wavefront_size: 64
  - .agpr_count:     0
    .args:
      - .address_space:  global
        .offset:         0
        .size:           8
        .value_kind:     global_buffer
      - .address_space:  global
        .offset:         8
        .size:           8
        .value_kind:     global_buffer
      - .offset:         16
        .size:           4
        .value_kind:     by_value
      - .offset:         20
        .size:           4
        .value_kind:     by_value
      - .offset:         24
        .size:           4
        .value_kind:     by_value
      - .address_space:  global
        .offset:         32
        .size:           8
        .value_kind:     global_buffer
      - .offset:         40
        .size:           4
        .value_kind:     by_value
      - .offset:         44
        .size:           1
        .value_kind:     by_value
      - .offset:         48
        .size:           4
        .value_kind:     hidden_block_count_x
      - .offset:         52
        .size:           4
        .value_kind:     hidden_block_count_y
      - .offset:         56
        .size:           4
        .value_kind:     hidden_block_count_z
      - .offset:         60
        .size:           2
        .value_kind:     hidden_group_size_x
      - .offset:         62
        .size:           2
        .value_kind:     hidden_group_size_y
      - .offset:         64
        .size:           2
        .value_kind:     hidden_group_size_z
      - .offset:         66
        .size:           2
        .value_kind:     hidden_remainder_x
      - .offset:         68
        .size:           2
        .value_kind:     hidden_remainder_y
      - .offset:         70
        .size:           2
        .value_kind:     hidden_remainder_z
      - .offset:         88
        .size:           8
        .value_kind:     hidden_global_offset_x
      - .offset:         96
        .size:           8
        .value_kind:     hidden_global_offset_y
      - .offset:         104
        .size:           8
        .value_kind:     hidden_global_offset_z
      - .offset:         112
        .size:           2
        .value_kind:     hidden_grid_dims
    .group_segment_fixed_size: 0
    .kernarg_segment_align: 8
    .kernarg_segment_size: 304
    .language:       OpenCL C
    .language_version:
      - 2
      - 0
    .max_flat_workgroup_size: 1024
    .name:           _ZN12_GLOBAL__N_120softmax_warp_forwardIN3c104HalfEffLi1ELb1ELb0ELi64EEEvPT0_PKT_iiiPKbib
    .private_segment_fixed_size: 0
    .sgpr_count:     20
    .sgpr_spill_count: 0
    .symbol:         _ZN12_GLOBAL__N_120softmax_warp_forwardIN3c104HalfEffLi1ELb1ELb0ELi64EEEvPT0_PKT_iiiPKbib.kd
    .uniform_work_group_size: 1
    .uses_dynamic_stack: false
    .vgpr_count:     14
    .vgpr_spill_count: 0
    .wavefront_size: 64
  - .agpr_count:     0
    .args:
      - .address_space:  global
        .offset:         0
        .size:           8
        .value_kind:     global_buffer
      - .address_space:  global
        .offset:         8
        .size:           8
        .value_kind:     global_buffer
      - .offset:         16
        .size:           4
        .value_kind:     by_value
      - .offset:         20
        .size:           4
        .value_kind:     by_value
      - .offset:         24
        .size:           4
        .value_kind:     by_value
      - .address_space:  global
        .offset:         32
        .size:           8
        .value_kind:     global_buffer
      - .offset:         40
        .size:           4
        .value_kind:     by_value
      - .offset:         44
        .size:           1
        .value_kind:     by_value
      - .offset:         48
        .size:           4
        .value_kind:     hidden_block_count_x
      - .offset:         52
        .size:           4
        .value_kind:     hidden_block_count_y
      - .offset:         56
        .size:           4
        .value_kind:     hidden_block_count_z
      - .offset:         60
        .size:           2
        .value_kind:     hidden_group_size_x
      - .offset:         62
        .size:           2
        .value_kind:     hidden_group_size_y
      - .offset:         64
        .size:           2
        .value_kind:     hidden_group_size_z
      - .offset:         66
        .size:           2
        .value_kind:     hidden_remainder_x
      - .offset:         68
        .size:           2
        .value_kind:     hidden_remainder_y
      - .offset:         70
        .size:           2
        .value_kind:     hidden_remainder_z
      - .offset:         88
        .size:           8
        .value_kind:     hidden_global_offset_x
      - .offset:         96
        .size:           8
        .value_kind:     hidden_global_offset_y
      - .offset:         104
        .size:           8
        .value_kind:     hidden_global_offset_z
      - .offset:         112
        .size:           2
        .value_kind:     hidden_grid_dims
    .group_segment_fixed_size: 0
    .kernarg_segment_align: 8
    .kernarg_segment_size: 304
    .language:       OpenCL C
    .language_version:
      - 2
      - 0
    .max_flat_workgroup_size: 1024
    .name:           _ZN12_GLOBAL__N_120softmax_warp_forwardIN3c104HalfEffLi1ELb1ELb0ELi32EEEvPT0_PKT_iiiPKbib
    .private_segment_fixed_size: 0
    .sgpr_count:     20
    .sgpr_spill_count: 0
    .symbol:         _ZN12_GLOBAL__N_120softmax_warp_forwardIN3c104HalfEffLi1ELb1ELb0ELi32EEEvPT0_PKT_iiiPKbib.kd
    .uniform_work_group_size: 1
    .uses_dynamic_stack: false
    .vgpr_count:     14
    .vgpr_spill_count: 0
    .wavefront_size: 64
  - .agpr_count:     0
    .args:
      - .address_space:  global
        .offset:         0
        .size:           8
        .value_kind:     global_buffer
      - .address_space:  global
        .offset:         8
        .size:           8
        .value_kind:     global_buffer
      - .offset:         16
        .size:           4
        .value_kind:     by_value
      - .offset:         20
        .size:           4
        .value_kind:     by_value
      - .offset:         24
        .size:           4
        .value_kind:     by_value
      - .address_space:  global
        .offset:         32
        .size:           8
        .value_kind:     global_buffer
      - .offset:         40
        .size:           4
        .value_kind:     by_value
      - .offset:         44
        .size:           1
        .value_kind:     by_value
      - .offset:         48
        .size:           4
        .value_kind:     hidden_block_count_x
      - .offset:         52
        .size:           4
        .value_kind:     hidden_block_count_y
      - .offset:         56
        .size:           4
        .value_kind:     hidden_block_count_z
      - .offset:         60
        .size:           2
        .value_kind:     hidden_group_size_x
      - .offset:         62
        .size:           2
        .value_kind:     hidden_group_size_y
      - .offset:         64
        .size:           2
        .value_kind:     hidden_group_size_z
      - .offset:         66
        .size:           2
        .value_kind:     hidden_remainder_x
      - .offset:         68
        .size:           2
        .value_kind:     hidden_remainder_y
      - .offset:         70
        .size:           2
        .value_kind:     hidden_remainder_z
      - .offset:         88
        .size:           8
        .value_kind:     hidden_global_offset_x
      - .offset:         96
        .size:           8
        .value_kind:     hidden_global_offset_y
      - .offset:         104
        .size:           8
        .value_kind:     hidden_global_offset_z
      - .offset:         112
        .size:           2
        .value_kind:     hidden_grid_dims
    .group_segment_fixed_size: 0
    .kernarg_segment_align: 8
    .kernarg_segment_size: 304
    .language:       OpenCL C
    .language_version:
      - 2
      - 0
    .max_flat_workgroup_size: 1024
    .name:           _ZN12_GLOBAL__N_120softmax_warp_forwardIN3c104HalfEffLi2ELb1ELb0ELi64EEEvPT0_PKT_iiiPKbib
    .private_segment_fixed_size: 0
    .sgpr_count:     20
    .sgpr_spill_count: 0
    .symbol:         _ZN12_GLOBAL__N_120softmax_warp_forwardIN3c104HalfEffLi2ELb1ELb0ELi64EEEvPT0_PKT_iiiPKbib.kd
    .uniform_work_group_size: 1
    .uses_dynamic_stack: false
    .vgpr_count:     15
    .vgpr_spill_count: 0
    .wavefront_size: 64
  - .agpr_count:     0
    .args:
      - .address_space:  global
        .offset:         0
        .size:           8
        .value_kind:     global_buffer
      - .address_space:  global
        .offset:         8
        .size:           8
        .value_kind:     global_buffer
      - .offset:         16
        .size:           4
        .value_kind:     by_value
      - .offset:         20
        .size:           4
        .value_kind:     by_value
      - .offset:         24
        .size:           4
        .value_kind:     by_value
      - .address_space:  global
        .offset:         32
        .size:           8
        .value_kind:     global_buffer
      - .offset:         40
        .size:           4
        .value_kind:     by_value
      - .offset:         44
        .size:           1
        .value_kind:     by_value
      - .offset:         48
        .size:           4
        .value_kind:     hidden_block_count_x
      - .offset:         52
        .size:           4
        .value_kind:     hidden_block_count_y
      - .offset:         56
        .size:           4
        .value_kind:     hidden_block_count_z
      - .offset:         60
        .size:           2
        .value_kind:     hidden_group_size_x
      - .offset:         62
        .size:           2
        .value_kind:     hidden_group_size_y
      - .offset:         64
        .size:           2
        .value_kind:     hidden_group_size_z
      - .offset:         66
        .size:           2
        .value_kind:     hidden_remainder_x
      - .offset:         68
        .size:           2
        .value_kind:     hidden_remainder_y
      - .offset:         70
        .size:           2
        .value_kind:     hidden_remainder_z
      - .offset:         88
        .size:           8
        .value_kind:     hidden_global_offset_x
      - .offset:         96
        .size:           8
        .value_kind:     hidden_global_offset_y
      - .offset:         104
        .size:           8
        .value_kind:     hidden_global_offset_z
      - .offset:         112
        .size:           2
        .value_kind:     hidden_grid_dims
    .group_segment_fixed_size: 0
    .kernarg_segment_align: 8
    .kernarg_segment_size: 304
    .language:       OpenCL C
    .language_version:
      - 2
      - 0
    .max_flat_workgroup_size: 1024
    .name:           _ZN12_GLOBAL__N_120softmax_warp_forwardIN3c104HalfEffLi2ELb1ELb0ELi32EEEvPT0_PKT_iiiPKbib
    .private_segment_fixed_size: 0
    .sgpr_count:     20
    .sgpr_spill_count: 0
    .symbol:         _ZN12_GLOBAL__N_120softmax_warp_forwardIN3c104HalfEffLi2ELb1ELb0ELi32EEEvPT0_PKT_iiiPKbib.kd
    .uniform_work_group_size: 1
    .uses_dynamic_stack: false
    .vgpr_count:     15
    .vgpr_spill_count: 0
    .wavefront_size: 64
  - .agpr_count:     0
    .args:
      - .address_space:  global
        .offset:         0
        .size:           8
        .value_kind:     global_buffer
      - .address_space:  global
        .offset:         8
        .size:           8
        .value_kind:     global_buffer
      - .offset:         16
        .size:           4
        .value_kind:     by_value
      - .offset:         20
        .size:           4
        .value_kind:     by_value
      - .offset:         24
        .size:           4
        .value_kind:     by_value
      - .address_space:  global
        .offset:         32
        .size:           8
        .value_kind:     global_buffer
      - .offset:         40
        .size:           4
        .value_kind:     by_value
      - .offset:         44
        .size:           1
        .value_kind:     by_value
      - .offset:         48
        .size:           4
        .value_kind:     hidden_block_count_x
      - .offset:         52
        .size:           4
        .value_kind:     hidden_block_count_y
      - .offset:         56
        .size:           4
        .value_kind:     hidden_block_count_z
      - .offset:         60
        .size:           2
        .value_kind:     hidden_group_size_x
      - .offset:         62
        .size:           2
        .value_kind:     hidden_group_size_y
      - .offset:         64
        .size:           2
        .value_kind:     hidden_group_size_z
      - .offset:         66
        .size:           2
        .value_kind:     hidden_remainder_x
      - .offset:         68
        .size:           2
        .value_kind:     hidden_remainder_y
      - .offset:         70
        .size:           2
        .value_kind:     hidden_remainder_z
      - .offset:         88
        .size:           8
        .value_kind:     hidden_global_offset_x
      - .offset:         96
        .size:           8
        .value_kind:     hidden_global_offset_y
      - .offset:         104
        .size:           8
        .value_kind:     hidden_global_offset_z
      - .offset:         112
        .size:           2
        .value_kind:     hidden_grid_dims
    .group_segment_fixed_size: 0
    .kernarg_segment_align: 8
    .kernarg_segment_size: 304
    .language:       OpenCL C
    .language_version:
      - 2
      - 0
    .max_flat_workgroup_size: 1024
    .name:           _ZN12_GLOBAL__N_120softmax_warp_forwardIN3c104HalfEffLi3ELb1ELb0ELi64EEEvPT0_PKT_iiiPKbib
    .private_segment_fixed_size: 0
    .sgpr_count:     20
    .sgpr_spill_count: 0
    .symbol:         _ZN12_GLOBAL__N_120softmax_warp_forwardIN3c104HalfEffLi3ELb1ELb0ELi64EEEvPT0_PKT_iiiPKbib.kd
    .uniform_work_group_size: 1
    .uses_dynamic_stack: false
    .vgpr_count:     16
    .vgpr_spill_count: 0
    .wavefront_size: 64
  - .agpr_count:     0
    .args:
      - .address_space:  global
        .offset:         0
        .size:           8
        .value_kind:     global_buffer
      - .address_space:  global
        .offset:         8
        .size:           8
        .value_kind:     global_buffer
      - .offset:         16
        .size:           4
        .value_kind:     by_value
      - .offset:         20
        .size:           4
        .value_kind:     by_value
      - .offset:         24
        .size:           4
        .value_kind:     by_value
      - .address_space:  global
        .offset:         32
        .size:           8
        .value_kind:     global_buffer
      - .offset:         40
        .size:           4
        .value_kind:     by_value
      - .offset:         44
        .size:           1
        .value_kind:     by_value
      - .offset:         48
        .size:           4
        .value_kind:     hidden_block_count_x
      - .offset:         52
        .size:           4
        .value_kind:     hidden_block_count_y
      - .offset:         56
        .size:           4
        .value_kind:     hidden_block_count_z
      - .offset:         60
        .size:           2
        .value_kind:     hidden_group_size_x
      - .offset:         62
        .size:           2
        .value_kind:     hidden_group_size_y
      - .offset:         64
        .size:           2
        .value_kind:     hidden_group_size_z
      - .offset:         66
        .size:           2
        .value_kind:     hidden_remainder_x
      - .offset:         68
        .size:           2
        .value_kind:     hidden_remainder_y
      - .offset:         70
        .size:           2
        .value_kind:     hidden_remainder_z
      - .offset:         88
        .size:           8
        .value_kind:     hidden_global_offset_x
      - .offset:         96
        .size:           8
        .value_kind:     hidden_global_offset_y
      - .offset:         104
        .size:           8
        .value_kind:     hidden_global_offset_z
      - .offset:         112
        .size:           2
        .value_kind:     hidden_grid_dims
    .group_segment_fixed_size: 0
    .kernarg_segment_align: 8
    .kernarg_segment_size: 304
    .language:       OpenCL C
    .language_version:
      - 2
      - 0
    .max_flat_workgroup_size: 1024
    .name:           _ZN12_GLOBAL__N_120softmax_warp_forwardIN3c104HalfEffLi3ELb1ELb0ELi32EEEvPT0_PKT_iiiPKbib
    .private_segment_fixed_size: 0
    .sgpr_count:     20
    .sgpr_spill_count: 0
    .symbol:         _ZN12_GLOBAL__N_120softmax_warp_forwardIN3c104HalfEffLi3ELb1ELb0ELi32EEEvPT0_PKT_iiiPKbib.kd
    .uniform_work_group_size: 1
    .uses_dynamic_stack: false
    .vgpr_count:     16
    .vgpr_spill_count: 0
    .wavefront_size: 64
  - .agpr_count:     0
    .args:
      - .address_space:  global
        .offset:         0
        .size:           8
        .value_kind:     global_buffer
      - .address_space:  global
        .offset:         8
        .size:           8
        .value_kind:     global_buffer
      - .offset:         16
        .size:           4
        .value_kind:     by_value
      - .offset:         20
        .size:           4
        .value_kind:     by_value
      - .offset:         24
        .size:           4
        .value_kind:     by_value
      - .address_space:  global
        .offset:         32
        .size:           8
        .value_kind:     global_buffer
      - .offset:         40
        .size:           4
        .value_kind:     by_value
      - .offset:         44
        .size:           1
        .value_kind:     by_value
      - .offset:         48
        .size:           4
        .value_kind:     hidden_block_count_x
      - .offset:         52
        .size:           4
        .value_kind:     hidden_block_count_y
      - .offset:         56
        .size:           4
        .value_kind:     hidden_block_count_z
      - .offset:         60
        .size:           2
        .value_kind:     hidden_group_size_x
      - .offset:         62
        .size:           2
        .value_kind:     hidden_group_size_y
      - .offset:         64
        .size:           2
        .value_kind:     hidden_group_size_z
      - .offset:         66
        .size:           2
        .value_kind:     hidden_remainder_x
      - .offset:         68
        .size:           2
        .value_kind:     hidden_remainder_y
      - .offset:         70
        .size:           2
        .value_kind:     hidden_remainder_z
      - .offset:         88
        .size:           8
        .value_kind:     hidden_global_offset_x
      - .offset:         96
        .size:           8
        .value_kind:     hidden_global_offset_y
      - .offset:         104
        .size:           8
        .value_kind:     hidden_global_offset_z
      - .offset:         112
        .size:           2
        .value_kind:     hidden_grid_dims
    .group_segment_fixed_size: 0
    .kernarg_segment_align: 8
    .kernarg_segment_size: 304
    .language:       OpenCL C
    .language_version:
      - 2
      - 0
    .max_flat_workgroup_size: 1024
    .name:           _ZN12_GLOBAL__N_120softmax_warp_forwardIN3c104HalfEffLi4ELb1ELb0ELi64EEEvPT0_PKT_iiiPKbib
    .private_segment_fixed_size: 0
    .sgpr_count:     20
    .sgpr_spill_count: 0
    .symbol:         _ZN12_GLOBAL__N_120softmax_warp_forwardIN3c104HalfEffLi4ELb1ELb0ELi64EEEvPT0_PKT_iiiPKbib.kd
    .uniform_work_group_size: 1
    .uses_dynamic_stack: false
    .vgpr_count:     17
    .vgpr_spill_count: 0
    .wavefront_size: 64
  - .agpr_count:     0
    .args:
      - .address_space:  global
        .offset:         0
        .size:           8
        .value_kind:     global_buffer
      - .address_space:  global
        .offset:         8
        .size:           8
        .value_kind:     global_buffer
      - .offset:         16
        .size:           4
        .value_kind:     by_value
      - .offset:         20
        .size:           4
        .value_kind:     by_value
      - .offset:         24
        .size:           4
        .value_kind:     by_value
      - .address_space:  global
        .offset:         32
        .size:           8
        .value_kind:     global_buffer
      - .offset:         40
        .size:           4
        .value_kind:     by_value
      - .offset:         44
        .size:           1
        .value_kind:     by_value
      - .offset:         48
        .size:           4
        .value_kind:     hidden_block_count_x
      - .offset:         52
        .size:           4
        .value_kind:     hidden_block_count_y
      - .offset:         56
        .size:           4
        .value_kind:     hidden_block_count_z
      - .offset:         60
        .size:           2
        .value_kind:     hidden_group_size_x
      - .offset:         62
        .size:           2
        .value_kind:     hidden_group_size_y
      - .offset:         64
        .size:           2
        .value_kind:     hidden_group_size_z
      - .offset:         66
        .size:           2
        .value_kind:     hidden_remainder_x
      - .offset:         68
        .size:           2
        .value_kind:     hidden_remainder_y
      - .offset:         70
        .size:           2
        .value_kind:     hidden_remainder_z
      - .offset:         88
        .size:           8
        .value_kind:     hidden_global_offset_x
      - .offset:         96
        .size:           8
        .value_kind:     hidden_global_offset_y
      - .offset:         104
        .size:           8
        .value_kind:     hidden_global_offset_z
      - .offset:         112
        .size:           2
        .value_kind:     hidden_grid_dims
    .group_segment_fixed_size: 0
    .kernarg_segment_align: 8
    .kernarg_segment_size: 304
    .language:       OpenCL C
    .language_version:
      - 2
      - 0
    .max_flat_workgroup_size: 1024
    .name:           _ZN12_GLOBAL__N_120softmax_warp_forwardIN3c104HalfEffLi4ELb1ELb0ELi32EEEvPT0_PKT_iiiPKbib
    .private_segment_fixed_size: 0
    .sgpr_count:     20
    .sgpr_spill_count: 0
    .symbol:         _ZN12_GLOBAL__N_120softmax_warp_forwardIN3c104HalfEffLi4ELb1ELb0ELi32EEEvPT0_PKT_iiiPKbib.kd
    .uniform_work_group_size: 1
    .uses_dynamic_stack: false
    .vgpr_count:     17
    .vgpr_spill_count: 0
    .wavefront_size: 64
  - .agpr_count:     0
    .args:
      - .address_space:  global
        .offset:         0
        .size:           8
        .value_kind:     global_buffer
      - .address_space:  global
        .offset:         8
        .size:           8
        .value_kind:     global_buffer
      - .offset:         16
        .size:           4
        .value_kind:     by_value
      - .offset:         20
        .size:           4
        .value_kind:     by_value
      - .offset:         24
        .size:           4
        .value_kind:     by_value
      - .address_space:  global
        .offset:         32
        .size:           8
        .value_kind:     global_buffer
      - .offset:         40
        .size:           4
        .value_kind:     by_value
      - .offset:         44
        .size:           1
        .value_kind:     by_value
      - .offset:         48
        .size:           4
        .value_kind:     hidden_block_count_x
      - .offset:         52
        .size:           4
        .value_kind:     hidden_block_count_y
      - .offset:         56
        .size:           4
        .value_kind:     hidden_block_count_z
      - .offset:         60
        .size:           2
        .value_kind:     hidden_group_size_x
      - .offset:         62
        .size:           2
        .value_kind:     hidden_group_size_y
      - .offset:         64
        .size:           2
        .value_kind:     hidden_group_size_z
      - .offset:         66
        .size:           2
        .value_kind:     hidden_remainder_x
      - .offset:         68
        .size:           2
        .value_kind:     hidden_remainder_y
      - .offset:         70
        .size:           2
        .value_kind:     hidden_remainder_z
      - .offset:         88
        .size:           8
        .value_kind:     hidden_global_offset_x
      - .offset:         96
        .size:           8
        .value_kind:     hidden_global_offset_y
      - .offset:         104
        .size:           8
        .value_kind:     hidden_global_offset_z
      - .offset:         112
        .size:           2
        .value_kind:     hidden_grid_dims
    .group_segment_fixed_size: 0
    .kernarg_segment_align: 8
    .kernarg_segment_size: 304
    .language:       OpenCL C
    .language_version:
      - 2
      - 0
    .max_flat_workgroup_size: 1024
    .name:           _ZN12_GLOBAL__N_120softmax_warp_forwardIN3c104HalfEffLi5ELb1ELb0ELi64EEEvPT0_PKT_iiiPKbib
    .private_segment_fixed_size: 0
    .sgpr_count:     20
    .sgpr_spill_count: 0
    .symbol:         _ZN12_GLOBAL__N_120softmax_warp_forwardIN3c104HalfEffLi5ELb1ELb0ELi64EEEvPT0_PKT_iiiPKbib.kd
    .uniform_work_group_size: 1
    .uses_dynamic_stack: false
    .vgpr_count:     18
    .vgpr_spill_count: 0
    .wavefront_size: 64
  - .agpr_count:     0
    .args:
      - .address_space:  global
        .offset:         0
        .size:           8
        .value_kind:     global_buffer
      - .address_space:  global
        .offset:         8
        .size:           8
        .value_kind:     global_buffer
      - .offset:         16
        .size:           4
        .value_kind:     by_value
      - .offset:         20
        .size:           4
        .value_kind:     by_value
      - .offset:         24
        .size:           4
        .value_kind:     by_value
      - .address_space:  global
        .offset:         32
        .size:           8
        .value_kind:     global_buffer
      - .offset:         40
        .size:           4
        .value_kind:     by_value
      - .offset:         44
        .size:           1
        .value_kind:     by_value
      - .offset:         48
        .size:           4
        .value_kind:     hidden_block_count_x
      - .offset:         52
        .size:           4
        .value_kind:     hidden_block_count_y
      - .offset:         56
        .size:           4
        .value_kind:     hidden_block_count_z
      - .offset:         60
        .size:           2
        .value_kind:     hidden_group_size_x
      - .offset:         62
        .size:           2
        .value_kind:     hidden_group_size_y
      - .offset:         64
        .size:           2
        .value_kind:     hidden_group_size_z
      - .offset:         66
        .size:           2
        .value_kind:     hidden_remainder_x
      - .offset:         68
        .size:           2
        .value_kind:     hidden_remainder_y
      - .offset:         70
        .size:           2
        .value_kind:     hidden_remainder_z
      - .offset:         88
        .size:           8
        .value_kind:     hidden_global_offset_x
      - .offset:         96
        .size:           8
        .value_kind:     hidden_global_offset_y
      - .offset:         104
        .size:           8
        .value_kind:     hidden_global_offset_z
      - .offset:         112
        .size:           2
        .value_kind:     hidden_grid_dims
    .group_segment_fixed_size: 0
    .kernarg_segment_align: 8
    .kernarg_segment_size: 304
    .language:       OpenCL C
    .language_version:
      - 2
      - 0
    .max_flat_workgroup_size: 1024
    .name:           _ZN12_GLOBAL__N_120softmax_warp_forwardIN3c104HalfEffLi5ELb1ELb0ELi32EEEvPT0_PKT_iiiPKbib
    .private_segment_fixed_size: 0
    .sgpr_count:     20
    .sgpr_spill_count: 0
    .symbol:         _ZN12_GLOBAL__N_120softmax_warp_forwardIN3c104HalfEffLi5ELb1ELb0ELi32EEEvPT0_PKT_iiiPKbib.kd
    .uniform_work_group_size: 1
    .uses_dynamic_stack: false
    .vgpr_count:     18
    .vgpr_spill_count: 0
    .wavefront_size: 64
  - .agpr_count:     0
    .args:
      - .address_space:  global
        .offset:         0
        .size:           8
        .value_kind:     global_buffer
      - .address_space:  global
        .offset:         8
        .size:           8
        .value_kind:     global_buffer
      - .offset:         16
        .size:           4
        .value_kind:     by_value
      - .offset:         20
        .size:           4
        .value_kind:     by_value
      - .offset:         24
        .size:           4
        .value_kind:     by_value
      - .address_space:  global
        .offset:         32
        .size:           8
        .value_kind:     global_buffer
      - .offset:         40
        .size:           4
        .value_kind:     by_value
      - .offset:         44
        .size:           1
        .value_kind:     by_value
      - .offset:         48
        .size:           4
        .value_kind:     hidden_block_count_x
      - .offset:         52
        .size:           4
        .value_kind:     hidden_block_count_y
      - .offset:         56
        .size:           4
        .value_kind:     hidden_block_count_z
      - .offset:         60
        .size:           2
        .value_kind:     hidden_group_size_x
      - .offset:         62
        .size:           2
        .value_kind:     hidden_group_size_y
      - .offset:         64
        .size:           2
        .value_kind:     hidden_group_size_z
      - .offset:         66
        .size:           2
        .value_kind:     hidden_remainder_x
      - .offset:         68
        .size:           2
        .value_kind:     hidden_remainder_y
      - .offset:         70
        .size:           2
        .value_kind:     hidden_remainder_z
      - .offset:         88
        .size:           8
        .value_kind:     hidden_global_offset_x
      - .offset:         96
        .size:           8
        .value_kind:     hidden_global_offset_y
      - .offset:         104
        .size:           8
        .value_kind:     hidden_global_offset_z
      - .offset:         112
        .size:           2
        .value_kind:     hidden_grid_dims
    .group_segment_fixed_size: 0
    .kernarg_segment_align: 8
    .kernarg_segment_size: 304
    .language:       OpenCL C
    .language_version:
      - 2
      - 0
    .max_flat_workgroup_size: 1024
    .name:           _ZN12_GLOBAL__N_120softmax_warp_forwardIN3c104HalfEffLi6ELb1ELb0ELi64EEEvPT0_PKT_iiiPKbib
    .private_segment_fixed_size: 0
    .sgpr_count:     20
    .sgpr_spill_count: 0
    .symbol:         _ZN12_GLOBAL__N_120softmax_warp_forwardIN3c104HalfEffLi6ELb1ELb0ELi64EEEvPT0_PKT_iiiPKbib.kd
    .uniform_work_group_size: 1
    .uses_dynamic_stack: false
    .vgpr_count:     19
    .vgpr_spill_count: 0
    .wavefront_size: 64
  - .agpr_count:     0
    .args:
      - .address_space:  global
        .offset:         0
        .size:           8
        .value_kind:     global_buffer
      - .address_space:  global
        .offset:         8
        .size:           8
        .value_kind:     global_buffer
      - .offset:         16
        .size:           4
        .value_kind:     by_value
      - .offset:         20
        .size:           4
        .value_kind:     by_value
      - .offset:         24
        .size:           4
        .value_kind:     by_value
      - .address_space:  global
        .offset:         32
        .size:           8
        .value_kind:     global_buffer
      - .offset:         40
        .size:           4
        .value_kind:     by_value
      - .offset:         44
        .size:           1
        .value_kind:     by_value
      - .offset:         48
        .size:           4
        .value_kind:     hidden_block_count_x
      - .offset:         52
        .size:           4
        .value_kind:     hidden_block_count_y
      - .offset:         56
        .size:           4
        .value_kind:     hidden_block_count_z
      - .offset:         60
        .size:           2
        .value_kind:     hidden_group_size_x
      - .offset:         62
        .size:           2
        .value_kind:     hidden_group_size_y
      - .offset:         64
        .size:           2
        .value_kind:     hidden_group_size_z
      - .offset:         66
        .size:           2
        .value_kind:     hidden_remainder_x
      - .offset:         68
        .size:           2
        .value_kind:     hidden_remainder_y
      - .offset:         70
        .size:           2
        .value_kind:     hidden_remainder_z
      - .offset:         88
        .size:           8
        .value_kind:     hidden_global_offset_x
      - .offset:         96
        .size:           8
        .value_kind:     hidden_global_offset_y
      - .offset:         104
        .size:           8
        .value_kind:     hidden_global_offset_z
      - .offset:         112
        .size:           2
        .value_kind:     hidden_grid_dims
    .group_segment_fixed_size: 0
    .kernarg_segment_align: 8
    .kernarg_segment_size: 304
    .language:       OpenCL C
    .language_version:
      - 2
      - 0
    .max_flat_workgroup_size: 1024
    .name:           _ZN12_GLOBAL__N_120softmax_warp_forwardIN3c104HalfEffLi6ELb1ELb0ELi32EEEvPT0_PKT_iiiPKbib
    .private_segment_fixed_size: 0
    .sgpr_count:     20
    .sgpr_spill_count: 0
    .symbol:         _ZN12_GLOBAL__N_120softmax_warp_forwardIN3c104HalfEffLi6ELb1ELb0ELi32EEEvPT0_PKT_iiiPKbib.kd
    .uniform_work_group_size: 1
    .uses_dynamic_stack: false
    .vgpr_count:     23
    .vgpr_spill_count: 0
    .wavefront_size: 64
  - .agpr_count:     0
    .args:
      - .address_space:  global
        .offset:         0
        .size:           8
        .value_kind:     global_buffer
      - .address_space:  global
        .offset:         8
        .size:           8
        .value_kind:     global_buffer
      - .offset:         16
        .size:           4
        .value_kind:     by_value
      - .offset:         20
        .size:           4
        .value_kind:     by_value
      - .offset:         24
        .size:           4
        .value_kind:     by_value
      - .address_space:  global
        .offset:         32
        .size:           8
        .value_kind:     global_buffer
      - .offset:         40
        .size:           4
        .value_kind:     by_value
      - .offset:         44
        .size:           1
        .value_kind:     by_value
      - .offset:         48
        .size:           4
        .value_kind:     hidden_block_count_x
      - .offset:         52
        .size:           4
        .value_kind:     hidden_block_count_y
      - .offset:         56
        .size:           4
        .value_kind:     hidden_block_count_z
      - .offset:         60
        .size:           2
        .value_kind:     hidden_group_size_x
      - .offset:         62
        .size:           2
        .value_kind:     hidden_group_size_y
      - .offset:         64
        .size:           2
        .value_kind:     hidden_group_size_z
      - .offset:         66
        .size:           2
        .value_kind:     hidden_remainder_x
      - .offset:         68
        .size:           2
        .value_kind:     hidden_remainder_y
      - .offset:         70
        .size:           2
        .value_kind:     hidden_remainder_z
      - .offset:         88
        .size:           8
        .value_kind:     hidden_global_offset_x
      - .offset:         96
        .size:           8
        .value_kind:     hidden_global_offset_y
      - .offset:         104
        .size:           8
        .value_kind:     hidden_global_offset_z
      - .offset:         112
        .size:           2
        .value_kind:     hidden_grid_dims
    .group_segment_fixed_size: 0
    .kernarg_segment_align: 8
    .kernarg_segment_size: 304
    .language:       OpenCL C
    .language_version:
      - 2
      - 0
    .max_flat_workgroup_size: 1024
    .name:           _ZN12_GLOBAL__N_120softmax_warp_forwardIN3c104HalfEffLi7ELb1ELb0ELi64EEEvPT0_PKT_iiiPKbib
    .private_segment_fixed_size: 0
    .sgpr_count:     20
    .sgpr_spill_count: 0
    .symbol:         _ZN12_GLOBAL__N_120softmax_warp_forwardIN3c104HalfEffLi7ELb1ELb0ELi64EEEvPT0_PKT_iiiPKbib.kd
    .uniform_work_group_size: 1
    .uses_dynamic_stack: false
    .vgpr_count:     24
    .vgpr_spill_count: 0
    .wavefront_size: 64
  - .agpr_count:     0
    .args:
      - .address_space:  global
        .offset:         0
        .size:           8
        .value_kind:     global_buffer
      - .address_space:  global
        .offset:         8
        .size:           8
        .value_kind:     global_buffer
      - .offset:         16
        .size:           4
        .value_kind:     by_value
      - .offset:         20
        .size:           4
        .value_kind:     by_value
      - .offset:         24
        .size:           4
        .value_kind:     by_value
      - .address_space:  global
        .offset:         32
        .size:           8
        .value_kind:     global_buffer
      - .offset:         40
        .size:           4
        .value_kind:     by_value
      - .offset:         44
        .size:           1
        .value_kind:     by_value
      - .offset:         48
        .size:           4
        .value_kind:     hidden_block_count_x
      - .offset:         52
        .size:           4
        .value_kind:     hidden_block_count_y
      - .offset:         56
        .size:           4
        .value_kind:     hidden_block_count_z
      - .offset:         60
        .size:           2
        .value_kind:     hidden_group_size_x
      - .offset:         62
        .size:           2
        .value_kind:     hidden_group_size_y
      - .offset:         64
        .size:           2
        .value_kind:     hidden_group_size_z
      - .offset:         66
        .size:           2
        .value_kind:     hidden_remainder_x
      - .offset:         68
        .size:           2
        .value_kind:     hidden_remainder_y
      - .offset:         70
        .size:           2
        .value_kind:     hidden_remainder_z
      - .offset:         88
        .size:           8
        .value_kind:     hidden_global_offset_x
      - .offset:         96
        .size:           8
        .value_kind:     hidden_global_offset_y
      - .offset:         104
        .size:           8
        .value_kind:     hidden_global_offset_z
      - .offset:         112
        .size:           2
        .value_kind:     hidden_grid_dims
    .group_segment_fixed_size: 0
    .kernarg_segment_align: 8
    .kernarg_segment_size: 304
    .language:       OpenCL C
    .language_version:
      - 2
      - 0
    .max_flat_workgroup_size: 1024
    .name:           _ZN12_GLOBAL__N_120softmax_warp_forwardIN3c104HalfEffLi7ELb1ELb0ELi32EEEvPT0_PKT_iiiPKbib
    .private_segment_fixed_size: 0
    .sgpr_count:     24
    .sgpr_spill_count: 0
    .symbol:         _ZN12_GLOBAL__N_120softmax_warp_forwardIN3c104HalfEffLi7ELb1ELb0ELi32EEEvPT0_PKT_iiiPKbib.kd
    .uniform_work_group_size: 1
    .uses_dynamic_stack: false
    .vgpr_count:     29
    .vgpr_spill_count: 0
    .wavefront_size: 64
  - .agpr_count:     0
    .args:
      - .address_space:  global
        .offset:         0
        .size:           8
        .value_kind:     global_buffer
      - .address_space:  global
        .offset:         8
        .size:           8
        .value_kind:     global_buffer
      - .offset:         16
        .size:           4
        .value_kind:     by_value
      - .offset:         20
        .size:           4
        .value_kind:     by_value
      - .offset:         24
        .size:           4
        .value_kind:     by_value
      - .address_space:  global
        .offset:         32
        .size:           8
        .value_kind:     global_buffer
      - .offset:         40
        .size:           4
        .value_kind:     by_value
      - .offset:         44
        .size:           1
        .value_kind:     by_value
      - .offset:         48
        .size:           4
        .value_kind:     hidden_block_count_x
      - .offset:         52
        .size:           4
        .value_kind:     hidden_block_count_y
      - .offset:         56
        .size:           4
        .value_kind:     hidden_block_count_z
      - .offset:         60
        .size:           2
        .value_kind:     hidden_group_size_x
      - .offset:         62
        .size:           2
        .value_kind:     hidden_group_size_y
      - .offset:         64
        .size:           2
        .value_kind:     hidden_group_size_z
      - .offset:         66
        .size:           2
        .value_kind:     hidden_remainder_x
      - .offset:         68
        .size:           2
        .value_kind:     hidden_remainder_y
      - .offset:         70
        .size:           2
        .value_kind:     hidden_remainder_z
      - .offset:         88
        .size:           8
        .value_kind:     hidden_global_offset_x
      - .offset:         96
        .size:           8
        .value_kind:     hidden_global_offset_y
      - .offset:         104
        .size:           8
        .value_kind:     hidden_global_offset_z
      - .offset:         112
        .size:           2
        .value_kind:     hidden_grid_dims
    .group_segment_fixed_size: 0
    .kernarg_segment_align: 8
    .kernarg_segment_size: 304
    .language:       OpenCL C
    .language_version:
      - 2
      - 0
    .max_flat_workgroup_size: 1024
    .name:           _ZN12_GLOBAL__N_120softmax_warp_forwardIN3c104HalfEffLi8ELb1ELb0ELi64EEEvPT0_PKT_iiiPKbib
    .private_segment_fixed_size: 0
    .sgpr_count:     20
    .sgpr_spill_count: 0
    .symbol:         _ZN12_GLOBAL__N_120softmax_warp_forwardIN3c104HalfEffLi8ELb1ELb0ELi64EEEvPT0_PKT_iiiPKbib.kd
    .uniform_work_group_size: 1
    .uses_dynamic_stack: false
    .vgpr_count:     20
    .vgpr_spill_count: 0
    .wavefront_size: 64
  - .agpr_count:     0
    .args:
      - .address_space:  global
        .offset:         0
        .size:           8
        .value_kind:     global_buffer
      - .address_space:  global
        .offset:         8
        .size:           8
        .value_kind:     global_buffer
      - .offset:         16
        .size:           4
        .value_kind:     by_value
      - .offset:         20
        .size:           4
        .value_kind:     by_value
      - .offset:         24
        .size:           4
        .value_kind:     by_value
      - .address_space:  global
        .offset:         32
        .size:           8
        .value_kind:     global_buffer
      - .offset:         40
        .size:           4
        .value_kind:     by_value
      - .offset:         44
        .size:           1
        .value_kind:     by_value
      - .offset:         48
        .size:           4
        .value_kind:     hidden_block_count_x
      - .offset:         52
        .size:           4
        .value_kind:     hidden_block_count_y
      - .offset:         56
        .size:           4
        .value_kind:     hidden_block_count_z
      - .offset:         60
        .size:           2
        .value_kind:     hidden_group_size_x
      - .offset:         62
        .size:           2
        .value_kind:     hidden_group_size_y
      - .offset:         64
        .size:           2
        .value_kind:     hidden_group_size_z
      - .offset:         66
        .size:           2
        .value_kind:     hidden_remainder_x
      - .offset:         68
        .size:           2
        .value_kind:     hidden_remainder_y
      - .offset:         70
        .size:           2
        .value_kind:     hidden_remainder_z
      - .offset:         88
        .size:           8
        .value_kind:     hidden_global_offset_x
      - .offset:         96
        .size:           8
        .value_kind:     hidden_global_offset_y
      - .offset:         104
        .size:           8
        .value_kind:     hidden_global_offset_z
      - .offset:         112
        .size:           2
        .value_kind:     hidden_grid_dims
    .group_segment_fixed_size: 0
    .kernarg_segment_align: 8
    .kernarg_segment_size: 304
    .language:       OpenCL C
    .language_version:
      - 2
      - 0
    .max_flat_workgroup_size: 1024
    .name:           _ZN12_GLOBAL__N_120softmax_warp_forwardIN3c104HalfEffLi8ELb1ELb0ELi32EEEvPT0_PKT_iiiPKbib
    .private_segment_fixed_size: 0
    .sgpr_count:     28
    .sgpr_spill_count: 0
    .symbol:         _ZN12_GLOBAL__N_120softmax_warp_forwardIN3c104HalfEffLi8ELb1ELb0ELi32EEEvPT0_PKT_iiiPKbib.kd
    .uniform_work_group_size: 1
    .uses_dynamic_stack: false
    .vgpr_count:     23
    .vgpr_spill_count: 0
    .wavefront_size: 64
  - .agpr_count:     0
    .args:
      - .address_space:  global
        .offset:         0
        .size:           8
        .value_kind:     global_buffer
      - .address_space:  global
        .offset:         8
        .size:           8
        .value_kind:     global_buffer
      - .offset:         16
        .size:           4
        .value_kind:     by_value
      - .offset:         20
        .size:           4
        .value_kind:     by_value
      - .offset:         24
        .size:           4
        .value_kind:     by_value
      - .address_space:  global
        .offset:         32
        .size:           8
        .value_kind:     global_buffer
      - .offset:         40
        .size:           4
        .value_kind:     by_value
      - .offset:         44
        .size:           1
        .value_kind:     by_value
      - .offset:         48
        .size:           4
        .value_kind:     hidden_block_count_x
      - .offset:         52
        .size:           4
        .value_kind:     hidden_block_count_y
      - .offset:         56
        .size:           4
        .value_kind:     hidden_block_count_z
      - .offset:         60
        .size:           2
        .value_kind:     hidden_group_size_x
      - .offset:         62
        .size:           2
        .value_kind:     hidden_group_size_y
      - .offset:         64
        .size:           2
        .value_kind:     hidden_group_size_z
      - .offset:         66
        .size:           2
        .value_kind:     hidden_remainder_x
      - .offset:         68
        .size:           2
        .value_kind:     hidden_remainder_y
      - .offset:         70
        .size:           2
        .value_kind:     hidden_remainder_z
      - .offset:         88
        .size:           8
        .value_kind:     hidden_global_offset_x
      - .offset:         96
        .size:           8
        .value_kind:     hidden_global_offset_y
      - .offset:         104
        .size:           8
        .value_kind:     hidden_global_offset_z
      - .offset:         112
        .size:           2
        .value_kind:     hidden_grid_dims
    .group_segment_fixed_size: 0
    .kernarg_segment_align: 8
    .kernarg_segment_size: 304
    .language:       OpenCL C
    .language_version:
      - 2
      - 0
    .max_flat_workgroup_size: 1024
    .name:           _ZN12_GLOBAL__N_120softmax_warp_forwardIN3c104HalfEffLi9ELb1ELb0ELi64EEEvPT0_PKT_iiiPKbib
    .private_segment_fixed_size: 0
    .sgpr_count:     28
    .sgpr_spill_count: 0
    .symbol:         _ZN12_GLOBAL__N_120softmax_warp_forwardIN3c104HalfEffLi9ELb1ELb0ELi64EEEvPT0_PKT_iiiPKbib.kd
    .uniform_work_group_size: 1
    .uses_dynamic_stack: false
    .vgpr_count:     24
    .vgpr_spill_count: 0
    .wavefront_size: 64
  - .agpr_count:     0
    .args:
      - .address_space:  global
        .offset:         0
        .size:           8
        .value_kind:     global_buffer
      - .address_space:  global
        .offset:         8
        .size:           8
        .value_kind:     global_buffer
      - .offset:         16
        .size:           4
        .value_kind:     by_value
      - .offset:         20
        .size:           4
        .value_kind:     by_value
      - .offset:         24
        .size:           4
        .value_kind:     by_value
      - .address_space:  global
        .offset:         32
        .size:           8
        .value_kind:     global_buffer
      - .offset:         40
        .size:           4
        .value_kind:     by_value
      - .offset:         44
        .size:           1
        .value_kind:     by_value
      - .offset:         48
        .size:           4
        .value_kind:     hidden_block_count_x
      - .offset:         52
        .size:           4
        .value_kind:     hidden_block_count_y
      - .offset:         56
        .size:           4
        .value_kind:     hidden_block_count_z
      - .offset:         60
        .size:           2
        .value_kind:     hidden_group_size_x
      - .offset:         62
        .size:           2
        .value_kind:     hidden_group_size_y
      - .offset:         64
        .size:           2
        .value_kind:     hidden_group_size_z
      - .offset:         66
        .size:           2
        .value_kind:     hidden_remainder_x
      - .offset:         68
        .size:           2
        .value_kind:     hidden_remainder_y
      - .offset:         70
        .size:           2
        .value_kind:     hidden_remainder_z
      - .offset:         88
        .size:           8
        .value_kind:     hidden_global_offset_x
      - .offset:         96
        .size:           8
        .value_kind:     hidden_global_offset_y
      - .offset:         104
        .size:           8
        .value_kind:     hidden_global_offset_z
      - .offset:         112
        .size:           2
        .value_kind:     hidden_grid_dims
    .group_segment_fixed_size: 0
    .kernarg_segment_align: 8
    .kernarg_segment_size: 304
    .language:       OpenCL C
    .language_version:
      - 2
      - 0
    .max_flat_workgroup_size: 1024
    .name:           _ZN12_GLOBAL__N_120softmax_warp_forwardIN3c104HalfEffLi9ELb1ELb0ELi32EEEvPT0_PKT_iiiPKbib
    .private_segment_fixed_size: 0
    .sgpr_count:     48
    .sgpr_spill_count: 0
    .symbol:         _ZN12_GLOBAL__N_120softmax_warp_forwardIN3c104HalfEffLi9ELb1ELb0ELi32EEEvPT0_PKT_iiiPKbib.kd
    .uniform_work_group_size: 1
    .uses_dynamic_stack: false
    .vgpr_count:     31
    .vgpr_spill_count: 0
    .wavefront_size: 64
  - .agpr_count:     0
    .args:
      - .address_space:  global
        .offset:         0
        .size:           8
        .value_kind:     global_buffer
      - .address_space:  global
        .offset:         8
        .size:           8
        .value_kind:     global_buffer
      - .offset:         16
        .size:           4
        .value_kind:     by_value
      - .offset:         20
        .size:           4
        .value_kind:     by_value
      - .offset:         24
        .size:           4
        .value_kind:     by_value
      - .address_space:  global
        .offset:         32
        .size:           8
        .value_kind:     global_buffer
      - .offset:         40
        .size:           4
        .value_kind:     by_value
      - .offset:         44
        .size:           1
        .value_kind:     by_value
      - .offset:         48
        .size:           4
        .value_kind:     hidden_block_count_x
      - .offset:         52
        .size:           4
        .value_kind:     hidden_block_count_y
      - .offset:         56
        .size:           4
        .value_kind:     hidden_block_count_z
      - .offset:         60
        .size:           2
        .value_kind:     hidden_group_size_x
      - .offset:         62
        .size:           2
        .value_kind:     hidden_group_size_y
      - .offset:         64
        .size:           2
        .value_kind:     hidden_group_size_z
      - .offset:         66
        .size:           2
        .value_kind:     hidden_remainder_x
      - .offset:         68
        .size:           2
        .value_kind:     hidden_remainder_y
      - .offset:         70
        .size:           2
        .value_kind:     hidden_remainder_z
      - .offset:         88
        .size:           8
        .value_kind:     hidden_global_offset_x
      - .offset:         96
        .size:           8
        .value_kind:     hidden_global_offset_y
      - .offset:         104
        .size:           8
        .value_kind:     hidden_global_offset_z
      - .offset:         112
        .size:           2
        .value_kind:     hidden_grid_dims
    .group_segment_fixed_size: 0
    .kernarg_segment_align: 8
    .kernarg_segment_size: 304
    .language:       OpenCL C
    .language_version:
      - 2
      - 0
    .max_flat_workgroup_size: 1024
    .name:           _ZN12_GLOBAL__N_120softmax_warp_forwardIN3c104HalfEffLi10ELb1ELb0ELi64EEEvPT0_PKT_iiiPKbib
    .private_segment_fixed_size: 0
    .sgpr_count:     48
    .sgpr_spill_count: 0
    .symbol:         _ZN12_GLOBAL__N_120softmax_warp_forwardIN3c104HalfEffLi10ELb1ELb0ELi64EEEvPT0_PKT_iiiPKbib.kd
    .uniform_work_group_size: 1
    .uses_dynamic_stack: false
    .vgpr_count:     32
    .vgpr_spill_count: 0
    .wavefront_size: 64
  - .agpr_count:     0
    .args:
      - .address_space:  global
        .offset:         0
        .size:           8
        .value_kind:     global_buffer
      - .address_space:  global
        .offset:         8
        .size:           8
        .value_kind:     global_buffer
      - .offset:         16
        .size:           4
        .value_kind:     by_value
      - .offset:         20
        .size:           4
        .value_kind:     by_value
      - .offset:         24
        .size:           4
        .value_kind:     by_value
      - .address_space:  global
        .offset:         32
        .size:           8
        .value_kind:     global_buffer
      - .offset:         40
        .size:           4
        .value_kind:     by_value
      - .offset:         44
        .size:           1
        .value_kind:     by_value
      - .offset:         48
        .size:           4
        .value_kind:     hidden_block_count_x
      - .offset:         52
        .size:           4
        .value_kind:     hidden_block_count_y
      - .offset:         56
        .size:           4
        .value_kind:     hidden_block_count_z
      - .offset:         60
        .size:           2
        .value_kind:     hidden_group_size_x
      - .offset:         62
        .size:           2
        .value_kind:     hidden_group_size_y
      - .offset:         64
        .size:           2
        .value_kind:     hidden_group_size_z
      - .offset:         66
        .size:           2
        .value_kind:     hidden_remainder_x
      - .offset:         68
        .size:           2
        .value_kind:     hidden_remainder_y
      - .offset:         70
        .size:           2
        .value_kind:     hidden_remainder_z
      - .offset:         88
        .size:           8
        .value_kind:     hidden_global_offset_x
      - .offset:         96
        .size:           8
        .value_kind:     hidden_global_offset_y
      - .offset:         104
        .size:           8
        .value_kind:     hidden_global_offset_z
      - .offset:         112
        .size:           2
        .value_kind:     hidden_grid_dims
    .group_segment_fixed_size: 0
    .kernarg_segment_align: 8
    .kernarg_segment_size: 304
    .language:       OpenCL C
    .language_version:
      - 2
      - 0
    .max_flat_workgroup_size: 1024
    .name:           _ZN12_GLOBAL__N_120softmax_warp_forwardIN3c104HalfEffLi10ELb1ELb0ELi32EEEvPT0_PKT_iiiPKbib
    .private_segment_fixed_size: 0
    .sgpr_count:     80
    .sgpr_spill_count: 0
    .symbol:         _ZN12_GLOBAL__N_120softmax_warp_forwardIN3c104HalfEffLi10ELb1ELb0ELi32EEEvPT0_PKT_iiiPKbib.kd
    .uniform_work_group_size: 1
    .uses_dynamic_stack: false
    .vgpr_count:     47
    .vgpr_spill_count: 0
    .wavefront_size: 64
  - .agpr_count:     0
    .args:
      - .address_space:  global
        .offset:         0
        .size:           8
        .value_kind:     global_buffer
      - .address_space:  global
        .offset:         8
        .size:           8
        .value_kind:     global_buffer
      - .offset:         16
        .size:           4
        .value_kind:     by_value
      - .offset:         20
        .size:           4
        .value_kind:     by_value
      - .offset:         24
        .size:           4
        .value_kind:     by_value
      - .address_space:  global
        .offset:         32
        .size:           8
        .value_kind:     global_buffer
      - .offset:         40
        .size:           4
        .value_kind:     by_value
      - .offset:         44
        .size:           1
        .value_kind:     by_value
      - .offset:         48
        .size:           4
        .value_kind:     hidden_block_count_x
      - .offset:         52
        .size:           4
        .value_kind:     hidden_block_count_y
      - .offset:         56
        .size:           4
        .value_kind:     hidden_block_count_z
      - .offset:         60
        .size:           2
        .value_kind:     hidden_group_size_x
      - .offset:         62
        .size:           2
        .value_kind:     hidden_group_size_y
      - .offset:         64
        .size:           2
        .value_kind:     hidden_group_size_z
      - .offset:         66
        .size:           2
        .value_kind:     hidden_remainder_x
      - .offset:         68
        .size:           2
        .value_kind:     hidden_remainder_y
      - .offset:         70
        .size:           2
        .value_kind:     hidden_remainder_z
      - .offset:         88
        .size:           8
        .value_kind:     hidden_global_offset_x
      - .offset:         96
        .size:           8
        .value_kind:     hidden_global_offset_y
      - .offset:         104
        .size:           8
        .value_kind:     hidden_global_offset_z
      - .offset:         112
        .size:           2
        .value_kind:     hidden_grid_dims
    .group_segment_fixed_size: 0
    .kernarg_segment_align: 8
    .kernarg_segment_size: 304
    .language:       OpenCL C
    .language_version:
      - 2
      - 0
    .max_flat_workgroup_size: 1024
    .name:           _ZN12_GLOBAL__N_120softmax_warp_forwardIN3c104HalfEffLi11ELb1ELb0ELi64EEEvPT0_PKT_iiiPKbib
    .private_segment_fixed_size: 0
    .sgpr_count:     80
    .sgpr_spill_count: 0
    .symbol:         _ZN12_GLOBAL__N_120softmax_warp_forwardIN3c104HalfEffLi11ELb1ELb0ELi64EEEvPT0_PKT_iiiPKbib.kd
    .uniform_work_group_size: 1
    .uses_dynamic_stack: false
    .vgpr_count:     48
    .vgpr_spill_count: 0
    .wavefront_size: 64
  - .agpr_count:     0
    .args:
      - .address_space:  global
        .offset:         0
        .size:           8
        .value_kind:     global_buffer
      - .address_space:  global
        .offset:         8
        .size:           8
        .value_kind:     global_buffer
      - .offset:         16
        .size:           4
        .value_kind:     by_value
      - .offset:         20
        .size:           4
        .value_kind:     by_value
      - .offset:         24
        .size:           4
        .value_kind:     by_value
      - .address_space:  global
        .offset:         32
        .size:           8
        .value_kind:     global_buffer
      - .offset:         40
        .size:           4
        .value_kind:     by_value
      - .offset:         44
        .size:           1
        .value_kind:     by_value
      - .offset:         48
        .size:           4
        .value_kind:     hidden_block_count_x
      - .offset:         52
        .size:           4
        .value_kind:     hidden_block_count_y
      - .offset:         56
        .size:           4
        .value_kind:     hidden_block_count_z
      - .offset:         60
        .size:           2
        .value_kind:     hidden_group_size_x
      - .offset:         62
        .size:           2
        .value_kind:     hidden_group_size_y
      - .offset:         64
        .size:           2
        .value_kind:     hidden_group_size_z
      - .offset:         66
        .size:           2
        .value_kind:     hidden_remainder_x
      - .offset:         68
        .size:           2
        .value_kind:     hidden_remainder_y
      - .offset:         70
        .size:           2
        .value_kind:     hidden_remainder_z
      - .offset:         88
        .size:           8
        .value_kind:     hidden_global_offset_x
      - .offset:         96
        .size:           8
        .value_kind:     hidden_global_offset_y
      - .offset:         104
        .size:           8
        .value_kind:     hidden_global_offset_z
      - .offset:         112
        .size:           2
        .value_kind:     hidden_grid_dims
    .group_segment_fixed_size: 0
    .kernarg_segment_align: 8
    .kernarg_segment_size: 304
    .language:       OpenCL C
    .language_version:
      - 2
      - 0
    .max_flat_workgroup_size: 1024
    .name:           _ZN12_GLOBAL__N_120softmax_warp_forwardIN3c104HalfEffLi11ELb1ELb0ELi32EEEvPT0_PKT_iiiPKbib
    .private_segment_fixed_size: 0
    .sgpr_count:     100
    .sgpr_spill_count: 40
    .symbol:         _ZN12_GLOBAL__N_120softmax_warp_forwardIN3c104HalfEffLi11ELb1ELb0ELi32EEEvPT0_PKT_iiiPKbib.kd
    .uniform_work_group_size: 1
    .uses_dynamic_stack: false
    .vgpr_count:     80
    .vgpr_spill_count: 0
    .wavefront_size: 64
  - .agpr_count:     0
    .args:
      - .address_space:  global
        .offset:         0
        .size:           8
        .value_kind:     global_buffer
      - .address_space:  global
        .offset:         8
        .size:           8
        .value_kind:     global_buffer
      - .offset:         16
        .size:           8
        .value_kind:     by_value
      - .offset:         24
        .size:           4
        .value_kind:     hidden_block_count_x
      - .offset:         28
        .size:           4
        .value_kind:     hidden_block_count_y
      - .offset:         32
        .size:           4
        .value_kind:     hidden_block_count_z
      - .offset:         36
        .size:           2
        .value_kind:     hidden_group_size_x
      - .offset:         38
        .size:           2
        .value_kind:     hidden_group_size_y
      - .offset:         40
        .size:           2
        .value_kind:     hidden_group_size_z
      - .offset:         42
        .size:           2
        .value_kind:     hidden_remainder_x
      - .offset:         44
        .size:           2
        .value_kind:     hidden_remainder_y
      - .offset:         46
        .size:           2
        .value_kind:     hidden_remainder_z
      - .offset:         64
        .size:           8
        .value_kind:     hidden_global_offset_x
      - .offset:         72
        .size:           8
        .value_kind:     hidden_global_offset_y
      - .offset:         80
        .size:           8
        .value_kind:     hidden_global_offset_z
      - .offset:         88
        .size:           2
        .value_kind:     hidden_grid_dims
      - .offset:         144
        .size:           4
        .value_kind:     hidden_dynamic_lds_size
    .group_segment_fixed_size: 0
    .kernarg_segment_align: 8
    .kernarg_segment_size: 280
    .language:       OpenCL C
    .language_version:
      - 2
      - 0
    .max_flat_workgroup_size: 1024
    .name:           _ZN2at6native12_GLOBAL__N_123cunn_SoftMaxForwardSmemILi8EN3c104HalfEffNS1_25LogSoftMaxForwardEpilogueElEEvPT2_PKT0_T4_
    .private_segment_fixed_size: 0
    .sgpr_count:     46
    .sgpr_spill_count: 0
    .symbol:         _ZN2at6native12_GLOBAL__N_123cunn_SoftMaxForwardSmemILi8EN3c104HalfEffNS1_25LogSoftMaxForwardEpilogueElEEvPT2_PKT0_T4_.kd
    .uniform_work_group_size: 1
    .uses_dynamic_stack: false
    .vgpr_count:     50
    .vgpr_spill_count: 0
    .wavefront_size: 64
  - .agpr_count:     0
    .args:
      - .address_space:  global
        .offset:         0
        .size:           8
        .value_kind:     global_buffer
      - .address_space:  global
        .offset:         8
        .size:           8
        .value_kind:     global_buffer
      - .offset:         16
        .size:           4
        .value_kind:     by_value
      - .offset:         24
        .size:           4
        .value_kind:     hidden_block_count_x
      - .offset:         28
        .size:           4
        .value_kind:     hidden_block_count_y
      - .offset:         32
        .size:           4
        .value_kind:     hidden_block_count_z
      - .offset:         36
        .size:           2
        .value_kind:     hidden_group_size_x
      - .offset:         38
        .size:           2
        .value_kind:     hidden_group_size_y
      - .offset:         40
        .size:           2
        .value_kind:     hidden_group_size_z
      - .offset:         42
        .size:           2
        .value_kind:     hidden_remainder_x
      - .offset:         44
        .size:           2
        .value_kind:     hidden_remainder_y
      - .offset:         46
        .size:           2
        .value_kind:     hidden_remainder_z
      - .offset:         64
        .size:           8
        .value_kind:     hidden_global_offset_x
      - .offset:         72
        .size:           8
        .value_kind:     hidden_global_offset_y
      - .offset:         80
        .size:           8
        .value_kind:     hidden_global_offset_z
      - .offset:         88
        .size:           2
        .value_kind:     hidden_grid_dims
      - .offset:         144
        .size:           4
        .value_kind:     hidden_dynamic_lds_size
    .group_segment_fixed_size: 0
    .kernarg_segment_align: 8
    .kernarg_segment_size: 280
    .language:       OpenCL C
    .language_version:
      - 2
      - 0
    .max_flat_workgroup_size: 1024
    .name:           _ZN2at6native12_GLOBAL__N_119cunn_SoftMaxForwardILi8EN3c104HalfEffNS1_25LogSoftMaxForwardEpilogueEEEvPT2_PKT0_i
    .private_segment_fixed_size: 0
    .sgpr_count:     51
    .sgpr_spill_count: 0
    .symbol:         _ZN2at6native12_GLOBAL__N_119cunn_SoftMaxForwardILi8EN3c104HalfEffNS1_25LogSoftMaxForwardEpilogueEEEvPT2_PKT0_i.kd
    .uniform_work_group_size: 1
    .uses_dynamic_stack: false
    .vgpr_count:     48
    .vgpr_spill_count: 0
    .wavefront_size: 64
  - .agpr_count:     0
    .args:
      - .address_space:  global
        .offset:         0
        .size:           8
        .value_kind:     global_buffer
      - .address_space:  global
        .offset:         8
        .size:           8
        .value_kind:     global_buffer
      - .offset:         16
        .size:           4
        .value_kind:     by_value
      - .offset:         20
        .size:           4
        .value_kind:     by_value
      - .offset:         24
        .size:           4
        .value_kind:     by_value
      - .address_space:  global
        .offset:         32
        .size:           8
        .value_kind:     global_buffer
      - .offset:         40
        .size:           4
        .value_kind:     by_value
      - .offset:         44
        .size:           1
        .value_kind:     by_value
      - .offset:         48
        .size:           4
        .value_kind:     hidden_block_count_x
      - .offset:         52
        .size:           4
        .value_kind:     hidden_block_count_y
      - .offset:         56
        .size:           4
        .value_kind:     hidden_block_count_z
      - .offset:         60
        .size:           2
        .value_kind:     hidden_group_size_x
      - .offset:         62
        .size:           2
        .value_kind:     hidden_group_size_y
      - .offset:         64
        .size:           2
        .value_kind:     hidden_group_size_z
      - .offset:         66
        .size:           2
        .value_kind:     hidden_remainder_x
      - .offset:         68
        .size:           2
        .value_kind:     hidden_remainder_y
      - .offset:         70
        .size:           2
        .value_kind:     hidden_remainder_z
      - .offset:         88
        .size:           8
        .value_kind:     hidden_global_offset_x
      - .offset:         96
        .size:           8
        .value_kind:     hidden_global_offset_y
      - .offset:         104
        .size:           8
        .value_kind:     hidden_global_offset_z
      - .offset:         112
        .size:           2
        .value_kind:     hidden_grid_dims
    .group_segment_fixed_size: 0
    .kernarg_segment_align: 8
    .kernarg_segment_size: 304
    .language:       OpenCL C
    .language_version:
      - 2
      - 0
    .max_flat_workgroup_size: 1024
    .name:           _ZN12_GLOBAL__N_120softmax_warp_forwardIN3c108BFloat16ES2_fLi0ELb1ELb0ELi64EEEvPT0_PKT_iiiPKbib
    .private_segment_fixed_size: 0
    .sgpr_count:     20
    .sgpr_spill_count: 0
    .symbol:         _ZN12_GLOBAL__N_120softmax_warp_forwardIN3c108BFloat16ES2_fLi0ELb1ELb0ELi64EEEvPT0_PKT_iiiPKbib.kd
    .uniform_work_group_size: 1
    .uses_dynamic_stack: false
    .vgpr_count:     11
    .vgpr_spill_count: 0
    .wavefront_size: 64
  - .agpr_count:     0
    .args:
      - .address_space:  global
        .offset:         0
        .size:           8
        .value_kind:     global_buffer
      - .address_space:  global
        .offset:         8
        .size:           8
        .value_kind:     global_buffer
      - .offset:         16
        .size:           4
        .value_kind:     by_value
      - .offset:         20
        .size:           4
        .value_kind:     by_value
      - .offset:         24
        .size:           4
        .value_kind:     by_value
      - .address_space:  global
        .offset:         32
        .size:           8
        .value_kind:     global_buffer
      - .offset:         40
        .size:           4
        .value_kind:     by_value
      - .offset:         44
        .size:           1
        .value_kind:     by_value
      - .offset:         48
        .size:           4
        .value_kind:     hidden_block_count_x
      - .offset:         52
        .size:           4
        .value_kind:     hidden_block_count_y
      - .offset:         56
        .size:           4
        .value_kind:     hidden_block_count_z
      - .offset:         60
        .size:           2
        .value_kind:     hidden_group_size_x
      - .offset:         62
        .size:           2
        .value_kind:     hidden_group_size_y
      - .offset:         64
        .size:           2
        .value_kind:     hidden_group_size_z
      - .offset:         66
        .size:           2
        .value_kind:     hidden_remainder_x
      - .offset:         68
        .size:           2
        .value_kind:     hidden_remainder_y
      - .offset:         70
        .size:           2
        .value_kind:     hidden_remainder_z
      - .offset:         88
        .size:           8
        .value_kind:     hidden_global_offset_x
      - .offset:         96
        .size:           8
        .value_kind:     hidden_global_offset_y
      - .offset:         104
        .size:           8
        .value_kind:     hidden_global_offset_z
      - .offset:         112
        .size:           2
        .value_kind:     hidden_grid_dims
    .group_segment_fixed_size: 0
    .kernarg_segment_align: 8
    .kernarg_segment_size: 304
    .language:       OpenCL C
    .language_version:
      - 2
      - 0
    .max_flat_workgroup_size: 1024
    .name:           _ZN12_GLOBAL__N_120softmax_warp_forwardIN3c108BFloat16ES2_fLi0ELb1ELb0ELi32EEEvPT0_PKT_iiiPKbib
    .private_segment_fixed_size: 0
    .sgpr_count:     20
    .sgpr_spill_count: 0
    .symbol:         _ZN12_GLOBAL__N_120softmax_warp_forwardIN3c108BFloat16ES2_fLi0ELb1ELb0ELi32EEEvPT0_PKT_iiiPKbib.kd
    .uniform_work_group_size: 1
    .uses_dynamic_stack: false
    .vgpr_count:     11
    .vgpr_spill_count: 0
    .wavefront_size: 64
  - .agpr_count:     0
    .args:
      - .address_space:  global
        .offset:         0
        .size:           8
        .value_kind:     global_buffer
      - .address_space:  global
        .offset:         8
        .size:           8
        .value_kind:     global_buffer
      - .offset:         16
        .size:           4
        .value_kind:     by_value
      - .offset:         20
        .size:           4
        .value_kind:     by_value
      - .offset:         24
        .size:           4
        .value_kind:     by_value
      - .address_space:  global
        .offset:         32
        .size:           8
        .value_kind:     global_buffer
      - .offset:         40
        .size:           4
        .value_kind:     by_value
      - .offset:         44
        .size:           1
        .value_kind:     by_value
      - .offset:         48
        .size:           4
        .value_kind:     hidden_block_count_x
      - .offset:         52
        .size:           4
        .value_kind:     hidden_block_count_y
      - .offset:         56
        .size:           4
        .value_kind:     hidden_block_count_z
      - .offset:         60
        .size:           2
        .value_kind:     hidden_group_size_x
      - .offset:         62
        .size:           2
        .value_kind:     hidden_group_size_y
      - .offset:         64
        .size:           2
        .value_kind:     hidden_group_size_z
      - .offset:         66
        .size:           2
        .value_kind:     hidden_remainder_x
      - .offset:         68
        .size:           2
        .value_kind:     hidden_remainder_y
      - .offset:         70
        .size:           2
        .value_kind:     hidden_remainder_z
      - .offset:         88
        .size:           8
        .value_kind:     hidden_global_offset_x
      - .offset:         96
        .size:           8
        .value_kind:     hidden_global_offset_y
      - .offset:         104
        .size:           8
        .value_kind:     hidden_global_offset_z
      - .offset:         112
        .size:           2
        .value_kind:     hidden_grid_dims
    .group_segment_fixed_size: 0
    .kernarg_segment_align: 8
    .kernarg_segment_size: 304
    .language:       OpenCL C
    .language_version:
      - 2
      - 0
    .max_flat_workgroup_size: 1024
    .name:           _ZN12_GLOBAL__N_120softmax_warp_forwardIN3c108BFloat16ES2_fLi1ELb1ELb0ELi64EEEvPT0_PKT_iiiPKbib
    .private_segment_fixed_size: 0
    .sgpr_count:     20
    .sgpr_spill_count: 0
    .symbol:         _ZN12_GLOBAL__N_120softmax_warp_forwardIN3c108BFloat16ES2_fLi1ELb1ELb0ELi64EEEvPT0_PKT_iiiPKbib.kd
    .uniform_work_group_size: 1
    .uses_dynamic_stack: false
    .vgpr_count:     14
    .vgpr_spill_count: 0
    .wavefront_size: 64
  - .agpr_count:     0
    .args:
      - .address_space:  global
        .offset:         0
        .size:           8
        .value_kind:     global_buffer
      - .address_space:  global
        .offset:         8
        .size:           8
        .value_kind:     global_buffer
      - .offset:         16
        .size:           4
        .value_kind:     by_value
      - .offset:         20
        .size:           4
        .value_kind:     by_value
      - .offset:         24
        .size:           4
        .value_kind:     by_value
      - .address_space:  global
        .offset:         32
        .size:           8
        .value_kind:     global_buffer
      - .offset:         40
        .size:           4
        .value_kind:     by_value
      - .offset:         44
        .size:           1
        .value_kind:     by_value
      - .offset:         48
        .size:           4
        .value_kind:     hidden_block_count_x
      - .offset:         52
        .size:           4
        .value_kind:     hidden_block_count_y
      - .offset:         56
        .size:           4
        .value_kind:     hidden_block_count_z
      - .offset:         60
        .size:           2
        .value_kind:     hidden_group_size_x
      - .offset:         62
        .size:           2
        .value_kind:     hidden_group_size_y
      - .offset:         64
        .size:           2
        .value_kind:     hidden_group_size_z
      - .offset:         66
        .size:           2
        .value_kind:     hidden_remainder_x
      - .offset:         68
        .size:           2
        .value_kind:     hidden_remainder_y
      - .offset:         70
        .size:           2
        .value_kind:     hidden_remainder_z
      - .offset:         88
        .size:           8
        .value_kind:     hidden_global_offset_x
      - .offset:         96
        .size:           8
        .value_kind:     hidden_global_offset_y
      - .offset:         104
        .size:           8
        .value_kind:     hidden_global_offset_z
      - .offset:         112
        .size:           2
        .value_kind:     hidden_grid_dims
    .group_segment_fixed_size: 0
    .kernarg_segment_align: 8
    .kernarg_segment_size: 304
    .language:       OpenCL C
    .language_version:
      - 2
      - 0
    .max_flat_workgroup_size: 1024
    .name:           _ZN12_GLOBAL__N_120softmax_warp_forwardIN3c108BFloat16ES2_fLi1ELb1ELb0ELi32EEEvPT0_PKT_iiiPKbib
    .private_segment_fixed_size: 0
    .sgpr_count:     20
    .sgpr_spill_count: 0
    .symbol:         _ZN12_GLOBAL__N_120softmax_warp_forwardIN3c108BFloat16ES2_fLi1ELb1ELb0ELi32EEEvPT0_PKT_iiiPKbib.kd
    .uniform_work_group_size: 1
    .uses_dynamic_stack: false
    .vgpr_count:     14
    .vgpr_spill_count: 0
    .wavefront_size: 64
  - .agpr_count:     0
    .args:
      - .address_space:  global
        .offset:         0
        .size:           8
        .value_kind:     global_buffer
      - .address_space:  global
        .offset:         8
        .size:           8
        .value_kind:     global_buffer
      - .offset:         16
        .size:           4
        .value_kind:     by_value
      - .offset:         20
        .size:           4
        .value_kind:     by_value
      - .offset:         24
        .size:           4
        .value_kind:     by_value
      - .address_space:  global
        .offset:         32
        .size:           8
        .value_kind:     global_buffer
      - .offset:         40
        .size:           4
        .value_kind:     by_value
      - .offset:         44
        .size:           1
        .value_kind:     by_value
      - .offset:         48
        .size:           4
        .value_kind:     hidden_block_count_x
      - .offset:         52
        .size:           4
        .value_kind:     hidden_block_count_y
      - .offset:         56
        .size:           4
        .value_kind:     hidden_block_count_z
      - .offset:         60
        .size:           2
        .value_kind:     hidden_group_size_x
      - .offset:         62
        .size:           2
        .value_kind:     hidden_group_size_y
      - .offset:         64
        .size:           2
        .value_kind:     hidden_group_size_z
      - .offset:         66
        .size:           2
        .value_kind:     hidden_remainder_x
      - .offset:         68
        .size:           2
        .value_kind:     hidden_remainder_y
      - .offset:         70
        .size:           2
        .value_kind:     hidden_remainder_z
      - .offset:         88
        .size:           8
        .value_kind:     hidden_global_offset_x
      - .offset:         96
        .size:           8
        .value_kind:     hidden_global_offset_y
      - .offset:         104
        .size:           8
        .value_kind:     hidden_global_offset_z
      - .offset:         112
        .size:           2
        .value_kind:     hidden_grid_dims
    .group_segment_fixed_size: 0
    .kernarg_segment_align: 8
    .kernarg_segment_size: 304
    .language:       OpenCL C
    .language_version:
      - 2
      - 0
    .max_flat_workgroup_size: 1024
    .name:           _ZN12_GLOBAL__N_120softmax_warp_forwardIN3c108BFloat16ES2_fLi2ELb1ELb0ELi64EEEvPT0_PKT_iiiPKbib
    .private_segment_fixed_size: 0
    .sgpr_count:     20
    .sgpr_spill_count: 0
    .symbol:         _ZN12_GLOBAL__N_120softmax_warp_forwardIN3c108BFloat16ES2_fLi2ELb1ELb0ELi64EEEvPT0_PKT_iiiPKbib.kd
    .uniform_work_group_size: 1
    .uses_dynamic_stack: false
    .vgpr_count:     15
    .vgpr_spill_count: 0
    .wavefront_size: 64
  - .agpr_count:     0
    .args:
      - .address_space:  global
        .offset:         0
        .size:           8
        .value_kind:     global_buffer
      - .address_space:  global
        .offset:         8
        .size:           8
        .value_kind:     global_buffer
      - .offset:         16
        .size:           4
        .value_kind:     by_value
      - .offset:         20
        .size:           4
        .value_kind:     by_value
      - .offset:         24
        .size:           4
        .value_kind:     by_value
      - .address_space:  global
        .offset:         32
        .size:           8
        .value_kind:     global_buffer
      - .offset:         40
        .size:           4
        .value_kind:     by_value
      - .offset:         44
        .size:           1
        .value_kind:     by_value
      - .offset:         48
        .size:           4
        .value_kind:     hidden_block_count_x
      - .offset:         52
        .size:           4
        .value_kind:     hidden_block_count_y
      - .offset:         56
        .size:           4
        .value_kind:     hidden_block_count_z
      - .offset:         60
        .size:           2
        .value_kind:     hidden_group_size_x
      - .offset:         62
        .size:           2
        .value_kind:     hidden_group_size_y
      - .offset:         64
        .size:           2
        .value_kind:     hidden_group_size_z
      - .offset:         66
        .size:           2
        .value_kind:     hidden_remainder_x
      - .offset:         68
        .size:           2
        .value_kind:     hidden_remainder_y
      - .offset:         70
        .size:           2
        .value_kind:     hidden_remainder_z
      - .offset:         88
        .size:           8
        .value_kind:     hidden_global_offset_x
      - .offset:         96
        .size:           8
        .value_kind:     hidden_global_offset_y
      - .offset:         104
        .size:           8
        .value_kind:     hidden_global_offset_z
      - .offset:         112
        .size:           2
        .value_kind:     hidden_grid_dims
    .group_segment_fixed_size: 0
    .kernarg_segment_align: 8
    .kernarg_segment_size: 304
    .language:       OpenCL C
    .language_version:
      - 2
      - 0
    .max_flat_workgroup_size: 1024
    .name:           _ZN12_GLOBAL__N_120softmax_warp_forwardIN3c108BFloat16ES2_fLi2ELb1ELb0ELi32EEEvPT0_PKT_iiiPKbib
    .private_segment_fixed_size: 0
    .sgpr_count:     20
    .sgpr_spill_count: 0
    .symbol:         _ZN12_GLOBAL__N_120softmax_warp_forwardIN3c108BFloat16ES2_fLi2ELb1ELb0ELi32EEEvPT0_PKT_iiiPKbib.kd
    .uniform_work_group_size: 1
    .uses_dynamic_stack: false
    .vgpr_count:     15
    .vgpr_spill_count: 0
    .wavefront_size: 64
  - .agpr_count:     0
    .args:
      - .address_space:  global
        .offset:         0
        .size:           8
        .value_kind:     global_buffer
      - .address_space:  global
        .offset:         8
        .size:           8
        .value_kind:     global_buffer
      - .offset:         16
        .size:           4
        .value_kind:     by_value
      - .offset:         20
        .size:           4
        .value_kind:     by_value
      - .offset:         24
        .size:           4
        .value_kind:     by_value
      - .address_space:  global
        .offset:         32
        .size:           8
        .value_kind:     global_buffer
      - .offset:         40
        .size:           4
        .value_kind:     by_value
      - .offset:         44
        .size:           1
        .value_kind:     by_value
      - .offset:         48
        .size:           4
        .value_kind:     hidden_block_count_x
      - .offset:         52
        .size:           4
        .value_kind:     hidden_block_count_y
      - .offset:         56
        .size:           4
        .value_kind:     hidden_block_count_z
      - .offset:         60
        .size:           2
        .value_kind:     hidden_group_size_x
      - .offset:         62
        .size:           2
        .value_kind:     hidden_group_size_y
      - .offset:         64
        .size:           2
        .value_kind:     hidden_group_size_z
      - .offset:         66
        .size:           2
        .value_kind:     hidden_remainder_x
      - .offset:         68
        .size:           2
        .value_kind:     hidden_remainder_y
      - .offset:         70
        .size:           2
        .value_kind:     hidden_remainder_z
      - .offset:         88
        .size:           8
        .value_kind:     hidden_global_offset_x
      - .offset:         96
        .size:           8
        .value_kind:     hidden_global_offset_y
      - .offset:         104
        .size:           8
        .value_kind:     hidden_global_offset_z
      - .offset:         112
        .size:           2
        .value_kind:     hidden_grid_dims
    .group_segment_fixed_size: 0
    .kernarg_segment_align: 8
    .kernarg_segment_size: 304
    .language:       OpenCL C
    .language_version:
      - 2
      - 0
    .max_flat_workgroup_size: 1024
    .name:           _ZN12_GLOBAL__N_120softmax_warp_forwardIN3c108BFloat16ES2_fLi3ELb1ELb0ELi64EEEvPT0_PKT_iiiPKbib
    .private_segment_fixed_size: 0
    .sgpr_count:     20
    .sgpr_spill_count: 0
    .symbol:         _ZN12_GLOBAL__N_120softmax_warp_forwardIN3c108BFloat16ES2_fLi3ELb1ELb0ELi64EEEvPT0_PKT_iiiPKbib.kd
    .uniform_work_group_size: 1
    .uses_dynamic_stack: false
    .vgpr_count:     16
    .vgpr_spill_count: 0
    .wavefront_size: 64
  - .agpr_count:     0
    .args:
      - .address_space:  global
        .offset:         0
        .size:           8
        .value_kind:     global_buffer
      - .address_space:  global
        .offset:         8
        .size:           8
        .value_kind:     global_buffer
      - .offset:         16
        .size:           4
        .value_kind:     by_value
      - .offset:         20
        .size:           4
        .value_kind:     by_value
      - .offset:         24
        .size:           4
        .value_kind:     by_value
      - .address_space:  global
        .offset:         32
        .size:           8
        .value_kind:     global_buffer
      - .offset:         40
        .size:           4
        .value_kind:     by_value
      - .offset:         44
        .size:           1
        .value_kind:     by_value
      - .offset:         48
        .size:           4
        .value_kind:     hidden_block_count_x
      - .offset:         52
        .size:           4
        .value_kind:     hidden_block_count_y
      - .offset:         56
        .size:           4
        .value_kind:     hidden_block_count_z
      - .offset:         60
        .size:           2
        .value_kind:     hidden_group_size_x
      - .offset:         62
        .size:           2
        .value_kind:     hidden_group_size_y
      - .offset:         64
        .size:           2
        .value_kind:     hidden_group_size_z
      - .offset:         66
        .size:           2
        .value_kind:     hidden_remainder_x
      - .offset:         68
        .size:           2
        .value_kind:     hidden_remainder_y
      - .offset:         70
        .size:           2
        .value_kind:     hidden_remainder_z
      - .offset:         88
        .size:           8
        .value_kind:     hidden_global_offset_x
      - .offset:         96
        .size:           8
        .value_kind:     hidden_global_offset_y
      - .offset:         104
        .size:           8
        .value_kind:     hidden_global_offset_z
      - .offset:         112
        .size:           2
        .value_kind:     hidden_grid_dims
    .group_segment_fixed_size: 0
    .kernarg_segment_align: 8
    .kernarg_segment_size: 304
    .language:       OpenCL C
    .language_version:
      - 2
      - 0
    .max_flat_workgroup_size: 1024
    .name:           _ZN12_GLOBAL__N_120softmax_warp_forwardIN3c108BFloat16ES2_fLi3ELb1ELb0ELi32EEEvPT0_PKT_iiiPKbib
    .private_segment_fixed_size: 0
    .sgpr_count:     20
    .sgpr_spill_count: 0
    .symbol:         _ZN12_GLOBAL__N_120softmax_warp_forwardIN3c108BFloat16ES2_fLi3ELb1ELb0ELi32EEEvPT0_PKT_iiiPKbib.kd
    .uniform_work_group_size: 1
    .uses_dynamic_stack: false
    .vgpr_count:     16
    .vgpr_spill_count: 0
    .wavefront_size: 64
  - .agpr_count:     0
    .args:
      - .address_space:  global
        .offset:         0
        .size:           8
        .value_kind:     global_buffer
      - .address_space:  global
        .offset:         8
        .size:           8
        .value_kind:     global_buffer
      - .offset:         16
        .size:           4
        .value_kind:     by_value
      - .offset:         20
        .size:           4
        .value_kind:     by_value
      - .offset:         24
        .size:           4
        .value_kind:     by_value
      - .address_space:  global
        .offset:         32
        .size:           8
        .value_kind:     global_buffer
      - .offset:         40
        .size:           4
        .value_kind:     by_value
      - .offset:         44
        .size:           1
        .value_kind:     by_value
      - .offset:         48
        .size:           4
        .value_kind:     hidden_block_count_x
      - .offset:         52
        .size:           4
        .value_kind:     hidden_block_count_y
      - .offset:         56
        .size:           4
        .value_kind:     hidden_block_count_z
      - .offset:         60
        .size:           2
        .value_kind:     hidden_group_size_x
      - .offset:         62
        .size:           2
        .value_kind:     hidden_group_size_y
      - .offset:         64
        .size:           2
        .value_kind:     hidden_group_size_z
      - .offset:         66
        .size:           2
        .value_kind:     hidden_remainder_x
      - .offset:         68
        .size:           2
        .value_kind:     hidden_remainder_y
      - .offset:         70
        .size:           2
        .value_kind:     hidden_remainder_z
      - .offset:         88
        .size:           8
        .value_kind:     hidden_global_offset_x
      - .offset:         96
        .size:           8
        .value_kind:     hidden_global_offset_y
      - .offset:         104
        .size:           8
        .value_kind:     hidden_global_offset_z
      - .offset:         112
        .size:           2
        .value_kind:     hidden_grid_dims
    .group_segment_fixed_size: 0
    .kernarg_segment_align: 8
    .kernarg_segment_size: 304
    .language:       OpenCL C
    .language_version:
      - 2
      - 0
    .max_flat_workgroup_size: 1024
    .name:           _ZN12_GLOBAL__N_120softmax_warp_forwardIN3c108BFloat16ES2_fLi4ELb1ELb0ELi64EEEvPT0_PKT_iiiPKbib
    .private_segment_fixed_size: 0
    .sgpr_count:     20
    .sgpr_spill_count: 0
    .symbol:         _ZN12_GLOBAL__N_120softmax_warp_forwardIN3c108BFloat16ES2_fLi4ELb1ELb0ELi64EEEvPT0_PKT_iiiPKbib.kd
    .uniform_work_group_size: 1
    .uses_dynamic_stack: false
    .vgpr_count:     17
    .vgpr_spill_count: 0
    .wavefront_size: 64
  - .agpr_count:     0
    .args:
      - .address_space:  global
        .offset:         0
        .size:           8
        .value_kind:     global_buffer
      - .address_space:  global
        .offset:         8
        .size:           8
        .value_kind:     global_buffer
      - .offset:         16
        .size:           4
        .value_kind:     by_value
      - .offset:         20
        .size:           4
        .value_kind:     by_value
      - .offset:         24
        .size:           4
        .value_kind:     by_value
      - .address_space:  global
        .offset:         32
        .size:           8
        .value_kind:     global_buffer
      - .offset:         40
        .size:           4
        .value_kind:     by_value
      - .offset:         44
        .size:           1
        .value_kind:     by_value
      - .offset:         48
        .size:           4
        .value_kind:     hidden_block_count_x
      - .offset:         52
        .size:           4
        .value_kind:     hidden_block_count_y
      - .offset:         56
        .size:           4
        .value_kind:     hidden_block_count_z
      - .offset:         60
        .size:           2
        .value_kind:     hidden_group_size_x
      - .offset:         62
        .size:           2
        .value_kind:     hidden_group_size_y
      - .offset:         64
        .size:           2
        .value_kind:     hidden_group_size_z
      - .offset:         66
        .size:           2
        .value_kind:     hidden_remainder_x
      - .offset:         68
        .size:           2
        .value_kind:     hidden_remainder_y
      - .offset:         70
        .size:           2
        .value_kind:     hidden_remainder_z
      - .offset:         88
        .size:           8
        .value_kind:     hidden_global_offset_x
      - .offset:         96
        .size:           8
        .value_kind:     hidden_global_offset_y
      - .offset:         104
        .size:           8
        .value_kind:     hidden_global_offset_z
      - .offset:         112
        .size:           2
        .value_kind:     hidden_grid_dims
    .group_segment_fixed_size: 0
    .kernarg_segment_align: 8
    .kernarg_segment_size: 304
    .language:       OpenCL C
    .language_version:
      - 2
      - 0
    .max_flat_workgroup_size: 1024
    .name:           _ZN12_GLOBAL__N_120softmax_warp_forwardIN3c108BFloat16ES2_fLi4ELb1ELb0ELi32EEEvPT0_PKT_iiiPKbib
    .private_segment_fixed_size: 0
    .sgpr_count:     20
    .sgpr_spill_count: 0
    .symbol:         _ZN12_GLOBAL__N_120softmax_warp_forwardIN3c108BFloat16ES2_fLi4ELb1ELb0ELi32EEEvPT0_PKT_iiiPKbib.kd
    .uniform_work_group_size: 1
    .uses_dynamic_stack: false
    .vgpr_count:     17
    .vgpr_spill_count: 0
    .wavefront_size: 64
  - .agpr_count:     0
    .args:
      - .address_space:  global
        .offset:         0
        .size:           8
        .value_kind:     global_buffer
      - .address_space:  global
        .offset:         8
        .size:           8
        .value_kind:     global_buffer
      - .offset:         16
        .size:           4
        .value_kind:     by_value
      - .offset:         20
        .size:           4
        .value_kind:     by_value
      - .offset:         24
        .size:           4
        .value_kind:     by_value
      - .address_space:  global
        .offset:         32
        .size:           8
        .value_kind:     global_buffer
      - .offset:         40
        .size:           4
        .value_kind:     by_value
      - .offset:         44
        .size:           1
        .value_kind:     by_value
      - .offset:         48
        .size:           4
        .value_kind:     hidden_block_count_x
      - .offset:         52
        .size:           4
        .value_kind:     hidden_block_count_y
      - .offset:         56
        .size:           4
        .value_kind:     hidden_block_count_z
      - .offset:         60
        .size:           2
        .value_kind:     hidden_group_size_x
      - .offset:         62
        .size:           2
        .value_kind:     hidden_group_size_y
      - .offset:         64
        .size:           2
        .value_kind:     hidden_group_size_z
      - .offset:         66
        .size:           2
        .value_kind:     hidden_remainder_x
      - .offset:         68
        .size:           2
        .value_kind:     hidden_remainder_y
      - .offset:         70
        .size:           2
        .value_kind:     hidden_remainder_z
      - .offset:         88
        .size:           8
        .value_kind:     hidden_global_offset_x
      - .offset:         96
        .size:           8
        .value_kind:     hidden_global_offset_y
      - .offset:         104
        .size:           8
        .value_kind:     hidden_global_offset_z
      - .offset:         112
        .size:           2
        .value_kind:     hidden_grid_dims
    .group_segment_fixed_size: 0
    .kernarg_segment_align: 8
    .kernarg_segment_size: 304
    .language:       OpenCL C
    .language_version:
      - 2
      - 0
    .max_flat_workgroup_size: 1024
    .name:           _ZN12_GLOBAL__N_120softmax_warp_forwardIN3c108BFloat16ES2_fLi5ELb1ELb0ELi64EEEvPT0_PKT_iiiPKbib
    .private_segment_fixed_size: 0
    .sgpr_count:     20
    .sgpr_spill_count: 0
    .symbol:         _ZN12_GLOBAL__N_120softmax_warp_forwardIN3c108BFloat16ES2_fLi5ELb1ELb0ELi64EEEvPT0_PKT_iiiPKbib.kd
    .uniform_work_group_size: 1
    .uses_dynamic_stack: false
    .vgpr_count:     18
    .vgpr_spill_count: 0
    .wavefront_size: 64
  - .agpr_count:     0
    .args:
      - .address_space:  global
        .offset:         0
        .size:           8
        .value_kind:     global_buffer
      - .address_space:  global
        .offset:         8
        .size:           8
        .value_kind:     global_buffer
      - .offset:         16
        .size:           4
        .value_kind:     by_value
      - .offset:         20
        .size:           4
        .value_kind:     by_value
      - .offset:         24
        .size:           4
        .value_kind:     by_value
      - .address_space:  global
        .offset:         32
        .size:           8
        .value_kind:     global_buffer
      - .offset:         40
        .size:           4
        .value_kind:     by_value
      - .offset:         44
        .size:           1
        .value_kind:     by_value
      - .offset:         48
        .size:           4
        .value_kind:     hidden_block_count_x
      - .offset:         52
        .size:           4
        .value_kind:     hidden_block_count_y
      - .offset:         56
        .size:           4
        .value_kind:     hidden_block_count_z
      - .offset:         60
        .size:           2
        .value_kind:     hidden_group_size_x
      - .offset:         62
        .size:           2
        .value_kind:     hidden_group_size_y
      - .offset:         64
        .size:           2
        .value_kind:     hidden_group_size_z
      - .offset:         66
        .size:           2
        .value_kind:     hidden_remainder_x
      - .offset:         68
        .size:           2
        .value_kind:     hidden_remainder_y
      - .offset:         70
        .size:           2
        .value_kind:     hidden_remainder_z
      - .offset:         88
        .size:           8
        .value_kind:     hidden_global_offset_x
      - .offset:         96
        .size:           8
        .value_kind:     hidden_global_offset_y
      - .offset:         104
        .size:           8
        .value_kind:     hidden_global_offset_z
      - .offset:         112
        .size:           2
        .value_kind:     hidden_grid_dims
    .group_segment_fixed_size: 0
    .kernarg_segment_align: 8
    .kernarg_segment_size: 304
    .language:       OpenCL C
    .language_version:
      - 2
      - 0
    .max_flat_workgroup_size: 1024
    .name:           _ZN12_GLOBAL__N_120softmax_warp_forwardIN3c108BFloat16ES2_fLi5ELb1ELb0ELi32EEEvPT0_PKT_iiiPKbib
    .private_segment_fixed_size: 0
    .sgpr_count:     20
    .sgpr_spill_count: 0
    .symbol:         _ZN12_GLOBAL__N_120softmax_warp_forwardIN3c108BFloat16ES2_fLi5ELb1ELb0ELi32EEEvPT0_PKT_iiiPKbib.kd
    .uniform_work_group_size: 1
    .uses_dynamic_stack: false
    .vgpr_count:     18
    .vgpr_spill_count: 0
    .wavefront_size: 64
  - .agpr_count:     0
    .args:
      - .address_space:  global
        .offset:         0
        .size:           8
        .value_kind:     global_buffer
      - .address_space:  global
        .offset:         8
        .size:           8
        .value_kind:     global_buffer
      - .offset:         16
        .size:           4
        .value_kind:     by_value
      - .offset:         20
        .size:           4
        .value_kind:     by_value
      - .offset:         24
        .size:           4
        .value_kind:     by_value
      - .address_space:  global
        .offset:         32
        .size:           8
        .value_kind:     global_buffer
      - .offset:         40
        .size:           4
        .value_kind:     by_value
      - .offset:         44
        .size:           1
        .value_kind:     by_value
      - .offset:         48
        .size:           4
        .value_kind:     hidden_block_count_x
      - .offset:         52
        .size:           4
        .value_kind:     hidden_block_count_y
      - .offset:         56
        .size:           4
        .value_kind:     hidden_block_count_z
      - .offset:         60
        .size:           2
        .value_kind:     hidden_group_size_x
      - .offset:         62
        .size:           2
        .value_kind:     hidden_group_size_y
      - .offset:         64
        .size:           2
        .value_kind:     hidden_group_size_z
      - .offset:         66
        .size:           2
        .value_kind:     hidden_remainder_x
      - .offset:         68
        .size:           2
        .value_kind:     hidden_remainder_y
      - .offset:         70
        .size:           2
        .value_kind:     hidden_remainder_z
      - .offset:         88
        .size:           8
        .value_kind:     hidden_global_offset_x
      - .offset:         96
        .size:           8
        .value_kind:     hidden_global_offset_y
      - .offset:         104
        .size:           8
        .value_kind:     hidden_global_offset_z
      - .offset:         112
        .size:           2
        .value_kind:     hidden_grid_dims
    .group_segment_fixed_size: 0
    .kernarg_segment_align: 8
    .kernarg_segment_size: 304
    .language:       OpenCL C
    .language_version:
      - 2
      - 0
    .max_flat_workgroup_size: 1024
    .name:           _ZN12_GLOBAL__N_120softmax_warp_forwardIN3c108BFloat16ES2_fLi6ELb1ELb0ELi64EEEvPT0_PKT_iiiPKbib
    .private_segment_fixed_size: 0
    .sgpr_count:     20
    .sgpr_spill_count: 0
    .symbol:         _ZN12_GLOBAL__N_120softmax_warp_forwardIN3c108BFloat16ES2_fLi6ELb1ELb0ELi64EEEvPT0_PKT_iiiPKbib.kd
    .uniform_work_group_size: 1
    .uses_dynamic_stack: false
    .vgpr_count:     19
    .vgpr_spill_count: 0
    .wavefront_size: 64
  - .agpr_count:     0
    .args:
      - .address_space:  global
        .offset:         0
        .size:           8
        .value_kind:     global_buffer
      - .address_space:  global
        .offset:         8
        .size:           8
        .value_kind:     global_buffer
      - .offset:         16
        .size:           4
        .value_kind:     by_value
      - .offset:         20
        .size:           4
        .value_kind:     by_value
      - .offset:         24
        .size:           4
        .value_kind:     by_value
      - .address_space:  global
        .offset:         32
        .size:           8
        .value_kind:     global_buffer
      - .offset:         40
        .size:           4
        .value_kind:     by_value
      - .offset:         44
        .size:           1
        .value_kind:     by_value
      - .offset:         48
        .size:           4
        .value_kind:     hidden_block_count_x
      - .offset:         52
        .size:           4
        .value_kind:     hidden_block_count_y
      - .offset:         56
        .size:           4
        .value_kind:     hidden_block_count_z
      - .offset:         60
        .size:           2
        .value_kind:     hidden_group_size_x
      - .offset:         62
        .size:           2
        .value_kind:     hidden_group_size_y
      - .offset:         64
        .size:           2
        .value_kind:     hidden_group_size_z
      - .offset:         66
        .size:           2
        .value_kind:     hidden_remainder_x
      - .offset:         68
        .size:           2
        .value_kind:     hidden_remainder_y
      - .offset:         70
        .size:           2
        .value_kind:     hidden_remainder_z
      - .offset:         88
        .size:           8
        .value_kind:     hidden_global_offset_x
      - .offset:         96
        .size:           8
        .value_kind:     hidden_global_offset_y
      - .offset:         104
        .size:           8
        .value_kind:     hidden_global_offset_z
      - .offset:         112
        .size:           2
        .value_kind:     hidden_grid_dims
    .group_segment_fixed_size: 0
    .kernarg_segment_align: 8
    .kernarg_segment_size: 304
    .language:       OpenCL C
    .language_version:
      - 2
      - 0
    .max_flat_workgroup_size: 1024
    .name:           _ZN12_GLOBAL__N_120softmax_warp_forwardIN3c108BFloat16ES2_fLi6ELb1ELb0ELi32EEEvPT0_PKT_iiiPKbib
    .private_segment_fixed_size: 0
    .sgpr_count:     20
    .sgpr_spill_count: 0
    .symbol:         _ZN12_GLOBAL__N_120softmax_warp_forwardIN3c108BFloat16ES2_fLi6ELb1ELb0ELi32EEEvPT0_PKT_iiiPKbib.kd
    .uniform_work_group_size: 1
    .uses_dynamic_stack: false
    .vgpr_count:     23
    .vgpr_spill_count: 0
    .wavefront_size: 64
  - .agpr_count:     0
    .args:
      - .address_space:  global
        .offset:         0
        .size:           8
        .value_kind:     global_buffer
      - .address_space:  global
        .offset:         8
        .size:           8
        .value_kind:     global_buffer
      - .offset:         16
        .size:           4
        .value_kind:     by_value
      - .offset:         20
        .size:           4
        .value_kind:     by_value
      - .offset:         24
        .size:           4
        .value_kind:     by_value
      - .address_space:  global
        .offset:         32
        .size:           8
        .value_kind:     global_buffer
      - .offset:         40
        .size:           4
        .value_kind:     by_value
      - .offset:         44
        .size:           1
        .value_kind:     by_value
      - .offset:         48
        .size:           4
        .value_kind:     hidden_block_count_x
      - .offset:         52
        .size:           4
        .value_kind:     hidden_block_count_y
      - .offset:         56
        .size:           4
        .value_kind:     hidden_block_count_z
      - .offset:         60
        .size:           2
        .value_kind:     hidden_group_size_x
      - .offset:         62
        .size:           2
        .value_kind:     hidden_group_size_y
      - .offset:         64
        .size:           2
        .value_kind:     hidden_group_size_z
      - .offset:         66
        .size:           2
        .value_kind:     hidden_remainder_x
      - .offset:         68
        .size:           2
        .value_kind:     hidden_remainder_y
      - .offset:         70
        .size:           2
        .value_kind:     hidden_remainder_z
      - .offset:         88
        .size:           8
        .value_kind:     hidden_global_offset_x
      - .offset:         96
        .size:           8
        .value_kind:     hidden_global_offset_y
      - .offset:         104
        .size:           8
        .value_kind:     hidden_global_offset_z
      - .offset:         112
        .size:           2
        .value_kind:     hidden_grid_dims
    .group_segment_fixed_size: 0
    .kernarg_segment_align: 8
    .kernarg_segment_size: 304
    .language:       OpenCL C
    .language_version:
      - 2
      - 0
    .max_flat_workgroup_size: 1024
    .name:           _ZN12_GLOBAL__N_120softmax_warp_forwardIN3c108BFloat16ES2_fLi7ELb1ELb0ELi64EEEvPT0_PKT_iiiPKbib
    .private_segment_fixed_size: 0
    .sgpr_count:     20
    .sgpr_spill_count: 0
    .symbol:         _ZN12_GLOBAL__N_120softmax_warp_forwardIN3c108BFloat16ES2_fLi7ELb1ELb0ELi64EEEvPT0_PKT_iiiPKbib.kd
    .uniform_work_group_size: 1
    .uses_dynamic_stack: false
    .vgpr_count:     24
    .vgpr_spill_count: 0
    .wavefront_size: 64
  - .agpr_count:     0
    .args:
      - .address_space:  global
        .offset:         0
        .size:           8
        .value_kind:     global_buffer
      - .address_space:  global
        .offset:         8
        .size:           8
        .value_kind:     global_buffer
      - .offset:         16
        .size:           4
        .value_kind:     by_value
      - .offset:         20
        .size:           4
        .value_kind:     by_value
      - .offset:         24
        .size:           4
        .value_kind:     by_value
      - .address_space:  global
        .offset:         32
        .size:           8
        .value_kind:     global_buffer
      - .offset:         40
        .size:           4
        .value_kind:     by_value
      - .offset:         44
        .size:           1
        .value_kind:     by_value
      - .offset:         48
        .size:           4
        .value_kind:     hidden_block_count_x
      - .offset:         52
        .size:           4
        .value_kind:     hidden_block_count_y
      - .offset:         56
        .size:           4
        .value_kind:     hidden_block_count_z
      - .offset:         60
        .size:           2
        .value_kind:     hidden_group_size_x
      - .offset:         62
        .size:           2
        .value_kind:     hidden_group_size_y
      - .offset:         64
        .size:           2
        .value_kind:     hidden_group_size_z
      - .offset:         66
        .size:           2
        .value_kind:     hidden_remainder_x
      - .offset:         68
        .size:           2
        .value_kind:     hidden_remainder_y
      - .offset:         70
        .size:           2
        .value_kind:     hidden_remainder_z
      - .offset:         88
        .size:           8
        .value_kind:     hidden_global_offset_x
      - .offset:         96
        .size:           8
        .value_kind:     hidden_global_offset_y
      - .offset:         104
        .size:           8
        .value_kind:     hidden_global_offset_z
      - .offset:         112
        .size:           2
        .value_kind:     hidden_grid_dims
    .group_segment_fixed_size: 0
    .kernarg_segment_align: 8
    .kernarg_segment_size: 304
    .language:       OpenCL C
    .language_version:
      - 2
      - 0
    .max_flat_workgroup_size: 1024
    .name:           _ZN12_GLOBAL__N_120softmax_warp_forwardIN3c108BFloat16ES2_fLi7ELb1ELb0ELi32EEEvPT0_PKT_iiiPKbib
    .private_segment_fixed_size: 0
    .sgpr_count:     24
    .sgpr_spill_count: 0
    .symbol:         _ZN12_GLOBAL__N_120softmax_warp_forwardIN3c108BFloat16ES2_fLi7ELb1ELb0ELi32EEEvPT0_PKT_iiiPKbib.kd
    .uniform_work_group_size: 1
    .uses_dynamic_stack: false
    .vgpr_count:     29
    .vgpr_spill_count: 0
    .wavefront_size: 64
  - .agpr_count:     0
    .args:
      - .address_space:  global
        .offset:         0
        .size:           8
        .value_kind:     global_buffer
      - .address_space:  global
        .offset:         8
        .size:           8
        .value_kind:     global_buffer
      - .offset:         16
        .size:           4
        .value_kind:     by_value
      - .offset:         20
        .size:           4
        .value_kind:     by_value
      - .offset:         24
        .size:           4
        .value_kind:     by_value
      - .address_space:  global
        .offset:         32
        .size:           8
        .value_kind:     global_buffer
      - .offset:         40
        .size:           4
        .value_kind:     by_value
      - .offset:         44
        .size:           1
        .value_kind:     by_value
      - .offset:         48
        .size:           4
        .value_kind:     hidden_block_count_x
      - .offset:         52
        .size:           4
        .value_kind:     hidden_block_count_y
      - .offset:         56
        .size:           4
        .value_kind:     hidden_block_count_z
      - .offset:         60
        .size:           2
        .value_kind:     hidden_group_size_x
      - .offset:         62
        .size:           2
        .value_kind:     hidden_group_size_y
      - .offset:         64
        .size:           2
        .value_kind:     hidden_group_size_z
      - .offset:         66
        .size:           2
        .value_kind:     hidden_remainder_x
      - .offset:         68
        .size:           2
        .value_kind:     hidden_remainder_y
      - .offset:         70
        .size:           2
        .value_kind:     hidden_remainder_z
      - .offset:         88
        .size:           8
        .value_kind:     hidden_global_offset_x
      - .offset:         96
        .size:           8
        .value_kind:     hidden_global_offset_y
      - .offset:         104
        .size:           8
        .value_kind:     hidden_global_offset_z
      - .offset:         112
        .size:           2
        .value_kind:     hidden_grid_dims
    .group_segment_fixed_size: 0
    .kernarg_segment_align: 8
    .kernarg_segment_size: 304
    .language:       OpenCL C
    .language_version:
      - 2
      - 0
    .max_flat_workgroup_size: 1024
    .name:           _ZN12_GLOBAL__N_120softmax_warp_forwardIN3c108BFloat16ES2_fLi8ELb1ELb0ELi64EEEvPT0_PKT_iiiPKbib
    .private_segment_fixed_size: 0
    .sgpr_count:     20
    .sgpr_spill_count: 0
    .symbol:         _ZN12_GLOBAL__N_120softmax_warp_forwardIN3c108BFloat16ES2_fLi8ELb1ELb0ELi64EEEvPT0_PKT_iiiPKbib.kd
    .uniform_work_group_size: 1
    .uses_dynamic_stack: false
    .vgpr_count:     20
    .vgpr_spill_count: 0
    .wavefront_size: 64
  - .agpr_count:     0
    .args:
      - .address_space:  global
        .offset:         0
        .size:           8
        .value_kind:     global_buffer
      - .address_space:  global
        .offset:         8
        .size:           8
        .value_kind:     global_buffer
      - .offset:         16
        .size:           4
        .value_kind:     by_value
      - .offset:         20
        .size:           4
        .value_kind:     by_value
      - .offset:         24
        .size:           4
        .value_kind:     by_value
      - .address_space:  global
        .offset:         32
        .size:           8
        .value_kind:     global_buffer
      - .offset:         40
        .size:           4
        .value_kind:     by_value
      - .offset:         44
        .size:           1
        .value_kind:     by_value
      - .offset:         48
        .size:           4
        .value_kind:     hidden_block_count_x
      - .offset:         52
        .size:           4
        .value_kind:     hidden_block_count_y
      - .offset:         56
        .size:           4
        .value_kind:     hidden_block_count_z
      - .offset:         60
        .size:           2
        .value_kind:     hidden_group_size_x
      - .offset:         62
        .size:           2
        .value_kind:     hidden_group_size_y
      - .offset:         64
        .size:           2
        .value_kind:     hidden_group_size_z
      - .offset:         66
        .size:           2
        .value_kind:     hidden_remainder_x
      - .offset:         68
        .size:           2
        .value_kind:     hidden_remainder_y
      - .offset:         70
        .size:           2
        .value_kind:     hidden_remainder_z
      - .offset:         88
        .size:           8
        .value_kind:     hidden_global_offset_x
      - .offset:         96
        .size:           8
        .value_kind:     hidden_global_offset_y
      - .offset:         104
        .size:           8
        .value_kind:     hidden_global_offset_z
      - .offset:         112
        .size:           2
        .value_kind:     hidden_grid_dims
    .group_segment_fixed_size: 0
    .kernarg_segment_align: 8
    .kernarg_segment_size: 304
    .language:       OpenCL C
    .language_version:
      - 2
      - 0
    .max_flat_workgroup_size: 1024
    .name:           _ZN12_GLOBAL__N_120softmax_warp_forwardIN3c108BFloat16ES2_fLi8ELb1ELb0ELi32EEEvPT0_PKT_iiiPKbib
    .private_segment_fixed_size: 0
    .sgpr_count:     28
    .sgpr_spill_count: 0
    .symbol:         _ZN12_GLOBAL__N_120softmax_warp_forwardIN3c108BFloat16ES2_fLi8ELb1ELb0ELi32EEEvPT0_PKT_iiiPKbib.kd
    .uniform_work_group_size: 1
    .uses_dynamic_stack: false
    .vgpr_count:     23
    .vgpr_spill_count: 0
    .wavefront_size: 64
  - .agpr_count:     0
    .args:
      - .address_space:  global
        .offset:         0
        .size:           8
        .value_kind:     global_buffer
      - .address_space:  global
        .offset:         8
        .size:           8
        .value_kind:     global_buffer
      - .offset:         16
        .size:           4
        .value_kind:     by_value
      - .offset:         20
        .size:           4
        .value_kind:     by_value
      - .offset:         24
        .size:           4
        .value_kind:     by_value
      - .address_space:  global
        .offset:         32
        .size:           8
        .value_kind:     global_buffer
      - .offset:         40
        .size:           4
        .value_kind:     by_value
      - .offset:         44
        .size:           1
        .value_kind:     by_value
      - .offset:         48
        .size:           4
        .value_kind:     hidden_block_count_x
      - .offset:         52
        .size:           4
        .value_kind:     hidden_block_count_y
      - .offset:         56
        .size:           4
        .value_kind:     hidden_block_count_z
      - .offset:         60
        .size:           2
        .value_kind:     hidden_group_size_x
      - .offset:         62
        .size:           2
        .value_kind:     hidden_group_size_y
      - .offset:         64
        .size:           2
        .value_kind:     hidden_group_size_z
      - .offset:         66
        .size:           2
        .value_kind:     hidden_remainder_x
      - .offset:         68
        .size:           2
        .value_kind:     hidden_remainder_y
      - .offset:         70
        .size:           2
        .value_kind:     hidden_remainder_z
      - .offset:         88
        .size:           8
        .value_kind:     hidden_global_offset_x
      - .offset:         96
        .size:           8
        .value_kind:     hidden_global_offset_y
      - .offset:         104
        .size:           8
        .value_kind:     hidden_global_offset_z
      - .offset:         112
        .size:           2
        .value_kind:     hidden_grid_dims
    .group_segment_fixed_size: 0
    .kernarg_segment_align: 8
    .kernarg_segment_size: 304
    .language:       OpenCL C
    .language_version:
      - 2
      - 0
    .max_flat_workgroup_size: 1024
    .name:           _ZN12_GLOBAL__N_120softmax_warp_forwardIN3c108BFloat16ES2_fLi9ELb1ELb0ELi64EEEvPT0_PKT_iiiPKbib
    .private_segment_fixed_size: 0
    .sgpr_count:     28
    .sgpr_spill_count: 0
    .symbol:         _ZN12_GLOBAL__N_120softmax_warp_forwardIN3c108BFloat16ES2_fLi9ELb1ELb0ELi64EEEvPT0_PKT_iiiPKbib.kd
    .uniform_work_group_size: 1
    .uses_dynamic_stack: false
    .vgpr_count:     24
    .vgpr_spill_count: 0
    .wavefront_size: 64
  - .agpr_count:     0
    .args:
      - .address_space:  global
        .offset:         0
        .size:           8
        .value_kind:     global_buffer
      - .address_space:  global
        .offset:         8
        .size:           8
        .value_kind:     global_buffer
      - .offset:         16
        .size:           4
        .value_kind:     by_value
      - .offset:         20
        .size:           4
        .value_kind:     by_value
      - .offset:         24
        .size:           4
        .value_kind:     by_value
      - .address_space:  global
        .offset:         32
        .size:           8
        .value_kind:     global_buffer
      - .offset:         40
        .size:           4
        .value_kind:     by_value
      - .offset:         44
        .size:           1
        .value_kind:     by_value
      - .offset:         48
        .size:           4
        .value_kind:     hidden_block_count_x
      - .offset:         52
        .size:           4
        .value_kind:     hidden_block_count_y
      - .offset:         56
        .size:           4
        .value_kind:     hidden_block_count_z
      - .offset:         60
        .size:           2
        .value_kind:     hidden_group_size_x
      - .offset:         62
        .size:           2
        .value_kind:     hidden_group_size_y
      - .offset:         64
        .size:           2
        .value_kind:     hidden_group_size_z
      - .offset:         66
        .size:           2
        .value_kind:     hidden_remainder_x
      - .offset:         68
        .size:           2
        .value_kind:     hidden_remainder_y
      - .offset:         70
        .size:           2
        .value_kind:     hidden_remainder_z
      - .offset:         88
        .size:           8
        .value_kind:     hidden_global_offset_x
      - .offset:         96
        .size:           8
        .value_kind:     hidden_global_offset_y
      - .offset:         104
        .size:           8
        .value_kind:     hidden_global_offset_z
      - .offset:         112
        .size:           2
        .value_kind:     hidden_grid_dims
    .group_segment_fixed_size: 0
    .kernarg_segment_align: 8
    .kernarg_segment_size: 304
    .language:       OpenCL C
    .language_version:
      - 2
      - 0
    .max_flat_workgroup_size: 1024
    .name:           _ZN12_GLOBAL__N_120softmax_warp_forwardIN3c108BFloat16ES2_fLi9ELb1ELb0ELi32EEEvPT0_PKT_iiiPKbib
    .private_segment_fixed_size: 0
    .sgpr_count:     48
    .sgpr_spill_count: 0
    .symbol:         _ZN12_GLOBAL__N_120softmax_warp_forwardIN3c108BFloat16ES2_fLi9ELb1ELb0ELi32EEEvPT0_PKT_iiiPKbib.kd
    .uniform_work_group_size: 1
    .uses_dynamic_stack: false
    .vgpr_count:     31
    .vgpr_spill_count: 0
    .wavefront_size: 64
  - .agpr_count:     0
    .args:
      - .address_space:  global
        .offset:         0
        .size:           8
        .value_kind:     global_buffer
      - .address_space:  global
        .offset:         8
        .size:           8
        .value_kind:     global_buffer
      - .offset:         16
        .size:           4
        .value_kind:     by_value
      - .offset:         20
        .size:           4
        .value_kind:     by_value
      - .offset:         24
        .size:           4
        .value_kind:     by_value
      - .address_space:  global
        .offset:         32
        .size:           8
        .value_kind:     global_buffer
      - .offset:         40
        .size:           4
        .value_kind:     by_value
      - .offset:         44
        .size:           1
        .value_kind:     by_value
      - .offset:         48
        .size:           4
        .value_kind:     hidden_block_count_x
      - .offset:         52
        .size:           4
        .value_kind:     hidden_block_count_y
      - .offset:         56
        .size:           4
        .value_kind:     hidden_block_count_z
      - .offset:         60
        .size:           2
        .value_kind:     hidden_group_size_x
      - .offset:         62
        .size:           2
        .value_kind:     hidden_group_size_y
      - .offset:         64
        .size:           2
        .value_kind:     hidden_group_size_z
      - .offset:         66
        .size:           2
        .value_kind:     hidden_remainder_x
      - .offset:         68
        .size:           2
        .value_kind:     hidden_remainder_y
      - .offset:         70
        .size:           2
        .value_kind:     hidden_remainder_z
      - .offset:         88
        .size:           8
        .value_kind:     hidden_global_offset_x
      - .offset:         96
        .size:           8
        .value_kind:     hidden_global_offset_y
      - .offset:         104
        .size:           8
        .value_kind:     hidden_global_offset_z
      - .offset:         112
        .size:           2
        .value_kind:     hidden_grid_dims
    .group_segment_fixed_size: 0
    .kernarg_segment_align: 8
    .kernarg_segment_size: 304
    .language:       OpenCL C
    .language_version:
      - 2
      - 0
    .max_flat_workgroup_size: 1024
    .name:           _ZN12_GLOBAL__N_120softmax_warp_forwardIN3c108BFloat16ES2_fLi10ELb1ELb0ELi64EEEvPT0_PKT_iiiPKbib
    .private_segment_fixed_size: 0
    .sgpr_count:     48
    .sgpr_spill_count: 0
    .symbol:         _ZN12_GLOBAL__N_120softmax_warp_forwardIN3c108BFloat16ES2_fLi10ELb1ELb0ELi64EEEvPT0_PKT_iiiPKbib.kd
    .uniform_work_group_size: 1
    .uses_dynamic_stack: false
    .vgpr_count:     32
    .vgpr_spill_count: 0
    .wavefront_size: 64
  - .agpr_count:     0
    .args:
      - .address_space:  global
        .offset:         0
        .size:           8
        .value_kind:     global_buffer
      - .address_space:  global
        .offset:         8
        .size:           8
        .value_kind:     global_buffer
      - .offset:         16
        .size:           4
        .value_kind:     by_value
      - .offset:         20
        .size:           4
        .value_kind:     by_value
      - .offset:         24
        .size:           4
        .value_kind:     by_value
      - .address_space:  global
        .offset:         32
        .size:           8
        .value_kind:     global_buffer
      - .offset:         40
        .size:           4
        .value_kind:     by_value
      - .offset:         44
        .size:           1
        .value_kind:     by_value
      - .offset:         48
        .size:           4
        .value_kind:     hidden_block_count_x
      - .offset:         52
        .size:           4
        .value_kind:     hidden_block_count_y
      - .offset:         56
        .size:           4
        .value_kind:     hidden_block_count_z
      - .offset:         60
        .size:           2
        .value_kind:     hidden_group_size_x
      - .offset:         62
        .size:           2
        .value_kind:     hidden_group_size_y
      - .offset:         64
        .size:           2
        .value_kind:     hidden_group_size_z
      - .offset:         66
        .size:           2
        .value_kind:     hidden_remainder_x
      - .offset:         68
        .size:           2
        .value_kind:     hidden_remainder_y
      - .offset:         70
        .size:           2
        .value_kind:     hidden_remainder_z
      - .offset:         88
        .size:           8
        .value_kind:     hidden_global_offset_x
      - .offset:         96
        .size:           8
        .value_kind:     hidden_global_offset_y
      - .offset:         104
        .size:           8
        .value_kind:     hidden_global_offset_z
      - .offset:         112
        .size:           2
        .value_kind:     hidden_grid_dims
    .group_segment_fixed_size: 0
    .kernarg_segment_align: 8
    .kernarg_segment_size: 304
    .language:       OpenCL C
    .language_version:
      - 2
      - 0
    .max_flat_workgroup_size: 1024
    .name:           _ZN12_GLOBAL__N_120softmax_warp_forwardIN3c108BFloat16ES2_fLi10ELb1ELb0ELi32EEEvPT0_PKT_iiiPKbib
    .private_segment_fixed_size: 0
    .sgpr_count:     80
    .sgpr_spill_count: 0
    .symbol:         _ZN12_GLOBAL__N_120softmax_warp_forwardIN3c108BFloat16ES2_fLi10ELb1ELb0ELi32EEEvPT0_PKT_iiiPKbib.kd
    .uniform_work_group_size: 1
    .uses_dynamic_stack: false
    .vgpr_count:     47
    .vgpr_spill_count: 0
    .wavefront_size: 64
  - .agpr_count:     0
    .args:
      - .address_space:  global
        .offset:         0
        .size:           8
        .value_kind:     global_buffer
      - .address_space:  global
        .offset:         8
        .size:           8
        .value_kind:     global_buffer
      - .offset:         16
        .size:           4
        .value_kind:     by_value
      - .offset:         20
        .size:           4
        .value_kind:     by_value
      - .offset:         24
        .size:           4
        .value_kind:     by_value
      - .address_space:  global
        .offset:         32
        .size:           8
        .value_kind:     global_buffer
      - .offset:         40
        .size:           4
        .value_kind:     by_value
      - .offset:         44
        .size:           1
        .value_kind:     by_value
      - .offset:         48
        .size:           4
        .value_kind:     hidden_block_count_x
      - .offset:         52
        .size:           4
        .value_kind:     hidden_block_count_y
      - .offset:         56
        .size:           4
        .value_kind:     hidden_block_count_z
      - .offset:         60
        .size:           2
        .value_kind:     hidden_group_size_x
      - .offset:         62
        .size:           2
        .value_kind:     hidden_group_size_y
      - .offset:         64
        .size:           2
        .value_kind:     hidden_group_size_z
      - .offset:         66
        .size:           2
        .value_kind:     hidden_remainder_x
      - .offset:         68
        .size:           2
        .value_kind:     hidden_remainder_y
      - .offset:         70
        .size:           2
        .value_kind:     hidden_remainder_z
      - .offset:         88
        .size:           8
        .value_kind:     hidden_global_offset_x
      - .offset:         96
        .size:           8
        .value_kind:     hidden_global_offset_y
      - .offset:         104
        .size:           8
        .value_kind:     hidden_global_offset_z
      - .offset:         112
        .size:           2
        .value_kind:     hidden_grid_dims
    .group_segment_fixed_size: 0
    .kernarg_segment_align: 8
    .kernarg_segment_size: 304
    .language:       OpenCL C
    .language_version:
      - 2
      - 0
    .max_flat_workgroup_size: 1024
    .name:           _ZN12_GLOBAL__N_120softmax_warp_forwardIN3c108BFloat16ES2_fLi11ELb1ELb0ELi64EEEvPT0_PKT_iiiPKbib
    .private_segment_fixed_size: 0
    .sgpr_count:     80
    .sgpr_spill_count: 0
    .symbol:         _ZN12_GLOBAL__N_120softmax_warp_forwardIN3c108BFloat16ES2_fLi11ELb1ELb0ELi64EEEvPT0_PKT_iiiPKbib.kd
    .uniform_work_group_size: 1
    .uses_dynamic_stack: false
    .vgpr_count:     48
    .vgpr_spill_count: 0
    .wavefront_size: 64
  - .agpr_count:     0
    .args:
      - .address_space:  global
        .offset:         0
        .size:           8
        .value_kind:     global_buffer
      - .address_space:  global
        .offset:         8
        .size:           8
        .value_kind:     global_buffer
      - .offset:         16
        .size:           4
        .value_kind:     by_value
      - .offset:         20
        .size:           4
        .value_kind:     by_value
      - .offset:         24
        .size:           4
        .value_kind:     by_value
      - .address_space:  global
        .offset:         32
        .size:           8
        .value_kind:     global_buffer
      - .offset:         40
        .size:           4
        .value_kind:     by_value
      - .offset:         44
        .size:           1
        .value_kind:     by_value
      - .offset:         48
        .size:           4
        .value_kind:     hidden_block_count_x
      - .offset:         52
        .size:           4
        .value_kind:     hidden_block_count_y
      - .offset:         56
        .size:           4
        .value_kind:     hidden_block_count_z
      - .offset:         60
        .size:           2
        .value_kind:     hidden_group_size_x
      - .offset:         62
        .size:           2
        .value_kind:     hidden_group_size_y
      - .offset:         64
        .size:           2
        .value_kind:     hidden_group_size_z
      - .offset:         66
        .size:           2
        .value_kind:     hidden_remainder_x
      - .offset:         68
        .size:           2
        .value_kind:     hidden_remainder_y
      - .offset:         70
        .size:           2
        .value_kind:     hidden_remainder_z
      - .offset:         88
        .size:           8
        .value_kind:     hidden_global_offset_x
      - .offset:         96
        .size:           8
        .value_kind:     hidden_global_offset_y
      - .offset:         104
        .size:           8
        .value_kind:     hidden_global_offset_z
      - .offset:         112
        .size:           2
        .value_kind:     hidden_grid_dims
    .group_segment_fixed_size: 0
    .kernarg_segment_align: 8
    .kernarg_segment_size: 304
    .language:       OpenCL C
    .language_version:
      - 2
      - 0
    .max_flat_workgroup_size: 1024
    .name:           _ZN12_GLOBAL__N_120softmax_warp_forwardIN3c108BFloat16ES2_fLi11ELb1ELb0ELi32EEEvPT0_PKT_iiiPKbib
    .private_segment_fixed_size: 0
    .sgpr_count:     100
    .sgpr_spill_count: 40
    .symbol:         _ZN12_GLOBAL__N_120softmax_warp_forwardIN3c108BFloat16ES2_fLi11ELb1ELb0ELi32EEEvPT0_PKT_iiiPKbib.kd
    .uniform_work_group_size: 1
    .uses_dynamic_stack: false
    .vgpr_count:     80
    .vgpr_spill_count: 0
    .wavefront_size: 64
  - .agpr_count:     0
    .args:
      - .address_space:  global
        .offset:         0
        .size:           8
        .value_kind:     global_buffer
      - .address_space:  global
        .offset:         8
        .size:           8
        .value_kind:     global_buffer
      - .offset:         16
        .size:           8
        .value_kind:     by_value
      - .offset:         24
        .size:           4
        .value_kind:     hidden_block_count_x
      - .offset:         28
        .size:           4
        .value_kind:     hidden_block_count_y
      - .offset:         32
        .size:           4
        .value_kind:     hidden_block_count_z
      - .offset:         36
        .size:           2
        .value_kind:     hidden_group_size_x
      - .offset:         38
        .size:           2
        .value_kind:     hidden_group_size_y
      - .offset:         40
        .size:           2
        .value_kind:     hidden_group_size_z
      - .offset:         42
        .size:           2
        .value_kind:     hidden_remainder_x
      - .offset:         44
        .size:           2
        .value_kind:     hidden_remainder_y
      - .offset:         46
        .size:           2
        .value_kind:     hidden_remainder_z
      - .offset:         64
        .size:           8
        .value_kind:     hidden_global_offset_x
      - .offset:         72
        .size:           8
        .value_kind:     hidden_global_offset_y
      - .offset:         80
        .size:           8
        .value_kind:     hidden_global_offset_z
      - .offset:         88
        .size:           2
        .value_kind:     hidden_grid_dims
      - .offset:         144
        .size:           4
        .value_kind:     hidden_dynamic_lds_size
    .group_segment_fixed_size: 0
    .kernarg_segment_align: 8
    .kernarg_segment_size: 280
    .language:       OpenCL C
    .language_version:
      - 2
      - 0
    .max_flat_workgroup_size: 1024
    .name:           _ZN2at6native12_GLOBAL__N_122cunn_SoftMaxForwardRegIN3c108BFloat16EfS4_NS1_25LogSoftMaxForwardEpilogueElLi1EEEvPT1_PKT_T3_
    .private_segment_fixed_size: 0
    .sgpr_count:     20
    .sgpr_spill_count: 0
    .symbol:         _ZN2at6native12_GLOBAL__N_122cunn_SoftMaxForwardRegIN3c108BFloat16EfS4_NS1_25LogSoftMaxForwardEpilogueElLi1EEEvPT1_PKT_T3_.kd
    .uniform_work_group_size: 1
    .uses_dynamic_stack: false
    .vgpr_count:     14
    .vgpr_spill_count: 0
    .wavefront_size: 64
  - .agpr_count:     0
    .args:
      - .address_space:  global
        .offset:         0
        .size:           8
        .value_kind:     global_buffer
      - .address_space:  global
        .offset:         8
        .size:           8
        .value_kind:     global_buffer
      - .offset:         16
        .size:           8
        .value_kind:     by_value
      - .offset:         24
        .size:           4
        .value_kind:     hidden_block_count_x
      - .offset:         28
        .size:           4
        .value_kind:     hidden_block_count_y
      - .offset:         32
        .size:           4
        .value_kind:     hidden_block_count_z
      - .offset:         36
        .size:           2
        .value_kind:     hidden_group_size_x
      - .offset:         38
        .size:           2
        .value_kind:     hidden_group_size_y
      - .offset:         40
        .size:           2
        .value_kind:     hidden_group_size_z
      - .offset:         42
        .size:           2
        .value_kind:     hidden_remainder_x
      - .offset:         44
        .size:           2
        .value_kind:     hidden_remainder_y
      - .offset:         46
        .size:           2
        .value_kind:     hidden_remainder_z
      - .offset:         64
        .size:           8
        .value_kind:     hidden_global_offset_x
      - .offset:         72
        .size:           8
        .value_kind:     hidden_global_offset_y
      - .offset:         80
        .size:           8
        .value_kind:     hidden_global_offset_z
      - .offset:         88
        .size:           2
        .value_kind:     hidden_grid_dims
      - .offset:         144
        .size:           4
        .value_kind:     hidden_dynamic_lds_size
    .group_segment_fixed_size: 0
    .kernarg_segment_align: 8
    .kernarg_segment_size: 280
    .language:       OpenCL C
    .language_version:
      - 2
      - 0
    .max_flat_workgroup_size: 1024
    .name:           _ZN2at6native12_GLOBAL__N_122cunn_SoftMaxForwardRegIN3c108BFloat16EfS4_NS1_25LogSoftMaxForwardEpilogueElLi2EEEvPT1_PKT_T3_
    .private_segment_fixed_size: 0
    .sgpr_count:     23
    .sgpr_spill_count: 0
    .symbol:         _ZN2at6native12_GLOBAL__N_122cunn_SoftMaxForwardRegIN3c108BFloat16EfS4_NS1_25LogSoftMaxForwardEpilogueElLi2EEEvPT1_PKT_T3_.kd
    .uniform_work_group_size: 1
    .uses_dynamic_stack: false
    .vgpr_count:     18
    .vgpr_spill_count: 0
    .wavefront_size: 64
  - .agpr_count:     0
    .args:
      - .address_space:  global
        .offset:         0
        .size:           8
        .value_kind:     global_buffer
      - .address_space:  global
        .offset:         8
        .size:           8
        .value_kind:     global_buffer
      - .offset:         16
        .size:           8
        .value_kind:     by_value
      - .offset:         24
        .size:           4
        .value_kind:     hidden_block_count_x
      - .offset:         28
        .size:           4
        .value_kind:     hidden_block_count_y
      - .offset:         32
        .size:           4
        .value_kind:     hidden_block_count_z
      - .offset:         36
        .size:           2
        .value_kind:     hidden_group_size_x
      - .offset:         38
        .size:           2
        .value_kind:     hidden_group_size_y
      - .offset:         40
        .size:           2
        .value_kind:     hidden_group_size_z
      - .offset:         42
        .size:           2
        .value_kind:     hidden_remainder_x
      - .offset:         44
        .size:           2
        .value_kind:     hidden_remainder_y
      - .offset:         46
        .size:           2
        .value_kind:     hidden_remainder_z
      - .offset:         64
        .size:           8
        .value_kind:     hidden_global_offset_x
      - .offset:         72
        .size:           8
        .value_kind:     hidden_global_offset_y
      - .offset:         80
        .size:           8
        .value_kind:     hidden_global_offset_z
      - .offset:         88
        .size:           2
        .value_kind:     hidden_grid_dims
      - .offset:         144
        .size:           4
        .value_kind:     hidden_dynamic_lds_size
    .group_segment_fixed_size: 0
    .kernarg_segment_align: 8
    .kernarg_segment_size: 280
    .language:       OpenCL C
    .language_version:
      - 2
      - 0
    .max_flat_workgroup_size: 1024
    .name:           _ZN2at6native12_GLOBAL__N_122cunn_SoftMaxForwardRegIN3c108BFloat16EfS4_NS1_25LogSoftMaxForwardEpilogueElLi3EEEvPT1_PKT_T3_
    .private_segment_fixed_size: 0
    .sgpr_count:     25
    .sgpr_spill_count: 0
    .symbol:         _ZN2at6native12_GLOBAL__N_122cunn_SoftMaxForwardRegIN3c108BFloat16EfS4_NS1_25LogSoftMaxForwardEpilogueElLi3EEEvPT1_PKT_T3_.kd
    .uniform_work_group_size: 1
    .uses_dynamic_stack: false
    .vgpr_count:     21
    .vgpr_spill_count: 0
    .wavefront_size: 64
  - .agpr_count:     0
    .args:
      - .address_space:  global
        .offset:         0
        .size:           8
        .value_kind:     global_buffer
      - .address_space:  global
        .offset:         8
        .size:           8
        .value_kind:     global_buffer
      - .offset:         16
        .size:           8
        .value_kind:     by_value
      - .offset:         24
        .size:           4
        .value_kind:     hidden_block_count_x
      - .offset:         28
        .size:           4
        .value_kind:     hidden_block_count_y
      - .offset:         32
        .size:           4
        .value_kind:     hidden_block_count_z
      - .offset:         36
        .size:           2
        .value_kind:     hidden_group_size_x
      - .offset:         38
        .size:           2
        .value_kind:     hidden_group_size_y
      - .offset:         40
        .size:           2
        .value_kind:     hidden_group_size_z
      - .offset:         42
        .size:           2
        .value_kind:     hidden_remainder_x
      - .offset:         44
        .size:           2
        .value_kind:     hidden_remainder_y
      - .offset:         46
        .size:           2
        .value_kind:     hidden_remainder_z
      - .offset:         64
        .size:           8
        .value_kind:     hidden_global_offset_x
      - .offset:         72
        .size:           8
        .value_kind:     hidden_global_offset_y
      - .offset:         80
        .size:           8
        .value_kind:     hidden_global_offset_z
      - .offset:         88
        .size:           2
        .value_kind:     hidden_grid_dims
      - .offset:         144
        .size:           4
        .value_kind:     hidden_dynamic_lds_size
    .group_segment_fixed_size: 0
    .kernarg_segment_align: 8
    .kernarg_segment_size: 280
    .language:       OpenCL C
    .language_version:
      - 2
      - 0
    .max_flat_workgroup_size: 1024
    .name:           _ZN2at6native12_GLOBAL__N_122cunn_SoftMaxForwardRegIN3c108BFloat16EfS4_NS1_25LogSoftMaxForwardEpilogueElLi4EEEvPT1_PKT_T3_
    .private_segment_fixed_size: 0
    .sgpr_count:     26
    .sgpr_spill_count: 0
    .symbol:         _ZN2at6native12_GLOBAL__N_122cunn_SoftMaxForwardRegIN3c108BFloat16EfS4_NS1_25LogSoftMaxForwardEpilogueElLi4EEEvPT1_PKT_T3_.kd
    .uniform_work_group_size: 1
    .uses_dynamic_stack: false
    .vgpr_count:     21
    .vgpr_spill_count: 0
    .wavefront_size: 64
  - .agpr_count:     0
    .args:
      - .address_space:  global
        .offset:         0
        .size:           8
        .value_kind:     global_buffer
      - .address_space:  global
        .offset:         8
        .size:           8
        .value_kind:     global_buffer
      - .offset:         16
        .size:           8
        .value_kind:     by_value
      - .offset:         24
        .size:           4
        .value_kind:     hidden_block_count_x
      - .offset:         28
        .size:           4
        .value_kind:     hidden_block_count_y
      - .offset:         32
        .size:           4
        .value_kind:     hidden_block_count_z
      - .offset:         36
        .size:           2
        .value_kind:     hidden_group_size_x
      - .offset:         38
        .size:           2
        .value_kind:     hidden_group_size_y
      - .offset:         40
        .size:           2
        .value_kind:     hidden_group_size_z
      - .offset:         42
        .size:           2
        .value_kind:     hidden_remainder_x
      - .offset:         44
        .size:           2
        .value_kind:     hidden_remainder_y
      - .offset:         46
        .size:           2
        .value_kind:     hidden_remainder_z
      - .offset:         64
        .size:           8
        .value_kind:     hidden_global_offset_x
      - .offset:         72
        .size:           8
        .value_kind:     hidden_global_offset_y
      - .offset:         80
        .size:           8
        .value_kind:     hidden_global_offset_z
      - .offset:         88
        .size:           2
        .value_kind:     hidden_grid_dims
      - .offset:         144
        .size:           4
        .value_kind:     hidden_dynamic_lds_size
    .group_segment_fixed_size: 0
    .kernarg_segment_align: 8
    .kernarg_segment_size: 280
    .language:       OpenCL C
    .language_version:
      - 2
      - 0
    .max_flat_workgroup_size: 1024
    .name:           _ZN2at6native12_GLOBAL__N_122cunn_SoftMaxForwardRegIN3c108BFloat16EfS4_NS1_25LogSoftMaxForwardEpilogueElLi5EEEvPT1_PKT_T3_
    .private_segment_fixed_size: 0
    .sgpr_count:     28
    .sgpr_spill_count: 0
    .symbol:         _ZN2at6native12_GLOBAL__N_122cunn_SoftMaxForwardRegIN3c108BFloat16EfS4_NS1_25LogSoftMaxForwardEpilogueElLi5EEEvPT1_PKT_T3_.kd
    .uniform_work_group_size: 1
    .uses_dynamic_stack: false
    .vgpr_count:     23
    .vgpr_spill_count: 0
    .wavefront_size: 64
  - .agpr_count:     0
    .args:
      - .address_space:  global
        .offset:         0
        .size:           8
        .value_kind:     global_buffer
      - .address_space:  global
        .offset:         8
        .size:           8
        .value_kind:     global_buffer
      - .offset:         16
        .size:           8
        .value_kind:     by_value
      - .offset:         24
        .size:           4
        .value_kind:     hidden_block_count_x
      - .offset:         28
        .size:           4
        .value_kind:     hidden_block_count_y
      - .offset:         32
        .size:           4
        .value_kind:     hidden_block_count_z
      - .offset:         36
        .size:           2
        .value_kind:     hidden_group_size_x
      - .offset:         38
        .size:           2
        .value_kind:     hidden_group_size_y
      - .offset:         40
        .size:           2
        .value_kind:     hidden_group_size_z
      - .offset:         42
        .size:           2
        .value_kind:     hidden_remainder_x
      - .offset:         44
        .size:           2
        .value_kind:     hidden_remainder_y
      - .offset:         46
        .size:           2
        .value_kind:     hidden_remainder_z
      - .offset:         64
        .size:           8
        .value_kind:     hidden_global_offset_x
      - .offset:         72
        .size:           8
        .value_kind:     hidden_global_offset_y
      - .offset:         80
        .size:           8
        .value_kind:     hidden_global_offset_z
      - .offset:         88
        .size:           2
        .value_kind:     hidden_grid_dims
      - .offset:         144
        .size:           4
        .value_kind:     hidden_dynamic_lds_size
    .group_segment_fixed_size: 0
    .kernarg_segment_align: 8
    .kernarg_segment_size: 280
    .language:       OpenCL C
    .language_version:
      - 2
      - 0
    .max_flat_workgroup_size: 1024
    .name:           _ZN2at6native12_GLOBAL__N_122cunn_SoftMaxForwardRegIN3c108BFloat16EfS4_NS1_25LogSoftMaxForwardEpilogueElLi6EEEvPT1_PKT_T3_
    .private_segment_fixed_size: 0
    .sgpr_count:     30
    .sgpr_spill_count: 0
    .symbol:         _ZN2at6native12_GLOBAL__N_122cunn_SoftMaxForwardRegIN3c108BFloat16EfS4_NS1_25LogSoftMaxForwardEpilogueElLi6EEEvPT1_PKT_T3_.kd
    .uniform_work_group_size: 1
    .uses_dynamic_stack: false
    .vgpr_count:     25
    .vgpr_spill_count: 0
    .wavefront_size: 64
  - .agpr_count:     0
    .args:
      - .address_space:  global
        .offset:         0
        .size:           8
        .value_kind:     global_buffer
      - .address_space:  global
        .offset:         8
        .size:           8
        .value_kind:     global_buffer
      - .offset:         16
        .size:           8
        .value_kind:     by_value
      - .offset:         24
        .size:           4
        .value_kind:     hidden_block_count_x
      - .offset:         28
        .size:           4
        .value_kind:     hidden_block_count_y
      - .offset:         32
        .size:           4
        .value_kind:     hidden_block_count_z
      - .offset:         36
        .size:           2
        .value_kind:     hidden_group_size_x
      - .offset:         38
        .size:           2
        .value_kind:     hidden_group_size_y
      - .offset:         40
        .size:           2
        .value_kind:     hidden_group_size_z
      - .offset:         42
        .size:           2
        .value_kind:     hidden_remainder_x
      - .offset:         44
        .size:           2
        .value_kind:     hidden_remainder_y
      - .offset:         46
        .size:           2
        .value_kind:     hidden_remainder_z
      - .offset:         64
        .size:           8
        .value_kind:     hidden_global_offset_x
      - .offset:         72
        .size:           8
        .value_kind:     hidden_global_offset_y
      - .offset:         80
        .size:           8
        .value_kind:     hidden_global_offset_z
      - .offset:         88
        .size:           2
        .value_kind:     hidden_grid_dims
      - .offset:         144
        .size:           4
        .value_kind:     hidden_dynamic_lds_size
    .group_segment_fixed_size: 0
    .kernarg_segment_align: 8
    .kernarg_segment_size: 280
    .language:       OpenCL C
    .language_version:
      - 2
      - 0
    .max_flat_workgroup_size: 1024
    .name:           _ZN2at6native12_GLOBAL__N_122cunn_SoftMaxForwardRegIN3c108BFloat16EfS4_NS1_25LogSoftMaxForwardEpilogueElLi7EEEvPT1_PKT_T3_
    .private_segment_fixed_size: 0
    .sgpr_count:     32
    .sgpr_spill_count: 0
    .symbol:         _ZN2at6native12_GLOBAL__N_122cunn_SoftMaxForwardRegIN3c108BFloat16EfS4_NS1_25LogSoftMaxForwardEpilogueElLi7EEEvPT1_PKT_T3_.kd
    .uniform_work_group_size: 1
    .uses_dynamic_stack: false
    .vgpr_count:     27
    .vgpr_spill_count: 0
    .wavefront_size: 64
  - .agpr_count:     0
    .args:
      - .address_space:  global
        .offset:         0
        .size:           8
        .value_kind:     global_buffer
      - .address_space:  global
        .offset:         8
        .size:           8
        .value_kind:     global_buffer
      - .offset:         16
        .size:           8
        .value_kind:     by_value
      - .offset:         24
        .size:           4
        .value_kind:     hidden_block_count_x
      - .offset:         28
        .size:           4
        .value_kind:     hidden_block_count_y
      - .offset:         32
        .size:           4
        .value_kind:     hidden_block_count_z
      - .offset:         36
        .size:           2
        .value_kind:     hidden_group_size_x
      - .offset:         38
        .size:           2
        .value_kind:     hidden_group_size_y
      - .offset:         40
        .size:           2
        .value_kind:     hidden_group_size_z
      - .offset:         42
        .size:           2
        .value_kind:     hidden_remainder_x
      - .offset:         44
        .size:           2
        .value_kind:     hidden_remainder_y
      - .offset:         46
        .size:           2
        .value_kind:     hidden_remainder_z
      - .offset:         64
        .size:           8
        .value_kind:     hidden_global_offset_x
      - .offset:         72
        .size:           8
        .value_kind:     hidden_global_offset_y
      - .offset:         80
        .size:           8
        .value_kind:     hidden_global_offset_z
      - .offset:         88
        .size:           2
        .value_kind:     hidden_grid_dims
      - .offset:         144
        .size:           4
        .value_kind:     hidden_dynamic_lds_size
    .group_segment_fixed_size: 0
    .kernarg_segment_align: 8
    .kernarg_segment_size: 280
    .language:       OpenCL C
    .language_version:
      - 2
      - 0
    .max_flat_workgroup_size: 1024
    .name:           _ZN2at6native12_GLOBAL__N_122cunn_SoftMaxForwardRegIN3c108BFloat16EfS4_NS1_25LogSoftMaxForwardEpilogueElLi8EEEvPT1_PKT_T3_
    .private_segment_fixed_size: 0
    .sgpr_count:     34
    .sgpr_spill_count: 0
    .symbol:         _ZN2at6native12_GLOBAL__N_122cunn_SoftMaxForwardRegIN3c108BFloat16EfS4_NS1_25LogSoftMaxForwardEpilogueElLi8EEEvPT1_PKT_T3_.kd
    .uniform_work_group_size: 1
    .uses_dynamic_stack: false
    .vgpr_count:     29
    .vgpr_spill_count: 0
    .wavefront_size: 64
  - .agpr_count:     0
    .args:
      - .address_space:  global
        .offset:         0
        .size:           8
        .value_kind:     global_buffer
      - .address_space:  global
        .offset:         8
        .size:           8
        .value_kind:     global_buffer
      - .offset:         16
        .size:           8
        .value_kind:     by_value
      - .offset:         24
        .size:           4
        .value_kind:     hidden_block_count_x
      - .offset:         28
        .size:           4
        .value_kind:     hidden_block_count_y
      - .offset:         32
        .size:           4
        .value_kind:     hidden_block_count_z
      - .offset:         36
        .size:           2
        .value_kind:     hidden_group_size_x
      - .offset:         38
        .size:           2
        .value_kind:     hidden_group_size_y
      - .offset:         40
        .size:           2
        .value_kind:     hidden_group_size_z
      - .offset:         42
        .size:           2
        .value_kind:     hidden_remainder_x
      - .offset:         44
        .size:           2
        .value_kind:     hidden_remainder_y
      - .offset:         46
        .size:           2
        .value_kind:     hidden_remainder_z
      - .offset:         64
        .size:           8
        .value_kind:     hidden_global_offset_x
      - .offset:         72
        .size:           8
        .value_kind:     hidden_global_offset_y
      - .offset:         80
        .size:           8
        .value_kind:     hidden_global_offset_z
      - .offset:         88
        .size:           2
        .value_kind:     hidden_grid_dims
      - .offset:         144
        .size:           4
        .value_kind:     hidden_dynamic_lds_size
    .group_segment_fixed_size: 0
    .kernarg_segment_align: 8
    .kernarg_segment_size: 280
    .language:       OpenCL C
    .language_version:
      - 2
      - 0
    .max_flat_workgroup_size: 1024
    .name:           _ZN2at6native12_GLOBAL__N_122cunn_SoftMaxForwardRegIN3c108BFloat16EfS4_NS1_25LogSoftMaxForwardEpilogueElLi9EEEvPT1_PKT_T3_
    .private_segment_fixed_size: 0
    .sgpr_count:     36
    .sgpr_spill_count: 0
    .symbol:         _ZN2at6native12_GLOBAL__N_122cunn_SoftMaxForwardRegIN3c108BFloat16EfS4_NS1_25LogSoftMaxForwardEpilogueElLi9EEEvPT1_PKT_T3_.kd
    .uniform_work_group_size: 1
    .uses_dynamic_stack: false
    .vgpr_count:     31
    .vgpr_spill_count: 0
    .wavefront_size: 64
  - .agpr_count:     0
    .args:
      - .address_space:  global
        .offset:         0
        .size:           8
        .value_kind:     global_buffer
      - .address_space:  global
        .offset:         8
        .size:           8
        .value_kind:     global_buffer
      - .offset:         16
        .size:           8
        .value_kind:     by_value
      - .offset:         24
        .size:           4
        .value_kind:     hidden_block_count_x
      - .offset:         28
        .size:           4
        .value_kind:     hidden_block_count_y
      - .offset:         32
        .size:           4
        .value_kind:     hidden_block_count_z
      - .offset:         36
        .size:           2
        .value_kind:     hidden_group_size_x
      - .offset:         38
        .size:           2
        .value_kind:     hidden_group_size_y
      - .offset:         40
        .size:           2
        .value_kind:     hidden_group_size_z
      - .offset:         42
        .size:           2
        .value_kind:     hidden_remainder_x
      - .offset:         44
        .size:           2
        .value_kind:     hidden_remainder_y
      - .offset:         46
        .size:           2
        .value_kind:     hidden_remainder_z
      - .offset:         64
        .size:           8
        .value_kind:     hidden_global_offset_x
      - .offset:         72
        .size:           8
        .value_kind:     hidden_global_offset_y
      - .offset:         80
        .size:           8
        .value_kind:     hidden_global_offset_z
      - .offset:         88
        .size:           2
        .value_kind:     hidden_grid_dims
      - .offset:         144
        .size:           4
        .value_kind:     hidden_dynamic_lds_size
    .group_segment_fixed_size: 0
    .kernarg_segment_align: 8
    .kernarg_segment_size: 280
    .language:       OpenCL C
    .language_version:
      - 2
      - 0
    .max_flat_workgroup_size: 1024
    .name:           _ZN2at6native12_GLOBAL__N_123cunn_SoftMaxForwardSmemILi8EN3c108BFloat16EfS4_NS1_25LogSoftMaxForwardEpilogueElEEvPT2_PKT0_T4_
    .private_segment_fixed_size: 0
    .sgpr_count:     46
    .sgpr_spill_count: 0
    .symbol:         _ZN2at6native12_GLOBAL__N_123cunn_SoftMaxForwardSmemILi8EN3c108BFloat16EfS4_NS1_25LogSoftMaxForwardEpilogueElEEvPT2_PKT0_T4_.kd
    .uniform_work_group_size: 1
    .uses_dynamic_stack: false
    .vgpr_count:     50
    .vgpr_spill_count: 0
    .wavefront_size: 64
  - .agpr_count:     0
    .args:
      - .address_space:  global
        .offset:         0
        .size:           8
        .value_kind:     global_buffer
      - .address_space:  global
        .offset:         8
        .size:           8
        .value_kind:     global_buffer
      - .offset:         16
        .size:           4
        .value_kind:     by_value
      - .offset:         24
        .size:           4
        .value_kind:     hidden_block_count_x
      - .offset:         28
        .size:           4
        .value_kind:     hidden_block_count_y
      - .offset:         32
        .size:           4
        .value_kind:     hidden_block_count_z
      - .offset:         36
        .size:           2
        .value_kind:     hidden_group_size_x
      - .offset:         38
        .size:           2
        .value_kind:     hidden_group_size_y
      - .offset:         40
        .size:           2
        .value_kind:     hidden_group_size_z
      - .offset:         42
        .size:           2
        .value_kind:     hidden_remainder_x
      - .offset:         44
        .size:           2
        .value_kind:     hidden_remainder_y
      - .offset:         46
        .size:           2
        .value_kind:     hidden_remainder_z
      - .offset:         64
        .size:           8
        .value_kind:     hidden_global_offset_x
      - .offset:         72
        .size:           8
        .value_kind:     hidden_global_offset_y
      - .offset:         80
        .size:           8
        .value_kind:     hidden_global_offset_z
      - .offset:         88
        .size:           2
        .value_kind:     hidden_grid_dims
      - .offset:         144
        .size:           4
        .value_kind:     hidden_dynamic_lds_size
    .group_segment_fixed_size: 0
    .kernarg_segment_align: 8
    .kernarg_segment_size: 280
    .language:       OpenCL C
    .language_version:
      - 2
      - 0
    .max_flat_workgroup_size: 1024
    .name:           _ZN2at6native12_GLOBAL__N_119cunn_SoftMaxForwardILi8EN3c108BFloat16EfS4_NS1_25LogSoftMaxForwardEpilogueEEEvPT2_PKT0_i
    .private_segment_fixed_size: 0
    .sgpr_count:     51
    .sgpr_spill_count: 0
    .symbol:         _ZN2at6native12_GLOBAL__N_119cunn_SoftMaxForwardILi8EN3c108BFloat16EfS4_NS1_25LogSoftMaxForwardEpilogueEEEvPT2_PKT0_i.kd
    .uniform_work_group_size: 1
    .uses_dynamic_stack: false
    .vgpr_count:     48
    .vgpr_spill_count: 0
    .wavefront_size: 64
  - .agpr_count:     0
    .args:
      - .address_space:  global
        .offset:         0
        .size:           8
        .value_kind:     global_buffer
      - .address_space:  global
        .offset:         8
        .size:           8
        .value_kind:     global_buffer
      - .offset:         16
        .size:           4
        .value_kind:     by_value
      - .offset:         20
        .size:           4
        .value_kind:     by_value
      - .offset:         24
        .size:           4
        .value_kind:     by_value
      - .address_space:  global
        .offset:         32
        .size:           8
        .value_kind:     global_buffer
      - .offset:         40
        .size:           4
        .value_kind:     by_value
      - .offset:         44
        .size:           1
        .value_kind:     by_value
      - .offset:         48
        .size:           4
        .value_kind:     hidden_block_count_x
      - .offset:         52
        .size:           4
        .value_kind:     hidden_block_count_y
      - .offset:         56
        .size:           4
        .value_kind:     hidden_block_count_z
      - .offset:         60
        .size:           2
        .value_kind:     hidden_group_size_x
      - .offset:         62
        .size:           2
        .value_kind:     hidden_group_size_y
      - .offset:         64
        .size:           2
        .value_kind:     hidden_group_size_z
      - .offset:         66
        .size:           2
        .value_kind:     hidden_remainder_x
      - .offset:         68
        .size:           2
        .value_kind:     hidden_remainder_y
      - .offset:         70
        .size:           2
        .value_kind:     hidden_remainder_z
      - .offset:         88
        .size:           8
        .value_kind:     hidden_global_offset_x
      - .offset:         96
        .size:           8
        .value_kind:     hidden_global_offset_y
      - .offset:         104
        .size:           8
        .value_kind:     hidden_global_offset_z
      - .offset:         112
        .size:           2
        .value_kind:     hidden_grid_dims
    .group_segment_fixed_size: 0
    .kernarg_segment_align: 8
    .kernarg_segment_size: 304
    .language:       OpenCL C
    .language_version:
      - 2
      - 0
    .max_flat_workgroup_size: 1024
    .name:           _ZN12_GLOBAL__N_120softmax_warp_forwardIN3c108BFloat16EffLi0ELb1ELb0ELi64EEEvPT0_PKT_iiiPKbib
    .private_segment_fixed_size: 0
    .sgpr_count:     20
    .sgpr_spill_count: 0
    .symbol:         _ZN12_GLOBAL__N_120softmax_warp_forwardIN3c108BFloat16EffLi0ELb1ELb0ELi64EEEvPT0_PKT_iiiPKbib.kd
    .uniform_work_group_size: 1
    .uses_dynamic_stack: false
    .vgpr_count:     11
    .vgpr_spill_count: 0
    .wavefront_size: 64
  - .agpr_count:     0
    .args:
      - .address_space:  global
        .offset:         0
        .size:           8
        .value_kind:     global_buffer
      - .address_space:  global
        .offset:         8
        .size:           8
        .value_kind:     global_buffer
      - .offset:         16
        .size:           4
        .value_kind:     by_value
      - .offset:         20
        .size:           4
        .value_kind:     by_value
      - .offset:         24
        .size:           4
        .value_kind:     by_value
      - .address_space:  global
        .offset:         32
        .size:           8
        .value_kind:     global_buffer
      - .offset:         40
        .size:           4
        .value_kind:     by_value
      - .offset:         44
        .size:           1
        .value_kind:     by_value
      - .offset:         48
        .size:           4
        .value_kind:     hidden_block_count_x
      - .offset:         52
        .size:           4
        .value_kind:     hidden_block_count_y
      - .offset:         56
        .size:           4
        .value_kind:     hidden_block_count_z
      - .offset:         60
        .size:           2
        .value_kind:     hidden_group_size_x
      - .offset:         62
        .size:           2
        .value_kind:     hidden_group_size_y
      - .offset:         64
        .size:           2
        .value_kind:     hidden_group_size_z
      - .offset:         66
        .size:           2
        .value_kind:     hidden_remainder_x
      - .offset:         68
        .size:           2
        .value_kind:     hidden_remainder_y
      - .offset:         70
        .size:           2
        .value_kind:     hidden_remainder_z
      - .offset:         88
        .size:           8
        .value_kind:     hidden_global_offset_x
      - .offset:         96
        .size:           8
        .value_kind:     hidden_global_offset_y
      - .offset:         104
        .size:           8
        .value_kind:     hidden_global_offset_z
      - .offset:         112
        .size:           2
        .value_kind:     hidden_grid_dims
    .group_segment_fixed_size: 0
    .kernarg_segment_align: 8
    .kernarg_segment_size: 304
    .language:       OpenCL C
    .language_version:
      - 2
      - 0
    .max_flat_workgroup_size: 1024
    .name:           _ZN12_GLOBAL__N_120softmax_warp_forwardIN3c108BFloat16EffLi0ELb1ELb0ELi32EEEvPT0_PKT_iiiPKbib
    .private_segment_fixed_size: 0
    .sgpr_count:     20
    .sgpr_spill_count: 0
    .symbol:         _ZN12_GLOBAL__N_120softmax_warp_forwardIN3c108BFloat16EffLi0ELb1ELb0ELi32EEEvPT0_PKT_iiiPKbib.kd
    .uniform_work_group_size: 1
    .uses_dynamic_stack: false
    .vgpr_count:     11
    .vgpr_spill_count: 0
    .wavefront_size: 64
  - .agpr_count:     0
    .args:
      - .address_space:  global
        .offset:         0
        .size:           8
        .value_kind:     global_buffer
      - .address_space:  global
        .offset:         8
        .size:           8
        .value_kind:     global_buffer
      - .offset:         16
        .size:           4
        .value_kind:     by_value
      - .offset:         20
        .size:           4
        .value_kind:     by_value
      - .offset:         24
        .size:           4
        .value_kind:     by_value
      - .address_space:  global
        .offset:         32
        .size:           8
        .value_kind:     global_buffer
      - .offset:         40
        .size:           4
        .value_kind:     by_value
      - .offset:         44
        .size:           1
        .value_kind:     by_value
      - .offset:         48
        .size:           4
        .value_kind:     hidden_block_count_x
      - .offset:         52
        .size:           4
        .value_kind:     hidden_block_count_y
      - .offset:         56
        .size:           4
        .value_kind:     hidden_block_count_z
      - .offset:         60
        .size:           2
        .value_kind:     hidden_group_size_x
      - .offset:         62
        .size:           2
        .value_kind:     hidden_group_size_y
      - .offset:         64
        .size:           2
        .value_kind:     hidden_group_size_z
      - .offset:         66
        .size:           2
        .value_kind:     hidden_remainder_x
      - .offset:         68
        .size:           2
        .value_kind:     hidden_remainder_y
      - .offset:         70
        .size:           2
        .value_kind:     hidden_remainder_z
      - .offset:         88
        .size:           8
        .value_kind:     hidden_global_offset_x
      - .offset:         96
        .size:           8
        .value_kind:     hidden_global_offset_y
      - .offset:         104
        .size:           8
        .value_kind:     hidden_global_offset_z
      - .offset:         112
        .size:           2
        .value_kind:     hidden_grid_dims
    .group_segment_fixed_size: 0
    .kernarg_segment_align: 8
    .kernarg_segment_size: 304
    .language:       OpenCL C
    .language_version:
      - 2
      - 0
    .max_flat_workgroup_size: 1024
    .name:           _ZN12_GLOBAL__N_120softmax_warp_forwardIN3c108BFloat16EffLi1ELb1ELb0ELi64EEEvPT0_PKT_iiiPKbib
    .private_segment_fixed_size: 0
    .sgpr_count:     20
    .sgpr_spill_count: 0
    .symbol:         _ZN12_GLOBAL__N_120softmax_warp_forwardIN3c108BFloat16EffLi1ELb1ELb0ELi64EEEvPT0_PKT_iiiPKbib.kd
    .uniform_work_group_size: 1
    .uses_dynamic_stack: false
    .vgpr_count:     14
    .vgpr_spill_count: 0
    .wavefront_size: 64
  - .agpr_count:     0
    .args:
      - .address_space:  global
        .offset:         0
        .size:           8
        .value_kind:     global_buffer
      - .address_space:  global
        .offset:         8
        .size:           8
        .value_kind:     global_buffer
      - .offset:         16
        .size:           4
        .value_kind:     by_value
      - .offset:         20
        .size:           4
        .value_kind:     by_value
      - .offset:         24
        .size:           4
        .value_kind:     by_value
      - .address_space:  global
        .offset:         32
        .size:           8
        .value_kind:     global_buffer
      - .offset:         40
        .size:           4
        .value_kind:     by_value
      - .offset:         44
        .size:           1
        .value_kind:     by_value
      - .offset:         48
        .size:           4
        .value_kind:     hidden_block_count_x
      - .offset:         52
        .size:           4
        .value_kind:     hidden_block_count_y
      - .offset:         56
        .size:           4
        .value_kind:     hidden_block_count_z
      - .offset:         60
        .size:           2
        .value_kind:     hidden_group_size_x
      - .offset:         62
        .size:           2
        .value_kind:     hidden_group_size_y
      - .offset:         64
        .size:           2
        .value_kind:     hidden_group_size_z
      - .offset:         66
        .size:           2
        .value_kind:     hidden_remainder_x
      - .offset:         68
        .size:           2
        .value_kind:     hidden_remainder_y
      - .offset:         70
        .size:           2
        .value_kind:     hidden_remainder_z
      - .offset:         88
        .size:           8
        .value_kind:     hidden_global_offset_x
      - .offset:         96
        .size:           8
        .value_kind:     hidden_global_offset_y
      - .offset:         104
        .size:           8
        .value_kind:     hidden_global_offset_z
      - .offset:         112
        .size:           2
        .value_kind:     hidden_grid_dims
    .group_segment_fixed_size: 0
    .kernarg_segment_align: 8
    .kernarg_segment_size: 304
    .language:       OpenCL C
    .language_version:
      - 2
      - 0
    .max_flat_workgroup_size: 1024
    .name:           _ZN12_GLOBAL__N_120softmax_warp_forwardIN3c108BFloat16EffLi1ELb1ELb0ELi32EEEvPT0_PKT_iiiPKbib
    .private_segment_fixed_size: 0
    .sgpr_count:     20
    .sgpr_spill_count: 0
    .symbol:         _ZN12_GLOBAL__N_120softmax_warp_forwardIN3c108BFloat16EffLi1ELb1ELb0ELi32EEEvPT0_PKT_iiiPKbib.kd
    .uniform_work_group_size: 1
    .uses_dynamic_stack: false
    .vgpr_count:     14
    .vgpr_spill_count: 0
    .wavefront_size: 64
  - .agpr_count:     0
    .args:
      - .address_space:  global
        .offset:         0
        .size:           8
        .value_kind:     global_buffer
      - .address_space:  global
        .offset:         8
        .size:           8
        .value_kind:     global_buffer
      - .offset:         16
        .size:           4
        .value_kind:     by_value
      - .offset:         20
        .size:           4
        .value_kind:     by_value
      - .offset:         24
        .size:           4
        .value_kind:     by_value
      - .address_space:  global
        .offset:         32
        .size:           8
        .value_kind:     global_buffer
      - .offset:         40
        .size:           4
        .value_kind:     by_value
      - .offset:         44
        .size:           1
        .value_kind:     by_value
      - .offset:         48
        .size:           4
        .value_kind:     hidden_block_count_x
      - .offset:         52
        .size:           4
        .value_kind:     hidden_block_count_y
      - .offset:         56
        .size:           4
        .value_kind:     hidden_block_count_z
      - .offset:         60
        .size:           2
        .value_kind:     hidden_group_size_x
      - .offset:         62
        .size:           2
        .value_kind:     hidden_group_size_y
      - .offset:         64
        .size:           2
        .value_kind:     hidden_group_size_z
      - .offset:         66
        .size:           2
        .value_kind:     hidden_remainder_x
      - .offset:         68
        .size:           2
        .value_kind:     hidden_remainder_y
      - .offset:         70
        .size:           2
        .value_kind:     hidden_remainder_z
      - .offset:         88
        .size:           8
        .value_kind:     hidden_global_offset_x
      - .offset:         96
        .size:           8
        .value_kind:     hidden_global_offset_y
      - .offset:         104
        .size:           8
        .value_kind:     hidden_global_offset_z
      - .offset:         112
        .size:           2
        .value_kind:     hidden_grid_dims
    .group_segment_fixed_size: 0
    .kernarg_segment_align: 8
    .kernarg_segment_size: 304
    .language:       OpenCL C
    .language_version:
      - 2
      - 0
    .max_flat_workgroup_size: 1024
    .name:           _ZN12_GLOBAL__N_120softmax_warp_forwardIN3c108BFloat16EffLi2ELb1ELb0ELi64EEEvPT0_PKT_iiiPKbib
    .private_segment_fixed_size: 0
    .sgpr_count:     20
    .sgpr_spill_count: 0
    .symbol:         _ZN12_GLOBAL__N_120softmax_warp_forwardIN3c108BFloat16EffLi2ELb1ELb0ELi64EEEvPT0_PKT_iiiPKbib.kd
    .uniform_work_group_size: 1
    .uses_dynamic_stack: false
    .vgpr_count:     15
    .vgpr_spill_count: 0
    .wavefront_size: 64
  - .agpr_count:     0
    .args:
      - .address_space:  global
        .offset:         0
        .size:           8
        .value_kind:     global_buffer
      - .address_space:  global
        .offset:         8
        .size:           8
        .value_kind:     global_buffer
      - .offset:         16
        .size:           4
        .value_kind:     by_value
      - .offset:         20
        .size:           4
        .value_kind:     by_value
      - .offset:         24
        .size:           4
        .value_kind:     by_value
      - .address_space:  global
        .offset:         32
        .size:           8
        .value_kind:     global_buffer
      - .offset:         40
        .size:           4
        .value_kind:     by_value
      - .offset:         44
        .size:           1
        .value_kind:     by_value
      - .offset:         48
        .size:           4
        .value_kind:     hidden_block_count_x
      - .offset:         52
        .size:           4
        .value_kind:     hidden_block_count_y
      - .offset:         56
        .size:           4
        .value_kind:     hidden_block_count_z
      - .offset:         60
        .size:           2
        .value_kind:     hidden_group_size_x
      - .offset:         62
        .size:           2
        .value_kind:     hidden_group_size_y
      - .offset:         64
        .size:           2
        .value_kind:     hidden_group_size_z
      - .offset:         66
        .size:           2
        .value_kind:     hidden_remainder_x
      - .offset:         68
        .size:           2
        .value_kind:     hidden_remainder_y
      - .offset:         70
        .size:           2
        .value_kind:     hidden_remainder_z
      - .offset:         88
        .size:           8
        .value_kind:     hidden_global_offset_x
      - .offset:         96
        .size:           8
        .value_kind:     hidden_global_offset_y
      - .offset:         104
        .size:           8
        .value_kind:     hidden_global_offset_z
      - .offset:         112
        .size:           2
        .value_kind:     hidden_grid_dims
    .group_segment_fixed_size: 0
    .kernarg_segment_align: 8
    .kernarg_segment_size: 304
    .language:       OpenCL C
    .language_version:
      - 2
      - 0
    .max_flat_workgroup_size: 1024
    .name:           _ZN12_GLOBAL__N_120softmax_warp_forwardIN3c108BFloat16EffLi2ELb1ELb0ELi32EEEvPT0_PKT_iiiPKbib
    .private_segment_fixed_size: 0
    .sgpr_count:     20
    .sgpr_spill_count: 0
    .symbol:         _ZN12_GLOBAL__N_120softmax_warp_forwardIN3c108BFloat16EffLi2ELb1ELb0ELi32EEEvPT0_PKT_iiiPKbib.kd
    .uniform_work_group_size: 1
    .uses_dynamic_stack: false
    .vgpr_count:     15
    .vgpr_spill_count: 0
    .wavefront_size: 64
  - .agpr_count:     0
    .args:
      - .address_space:  global
        .offset:         0
        .size:           8
        .value_kind:     global_buffer
      - .address_space:  global
        .offset:         8
        .size:           8
        .value_kind:     global_buffer
      - .offset:         16
        .size:           4
        .value_kind:     by_value
      - .offset:         20
        .size:           4
        .value_kind:     by_value
      - .offset:         24
        .size:           4
        .value_kind:     by_value
      - .address_space:  global
        .offset:         32
        .size:           8
        .value_kind:     global_buffer
      - .offset:         40
        .size:           4
        .value_kind:     by_value
      - .offset:         44
        .size:           1
        .value_kind:     by_value
      - .offset:         48
        .size:           4
        .value_kind:     hidden_block_count_x
      - .offset:         52
        .size:           4
        .value_kind:     hidden_block_count_y
      - .offset:         56
        .size:           4
        .value_kind:     hidden_block_count_z
      - .offset:         60
        .size:           2
        .value_kind:     hidden_group_size_x
      - .offset:         62
        .size:           2
        .value_kind:     hidden_group_size_y
      - .offset:         64
        .size:           2
        .value_kind:     hidden_group_size_z
      - .offset:         66
        .size:           2
        .value_kind:     hidden_remainder_x
      - .offset:         68
        .size:           2
        .value_kind:     hidden_remainder_y
      - .offset:         70
        .size:           2
        .value_kind:     hidden_remainder_z
      - .offset:         88
        .size:           8
        .value_kind:     hidden_global_offset_x
      - .offset:         96
        .size:           8
        .value_kind:     hidden_global_offset_y
      - .offset:         104
        .size:           8
        .value_kind:     hidden_global_offset_z
      - .offset:         112
        .size:           2
        .value_kind:     hidden_grid_dims
    .group_segment_fixed_size: 0
    .kernarg_segment_align: 8
    .kernarg_segment_size: 304
    .language:       OpenCL C
    .language_version:
      - 2
      - 0
    .max_flat_workgroup_size: 1024
    .name:           _ZN12_GLOBAL__N_120softmax_warp_forwardIN3c108BFloat16EffLi3ELb1ELb0ELi64EEEvPT0_PKT_iiiPKbib
    .private_segment_fixed_size: 0
    .sgpr_count:     20
    .sgpr_spill_count: 0
    .symbol:         _ZN12_GLOBAL__N_120softmax_warp_forwardIN3c108BFloat16EffLi3ELb1ELb0ELi64EEEvPT0_PKT_iiiPKbib.kd
    .uniform_work_group_size: 1
    .uses_dynamic_stack: false
    .vgpr_count:     16
    .vgpr_spill_count: 0
    .wavefront_size: 64
  - .agpr_count:     0
    .args:
      - .address_space:  global
        .offset:         0
        .size:           8
        .value_kind:     global_buffer
      - .address_space:  global
        .offset:         8
        .size:           8
        .value_kind:     global_buffer
      - .offset:         16
        .size:           4
        .value_kind:     by_value
      - .offset:         20
        .size:           4
        .value_kind:     by_value
      - .offset:         24
        .size:           4
        .value_kind:     by_value
      - .address_space:  global
        .offset:         32
        .size:           8
        .value_kind:     global_buffer
      - .offset:         40
        .size:           4
        .value_kind:     by_value
      - .offset:         44
        .size:           1
        .value_kind:     by_value
      - .offset:         48
        .size:           4
        .value_kind:     hidden_block_count_x
      - .offset:         52
        .size:           4
        .value_kind:     hidden_block_count_y
      - .offset:         56
        .size:           4
        .value_kind:     hidden_block_count_z
      - .offset:         60
        .size:           2
        .value_kind:     hidden_group_size_x
      - .offset:         62
        .size:           2
        .value_kind:     hidden_group_size_y
      - .offset:         64
        .size:           2
        .value_kind:     hidden_group_size_z
      - .offset:         66
        .size:           2
        .value_kind:     hidden_remainder_x
      - .offset:         68
        .size:           2
        .value_kind:     hidden_remainder_y
      - .offset:         70
        .size:           2
        .value_kind:     hidden_remainder_z
      - .offset:         88
        .size:           8
        .value_kind:     hidden_global_offset_x
      - .offset:         96
        .size:           8
        .value_kind:     hidden_global_offset_y
      - .offset:         104
        .size:           8
        .value_kind:     hidden_global_offset_z
      - .offset:         112
        .size:           2
        .value_kind:     hidden_grid_dims
    .group_segment_fixed_size: 0
    .kernarg_segment_align: 8
    .kernarg_segment_size: 304
    .language:       OpenCL C
    .language_version:
      - 2
      - 0
    .max_flat_workgroup_size: 1024
    .name:           _ZN12_GLOBAL__N_120softmax_warp_forwardIN3c108BFloat16EffLi3ELb1ELb0ELi32EEEvPT0_PKT_iiiPKbib
    .private_segment_fixed_size: 0
    .sgpr_count:     20
    .sgpr_spill_count: 0
    .symbol:         _ZN12_GLOBAL__N_120softmax_warp_forwardIN3c108BFloat16EffLi3ELb1ELb0ELi32EEEvPT0_PKT_iiiPKbib.kd
    .uniform_work_group_size: 1
    .uses_dynamic_stack: false
    .vgpr_count:     16
    .vgpr_spill_count: 0
    .wavefront_size: 64
  - .agpr_count:     0
    .args:
      - .address_space:  global
        .offset:         0
        .size:           8
        .value_kind:     global_buffer
      - .address_space:  global
        .offset:         8
        .size:           8
        .value_kind:     global_buffer
      - .offset:         16
        .size:           4
        .value_kind:     by_value
      - .offset:         20
        .size:           4
        .value_kind:     by_value
      - .offset:         24
        .size:           4
        .value_kind:     by_value
      - .address_space:  global
        .offset:         32
        .size:           8
        .value_kind:     global_buffer
      - .offset:         40
        .size:           4
        .value_kind:     by_value
      - .offset:         44
        .size:           1
        .value_kind:     by_value
      - .offset:         48
        .size:           4
        .value_kind:     hidden_block_count_x
      - .offset:         52
        .size:           4
        .value_kind:     hidden_block_count_y
      - .offset:         56
        .size:           4
        .value_kind:     hidden_block_count_z
      - .offset:         60
        .size:           2
        .value_kind:     hidden_group_size_x
      - .offset:         62
        .size:           2
        .value_kind:     hidden_group_size_y
      - .offset:         64
        .size:           2
        .value_kind:     hidden_group_size_z
      - .offset:         66
        .size:           2
        .value_kind:     hidden_remainder_x
      - .offset:         68
        .size:           2
        .value_kind:     hidden_remainder_y
      - .offset:         70
        .size:           2
        .value_kind:     hidden_remainder_z
      - .offset:         88
        .size:           8
        .value_kind:     hidden_global_offset_x
      - .offset:         96
        .size:           8
        .value_kind:     hidden_global_offset_y
      - .offset:         104
        .size:           8
        .value_kind:     hidden_global_offset_z
      - .offset:         112
        .size:           2
        .value_kind:     hidden_grid_dims
    .group_segment_fixed_size: 0
    .kernarg_segment_align: 8
    .kernarg_segment_size: 304
    .language:       OpenCL C
    .language_version:
      - 2
      - 0
    .max_flat_workgroup_size: 1024
    .name:           _ZN12_GLOBAL__N_120softmax_warp_forwardIN3c108BFloat16EffLi4ELb1ELb0ELi64EEEvPT0_PKT_iiiPKbib
    .private_segment_fixed_size: 0
    .sgpr_count:     20
    .sgpr_spill_count: 0
    .symbol:         _ZN12_GLOBAL__N_120softmax_warp_forwardIN3c108BFloat16EffLi4ELb1ELb0ELi64EEEvPT0_PKT_iiiPKbib.kd
    .uniform_work_group_size: 1
    .uses_dynamic_stack: false
    .vgpr_count:     17
    .vgpr_spill_count: 0
    .wavefront_size: 64
  - .agpr_count:     0
    .args:
      - .address_space:  global
        .offset:         0
        .size:           8
        .value_kind:     global_buffer
      - .address_space:  global
        .offset:         8
        .size:           8
        .value_kind:     global_buffer
      - .offset:         16
        .size:           4
        .value_kind:     by_value
      - .offset:         20
        .size:           4
        .value_kind:     by_value
      - .offset:         24
        .size:           4
        .value_kind:     by_value
      - .address_space:  global
        .offset:         32
        .size:           8
        .value_kind:     global_buffer
      - .offset:         40
        .size:           4
        .value_kind:     by_value
      - .offset:         44
        .size:           1
        .value_kind:     by_value
      - .offset:         48
        .size:           4
        .value_kind:     hidden_block_count_x
      - .offset:         52
        .size:           4
        .value_kind:     hidden_block_count_y
      - .offset:         56
        .size:           4
        .value_kind:     hidden_block_count_z
      - .offset:         60
        .size:           2
        .value_kind:     hidden_group_size_x
      - .offset:         62
        .size:           2
        .value_kind:     hidden_group_size_y
      - .offset:         64
        .size:           2
        .value_kind:     hidden_group_size_z
      - .offset:         66
        .size:           2
        .value_kind:     hidden_remainder_x
      - .offset:         68
        .size:           2
        .value_kind:     hidden_remainder_y
      - .offset:         70
        .size:           2
        .value_kind:     hidden_remainder_z
      - .offset:         88
        .size:           8
        .value_kind:     hidden_global_offset_x
      - .offset:         96
        .size:           8
        .value_kind:     hidden_global_offset_y
      - .offset:         104
        .size:           8
        .value_kind:     hidden_global_offset_z
      - .offset:         112
        .size:           2
        .value_kind:     hidden_grid_dims
    .group_segment_fixed_size: 0
    .kernarg_segment_align: 8
    .kernarg_segment_size: 304
    .language:       OpenCL C
    .language_version:
      - 2
      - 0
    .max_flat_workgroup_size: 1024
    .name:           _ZN12_GLOBAL__N_120softmax_warp_forwardIN3c108BFloat16EffLi4ELb1ELb0ELi32EEEvPT0_PKT_iiiPKbib
    .private_segment_fixed_size: 0
    .sgpr_count:     20
    .sgpr_spill_count: 0
    .symbol:         _ZN12_GLOBAL__N_120softmax_warp_forwardIN3c108BFloat16EffLi4ELb1ELb0ELi32EEEvPT0_PKT_iiiPKbib.kd
    .uniform_work_group_size: 1
    .uses_dynamic_stack: false
    .vgpr_count:     17
    .vgpr_spill_count: 0
    .wavefront_size: 64
  - .agpr_count:     0
    .args:
      - .address_space:  global
        .offset:         0
        .size:           8
        .value_kind:     global_buffer
      - .address_space:  global
        .offset:         8
        .size:           8
        .value_kind:     global_buffer
      - .offset:         16
        .size:           4
        .value_kind:     by_value
      - .offset:         20
        .size:           4
        .value_kind:     by_value
      - .offset:         24
        .size:           4
        .value_kind:     by_value
      - .address_space:  global
        .offset:         32
        .size:           8
        .value_kind:     global_buffer
      - .offset:         40
        .size:           4
        .value_kind:     by_value
      - .offset:         44
        .size:           1
        .value_kind:     by_value
      - .offset:         48
        .size:           4
        .value_kind:     hidden_block_count_x
      - .offset:         52
        .size:           4
        .value_kind:     hidden_block_count_y
      - .offset:         56
        .size:           4
        .value_kind:     hidden_block_count_z
      - .offset:         60
        .size:           2
        .value_kind:     hidden_group_size_x
      - .offset:         62
        .size:           2
        .value_kind:     hidden_group_size_y
      - .offset:         64
        .size:           2
        .value_kind:     hidden_group_size_z
      - .offset:         66
        .size:           2
        .value_kind:     hidden_remainder_x
      - .offset:         68
        .size:           2
        .value_kind:     hidden_remainder_y
      - .offset:         70
        .size:           2
        .value_kind:     hidden_remainder_z
      - .offset:         88
        .size:           8
        .value_kind:     hidden_global_offset_x
      - .offset:         96
        .size:           8
        .value_kind:     hidden_global_offset_y
      - .offset:         104
        .size:           8
        .value_kind:     hidden_global_offset_z
      - .offset:         112
        .size:           2
        .value_kind:     hidden_grid_dims
    .group_segment_fixed_size: 0
    .kernarg_segment_align: 8
    .kernarg_segment_size: 304
    .language:       OpenCL C
    .language_version:
      - 2
      - 0
    .max_flat_workgroup_size: 1024
    .name:           _ZN12_GLOBAL__N_120softmax_warp_forwardIN3c108BFloat16EffLi5ELb1ELb0ELi64EEEvPT0_PKT_iiiPKbib
    .private_segment_fixed_size: 0
    .sgpr_count:     20
    .sgpr_spill_count: 0
    .symbol:         _ZN12_GLOBAL__N_120softmax_warp_forwardIN3c108BFloat16EffLi5ELb1ELb0ELi64EEEvPT0_PKT_iiiPKbib.kd
    .uniform_work_group_size: 1
    .uses_dynamic_stack: false
    .vgpr_count:     18
    .vgpr_spill_count: 0
    .wavefront_size: 64
  - .agpr_count:     0
    .args:
      - .address_space:  global
        .offset:         0
        .size:           8
        .value_kind:     global_buffer
      - .address_space:  global
        .offset:         8
        .size:           8
        .value_kind:     global_buffer
      - .offset:         16
        .size:           4
        .value_kind:     by_value
      - .offset:         20
        .size:           4
        .value_kind:     by_value
      - .offset:         24
        .size:           4
        .value_kind:     by_value
      - .address_space:  global
        .offset:         32
        .size:           8
        .value_kind:     global_buffer
      - .offset:         40
        .size:           4
        .value_kind:     by_value
      - .offset:         44
        .size:           1
        .value_kind:     by_value
      - .offset:         48
        .size:           4
        .value_kind:     hidden_block_count_x
      - .offset:         52
        .size:           4
        .value_kind:     hidden_block_count_y
      - .offset:         56
        .size:           4
        .value_kind:     hidden_block_count_z
      - .offset:         60
        .size:           2
        .value_kind:     hidden_group_size_x
      - .offset:         62
        .size:           2
        .value_kind:     hidden_group_size_y
      - .offset:         64
        .size:           2
        .value_kind:     hidden_group_size_z
      - .offset:         66
        .size:           2
        .value_kind:     hidden_remainder_x
      - .offset:         68
        .size:           2
        .value_kind:     hidden_remainder_y
      - .offset:         70
        .size:           2
        .value_kind:     hidden_remainder_z
      - .offset:         88
        .size:           8
        .value_kind:     hidden_global_offset_x
      - .offset:         96
        .size:           8
        .value_kind:     hidden_global_offset_y
      - .offset:         104
        .size:           8
        .value_kind:     hidden_global_offset_z
      - .offset:         112
        .size:           2
        .value_kind:     hidden_grid_dims
    .group_segment_fixed_size: 0
    .kernarg_segment_align: 8
    .kernarg_segment_size: 304
    .language:       OpenCL C
    .language_version:
      - 2
      - 0
    .max_flat_workgroup_size: 1024
    .name:           _ZN12_GLOBAL__N_120softmax_warp_forwardIN3c108BFloat16EffLi5ELb1ELb0ELi32EEEvPT0_PKT_iiiPKbib
    .private_segment_fixed_size: 0
    .sgpr_count:     20
    .sgpr_spill_count: 0
    .symbol:         _ZN12_GLOBAL__N_120softmax_warp_forwardIN3c108BFloat16EffLi5ELb1ELb0ELi32EEEvPT0_PKT_iiiPKbib.kd
    .uniform_work_group_size: 1
    .uses_dynamic_stack: false
    .vgpr_count:     18
    .vgpr_spill_count: 0
    .wavefront_size: 64
  - .agpr_count:     0
    .args:
      - .address_space:  global
        .offset:         0
        .size:           8
        .value_kind:     global_buffer
      - .address_space:  global
        .offset:         8
        .size:           8
        .value_kind:     global_buffer
      - .offset:         16
        .size:           4
        .value_kind:     by_value
      - .offset:         20
        .size:           4
        .value_kind:     by_value
      - .offset:         24
        .size:           4
        .value_kind:     by_value
      - .address_space:  global
        .offset:         32
        .size:           8
        .value_kind:     global_buffer
      - .offset:         40
        .size:           4
        .value_kind:     by_value
      - .offset:         44
        .size:           1
        .value_kind:     by_value
      - .offset:         48
        .size:           4
        .value_kind:     hidden_block_count_x
      - .offset:         52
        .size:           4
        .value_kind:     hidden_block_count_y
      - .offset:         56
        .size:           4
        .value_kind:     hidden_block_count_z
      - .offset:         60
        .size:           2
        .value_kind:     hidden_group_size_x
      - .offset:         62
        .size:           2
        .value_kind:     hidden_group_size_y
      - .offset:         64
        .size:           2
        .value_kind:     hidden_group_size_z
      - .offset:         66
        .size:           2
        .value_kind:     hidden_remainder_x
      - .offset:         68
        .size:           2
        .value_kind:     hidden_remainder_y
      - .offset:         70
        .size:           2
        .value_kind:     hidden_remainder_z
      - .offset:         88
        .size:           8
        .value_kind:     hidden_global_offset_x
      - .offset:         96
        .size:           8
        .value_kind:     hidden_global_offset_y
      - .offset:         104
        .size:           8
        .value_kind:     hidden_global_offset_z
      - .offset:         112
        .size:           2
        .value_kind:     hidden_grid_dims
    .group_segment_fixed_size: 0
    .kernarg_segment_align: 8
    .kernarg_segment_size: 304
    .language:       OpenCL C
    .language_version:
      - 2
      - 0
    .max_flat_workgroup_size: 1024
    .name:           _ZN12_GLOBAL__N_120softmax_warp_forwardIN3c108BFloat16EffLi6ELb1ELb0ELi64EEEvPT0_PKT_iiiPKbib
    .private_segment_fixed_size: 0
    .sgpr_count:     20
    .sgpr_spill_count: 0
    .symbol:         _ZN12_GLOBAL__N_120softmax_warp_forwardIN3c108BFloat16EffLi6ELb1ELb0ELi64EEEvPT0_PKT_iiiPKbib.kd
    .uniform_work_group_size: 1
    .uses_dynamic_stack: false
    .vgpr_count:     19
    .vgpr_spill_count: 0
    .wavefront_size: 64
  - .agpr_count:     0
    .args:
      - .address_space:  global
        .offset:         0
        .size:           8
        .value_kind:     global_buffer
      - .address_space:  global
        .offset:         8
        .size:           8
        .value_kind:     global_buffer
      - .offset:         16
        .size:           4
        .value_kind:     by_value
      - .offset:         20
        .size:           4
        .value_kind:     by_value
      - .offset:         24
        .size:           4
        .value_kind:     by_value
      - .address_space:  global
        .offset:         32
        .size:           8
        .value_kind:     global_buffer
      - .offset:         40
        .size:           4
        .value_kind:     by_value
      - .offset:         44
        .size:           1
        .value_kind:     by_value
      - .offset:         48
        .size:           4
        .value_kind:     hidden_block_count_x
      - .offset:         52
        .size:           4
        .value_kind:     hidden_block_count_y
      - .offset:         56
        .size:           4
        .value_kind:     hidden_block_count_z
      - .offset:         60
        .size:           2
        .value_kind:     hidden_group_size_x
      - .offset:         62
        .size:           2
        .value_kind:     hidden_group_size_y
      - .offset:         64
        .size:           2
        .value_kind:     hidden_group_size_z
      - .offset:         66
        .size:           2
        .value_kind:     hidden_remainder_x
      - .offset:         68
        .size:           2
        .value_kind:     hidden_remainder_y
      - .offset:         70
        .size:           2
        .value_kind:     hidden_remainder_z
      - .offset:         88
        .size:           8
        .value_kind:     hidden_global_offset_x
      - .offset:         96
        .size:           8
        .value_kind:     hidden_global_offset_y
      - .offset:         104
        .size:           8
        .value_kind:     hidden_global_offset_z
      - .offset:         112
        .size:           2
        .value_kind:     hidden_grid_dims
    .group_segment_fixed_size: 0
    .kernarg_segment_align: 8
    .kernarg_segment_size: 304
    .language:       OpenCL C
    .language_version:
      - 2
      - 0
    .max_flat_workgroup_size: 1024
    .name:           _ZN12_GLOBAL__N_120softmax_warp_forwardIN3c108BFloat16EffLi6ELb1ELb0ELi32EEEvPT0_PKT_iiiPKbib
    .private_segment_fixed_size: 0
    .sgpr_count:     20
    .sgpr_spill_count: 0
    .symbol:         _ZN12_GLOBAL__N_120softmax_warp_forwardIN3c108BFloat16EffLi6ELb1ELb0ELi32EEEvPT0_PKT_iiiPKbib.kd
    .uniform_work_group_size: 1
    .uses_dynamic_stack: false
    .vgpr_count:     23
    .vgpr_spill_count: 0
    .wavefront_size: 64
  - .agpr_count:     0
    .args:
      - .address_space:  global
        .offset:         0
        .size:           8
        .value_kind:     global_buffer
      - .address_space:  global
        .offset:         8
        .size:           8
        .value_kind:     global_buffer
      - .offset:         16
        .size:           4
        .value_kind:     by_value
      - .offset:         20
        .size:           4
        .value_kind:     by_value
      - .offset:         24
        .size:           4
        .value_kind:     by_value
      - .address_space:  global
        .offset:         32
        .size:           8
        .value_kind:     global_buffer
      - .offset:         40
        .size:           4
        .value_kind:     by_value
      - .offset:         44
        .size:           1
        .value_kind:     by_value
      - .offset:         48
        .size:           4
        .value_kind:     hidden_block_count_x
      - .offset:         52
        .size:           4
        .value_kind:     hidden_block_count_y
      - .offset:         56
        .size:           4
        .value_kind:     hidden_block_count_z
      - .offset:         60
        .size:           2
        .value_kind:     hidden_group_size_x
      - .offset:         62
        .size:           2
        .value_kind:     hidden_group_size_y
      - .offset:         64
        .size:           2
        .value_kind:     hidden_group_size_z
      - .offset:         66
        .size:           2
        .value_kind:     hidden_remainder_x
      - .offset:         68
        .size:           2
        .value_kind:     hidden_remainder_y
      - .offset:         70
        .size:           2
        .value_kind:     hidden_remainder_z
      - .offset:         88
        .size:           8
        .value_kind:     hidden_global_offset_x
      - .offset:         96
        .size:           8
        .value_kind:     hidden_global_offset_y
      - .offset:         104
        .size:           8
        .value_kind:     hidden_global_offset_z
      - .offset:         112
        .size:           2
        .value_kind:     hidden_grid_dims
    .group_segment_fixed_size: 0
    .kernarg_segment_align: 8
    .kernarg_segment_size: 304
    .language:       OpenCL C
    .language_version:
      - 2
      - 0
    .max_flat_workgroup_size: 1024
    .name:           _ZN12_GLOBAL__N_120softmax_warp_forwardIN3c108BFloat16EffLi7ELb1ELb0ELi64EEEvPT0_PKT_iiiPKbib
    .private_segment_fixed_size: 0
    .sgpr_count:     20
    .sgpr_spill_count: 0
    .symbol:         _ZN12_GLOBAL__N_120softmax_warp_forwardIN3c108BFloat16EffLi7ELb1ELb0ELi64EEEvPT0_PKT_iiiPKbib.kd
    .uniform_work_group_size: 1
    .uses_dynamic_stack: false
    .vgpr_count:     24
    .vgpr_spill_count: 0
    .wavefront_size: 64
  - .agpr_count:     0
    .args:
      - .address_space:  global
        .offset:         0
        .size:           8
        .value_kind:     global_buffer
      - .address_space:  global
        .offset:         8
        .size:           8
        .value_kind:     global_buffer
      - .offset:         16
        .size:           4
        .value_kind:     by_value
      - .offset:         20
        .size:           4
        .value_kind:     by_value
      - .offset:         24
        .size:           4
        .value_kind:     by_value
      - .address_space:  global
        .offset:         32
        .size:           8
        .value_kind:     global_buffer
      - .offset:         40
        .size:           4
        .value_kind:     by_value
      - .offset:         44
        .size:           1
        .value_kind:     by_value
      - .offset:         48
        .size:           4
        .value_kind:     hidden_block_count_x
      - .offset:         52
        .size:           4
        .value_kind:     hidden_block_count_y
      - .offset:         56
        .size:           4
        .value_kind:     hidden_block_count_z
      - .offset:         60
        .size:           2
        .value_kind:     hidden_group_size_x
      - .offset:         62
        .size:           2
        .value_kind:     hidden_group_size_y
      - .offset:         64
        .size:           2
        .value_kind:     hidden_group_size_z
      - .offset:         66
        .size:           2
        .value_kind:     hidden_remainder_x
      - .offset:         68
        .size:           2
        .value_kind:     hidden_remainder_y
      - .offset:         70
        .size:           2
        .value_kind:     hidden_remainder_z
      - .offset:         88
        .size:           8
        .value_kind:     hidden_global_offset_x
      - .offset:         96
        .size:           8
        .value_kind:     hidden_global_offset_y
      - .offset:         104
        .size:           8
        .value_kind:     hidden_global_offset_z
      - .offset:         112
        .size:           2
        .value_kind:     hidden_grid_dims
    .group_segment_fixed_size: 0
    .kernarg_segment_align: 8
    .kernarg_segment_size: 304
    .language:       OpenCL C
    .language_version:
      - 2
      - 0
    .max_flat_workgroup_size: 1024
    .name:           _ZN12_GLOBAL__N_120softmax_warp_forwardIN3c108BFloat16EffLi7ELb1ELb0ELi32EEEvPT0_PKT_iiiPKbib
    .private_segment_fixed_size: 0
    .sgpr_count:     24
    .sgpr_spill_count: 0
    .symbol:         _ZN12_GLOBAL__N_120softmax_warp_forwardIN3c108BFloat16EffLi7ELb1ELb0ELi32EEEvPT0_PKT_iiiPKbib.kd
    .uniform_work_group_size: 1
    .uses_dynamic_stack: false
    .vgpr_count:     29
    .vgpr_spill_count: 0
    .wavefront_size: 64
  - .agpr_count:     0
    .args:
      - .address_space:  global
        .offset:         0
        .size:           8
        .value_kind:     global_buffer
      - .address_space:  global
        .offset:         8
        .size:           8
        .value_kind:     global_buffer
      - .offset:         16
        .size:           4
        .value_kind:     by_value
      - .offset:         20
        .size:           4
        .value_kind:     by_value
      - .offset:         24
        .size:           4
        .value_kind:     by_value
      - .address_space:  global
        .offset:         32
        .size:           8
        .value_kind:     global_buffer
      - .offset:         40
        .size:           4
        .value_kind:     by_value
      - .offset:         44
        .size:           1
        .value_kind:     by_value
      - .offset:         48
        .size:           4
        .value_kind:     hidden_block_count_x
      - .offset:         52
        .size:           4
        .value_kind:     hidden_block_count_y
      - .offset:         56
        .size:           4
        .value_kind:     hidden_block_count_z
      - .offset:         60
        .size:           2
        .value_kind:     hidden_group_size_x
      - .offset:         62
        .size:           2
        .value_kind:     hidden_group_size_y
      - .offset:         64
        .size:           2
        .value_kind:     hidden_group_size_z
      - .offset:         66
        .size:           2
        .value_kind:     hidden_remainder_x
      - .offset:         68
        .size:           2
        .value_kind:     hidden_remainder_y
      - .offset:         70
        .size:           2
        .value_kind:     hidden_remainder_z
      - .offset:         88
        .size:           8
        .value_kind:     hidden_global_offset_x
      - .offset:         96
        .size:           8
        .value_kind:     hidden_global_offset_y
      - .offset:         104
        .size:           8
        .value_kind:     hidden_global_offset_z
      - .offset:         112
        .size:           2
        .value_kind:     hidden_grid_dims
    .group_segment_fixed_size: 0
    .kernarg_segment_align: 8
    .kernarg_segment_size: 304
    .language:       OpenCL C
    .language_version:
      - 2
      - 0
    .max_flat_workgroup_size: 1024
    .name:           _ZN12_GLOBAL__N_120softmax_warp_forwardIN3c108BFloat16EffLi8ELb1ELb0ELi64EEEvPT0_PKT_iiiPKbib
    .private_segment_fixed_size: 0
    .sgpr_count:     20
    .sgpr_spill_count: 0
    .symbol:         _ZN12_GLOBAL__N_120softmax_warp_forwardIN3c108BFloat16EffLi8ELb1ELb0ELi64EEEvPT0_PKT_iiiPKbib.kd
    .uniform_work_group_size: 1
    .uses_dynamic_stack: false
    .vgpr_count:     20
    .vgpr_spill_count: 0
    .wavefront_size: 64
  - .agpr_count:     0
    .args:
      - .address_space:  global
        .offset:         0
        .size:           8
        .value_kind:     global_buffer
      - .address_space:  global
        .offset:         8
        .size:           8
        .value_kind:     global_buffer
      - .offset:         16
        .size:           4
        .value_kind:     by_value
      - .offset:         20
        .size:           4
        .value_kind:     by_value
      - .offset:         24
        .size:           4
        .value_kind:     by_value
      - .address_space:  global
        .offset:         32
        .size:           8
        .value_kind:     global_buffer
      - .offset:         40
        .size:           4
        .value_kind:     by_value
      - .offset:         44
        .size:           1
        .value_kind:     by_value
      - .offset:         48
        .size:           4
        .value_kind:     hidden_block_count_x
      - .offset:         52
        .size:           4
        .value_kind:     hidden_block_count_y
      - .offset:         56
        .size:           4
        .value_kind:     hidden_block_count_z
      - .offset:         60
        .size:           2
        .value_kind:     hidden_group_size_x
      - .offset:         62
        .size:           2
        .value_kind:     hidden_group_size_y
      - .offset:         64
        .size:           2
        .value_kind:     hidden_group_size_z
      - .offset:         66
        .size:           2
        .value_kind:     hidden_remainder_x
      - .offset:         68
        .size:           2
        .value_kind:     hidden_remainder_y
      - .offset:         70
        .size:           2
        .value_kind:     hidden_remainder_z
      - .offset:         88
        .size:           8
        .value_kind:     hidden_global_offset_x
      - .offset:         96
        .size:           8
        .value_kind:     hidden_global_offset_y
      - .offset:         104
        .size:           8
        .value_kind:     hidden_global_offset_z
      - .offset:         112
        .size:           2
        .value_kind:     hidden_grid_dims
    .group_segment_fixed_size: 0
    .kernarg_segment_align: 8
    .kernarg_segment_size: 304
    .language:       OpenCL C
    .language_version:
      - 2
      - 0
    .max_flat_workgroup_size: 1024
    .name:           _ZN12_GLOBAL__N_120softmax_warp_forwardIN3c108BFloat16EffLi8ELb1ELb0ELi32EEEvPT0_PKT_iiiPKbib
    .private_segment_fixed_size: 0
    .sgpr_count:     28
    .sgpr_spill_count: 0
    .symbol:         _ZN12_GLOBAL__N_120softmax_warp_forwardIN3c108BFloat16EffLi8ELb1ELb0ELi32EEEvPT0_PKT_iiiPKbib.kd
    .uniform_work_group_size: 1
    .uses_dynamic_stack: false
    .vgpr_count:     23
    .vgpr_spill_count: 0
    .wavefront_size: 64
  - .agpr_count:     0
    .args:
      - .address_space:  global
        .offset:         0
        .size:           8
        .value_kind:     global_buffer
      - .address_space:  global
        .offset:         8
        .size:           8
        .value_kind:     global_buffer
      - .offset:         16
        .size:           4
        .value_kind:     by_value
      - .offset:         20
        .size:           4
        .value_kind:     by_value
      - .offset:         24
        .size:           4
        .value_kind:     by_value
      - .address_space:  global
        .offset:         32
        .size:           8
        .value_kind:     global_buffer
      - .offset:         40
        .size:           4
        .value_kind:     by_value
      - .offset:         44
        .size:           1
        .value_kind:     by_value
      - .offset:         48
        .size:           4
        .value_kind:     hidden_block_count_x
      - .offset:         52
        .size:           4
        .value_kind:     hidden_block_count_y
      - .offset:         56
        .size:           4
        .value_kind:     hidden_block_count_z
      - .offset:         60
        .size:           2
        .value_kind:     hidden_group_size_x
      - .offset:         62
        .size:           2
        .value_kind:     hidden_group_size_y
      - .offset:         64
        .size:           2
        .value_kind:     hidden_group_size_z
      - .offset:         66
        .size:           2
        .value_kind:     hidden_remainder_x
      - .offset:         68
        .size:           2
        .value_kind:     hidden_remainder_y
      - .offset:         70
        .size:           2
        .value_kind:     hidden_remainder_z
      - .offset:         88
        .size:           8
        .value_kind:     hidden_global_offset_x
      - .offset:         96
        .size:           8
        .value_kind:     hidden_global_offset_y
      - .offset:         104
        .size:           8
        .value_kind:     hidden_global_offset_z
      - .offset:         112
        .size:           2
        .value_kind:     hidden_grid_dims
    .group_segment_fixed_size: 0
    .kernarg_segment_align: 8
    .kernarg_segment_size: 304
    .language:       OpenCL C
    .language_version:
      - 2
      - 0
    .max_flat_workgroup_size: 1024
    .name:           _ZN12_GLOBAL__N_120softmax_warp_forwardIN3c108BFloat16EffLi9ELb1ELb0ELi64EEEvPT0_PKT_iiiPKbib
    .private_segment_fixed_size: 0
    .sgpr_count:     28
    .sgpr_spill_count: 0
    .symbol:         _ZN12_GLOBAL__N_120softmax_warp_forwardIN3c108BFloat16EffLi9ELb1ELb0ELi64EEEvPT0_PKT_iiiPKbib.kd
    .uniform_work_group_size: 1
    .uses_dynamic_stack: false
    .vgpr_count:     24
    .vgpr_spill_count: 0
    .wavefront_size: 64
  - .agpr_count:     0
    .args:
      - .address_space:  global
        .offset:         0
        .size:           8
        .value_kind:     global_buffer
      - .address_space:  global
        .offset:         8
        .size:           8
        .value_kind:     global_buffer
      - .offset:         16
        .size:           4
        .value_kind:     by_value
      - .offset:         20
        .size:           4
        .value_kind:     by_value
      - .offset:         24
        .size:           4
        .value_kind:     by_value
      - .address_space:  global
        .offset:         32
        .size:           8
        .value_kind:     global_buffer
      - .offset:         40
        .size:           4
        .value_kind:     by_value
      - .offset:         44
        .size:           1
        .value_kind:     by_value
      - .offset:         48
        .size:           4
        .value_kind:     hidden_block_count_x
      - .offset:         52
        .size:           4
        .value_kind:     hidden_block_count_y
      - .offset:         56
        .size:           4
        .value_kind:     hidden_block_count_z
      - .offset:         60
        .size:           2
        .value_kind:     hidden_group_size_x
      - .offset:         62
        .size:           2
        .value_kind:     hidden_group_size_y
      - .offset:         64
        .size:           2
        .value_kind:     hidden_group_size_z
      - .offset:         66
        .size:           2
        .value_kind:     hidden_remainder_x
      - .offset:         68
        .size:           2
        .value_kind:     hidden_remainder_y
      - .offset:         70
        .size:           2
        .value_kind:     hidden_remainder_z
      - .offset:         88
        .size:           8
        .value_kind:     hidden_global_offset_x
      - .offset:         96
        .size:           8
        .value_kind:     hidden_global_offset_y
      - .offset:         104
        .size:           8
        .value_kind:     hidden_global_offset_z
      - .offset:         112
        .size:           2
        .value_kind:     hidden_grid_dims
    .group_segment_fixed_size: 0
    .kernarg_segment_align: 8
    .kernarg_segment_size: 304
    .language:       OpenCL C
    .language_version:
      - 2
      - 0
    .max_flat_workgroup_size: 1024
    .name:           _ZN12_GLOBAL__N_120softmax_warp_forwardIN3c108BFloat16EffLi9ELb1ELb0ELi32EEEvPT0_PKT_iiiPKbib
    .private_segment_fixed_size: 0
    .sgpr_count:     48
    .sgpr_spill_count: 0
    .symbol:         _ZN12_GLOBAL__N_120softmax_warp_forwardIN3c108BFloat16EffLi9ELb1ELb0ELi32EEEvPT0_PKT_iiiPKbib.kd
    .uniform_work_group_size: 1
    .uses_dynamic_stack: false
    .vgpr_count:     31
    .vgpr_spill_count: 0
    .wavefront_size: 64
  - .agpr_count:     0
    .args:
      - .address_space:  global
        .offset:         0
        .size:           8
        .value_kind:     global_buffer
      - .address_space:  global
        .offset:         8
        .size:           8
        .value_kind:     global_buffer
      - .offset:         16
        .size:           4
        .value_kind:     by_value
      - .offset:         20
        .size:           4
        .value_kind:     by_value
      - .offset:         24
        .size:           4
        .value_kind:     by_value
      - .address_space:  global
        .offset:         32
        .size:           8
        .value_kind:     global_buffer
      - .offset:         40
        .size:           4
        .value_kind:     by_value
      - .offset:         44
        .size:           1
        .value_kind:     by_value
      - .offset:         48
        .size:           4
        .value_kind:     hidden_block_count_x
      - .offset:         52
        .size:           4
        .value_kind:     hidden_block_count_y
      - .offset:         56
        .size:           4
        .value_kind:     hidden_block_count_z
      - .offset:         60
        .size:           2
        .value_kind:     hidden_group_size_x
      - .offset:         62
        .size:           2
        .value_kind:     hidden_group_size_y
      - .offset:         64
        .size:           2
        .value_kind:     hidden_group_size_z
      - .offset:         66
        .size:           2
        .value_kind:     hidden_remainder_x
      - .offset:         68
        .size:           2
        .value_kind:     hidden_remainder_y
      - .offset:         70
        .size:           2
        .value_kind:     hidden_remainder_z
      - .offset:         88
        .size:           8
        .value_kind:     hidden_global_offset_x
      - .offset:         96
        .size:           8
        .value_kind:     hidden_global_offset_y
      - .offset:         104
        .size:           8
        .value_kind:     hidden_global_offset_z
      - .offset:         112
        .size:           2
        .value_kind:     hidden_grid_dims
    .group_segment_fixed_size: 0
    .kernarg_segment_align: 8
    .kernarg_segment_size: 304
    .language:       OpenCL C
    .language_version:
      - 2
      - 0
    .max_flat_workgroup_size: 1024
    .name:           _ZN12_GLOBAL__N_120softmax_warp_forwardIN3c108BFloat16EffLi10ELb1ELb0ELi64EEEvPT0_PKT_iiiPKbib
    .private_segment_fixed_size: 0
    .sgpr_count:     48
    .sgpr_spill_count: 0
    .symbol:         _ZN12_GLOBAL__N_120softmax_warp_forwardIN3c108BFloat16EffLi10ELb1ELb0ELi64EEEvPT0_PKT_iiiPKbib.kd
    .uniform_work_group_size: 1
    .uses_dynamic_stack: false
    .vgpr_count:     32
    .vgpr_spill_count: 0
    .wavefront_size: 64
  - .agpr_count:     0
    .args:
      - .address_space:  global
        .offset:         0
        .size:           8
        .value_kind:     global_buffer
      - .address_space:  global
        .offset:         8
        .size:           8
        .value_kind:     global_buffer
      - .offset:         16
        .size:           4
        .value_kind:     by_value
      - .offset:         20
        .size:           4
        .value_kind:     by_value
      - .offset:         24
        .size:           4
        .value_kind:     by_value
      - .address_space:  global
        .offset:         32
        .size:           8
        .value_kind:     global_buffer
      - .offset:         40
        .size:           4
        .value_kind:     by_value
      - .offset:         44
        .size:           1
        .value_kind:     by_value
      - .offset:         48
        .size:           4
        .value_kind:     hidden_block_count_x
      - .offset:         52
        .size:           4
        .value_kind:     hidden_block_count_y
      - .offset:         56
        .size:           4
        .value_kind:     hidden_block_count_z
      - .offset:         60
        .size:           2
        .value_kind:     hidden_group_size_x
      - .offset:         62
        .size:           2
        .value_kind:     hidden_group_size_y
      - .offset:         64
        .size:           2
        .value_kind:     hidden_group_size_z
      - .offset:         66
        .size:           2
        .value_kind:     hidden_remainder_x
      - .offset:         68
        .size:           2
        .value_kind:     hidden_remainder_y
      - .offset:         70
        .size:           2
        .value_kind:     hidden_remainder_z
      - .offset:         88
        .size:           8
        .value_kind:     hidden_global_offset_x
      - .offset:         96
        .size:           8
        .value_kind:     hidden_global_offset_y
      - .offset:         104
        .size:           8
        .value_kind:     hidden_global_offset_z
      - .offset:         112
        .size:           2
        .value_kind:     hidden_grid_dims
    .group_segment_fixed_size: 0
    .kernarg_segment_align: 8
    .kernarg_segment_size: 304
    .language:       OpenCL C
    .language_version:
      - 2
      - 0
    .max_flat_workgroup_size: 1024
    .name:           _ZN12_GLOBAL__N_120softmax_warp_forwardIN3c108BFloat16EffLi10ELb1ELb0ELi32EEEvPT0_PKT_iiiPKbib
    .private_segment_fixed_size: 0
    .sgpr_count:     80
    .sgpr_spill_count: 0
    .symbol:         _ZN12_GLOBAL__N_120softmax_warp_forwardIN3c108BFloat16EffLi10ELb1ELb0ELi32EEEvPT0_PKT_iiiPKbib.kd
    .uniform_work_group_size: 1
    .uses_dynamic_stack: false
    .vgpr_count:     47
    .vgpr_spill_count: 0
    .wavefront_size: 64
  - .agpr_count:     0
    .args:
      - .address_space:  global
        .offset:         0
        .size:           8
        .value_kind:     global_buffer
      - .address_space:  global
        .offset:         8
        .size:           8
        .value_kind:     global_buffer
      - .offset:         16
        .size:           4
        .value_kind:     by_value
      - .offset:         20
        .size:           4
        .value_kind:     by_value
      - .offset:         24
        .size:           4
        .value_kind:     by_value
      - .address_space:  global
        .offset:         32
        .size:           8
        .value_kind:     global_buffer
      - .offset:         40
        .size:           4
        .value_kind:     by_value
      - .offset:         44
        .size:           1
        .value_kind:     by_value
      - .offset:         48
        .size:           4
        .value_kind:     hidden_block_count_x
      - .offset:         52
        .size:           4
        .value_kind:     hidden_block_count_y
      - .offset:         56
        .size:           4
        .value_kind:     hidden_block_count_z
      - .offset:         60
        .size:           2
        .value_kind:     hidden_group_size_x
      - .offset:         62
        .size:           2
        .value_kind:     hidden_group_size_y
      - .offset:         64
        .size:           2
        .value_kind:     hidden_group_size_z
      - .offset:         66
        .size:           2
        .value_kind:     hidden_remainder_x
      - .offset:         68
        .size:           2
        .value_kind:     hidden_remainder_y
      - .offset:         70
        .size:           2
        .value_kind:     hidden_remainder_z
      - .offset:         88
        .size:           8
        .value_kind:     hidden_global_offset_x
      - .offset:         96
        .size:           8
        .value_kind:     hidden_global_offset_y
      - .offset:         104
        .size:           8
        .value_kind:     hidden_global_offset_z
      - .offset:         112
        .size:           2
        .value_kind:     hidden_grid_dims
    .group_segment_fixed_size: 0
    .kernarg_segment_align: 8
    .kernarg_segment_size: 304
    .language:       OpenCL C
    .language_version:
      - 2
      - 0
    .max_flat_workgroup_size: 1024
    .name:           _ZN12_GLOBAL__N_120softmax_warp_forwardIN3c108BFloat16EffLi11ELb1ELb0ELi64EEEvPT0_PKT_iiiPKbib
    .private_segment_fixed_size: 0
    .sgpr_count:     80
    .sgpr_spill_count: 0
    .symbol:         _ZN12_GLOBAL__N_120softmax_warp_forwardIN3c108BFloat16EffLi11ELb1ELb0ELi64EEEvPT0_PKT_iiiPKbib.kd
    .uniform_work_group_size: 1
    .uses_dynamic_stack: false
    .vgpr_count:     48
    .vgpr_spill_count: 0
    .wavefront_size: 64
  - .agpr_count:     0
    .args:
      - .address_space:  global
        .offset:         0
        .size:           8
        .value_kind:     global_buffer
      - .address_space:  global
        .offset:         8
        .size:           8
        .value_kind:     global_buffer
      - .offset:         16
        .size:           4
        .value_kind:     by_value
      - .offset:         20
        .size:           4
        .value_kind:     by_value
      - .offset:         24
        .size:           4
        .value_kind:     by_value
      - .address_space:  global
        .offset:         32
        .size:           8
        .value_kind:     global_buffer
      - .offset:         40
        .size:           4
        .value_kind:     by_value
      - .offset:         44
        .size:           1
        .value_kind:     by_value
      - .offset:         48
        .size:           4
        .value_kind:     hidden_block_count_x
      - .offset:         52
        .size:           4
        .value_kind:     hidden_block_count_y
      - .offset:         56
        .size:           4
        .value_kind:     hidden_block_count_z
      - .offset:         60
        .size:           2
        .value_kind:     hidden_group_size_x
      - .offset:         62
        .size:           2
        .value_kind:     hidden_group_size_y
      - .offset:         64
        .size:           2
        .value_kind:     hidden_group_size_z
      - .offset:         66
        .size:           2
        .value_kind:     hidden_remainder_x
      - .offset:         68
        .size:           2
        .value_kind:     hidden_remainder_y
      - .offset:         70
        .size:           2
        .value_kind:     hidden_remainder_z
      - .offset:         88
        .size:           8
        .value_kind:     hidden_global_offset_x
      - .offset:         96
        .size:           8
        .value_kind:     hidden_global_offset_y
      - .offset:         104
        .size:           8
        .value_kind:     hidden_global_offset_z
      - .offset:         112
        .size:           2
        .value_kind:     hidden_grid_dims
    .group_segment_fixed_size: 0
    .kernarg_segment_align: 8
    .kernarg_segment_size: 304
    .language:       OpenCL C
    .language_version:
      - 2
      - 0
    .max_flat_workgroup_size: 1024
    .name:           _ZN12_GLOBAL__N_120softmax_warp_forwardIN3c108BFloat16EffLi11ELb1ELb0ELi32EEEvPT0_PKT_iiiPKbib
    .private_segment_fixed_size: 0
    .sgpr_count:     100
    .sgpr_spill_count: 40
    .symbol:         _ZN12_GLOBAL__N_120softmax_warp_forwardIN3c108BFloat16EffLi11ELb1ELb0ELi32EEEvPT0_PKT_iiiPKbib.kd
    .uniform_work_group_size: 1
    .uses_dynamic_stack: false
    .vgpr_count:     80
    .vgpr_spill_count: 0
    .wavefront_size: 64
  - .agpr_count:     0
    .args:
      - .address_space:  global
        .offset:         0
        .size:           8
        .value_kind:     global_buffer
      - .address_space:  global
        .offset:         8
        .size:           8
        .value_kind:     global_buffer
      - .offset:         16
        .size:           8
        .value_kind:     by_value
      - .offset:         24
        .size:           4
        .value_kind:     hidden_block_count_x
      - .offset:         28
        .size:           4
        .value_kind:     hidden_block_count_y
      - .offset:         32
        .size:           4
        .value_kind:     hidden_block_count_z
      - .offset:         36
        .size:           2
        .value_kind:     hidden_group_size_x
      - .offset:         38
        .size:           2
        .value_kind:     hidden_group_size_y
      - .offset:         40
        .size:           2
        .value_kind:     hidden_group_size_z
      - .offset:         42
        .size:           2
        .value_kind:     hidden_remainder_x
      - .offset:         44
        .size:           2
        .value_kind:     hidden_remainder_y
      - .offset:         46
        .size:           2
        .value_kind:     hidden_remainder_z
      - .offset:         64
        .size:           8
        .value_kind:     hidden_global_offset_x
      - .offset:         72
        .size:           8
        .value_kind:     hidden_global_offset_y
      - .offset:         80
        .size:           8
        .value_kind:     hidden_global_offset_z
      - .offset:         88
        .size:           2
        .value_kind:     hidden_grid_dims
      - .offset:         144
        .size:           4
        .value_kind:     hidden_dynamic_lds_size
    .group_segment_fixed_size: 0
    .kernarg_segment_align: 8
    .kernarg_segment_size: 280
    .language:       OpenCL C
    .language_version:
      - 2
      - 0
    .max_flat_workgroup_size: 1024
    .name:           _ZN2at6native12_GLOBAL__N_123cunn_SoftMaxForwardSmemILi8EN3c108BFloat16EffNS1_25LogSoftMaxForwardEpilogueElEEvPT2_PKT0_T4_
    .private_segment_fixed_size: 0
    .sgpr_count:     46
    .sgpr_spill_count: 0
    .symbol:         _ZN2at6native12_GLOBAL__N_123cunn_SoftMaxForwardSmemILi8EN3c108BFloat16EffNS1_25LogSoftMaxForwardEpilogueElEEvPT2_PKT0_T4_.kd
    .uniform_work_group_size: 1
    .uses_dynamic_stack: false
    .vgpr_count:     50
    .vgpr_spill_count: 0
    .wavefront_size: 64
  - .agpr_count:     0
    .args:
      - .address_space:  global
        .offset:         0
        .size:           8
        .value_kind:     global_buffer
      - .address_space:  global
        .offset:         8
        .size:           8
        .value_kind:     global_buffer
      - .offset:         16
        .size:           4
        .value_kind:     by_value
      - .offset:         24
        .size:           4
        .value_kind:     hidden_block_count_x
      - .offset:         28
        .size:           4
        .value_kind:     hidden_block_count_y
      - .offset:         32
        .size:           4
        .value_kind:     hidden_block_count_z
      - .offset:         36
        .size:           2
        .value_kind:     hidden_group_size_x
      - .offset:         38
        .size:           2
        .value_kind:     hidden_group_size_y
      - .offset:         40
        .size:           2
        .value_kind:     hidden_group_size_z
      - .offset:         42
        .size:           2
        .value_kind:     hidden_remainder_x
      - .offset:         44
        .size:           2
        .value_kind:     hidden_remainder_y
      - .offset:         46
        .size:           2
        .value_kind:     hidden_remainder_z
      - .offset:         64
        .size:           8
        .value_kind:     hidden_global_offset_x
      - .offset:         72
        .size:           8
        .value_kind:     hidden_global_offset_y
      - .offset:         80
        .size:           8
        .value_kind:     hidden_global_offset_z
      - .offset:         88
        .size:           2
        .value_kind:     hidden_grid_dims
      - .offset:         144
        .size:           4
        .value_kind:     hidden_dynamic_lds_size
    .group_segment_fixed_size: 0
    .kernarg_segment_align: 8
    .kernarg_segment_size: 280
    .language:       OpenCL C
    .language_version:
      - 2
      - 0
    .max_flat_workgroup_size: 1024
    .name:           _ZN2at6native12_GLOBAL__N_119cunn_SoftMaxForwardILi8EN3c108BFloat16EffNS1_25LogSoftMaxForwardEpilogueEEEvPT2_PKT0_i
    .private_segment_fixed_size: 0
    .sgpr_count:     51
    .sgpr_spill_count: 0
    .symbol:         _ZN2at6native12_GLOBAL__N_119cunn_SoftMaxForwardILi8EN3c108BFloat16EffNS1_25LogSoftMaxForwardEpilogueEEEvPT2_PKT0_i.kd
    .uniform_work_group_size: 1
    .uses_dynamic_stack: false
    .vgpr_count:     48
    .vgpr_spill_count: 0
    .wavefront_size: 64
  - .agpr_count:     0
    .args:
      - .address_space:  global
        .offset:         0
        .size:           8
        .value_kind:     global_buffer
      - .address_space:  global
        .offset:         8
        .size:           8
        .value_kind:     global_buffer
      - .offset:         16
        .size:           4
        .value_kind:     by_value
      - .offset:         20
        .size:           4
        .value_kind:     by_value
      - .offset:         24
        .size:           4
        .value_kind:     by_value
      - .offset:         32
        .size:           4
        .value_kind:     hidden_block_count_x
      - .offset:         36
        .size:           4
        .value_kind:     hidden_block_count_y
      - .offset:         40
        .size:           4
        .value_kind:     hidden_block_count_z
      - .offset:         44
        .size:           2
        .value_kind:     hidden_group_size_x
      - .offset:         46
        .size:           2
        .value_kind:     hidden_group_size_y
      - .offset:         48
        .size:           2
        .value_kind:     hidden_group_size_z
      - .offset:         50
        .size:           2
        .value_kind:     hidden_remainder_x
      - .offset:         52
        .size:           2
        .value_kind:     hidden_remainder_y
      - .offset:         54
        .size:           2
        .value_kind:     hidden_remainder_z
      - .offset:         72
        .size:           8
        .value_kind:     hidden_global_offset_x
      - .offset:         80
        .size:           8
        .value_kind:     hidden_global_offset_y
      - .offset:         88
        .size:           8
        .value_kind:     hidden_global_offset_z
      - .offset:         96
        .size:           2
        .value_kind:     hidden_grid_dims
      - .offset:         152
        .size:           4
        .value_kind:     hidden_dynamic_lds_size
    .group_segment_fixed_size: 0
    .kernarg_segment_align: 8
    .kernarg_segment_size: 288
    .language:       OpenCL C
    .language_version:
      - 2
      - 0
    .max_flat_workgroup_size: 1024
    .name:           _ZN2at6native12_GLOBAL__N_126cunn_SpatialSoftMaxForwardIdddiNS1_25LogSoftMaxForwardEpilogueEEEvPT1_PKT_T2_S9_S9_
    .private_segment_fixed_size: 0
    .sgpr_count:     59
    .sgpr_spill_count: 0
    .symbol:         _ZN2at6native12_GLOBAL__N_126cunn_SpatialSoftMaxForwardIdddiNS1_25LogSoftMaxForwardEpilogueEEEvPT1_PKT_T2_S9_S9_.kd
    .uniform_work_group_size: 1
    .uses_dynamic_stack: false
    .vgpr_count:     62
    .vgpr_spill_count: 0
    .wavefront_size: 64
  - .agpr_count:     0
    .args:
      - .address_space:  global
        .offset:         0
        .size:           8
        .value_kind:     global_buffer
      - .address_space:  global
        .offset:         8
        .size:           8
        .value_kind:     global_buffer
      - .offset:         16
        .size:           8
        .value_kind:     by_value
      - .offset:         24
        .size:           8
        .value_kind:     by_value
      - .offset:         32
        .size:           8
        .value_kind:     by_value
      - .offset:         40
        .size:           4
        .value_kind:     hidden_block_count_x
      - .offset:         44
        .size:           4
        .value_kind:     hidden_block_count_y
      - .offset:         48
        .size:           4
        .value_kind:     hidden_block_count_z
      - .offset:         52
        .size:           2
        .value_kind:     hidden_group_size_x
      - .offset:         54
        .size:           2
        .value_kind:     hidden_group_size_y
      - .offset:         56
        .size:           2
        .value_kind:     hidden_group_size_z
      - .offset:         58
        .size:           2
        .value_kind:     hidden_remainder_x
      - .offset:         60
        .size:           2
        .value_kind:     hidden_remainder_y
      - .offset:         62
        .size:           2
        .value_kind:     hidden_remainder_z
      - .offset:         80
        .size:           8
        .value_kind:     hidden_global_offset_x
      - .offset:         88
        .size:           8
        .value_kind:     hidden_global_offset_y
      - .offset:         96
        .size:           8
        .value_kind:     hidden_global_offset_z
      - .offset:         104
        .size:           2
        .value_kind:     hidden_grid_dims
      - .offset:         160
        .size:           4
        .value_kind:     hidden_dynamic_lds_size
    .group_segment_fixed_size: 0
    .kernarg_segment_align: 8
    .kernarg_segment_size: 296
    .language:       OpenCL C
    .language_version:
      - 2
      - 0
    .max_flat_workgroup_size: 1024
    .name:           _ZN2at6native12_GLOBAL__N_126cunn_SpatialSoftMaxForwardIdddlNS1_25LogSoftMaxForwardEpilogueEEEvPT1_PKT_T2_S9_S9_
    .private_segment_fixed_size: 0
    .sgpr_count:     69
    .sgpr_spill_count: 0
    .symbol:         _ZN2at6native12_GLOBAL__N_126cunn_SpatialSoftMaxForwardIdddlNS1_25LogSoftMaxForwardEpilogueEEEvPT1_PKT_T2_S9_S9_.kd
    .uniform_work_group_size: 1
    .uses_dynamic_stack: false
    .vgpr_count:     78
    .vgpr_spill_count: 0
    .wavefront_size: 64
  - .agpr_count:     0
    .args:
      - .address_space:  global
        .offset:         0
        .size:           8
        .value_kind:     global_buffer
      - .address_space:  global
        .offset:         8
        .size:           8
        .value_kind:     global_buffer
      - .offset:         16
        .size:           4
        .value_kind:     by_value
      - .offset:         20
        .size:           4
        .value_kind:     by_value
      - .offset:         24
        .size:           4
        .value_kind:     by_value
      - .offset:         32
        .size:           4
        .value_kind:     hidden_block_count_x
      - .offset:         36
        .size:           4
        .value_kind:     hidden_block_count_y
      - .offset:         40
        .size:           4
        .value_kind:     hidden_block_count_z
      - .offset:         44
        .size:           2
        .value_kind:     hidden_group_size_x
      - .offset:         46
        .size:           2
        .value_kind:     hidden_group_size_y
      - .offset:         48
        .size:           2
        .value_kind:     hidden_group_size_z
      - .offset:         50
        .size:           2
        .value_kind:     hidden_remainder_x
      - .offset:         52
        .size:           2
        .value_kind:     hidden_remainder_y
      - .offset:         54
        .size:           2
        .value_kind:     hidden_remainder_z
      - .offset:         72
        .size:           8
        .value_kind:     hidden_global_offset_x
      - .offset:         80
        .size:           8
        .value_kind:     hidden_global_offset_y
      - .offset:         88
        .size:           8
        .value_kind:     hidden_global_offset_z
      - .offset:         96
        .size:           2
        .value_kind:     hidden_grid_dims
      - .offset:         152
        .size:           4
        .value_kind:     hidden_dynamic_lds_size
    .group_segment_fixed_size: 0
    .kernarg_segment_align: 8
    .kernarg_segment_size: 288
    .language:       OpenCL C
    .language_version:
      - 2
      - 0
    .max_flat_workgroup_size: 1024
    .name:           _ZN2at6native12_GLOBAL__N_126cunn_SpatialSoftMaxForwardIfffiNS1_25LogSoftMaxForwardEpilogueEEEvPT1_PKT_T2_S9_S9_
    .private_segment_fixed_size: 0
    .sgpr_count:     42
    .sgpr_spill_count: 0
    .symbol:         _ZN2at6native12_GLOBAL__N_126cunn_SpatialSoftMaxForwardIfffiNS1_25LogSoftMaxForwardEpilogueEEEvPT1_PKT_T2_S9_S9_.kd
    .uniform_work_group_size: 1
    .uses_dynamic_stack: false
    .vgpr_count:     20
    .vgpr_spill_count: 0
    .wavefront_size: 64
  - .agpr_count:     0
    .args:
      - .address_space:  global
        .offset:         0
        .size:           8
        .value_kind:     global_buffer
      - .address_space:  global
        .offset:         8
        .size:           8
        .value_kind:     global_buffer
      - .offset:         16
        .size:           8
        .value_kind:     by_value
      - .offset:         24
        .size:           8
        .value_kind:     by_value
      - .offset:         32
        .size:           8
        .value_kind:     by_value
      - .offset:         40
        .size:           4
        .value_kind:     hidden_block_count_x
      - .offset:         44
        .size:           4
        .value_kind:     hidden_block_count_y
      - .offset:         48
        .size:           4
        .value_kind:     hidden_block_count_z
      - .offset:         52
        .size:           2
        .value_kind:     hidden_group_size_x
      - .offset:         54
        .size:           2
        .value_kind:     hidden_group_size_y
      - .offset:         56
        .size:           2
        .value_kind:     hidden_group_size_z
      - .offset:         58
        .size:           2
        .value_kind:     hidden_remainder_x
      - .offset:         60
        .size:           2
        .value_kind:     hidden_remainder_y
      - .offset:         62
        .size:           2
        .value_kind:     hidden_remainder_z
      - .offset:         80
        .size:           8
        .value_kind:     hidden_global_offset_x
      - .offset:         88
        .size:           8
        .value_kind:     hidden_global_offset_y
      - .offset:         96
        .size:           8
        .value_kind:     hidden_global_offset_z
      - .offset:         104
        .size:           2
        .value_kind:     hidden_grid_dims
      - .offset:         160
        .size:           4
        .value_kind:     hidden_dynamic_lds_size
    .group_segment_fixed_size: 0
    .kernarg_segment_align: 8
    .kernarg_segment_size: 296
    .language:       OpenCL C
    .language_version:
      - 2
      - 0
    .max_flat_workgroup_size: 1024
    .name:           _ZN2at6native12_GLOBAL__N_126cunn_SpatialSoftMaxForwardIffflNS1_25LogSoftMaxForwardEpilogueEEEvPT1_PKT_T2_S9_S9_
    .private_segment_fixed_size: 0
    .sgpr_count:     52
    .sgpr_spill_count: 0
    .symbol:         _ZN2at6native12_GLOBAL__N_126cunn_SpatialSoftMaxForwardIffflNS1_25LogSoftMaxForwardEpilogueEEEvPT1_PKT_T2_S9_S9_.kd
    .uniform_work_group_size: 1
    .uses_dynamic_stack: false
    .vgpr_count:     36
    .vgpr_spill_count: 0
    .wavefront_size: 64
  - .agpr_count:     0
    .args:
      - .address_space:  global
        .offset:         0
        .size:           8
        .value_kind:     global_buffer
      - .address_space:  global
        .offset:         8
        .size:           8
        .value_kind:     global_buffer
      - .offset:         16
        .size:           4
        .value_kind:     by_value
      - .offset:         20
        .size:           4
        .value_kind:     by_value
      - .offset:         24
        .size:           4
        .value_kind:     by_value
      - .offset:         32
        .size:           4
        .value_kind:     hidden_block_count_x
      - .offset:         36
        .size:           4
        .value_kind:     hidden_block_count_y
      - .offset:         40
        .size:           4
        .value_kind:     hidden_block_count_z
      - .offset:         44
        .size:           2
        .value_kind:     hidden_group_size_x
      - .offset:         46
        .size:           2
        .value_kind:     hidden_group_size_y
      - .offset:         48
        .size:           2
        .value_kind:     hidden_group_size_z
      - .offset:         50
        .size:           2
        .value_kind:     hidden_remainder_x
      - .offset:         52
        .size:           2
        .value_kind:     hidden_remainder_y
      - .offset:         54
        .size:           2
        .value_kind:     hidden_remainder_z
      - .offset:         72
        .size:           8
        .value_kind:     hidden_global_offset_x
      - .offset:         80
        .size:           8
        .value_kind:     hidden_global_offset_y
      - .offset:         88
        .size:           8
        .value_kind:     hidden_global_offset_z
      - .offset:         96
        .size:           2
        .value_kind:     hidden_grid_dims
      - .offset:         152
        .size:           4
        .value_kind:     hidden_dynamic_lds_size
    .group_segment_fixed_size: 0
    .kernarg_segment_align: 8
    .kernarg_segment_size: 288
    .language:       OpenCL C
    .language_version:
      - 2
      - 0
    .max_flat_workgroup_size: 1024
    .name:           _ZN2at6native12_GLOBAL__N_126cunn_SpatialSoftMaxForwardIN3c104HalfEfS4_iNS1_25LogSoftMaxForwardEpilogueEEEvPT1_PKT_T2_SB_SB_
    .private_segment_fixed_size: 0
    .sgpr_count:     42
    .sgpr_spill_count: 0
    .symbol:         _ZN2at6native12_GLOBAL__N_126cunn_SpatialSoftMaxForwardIN3c104HalfEfS4_iNS1_25LogSoftMaxForwardEpilogueEEEvPT1_PKT_T2_SB_SB_.kd
    .uniform_work_group_size: 1
    .uses_dynamic_stack: false
    .vgpr_count:     20
    .vgpr_spill_count: 0
    .wavefront_size: 64
  - .agpr_count:     0
    .args:
      - .address_space:  global
        .offset:         0
        .size:           8
        .value_kind:     global_buffer
      - .address_space:  global
        .offset:         8
        .size:           8
        .value_kind:     global_buffer
      - .offset:         16
        .size:           4
        .value_kind:     by_value
      - .offset:         20
        .size:           4
        .value_kind:     by_value
      - .offset:         24
        .size:           4
        .value_kind:     by_value
      - .offset:         32
        .size:           4
        .value_kind:     hidden_block_count_x
      - .offset:         36
        .size:           4
        .value_kind:     hidden_block_count_y
      - .offset:         40
        .size:           4
        .value_kind:     hidden_block_count_z
      - .offset:         44
        .size:           2
        .value_kind:     hidden_group_size_x
      - .offset:         46
        .size:           2
        .value_kind:     hidden_group_size_y
      - .offset:         48
        .size:           2
        .value_kind:     hidden_group_size_z
      - .offset:         50
        .size:           2
        .value_kind:     hidden_remainder_x
      - .offset:         52
        .size:           2
        .value_kind:     hidden_remainder_y
      - .offset:         54
        .size:           2
        .value_kind:     hidden_remainder_z
      - .offset:         72
        .size:           8
        .value_kind:     hidden_global_offset_x
      - .offset:         80
        .size:           8
        .value_kind:     hidden_global_offset_y
      - .offset:         88
        .size:           8
        .value_kind:     hidden_global_offset_z
      - .offset:         96
        .size:           2
        .value_kind:     hidden_grid_dims
      - .offset:         152
        .size:           4
        .value_kind:     hidden_dynamic_lds_size
    .group_segment_fixed_size: 0
    .kernarg_segment_align: 8
    .kernarg_segment_size: 288
    .language:       OpenCL C
    .language_version:
      - 2
      - 0
    .max_flat_workgroup_size: 1024
    .name:           _ZN2at6native12_GLOBAL__N_126cunn_SpatialSoftMaxForwardIN3c104HalfEffiNS1_25LogSoftMaxForwardEpilogueEEEvPT1_PKT_T2_SB_SB_
    .private_segment_fixed_size: 0
    .sgpr_count:     42
    .sgpr_spill_count: 0
    .symbol:         _ZN2at6native12_GLOBAL__N_126cunn_SpatialSoftMaxForwardIN3c104HalfEffiNS1_25LogSoftMaxForwardEpilogueEEEvPT1_PKT_T2_SB_SB_.kd
    .uniform_work_group_size: 1
    .uses_dynamic_stack: false
    .vgpr_count:     20
    .vgpr_spill_count: 0
    .wavefront_size: 64
  - .agpr_count:     0
    .args:
      - .address_space:  global
        .offset:         0
        .size:           8
        .value_kind:     global_buffer
      - .address_space:  global
        .offset:         8
        .size:           8
        .value_kind:     global_buffer
      - .offset:         16
        .size:           8
        .value_kind:     by_value
      - .offset:         24
        .size:           8
        .value_kind:     by_value
      - .offset:         32
        .size:           8
        .value_kind:     by_value
      - .offset:         40
        .size:           4
        .value_kind:     hidden_block_count_x
      - .offset:         44
        .size:           4
        .value_kind:     hidden_block_count_y
      - .offset:         48
        .size:           4
        .value_kind:     hidden_block_count_z
      - .offset:         52
        .size:           2
        .value_kind:     hidden_group_size_x
      - .offset:         54
        .size:           2
        .value_kind:     hidden_group_size_y
      - .offset:         56
        .size:           2
        .value_kind:     hidden_group_size_z
      - .offset:         58
        .size:           2
        .value_kind:     hidden_remainder_x
      - .offset:         60
        .size:           2
        .value_kind:     hidden_remainder_y
      - .offset:         62
        .size:           2
        .value_kind:     hidden_remainder_z
      - .offset:         80
        .size:           8
        .value_kind:     hidden_global_offset_x
      - .offset:         88
        .size:           8
        .value_kind:     hidden_global_offset_y
      - .offset:         96
        .size:           8
        .value_kind:     hidden_global_offset_z
      - .offset:         104
        .size:           2
        .value_kind:     hidden_grid_dims
      - .offset:         160
        .size:           4
        .value_kind:     hidden_dynamic_lds_size
    .group_segment_fixed_size: 0
    .kernarg_segment_align: 8
    .kernarg_segment_size: 296
    .language:       OpenCL C
    .language_version:
      - 2
      - 0
    .max_flat_workgroup_size: 1024
    .name:           _ZN2at6native12_GLOBAL__N_126cunn_SpatialSoftMaxForwardIN3c104HalfEfS4_lNS1_25LogSoftMaxForwardEpilogueEEEvPT1_PKT_T2_SB_SB_
    .private_segment_fixed_size: 0
    .sgpr_count:     52
    .sgpr_spill_count: 0
    .symbol:         _ZN2at6native12_GLOBAL__N_126cunn_SpatialSoftMaxForwardIN3c104HalfEfS4_lNS1_25LogSoftMaxForwardEpilogueEEEvPT1_PKT_T2_SB_SB_.kd
    .uniform_work_group_size: 1
    .uses_dynamic_stack: false
    .vgpr_count:     36
    .vgpr_spill_count: 0
    .wavefront_size: 64
  - .agpr_count:     0
    .args:
      - .address_space:  global
        .offset:         0
        .size:           8
        .value_kind:     global_buffer
      - .address_space:  global
        .offset:         8
        .size:           8
        .value_kind:     global_buffer
      - .offset:         16
        .size:           8
        .value_kind:     by_value
      - .offset:         24
        .size:           8
        .value_kind:     by_value
      - .offset:         32
        .size:           8
        .value_kind:     by_value
      - .offset:         40
        .size:           4
        .value_kind:     hidden_block_count_x
      - .offset:         44
        .size:           4
        .value_kind:     hidden_block_count_y
      - .offset:         48
        .size:           4
        .value_kind:     hidden_block_count_z
      - .offset:         52
        .size:           2
        .value_kind:     hidden_group_size_x
      - .offset:         54
        .size:           2
        .value_kind:     hidden_group_size_y
      - .offset:         56
        .size:           2
        .value_kind:     hidden_group_size_z
      - .offset:         58
        .size:           2
        .value_kind:     hidden_remainder_x
      - .offset:         60
        .size:           2
        .value_kind:     hidden_remainder_y
      - .offset:         62
        .size:           2
        .value_kind:     hidden_remainder_z
      - .offset:         80
        .size:           8
        .value_kind:     hidden_global_offset_x
      - .offset:         88
        .size:           8
        .value_kind:     hidden_global_offset_y
      - .offset:         96
        .size:           8
        .value_kind:     hidden_global_offset_z
      - .offset:         104
        .size:           2
        .value_kind:     hidden_grid_dims
      - .offset:         160
        .size:           4
        .value_kind:     hidden_dynamic_lds_size
    .group_segment_fixed_size: 0
    .kernarg_segment_align: 8
    .kernarg_segment_size: 296
    .language:       OpenCL C
    .language_version:
      - 2
      - 0
    .max_flat_workgroup_size: 1024
    .name:           _ZN2at6native12_GLOBAL__N_126cunn_SpatialSoftMaxForwardIN3c104HalfEfflNS1_25LogSoftMaxForwardEpilogueEEEvPT1_PKT_T2_SB_SB_
    .private_segment_fixed_size: 0
    .sgpr_count:     80
    .sgpr_spill_count: 0
    .symbol:         _ZN2at6native12_GLOBAL__N_126cunn_SpatialSoftMaxForwardIN3c104HalfEfflNS1_25LogSoftMaxForwardEpilogueEEEvPT1_PKT_T2_SB_SB_.kd
    .uniform_work_group_size: 1
    .uses_dynamic_stack: false
    .vgpr_count:     63
    .vgpr_spill_count: 0
    .wavefront_size: 64
  - .agpr_count:     0
    .args:
      - .address_space:  global
        .offset:         0
        .size:           8
        .value_kind:     global_buffer
      - .address_space:  global
        .offset:         8
        .size:           8
        .value_kind:     global_buffer
      - .offset:         16
        .size:           4
        .value_kind:     by_value
      - .offset:         20
        .size:           4
        .value_kind:     by_value
      - .offset:         24
        .size:           4
        .value_kind:     by_value
      - .offset:         32
        .size:           4
        .value_kind:     hidden_block_count_x
      - .offset:         36
        .size:           4
        .value_kind:     hidden_block_count_y
      - .offset:         40
        .size:           4
        .value_kind:     hidden_block_count_z
      - .offset:         44
        .size:           2
        .value_kind:     hidden_group_size_x
      - .offset:         46
        .size:           2
        .value_kind:     hidden_group_size_y
      - .offset:         48
        .size:           2
        .value_kind:     hidden_group_size_z
      - .offset:         50
        .size:           2
        .value_kind:     hidden_remainder_x
      - .offset:         52
        .size:           2
        .value_kind:     hidden_remainder_y
      - .offset:         54
        .size:           2
        .value_kind:     hidden_remainder_z
      - .offset:         72
        .size:           8
        .value_kind:     hidden_global_offset_x
      - .offset:         80
        .size:           8
        .value_kind:     hidden_global_offset_y
      - .offset:         88
        .size:           8
        .value_kind:     hidden_global_offset_z
      - .offset:         96
        .size:           2
        .value_kind:     hidden_grid_dims
      - .offset:         152
        .size:           4
        .value_kind:     hidden_dynamic_lds_size
    .group_segment_fixed_size: 0
    .kernarg_segment_align: 8
    .kernarg_segment_size: 288
    .language:       OpenCL C
    .language_version:
      - 2
      - 0
    .max_flat_workgroup_size: 1024
    .name:           _ZN2at6native12_GLOBAL__N_126cunn_SpatialSoftMaxForwardIN3c108BFloat16EfS4_iNS1_25LogSoftMaxForwardEpilogueEEEvPT1_PKT_T2_SB_SB_
    .private_segment_fixed_size: 0
    .sgpr_count:     43
    .sgpr_spill_count: 0
    .symbol:         _ZN2at6native12_GLOBAL__N_126cunn_SpatialSoftMaxForwardIN3c108BFloat16EfS4_iNS1_25LogSoftMaxForwardEpilogueEEEvPT1_PKT_T2_SB_SB_.kd
    .uniform_work_group_size: 1
    .uses_dynamic_stack: false
    .vgpr_count:     22
    .vgpr_spill_count: 0
    .wavefront_size: 64
  - .agpr_count:     0
    .args:
      - .address_space:  global
        .offset:         0
        .size:           8
        .value_kind:     global_buffer
      - .address_space:  global
        .offset:         8
        .size:           8
        .value_kind:     global_buffer
      - .offset:         16
        .size:           4
        .value_kind:     by_value
      - .offset:         20
        .size:           4
        .value_kind:     by_value
      - .offset:         24
        .size:           4
        .value_kind:     by_value
      - .offset:         32
        .size:           4
        .value_kind:     hidden_block_count_x
      - .offset:         36
        .size:           4
        .value_kind:     hidden_block_count_y
      - .offset:         40
        .size:           4
        .value_kind:     hidden_block_count_z
      - .offset:         44
        .size:           2
        .value_kind:     hidden_group_size_x
      - .offset:         46
        .size:           2
        .value_kind:     hidden_group_size_y
      - .offset:         48
        .size:           2
        .value_kind:     hidden_group_size_z
      - .offset:         50
        .size:           2
        .value_kind:     hidden_remainder_x
      - .offset:         52
        .size:           2
        .value_kind:     hidden_remainder_y
      - .offset:         54
        .size:           2
        .value_kind:     hidden_remainder_z
      - .offset:         72
        .size:           8
        .value_kind:     hidden_global_offset_x
      - .offset:         80
        .size:           8
        .value_kind:     hidden_global_offset_y
      - .offset:         88
        .size:           8
        .value_kind:     hidden_global_offset_z
      - .offset:         96
        .size:           2
        .value_kind:     hidden_grid_dims
      - .offset:         152
        .size:           4
        .value_kind:     hidden_dynamic_lds_size
    .group_segment_fixed_size: 0
    .kernarg_segment_align: 8
    .kernarg_segment_size: 288
    .language:       OpenCL C
    .language_version:
      - 2
      - 0
    .max_flat_workgroup_size: 1024
    .name:           _ZN2at6native12_GLOBAL__N_126cunn_SpatialSoftMaxForwardIN3c108BFloat16EffiNS1_25LogSoftMaxForwardEpilogueEEEvPT1_PKT_T2_SB_SB_
    .private_segment_fixed_size: 0
    .sgpr_count:     42
    .sgpr_spill_count: 0
    .symbol:         _ZN2at6native12_GLOBAL__N_126cunn_SpatialSoftMaxForwardIN3c108BFloat16EffiNS1_25LogSoftMaxForwardEpilogueEEEvPT1_PKT_T2_SB_SB_.kd
    .uniform_work_group_size: 1
    .uses_dynamic_stack: false
    .vgpr_count:     20
    .vgpr_spill_count: 0
    .wavefront_size: 64
  - .agpr_count:     0
    .args:
      - .address_space:  global
        .offset:         0
        .size:           8
        .value_kind:     global_buffer
      - .address_space:  global
        .offset:         8
        .size:           8
        .value_kind:     global_buffer
      - .offset:         16
        .size:           8
        .value_kind:     by_value
      - .offset:         24
        .size:           8
        .value_kind:     by_value
      - .offset:         32
        .size:           8
        .value_kind:     by_value
      - .offset:         40
        .size:           4
        .value_kind:     hidden_block_count_x
      - .offset:         44
        .size:           4
        .value_kind:     hidden_block_count_y
      - .offset:         48
        .size:           4
        .value_kind:     hidden_block_count_z
      - .offset:         52
        .size:           2
        .value_kind:     hidden_group_size_x
      - .offset:         54
        .size:           2
        .value_kind:     hidden_group_size_y
      - .offset:         56
        .size:           2
        .value_kind:     hidden_group_size_z
      - .offset:         58
        .size:           2
        .value_kind:     hidden_remainder_x
      - .offset:         60
        .size:           2
        .value_kind:     hidden_remainder_y
      - .offset:         62
        .size:           2
        .value_kind:     hidden_remainder_z
      - .offset:         80
        .size:           8
        .value_kind:     hidden_global_offset_x
      - .offset:         88
        .size:           8
        .value_kind:     hidden_global_offset_y
      - .offset:         96
        .size:           8
        .value_kind:     hidden_global_offset_z
      - .offset:         104
        .size:           2
        .value_kind:     hidden_grid_dims
      - .offset:         160
        .size:           4
        .value_kind:     hidden_dynamic_lds_size
    .group_segment_fixed_size: 0
    .kernarg_segment_align: 8
    .kernarg_segment_size: 296
    .language:       OpenCL C
    .language_version:
      - 2
      - 0
    .max_flat_workgroup_size: 1024
    .name:           _ZN2at6native12_GLOBAL__N_126cunn_SpatialSoftMaxForwardIN3c108BFloat16EfS4_lNS1_25LogSoftMaxForwardEpilogueEEEvPT1_PKT_T2_SB_SB_
    .private_segment_fixed_size: 0
    .sgpr_count:     53
    .sgpr_spill_count: 0
    .symbol:         _ZN2at6native12_GLOBAL__N_126cunn_SpatialSoftMaxForwardIN3c108BFloat16EfS4_lNS1_25LogSoftMaxForwardEpilogueEEEvPT1_PKT_T2_SB_SB_.kd
    .uniform_work_group_size: 1
    .uses_dynamic_stack: false
    .vgpr_count:     37
    .vgpr_spill_count: 0
    .wavefront_size: 64
  - .agpr_count:     0
    .args:
      - .address_space:  global
        .offset:         0
        .size:           8
        .value_kind:     global_buffer
      - .address_space:  global
        .offset:         8
        .size:           8
        .value_kind:     global_buffer
      - .offset:         16
        .size:           8
        .value_kind:     by_value
      - .offset:         24
        .size:           8
        .value_kind:     by_value
      - .offset:         32
        .size:           8
        .value_kind:     by_value
      - .offset:         40
        .size:           4
        .value_kind:     hidden_block_count_x
      - .offset:         44
        .size:           4
        .value_kind:     hidden_block_count_y
      - .offset:         48
        .size:           4
        .value_kind:     hidden_block_count_z
      - .offset:         52
        .size:           2
        .value_kind:     hidden_group_size_x
      - .offset:         54
        .size:           2
        .value_kind:     hidden_group_size_y
      - .offset:         56
        .size:           2
        .value_kind:     hidden_group_size_z
      - .offset:         58
        .size:           2
        .value_kind:     hidden_remainder_x
      - .offset:         60
        .size:           2
        .value_kind:     hidden_remainder_y
      - .offset:         62
        .size:           2
        .value_kind:     hidden_remainder_z
      - .offset:         80
        .size:           8
        .value_kind:     hidden_global_offset_x
      - .offset:         88
        .size:           8
        .value_kind:     hidden_global_offset_y
      - .offset:         96
        .size:           8
        .value_kind:     hidden_global_offset_z
      - .offset:         104
        .size:           2
        .value_kind:     hidden_grid_dims
      - .offset:         160
        .size:           4
        .value_kind:     hidden_dynamic_lds_size
    .group_segment_fixed_size: 0
    .kernarg_segment_align: 8
    .kernarg_segment_size: 296
    .language:       OpenCL C
    .language_version:
      - 2
      - 0
    .max_flat_workgroup_size: 1024
    .name:           _ZN2at6native12_GLOBAL__N_126cunn_SpatialSoftMaxForwardIN3c108BFloat16EfflNS1_25LogSoftMaxForwardEpilogueEEEvPT1_PKT_T2_SB_SB_
    .private_segment_fixed_size: 0
    .sgpr_count:     80
    .sgpr_spill_count: 0
    .symbol:         _ZN2at6native12_GLOBAL__N_126cunn_SpatialSoftMaxForwardIN3c108BFloat16EfflNS1_25LogSoftMaxForwardEpilogueEEEvPT1_PKT_T2_SB_SB_.kd
    .uniform_work_group_size: 1
    .uses_dynamic_stack: false
    .vgpr_count:     63
    .vgpr_spill_count: 0
    .wavefront_size: 64
  - .agpr_count:     0
    .args:
      - .address_space:  global
        .offset:         0
        .size:           8
        .value_kind:     global_buffer
      - .address_space:  global
        .offset:         8
        .size:           8
        .value_kind:     global_buffer
      - .address_space:  global
        .offset:         16
        .size:           8
        .value_kind:     global_buffer
      - .offset:         24
        .size:           4
        .value_kind:     by_value
      - .offset:         28
        .size:           4
        .value_kind:     by_value
      - .offset:         32
        .size:           4
        .value_kind:     by_value
      - .address_space:  global
        .offset:         40
        .size:           8
        .value_kind:     global_buffer
      - .offset:         48
        .size:           4
        .value_kind:     hidden_block_count_x
      - .offset:         52
        .size:           4
        .value_kind:     hidden_block_count_y
      - .offset:         56
        .size:           4
        .value_kind:     hidden_block_count_z
      - .offset:         60
        .size:           2
        .value_kind:     hidden_group_size_x
      - .offset:         62
        .size:           2
        .value_kind:     hidden_group_size_y
      - .offset:         64
        .size:           2
        .value_kind:     hidden_group_size_z
      - .offset:         66
        .size:           2
        .value_kind:     hidden_remainder_x
      - .offset:         68
        .size:           2
        .value_kind:     hidden_remainder_y
      - .offset:         70
        .size:           2
        .value_kind:     hidden_remainder_z
      - .offset:         88
        .size:           8
        .value_kind:     hidden_global_offset_x
      - .offset:         96
        .size:           8
        .value_kind:     hidden_global_offset_y
      - .offset:         104
        .size:           8
        .value_kind:     hidden_global_offset_z
      - .offset:         112
        .size:           2
        .value_kind:     hidden_grid_dims
    .group_segment_fixed_size: 0
    .kernarg_segment_align: 8
    .kernarg_segment_size: 304
    .language:       OpenCL C
    .language_version:
      - 2
      - 0
    .max_flat_workgroup_size: 1024
    .name:           _ZN12_GLOBAL__N_121softmax_warp_backwardIdddLi0ELb1ELb0ELi64EEEvPT0_PKT_S5_iiiPKb
    .private_segment_fixed_size: 0
    .sgpr_count:     20
    .sgpr_spill_count: 0
    .symbol:         _ZN12_GLOBAL__N_121softmax_warp_backwardIdddLi0ELb1ELb0ELi64EEEvPT0_PKT_S5_iiiPKb.kd
    .uniform_work_group_size: 1
    .uses_dynamic_stack: false
    .vgpr_count:     22
    .vgpr_spill_count: 0
    .wavefront_size: 64
  - .agpr_count:     0
    .args:
      - .address_space:  global
        .offset:         0
        .size:           8
        .value_kind:     global_buffer
      - .address_space:  global
        .offset:         8
        .size:           8
        .value_kind:     global_buffer
      - .address_space:  global
        .offset:         16
        .size:           8
        .value_kind:     global_buffer
      - .offset:         24
        .size:           4
        .value_kind:     by_value
      - .offset:         28
        .size:           4
        .value_kind:     by_value
      - .offset:         32
        .size:           4
        .value_kind:     by_value
      - .address_space:  global
        .offset:         40
        .size:           8
        .value_kind:     global_buffer
      - .offset:         48
        .size:           4
        .value_kind:     hidden_block_count_x
      - .offset:         52
        .size:           4
        .value_kind:     hidden_block_count_y
      - .offset:         56
        .size:           4
        .value_kind:     hidden_block_count_z
      - .offset:         60
        .size:           2
        .value_kind:     hidden_group_size_x
      - .offset:         62
        .size:           2
        .value_kind:     hidden_group_size_y
      - .offset:         64
        .size:           2
        .value_kind:     hidden_group_size_z
      - .offset:         66
        .size:           2
        .value_kind:     hidden_remainder_x
      - .offset:         68
        .size:           2
        .value_kind:     hidden_remainder_y
      - .offset:         70
        .size:           2
        .value_kind:     hidden_remainder_z
      - .offset:         88
        .size:           8
        .value_kind:     hidden_global_offset_x
      - .offset:         96
        .size:           8
        .value_kind:     hidden_global_offset_y
      - .offset:         104
        .size:           8
        .value_kind:     hidden_global_offset_z
      - .offset:         112
        .size:           2
        .value_kind:     hidden_grid_dims
    .group_segment_fixed_size: 0
    .kernarg_segment_align: 8
    .kernarg_segment_size: 304
    .language:       OpenCL C
    .language_version:
      - 2
      - 0
    .max_flat_workgroup_size: 1024
    .name:           _ZN12_GLOBAL__N_121softmax_warp_backwardIdddLi0ELb1ELb0ELi32EEEvPT0_PKT_S5_iiiPKb
    .private_segment_fixed_size: 0
    .sgpr_count:     20
    .sgpr_spill_count: 0
    .symbol:         _ZN12_GLOBAL__N_121softmax_warp_backwardIdddLi0ELb1ELb0ELi32EEEvPT0_PKT_S5_iiiPKb.kd
    .uniform_work_group_size: 1
    .uses_dynamic_stack: false
    .vgpr_count:     22
    .vgpr_spill_count: 0
    .wavefront_size: 64
  - .agpr_count:     0
    .args:
      - .address_space:  global
        .offset:         0
        .size:           8
        .value_kind:     global_buffer
      - .address_space:  global
        .offset:         8
        .size:           8
        .value_kind:     global_buffer
      - .address_space:  global
        .offset:         16
        .size:           8
        .value_kind:     global_buffer
      - .offset:         24
        .size:           4
        .value_kind:     by_value
      - .offset:         28
        .size:           4
        .value_kind:     by_value
      - .offset:         32
        .size:           4
        .value_kind:     by_value
      - .address_space:  global
        .offset:         40
        .size:           8
        .value_kind:     global_buffer
      - .offset:         48
        .size:           4
        .value_kind:     hidden_block_count_x
      - .offset:         52
        .size:           4
        .value_kind:     hidden_block_count_y
      - .offset:         56
        .size:           4
        .value_kind:     hidden_block_count_z
      - .offset:         60
        .size:           2
        .value_kind:     hidden_group_size_x
      - .offset:         62
        .size:           2
        .value_kind:     hidden_group_size_y
      - .offset:         64
        .size:           2
        .value_kind:     hidden_group_size_z
      - .offset:         66
        .size:           2
        .value_kind:     hidden_remainder_x
      - .offset:         68
        .size:           2
        .value_kind:     hidden_remainder_y
      - .offset:         70
        .size:           2
        .value_kind:     hidden_remainder_z
      - .offset:         88
        .size:           8
        .value_kind:     hidden_global_offset_x
      - .offset:         96
        .size:           8
        .value_kind:     hidden_global_offset_y
      - .offset:         104
        .size:           8
        .value_kind:     hidden_global_offset_z
      - .offset:         112
        .size:           2
        .value_kind:     hidden_grid_dims
    .group_segment_fixed_size: 0
    .kernarg_segment_align: 8
    .kernarg_segment_size: 304
    .language:       OpenCL C
    .language_version:
      - 2
      - 0
    .max_flat_workgroup_size: 1024
    .name:           _ZN12_GLOBAL__N_121softmax_warp_backwardIdddLi1ELb1ELb0ELi64EEEvPT0_PKT_S5_iiiPKb
    .private_segment_fixed_size: 0
    .sgpr_count:     20
    .sgpr_spill_count: 0
    .symbol:         _ZN12_GLOBAL__N_121softmax_warp_backwardIdddLi1ELb1ELb0ELi64EEEvPT0_PKT_S5_iiiPKb.kd
    .uniform_work_group_size: 1
    .uses_dynamic_stack: false
    .vgpr_count:     26
    .vgpr_spill_count: 0
    .wavefront_size: 64
  - .agpr_count:     0
    .args:
      - .address_space:  global
        .offset:         0
        .size:           8
        .value_kind:     global_buffer
      - .address_space:  global
        .offset:         8
        .size:           8
        .value_kind:     global_buffer
      - .address_space:  global
        .offset:         16
        .size:           8
        .value_kind:     global_buffer
      - .offset:         24
        .size:           4
        .value_kind:     by_value
      - .offset:         28
        .size:           4
        .value_kind:     by_value
      - .offset:         32
        .size:           4
        .value_kind:     by_value
      - .address_space:  global
        .offset:         40
        .size:           8
        .value_kind:     global_buffer
      - .offset:         48
        .size:           4
        .value_kind:     hidden_block_count_x
      - .offset:         52
        .size:           4
        .value_kind:     hidden_block_count_y
      - .offset:         56
        .size:           4
        .value_kind:     hidden_block_count_z
      - .offset:         60
        .size:           2
        .value_kind:     hidden_group_size_x
      - .offset:         62
        .size:           2
        .value_kind:     hidden_group_size_y
      - .offset:         64
        .size:           2
        .value_kind:     hidden_group_size_z
      - .offset:         66
        .size:           2
        .value_kind:     hidden_remainder_x
      - .offset:         68
        .size:           2
        .value_kind:     hidden_remainder_y
      - .offset:         70
        .size:           2
        .value_kind:     hidden_remainder_z
      - .offset:         88
        .size:           8
        .value_kind:     hidden_global_offset_x
      - .offset:         96
        .size:           8
        .value_kind:     hidden_global_offset_y
      - .offset:         104
        .size:           8
        .value_kind:     hidden_global_offset_z
      - .offset:         112
        .size:           2
        .value_kind:     hidden_grid_dims
    .group_segment_fixed_size: 0
    .kernarg_segment_align: 8
    .kernarg_segment_size: 304
    .language:       OpenCL C
    .language_version:
      - 2
      - 0
    .max_flat_workgroup_size: 1024
    .name:           _ZN12_GLOBAL__N_121softmax_warp_backwardIdddLi1ELb1ELb0ELi32EEEvPT0_PKT_S5_iiiPKb
    .private_segment_fixed_size: 0
    .sgpr_count:     20
    .sgpr_spill_count: 0
    .symbol:         _ZN12_GLOBAL__N_121softmax_warp_backwardIdddLi1ELb1ELb0ELi32EEEvPT0_PKT_S5_iiiPKb.kd
    .uniform_work_group_size: 1
    .uses_dynamic_stack: false
    .vgpr_count:     26
    .vgpr_spill_count: 0
    .wavefront_size: 64
  - .agpr_count:     0
    .args:
      - .address_space:  global
        .offset:         0
        .size:           8
        .value_kind:     global_buffer
      - .address_space:  global
        .offset:         8
        .size:           8
        .value_kind:     global_buffer
      - .address_space:  global
        .offset:         16
        .size:           8
        .value_kind:     global_buffer
      - .offset:         24
        .size:           4
        .value_kind:     by_value
      - .offset:         28
        .size:           4
        .value_kind:     by_value
      - .offset:         32
        .size:           4
        .value_kind:     by_value
      - .address_space:  global
        .offset:         40
        .size:           8
        .value_kind:     global_buffer
      - .offset:         48
        .size:           4
        .value_kind:     hidden_block_count_x
      - .offset:         52
        .size:           4
        .value_kind:     hidden_block_count_y
      - .offset:         56
        .size:           4
        .value_kind:     hidden_block_count_z
      - .offset:         60
        .size:           2
        .value_kind:     hidden_group_size_x
      - .offset:         62
        .size:           2
        .value_kind:     hidden_group_size_y
      - .offset:         64
        .size:           2
        .value_kind:     hidden_group_size_z
      - .offset:         66
        .size:           2
        .value_kind:     hidden_remainder_x
      - .offset:         68
        .size:           2
        .value_kind:     hidden_remainder_y
      - .offset:         70
        .size:           2
        .value_kind:     hidden_remainder_z
      - .offset:         88
        .size:           8
        .value_kind:     hidden_global_offset_x
      - .offset:         96
        .size:           8
        .value_kind:     hidden_global_offset_y
      - .offset:         104
        .size:           8
        .value_kind:     hidden_global_offset_z
      - .offset:         112
        .size:           2
        .value_kind:     hidden_grid_dims
    .group_segment_fixed_size: 0
    .kernarg_segment_align: 8
    .kernarg_segment_size: 304
    .language:       OpenCL C
    .language_version:
      - 2
      - 0
    .max_flat_workgroup_size: 1024
    .name:           _ZN12_GLOBAL__N_121softmax_warp_backwardIdddLi2ELb1ELb0ELi64EEEvPT0_PKT_S5_iiiPKb
    .private_segment_fixed_size: 0
    .sgpr_count:     20
    .sgpr_spill_count: 0
    .symbol:         _ZN12_GLOBAL__N_121softmax_warp_backwardIdddLi2ELb1ELb0ELi64EEEvPT0_PKT_S5_iiiPKb.kd
    .uniform_work_group_size: 1
    .uses_dynamic_stack: false
    .vgpr_count:     26
    .vgpr_spill_count: 0
    .wavefront_size: 64
  - .agpr_count:     0
    .args:
      - .address_space:  global
        .offset:         0
        .size:           8
        .value_kind:     global_buffer
      - .address_space:  global
        .offset:         8
        .size:           8
        .value_kind:     global_buffer
      - .address_space:  global
        .offset:         16
        .size:           8
        .value_kind:     global_buffer
      - .offset:         24
        .size:           4
        .value_kind:     by_value
      - .offset:         28
        .size:           4
        .value_kind:     by_value
      - .offset:         32
        .size:           4
        .value_kind:     by_value
      - .address_space:  global
        .offset:         40
        .size:           8
        .value_kind:     global_buffer
      - .offset:         48
        .size:           4
        .value_kind:     hidden_block_count_x
      - .offset:         52
        .size:           4
        .value_kind:     hidden_block_count_y
      - .offset:         56
        .size:           4
        .value_kind:     hidden_block_count_z
      - .offset:         60
        .size:           2
        .value_kind:     hidden_group_size_x
      - .offset:         62
        .size:           2
        .value_kind:     hidden_group_size_y
      - .offset:         64
        .size:           2
        .value_kind:     hidden_group_size_z
      - .offset:         66
        .size:           2
        .value_kind:     hidden_remainder_x
      - .offset:         68
        .size:           2
        .value_kind:     hidden_remainder_y
      - .offset:         70
        .size:           2
        .value_kind:     hidden_remainder_z
      - .offset:         88
        .size:           8
        .value_kind:     hidden_global_offset_x
      - .offset:         96
        .size:           8
        .value_kind:     hidden_global_offset_y
      - .offset:         104
        .size:           8
        .value_kind:     hidden_global_offset_z
      - .offset:         112
        .size:           2
        .value_kind:     hidden_grid_dims
    .group_segment_fixed_size: 0
    .kernarg_segment_align: 8
    .kernarg_segment_size: 304
    .language:       OpenCL C
    .language_version:
      - 2
      - 0
    .max_flat_workgroup_size: 1024
    .name:           _ZN12_GLOBAL__N_121softmax_warp_backwardIdddLi2ELb1ELb0ELi32EEEvPT0_PKT_S5_iiiPKb
    .private_segment_fixed_size: 0
    .sgpr_count:     20
    .sgpr_spill_count: 0
    .symbol:         _ZN12_GLOBAL__N_121softmax_warp_backwardIdddLi2ELb1ELb0ELi32EEEvPT0_PKT_S5_iiiPKb.kd
    .uniform_work_group_size: 1
    .uses_dynamic_stack: false
    .vgpr_count:     26
    .vgpr_spill_count: 0
    .wavefront_size: 64
  - .agpr_count:     0
    .args:
      - .address_space:  global
        .offset:         0
        .size:           8
        .value_kind:     global_buffer
      - .address_space:  global
        .offset:         8
        .size:           8
        .value_kind:     global_buffer
      - .address_space:  global
        .offset:         16
        .size:           8
        .value_kind:     global_buffer
      - .offset:         24
        .size:           4
        .value_kind:     by_value
      - .offset:         28
        .size:           4
        .value_kind:     by_value
      - .offset:         32
        .size:           4
        .value_kind:     by_value
      - .address_space:  global
        .offset:         40
        .size:           8
        .value_kind:     global_buffer
      - .offset:         48
        .size:           4
        .value_kind:     hidden_block_count_x
      - .offset:         52
        .size:           4
        .value_kind:     hidden_block_count_y
      - .offset:         56
        .size:           4
        .value_kind:     hidden_block_count_z
      - .offset:         60
        .size:           2
        .value_kind:     hidden_group_size_x
      - .offset:         62
        .size:           2
        .value_kind:     hidden_group_size_y
      - .offset:         64
        .size:           2
        .value_kind:     hidden_group_size_z
      - .offset:         66
        .size:           2
        .value_kind:     hidden_remainder_x
      - .offset:         68
        .size:           2
        .value_kind:     hidden_remainder_y
      - .offset:         70
        .size:           2
        .value_kind:     hidden_remainder_z
      - .offset:         88
        .size:           8
        .value_kind:     hidden_global_offset_x
      - .offset:         96
        .size:           8
        .value_kind:     hidden_global_offset_y
      - .offset:         104
        .size:           8
        .value_kind:     hidden_global_offset_z
      - .offset:         112
        .size:           2
        .value_kind:     hidden_grid_dims
    .group_segment_fixed_size: 0
    .kernarg_segment_align: 8
    .kernarg_segment_size: 304
    .language:       OpenCL C
    .language_version:
      - 2
      - 0
    .max_flat_workgroup_size: 1024
    .name:           _ZN12_GLOBAL__N_121softmax_warp_backwardIdddLi3ELb1ELb0ELi64EEEvPT0_PKT_S5_iiiPKb
    .private_segment_fixed_size: 0
    .sgpr_count:     20
    .sgpr_spill_count: 0
    .symbol:         _ZN12_GLOBAL__N_121softmax_warp_backwardIdddLi3ELb1ELb0ELi64EEEvPT0_PKT_S5_iiiPKb.kd
    .uniform_work_group_size: 1
    .uses_dynamic_stack: false
    .vgpr_count:     26
    .vgpr_spill_count: 0
    .wavefront_size: 64
  - .agpr_count:     0
    .args:
      - .address_space:  global
        .offset:         0
        .size:           8
        .value_kind:     global_buffer
      - .address_space:  global
        .offset:         8
        .size:           8
        .value_kind:     global_buffer
      - .address_space:  global
        .offset:         16
        .size:           8
        .value_kind:     global_buffer
      - .offset:         24
        .size:           4
        .value_kind:     by_value
      - .offset:         28
        .size:           4
        .value_kind:     by_value
      - .offset:         32
        .size:           4
        .value_kind:     by_value
      - .address_space:  global
        .offset:         40
        .size:           8
        .value_kind:     global_buffer
      - .offset:         48
        .size:           4
        .value_kind:     hidden_block_count_x
      - .offset:         52
        .size:           4
        .value_kind:     hidden_block_count_y
      - .offset:         56
        .size:           4
        .value_kind:     hidden_block_count_z
      - .offset:         60
        .size:           2
        .value_kind:     hidden_group_size_x
      - .offset:         62
        .size:           2
        .value_kind:     hidden_group_size_y
      - .offset:         64
        .size:           2
        .value_kind:     hidden_group_size_z
      - .offset:         66
        .size:           2
        .value_kind:     hidden_remainder_x
      - .offset:         68
        .size:           2
        .value_kind:     hidden_remainder_y
      - .offset:         70
        .size:           2
        .value_kind:     hidden_remainder_z
      - .offset:         88
        .size:           8
        .value_kind:     hidden_global_offset_x
      - .offset:         96
        .size:           8
        .value_kind:     hidden_global_offset_y
      - .offset:         104
        .size:           8
        .value_kind:     hidden_global_offset_z
      - .offset:         112
        .size:           2
        .value_kind:     hidden_grid_dims
    .group_segment_fixed_size: 0
    .kernarg_segment_align: 8
    .kernarg_segment_size: 304
    .language:       OpenCL C
    .language_version:
      - 2
      - 0
    .max_flat_workgroup_size: 1024
    .name:           _ZN12_GLOBAL__N_121softmax_warp_backwardIdddLi3ELb1ELb0ELi32EEEvPT0_PKT_S5_iiiPKb
    .private_segment_fixed_size: 0
    .sgpr_count:     20
    .sgpr_spill_count: 0
    .symbol:         _ZN12_GLOBAL__N_121softmax_warp_backwardIdddLi3ELb1ELb0ELi32EEEvPT0_PKT_S5_iiiPKb.kd
    .uniform_work_group_size: 1
    .uses_dynamic_stack: false
    .vgpr_count:     26
    .vgpr_spill_count: 0
    .wavefront_size: 64
  - .agpr_count:     0
    .args:
      - .address_space:  global
        .offset:         0
        .size:           8
        .value_kind:     global_buffer
      - .address_space:  global
        .offset:         8
        .size:           8
        .value_kind:     global_buffer
      - .address_space:  global
        .offset:         16
        .size:           8
        .value_kind:     global_buffer
      - .offset:         24
        .size:           4
        .value_kind:     by_value
      - .offset:         28
        .size:           4
        .value_kind:     by_value
      - .offset:         32
        .size:           4
        .value_kind:     by_value
      - .address_space:  global
        .offset:         40
        .size:           8
        .value_kind:     global_buffer
      - .offset:         48
        .size:           4
        .value_kind:     hidden_block_count_x
      - .offset:         52
        .size:           4
        .value_kind:     hidden_block_count_y
      - .offset:         56
        .size:           4
        .value_kind:     hidden_block_count_z
      - .offset:         60
        .size:           2
        .value_kind:     hidden_group_size_x
      - .offset:         62
        .size:           2
        .value_kind:     hidden_group_size_y
      - .offset:         64
        .size:           2
        .value_kind:     hidden_group_size_z
      - .offset:         66
        .size:           2
        .value_kind:     hidden_remainder_x
      - .offset:         68
        .size:           2
        .value_kind:     hidden_remainder_y
      - .offset:         70
        .size:           2
        .value_kind:     hidden_remainder_z
      - .offset:         88
        .size:           8
        .value_kind:     hidden_global_offset_x
      - .offset:         96
        .size:           8
        .value_kind:     hidden_global_offset_y
      - .offset:         104
        .size:           8
        .value_kind:     hidden_global_offset_z
      - .offset:         112
        .size:           2
        .value_kind:     hidden_grid_dims
    .group_segment_fixed_size: 0
    .kernarg_segment_align: 8
    .kernarg_segment_size: 304
    .language:       OpenCL C
    .language_version:
      - 2
      - 0
    .max_flat_workgroup_size: 1024
    .name:           _ZN12_GLOBAL__N_121softmax_warp_backwardIdddLi4ELb1ELb0ELi64EEEvPT0_PKT_S5_iiiPKb
    .private_segment_fixed_size: 0
    .sgpr_count:     20
    .sgpr_spill_count: 0
    .symbol:         _ZN12_GLOBAL__N_121softmax_warp_backwardIdddLi4ELb1ELb0ELi64EEEvPT0_PKT_S5_iiiPKb.kd
    .uniform_work_group_size: 1
    .uses_dynamic_stack: false
    .vgpr_count:     26
    .vgpr_spill_count: 0
    .wavefront_size: 64
  - .agpr_count:     0
    .args:
      - .address_space:  global
        .offset:         0
        .size:           8
        .value_kind:     global_buffer
      - .address_space:  global
        .offset:         8
        .size:           8
        .value_kind:     global_buffer
      - .address_space:  global
        .offset:         16
        .size:           8
        .value_kind:     global_buffer
      - .offset:         24
        .size:           4
        .value_kind:     by_value
      - .offset:         28
        .size:           4
        .value_kind:     by_value
      - .offset:         32
        .size:           4
        .value_kind:     by_value
      - .address_space:  global
        .offset:         40
        .size:           8
        .value_kind:     global_buffer
      - .offset:         48
        .size:           4
        .value_kind:     hidden_block_count_x
      - .offset:         52
        .size:           4
        .value_kind:     hidden_block_count_y
      - .offset:         56
        .size:           4
        .value_kind:     hidden_block_count_z
      - .offset:         60
        .size:           2
        .value_kind:     hidden_group_size_x
      - .offset:         62
        .size:           2
        .value_kind:     hidden_group_size_y
      - .offset:         64
        .size:           2
        .value_kind:     hidden_group_size_z
      - .offset:         66
        .size:           2
        .value_kind:     hidden_remainder_x
      - .offset:         68
        .size:           2
        .value_kind:     hidden_remainder_y
      - .offset:         70
        .size:           2
        .value_kind:     hidden_remainder_z
      - .offset:         88
        .size:           8
        .value_kind:     hidden_global_offset_x
      - .offset:         96
        .size:           8
        .value_kind:     hidden_global_offset_y
      - .offset:         104
        .size:           8
        .value_kind:     hidden_global_offset_z
      - .offset:         112
        .size:           2
        .value_kind:     hidden_grid_dims
    .group_segment_fixed_size: 0
    .kernarg_segment_align: 8
    .kernarg_segment_size: 304
    .language:       OpenCL C
    .language_version:
      - 2
      - 0
    .max_flat_workgroup_size: 1024
    .name:           _ZN12_GLOBAL__N_121softmax_warp_backwardIdddLi4ELb1ELb0ELi32EEEvPT0_PKT_S5_iiiPKb
    .private_segment_fixed_size: 0
    .sgpr_count:     20
    .sgpr_spill_count: 0
    .symbol:         _ZN12_GLOBAL__N_121softmax_warp_backwardIdddLi4ELb1ELb0ELi32EEEvPT0_PKT_S5_iiiPKb.kd
    .uniform_work_group_size: 1
    .uses_dynamic_stack: false
    .vgpr_count:     26
    .vgpr_spill_count: 0
    .wavefront_size: 64
  - .agpr_count:     0
    .args:
      - .address_space:  global
        .offset:         0
        .size:           8
        .value_kind:     global_buffer
      - .address_space:  global
        .offset:         8
        .size:           8
        .value_kind:     global_buffer
      - .address_space:  global
        .offset:         16
        .size:           8
        .value_kind:     global_buffer
      - .offset:         24
        .size:           4
        .value_kind:     by_value
      - .offset:         28
        .size:           4
        .value_kind:     by_value
      - .offset:         32
        .size:           4
        .value_kind:     by_value
      - .address_space:  global
        .offset:         40
        .size:           8
        .value_kind:     global_buffer
      - .offset:         48
        .size:           4
        .value_kind:     hidden_block_count_x
      - .offset:         52
        .size:           4
        .value_kind:     hidden_block_count_y
      - .offset:         56
        .size:           4
        .value_kind:     hidden_block_count_z
      - .offset:         60
        .size:           2
        .value_kind:     hidden_group_size_x
      - .offset:         62
        .size:           2
        .value_kind:     hidden_group_size_y
      - .offset:         64
        .size:           2
        .value_kind:     hidden_group_size_z
      - .offset:         66
        .size:           2
        .value_kind:     hidden_remainder_x
      - .offset:         68
        .size:           2
        .value_kind:     hidden_remainder_y
      - .offset:         70
        .size:           2
        .value_kind:     hidden_remainder_z
      - .offset:         88
        .size:           8
        .value_kind:     hidden_global_offset_x
      - .offset:         96
        .size:           8
        .value_kind:     hidden_global_offset_y
      - .offset:         104
        .size:           8
        .value_kind:     hidden_global_offset_z
      - .offset:         112
        .size:           2
        .value_kind:     hidden_grid_dims
    .group_segment_fixed_size: 0
    .kernarg_segment_align: 8
    .kernarg_segment_size: 304
    .language:       OpenCL C
    .language_version:
      - 2
      - 0
    .max_flat_workgroup_size: 1024
    .name:           _ZN12_GLOBAL__N_121softmax_warp_backwardIdddLi5ELb1ELb0ELi64EEEvPT0_PKT_S5_iiiPKb
    .private_segment_fixed_size: 0
    .sgpr_count:     20
    .sgpr_spill_count: 0
    .symbol:         _ZN12_GLOBAL__N_121softmax_warp_backwardIdddLi5ELb1ELb0ELi64EEEvPT0_PKT_S5_iiiPKb.kd
    .uniform_work_group_size: 1
    .uses_dynamic_stack: false
    .vgpr_count:     26
    .vgpr_spill_count: 0
    .wavefront_size: 64
  - .agpr_count:     0
    .args:
      - .address_space:  global
        .offset:         0
        .size:           8
        .value_kind:     global_buffer
      - .address_space:  global
        .offset:         8
        .size:           8
        .value_kind:     global_buffer
      - .address_space:  global
        .offset:         16
        .size:           8
        .value_kind:     global_buffer
      - .offset:         24
        .size:           4
        .value_kind:     by_value
      - .offset:         28
        .size:           4
        .value_kind:     by_value
      - .offset:         32
        .size:           4
        .value_kind:     by_value
      - .address_space:  global
        .offset:         40
        .size:           8
        .value_kind:     global_buffer
      - .offset:         48
        .size:           4
        .value_kind:     hidden_block_count_x
      - .offset:         52
        .size:           4
        .value_kind:     hidden_block_count_y
      - .offset:         56
        .size:           4
        .value_kind:     hidden_block_count_z
      - .offset:         60
        .size:           2
        .value_kind:     hidden_group_size_x
      - .offset:         62
        .size:           2
        .value_kind:     hidden_group_size_y
      - .offset:         64
        .size:           2
        .value_kind:     hidden_group_size_z
      - .offset:         66
        .size:           2
        .value_kind:     hidden_remainder_x
      - .offset:         68
        .size:           2
        .value_kind:     hidden_remainder_y
      - .offset:         70
        .size:           2
        .value_kind:     hidden_remainder_z
      - .offset:         88
        .size:           8
        .value_kind:     hidden_global_offset_x
      - .offset:         96
        .size:           8
        .value_kind:     hidden_global_offset_y
      - .offset:         104
        .size:           8
        .value_kind:     hidden_global_offset_z
      - .offset:         112
        .size:           2
        .value_kind:     hidden_grid_dims
    .group_segment_fixed_size: 0
    .kernarg_segment_align: 8
    .kernarg_segment_size: 304
    .language:       OpenCL C
    .language_version:
      - 2
      - 0
    .max_flat_workgroup_size: 1024
    .name:           _ZN12_GLOBAL__N_121softmax_warp_backwardIdddLi5ELb1ELb0ELi32EEEvPT0_PKT_S5_iiiPKb
    .private_segment_fixed_size: 0
    .sgpr_count:     20
    .sgpr_spill_count: 0
    .symbol:         _ZN12_GLOBAL__N_121softmax_warp_backwardIdddLi5ELb1ELb0ELi32EEEvPT0_PKT_S5_iiiPKb.kd
    .uniform_work_group_size: 1
    .uses_dynamic_stack: false
    .vgpr_count:     26
    .vgpr_spill_count: 0
    .wavefront_size: 64
  - .agpr_count:     0
    .args:
      - .address_space:  global
        .offset:         0
        .size:           8
        .value_kind:     global_buffer
      - .address_space:  global
        .offset:         8
        .size:           8
        .value_kind:     global_buffer
      - .address_space:  global
        .offset:         16
        .size:           8
        .value_kind:     global_buffer
      - .offset:         24
        .size:           4
        .value_kind:     by_value
      - .offset:         28
        .size:           4
        .value_kind:     by_value
      - .offset:         32
        .size:           4
        .value_kind:     by_value
      - .address_space:  global
        .offset:         40
        .size:           8
        .value_kind:     global_buffer
      - .offset:         48
        .size:           4
        .value_kind:     hidden_block_count_x
      - .offset:         52
        .size:           4
        .value_kind:     hidden_block_count_y
      - .offset:         56
        .size:           4
        .value_kind:     hidden_block_count_z
      - .offset:         60
        .size:           2
        .value_kind:     hidden_group_size_x
      - .offset:         62
        .size:           2
        .value_kind:     hidden_group_size_y
      - .offset:         64
        .size:           2
        .value_kind:     hidden_group_size_z
      - .offset:         66
        .size:           2
        .value_kind:     hidden_remainder_x
      - .offset:         68
        .size:           2
        .value_kind:     hidden_remainder_y
      - .offset:         70
        .size:           2
        .value_kind:     hidden_remainder_z
      - .offset:         88
        .size:           8
        .value_kind:     hidden_global_offset_x
      - .offset:         96
        .size:           8
        .value_kind:     hidden_global_offset_y
      - .offset:         104
        .size:           8
        .value_kind:     hidden_global_offset_z
      - .offset:         112
        .size:           2
        .value_kind:     hidden_grid_dims
    .group_segment_fixed_size: 0
    .kernarg_segment_align: 8
    .kernarg_segment_size: 304
    .language:       OpenCL C
    .language_version:
      - 2
      - 0
    .max_flat_workgroup_size: 1024
    .name:           _ZN12_GLOBAL__N_121softmax_warp_backwardIdddLi6ELb1ELb0ELi64EEEvPT0_PKT_S5_iiiPKb
    .private_segment_fixed_size: 0
    .sgpr_count:     20
    .sgpr_spill_count: 0
    .symbol:         _ZN12_GLOBAL__N_121softmax_warp_backwardIdddLi6ELb1ELb0ELi64EEEvPT0_PKT_S5_iiiPKb.kd
    .uniform_work_group_size: 1
    .uses_dynamic_stack: false
    .vgpr_count:     26
    .vgpr_spill_count: 0
    .wavefront_size: 64
  - .agpr_count:     0
    .args:
      - .address_space:  global
        .offset:         0
        .size:           8
        .value_kind:     global_buffer
      - .address_space:  global
        .offset:         8
        .size:           8
        .value_kind:     global_buffer
      - .address_space:  global
        .offset:         16
        .size:           8
        .value_kind:     global_buffer
      - .offset:         24
        .size:           4
        .value_kind:     by_value
      - .offset:         28
        .size:           4
        .value_kind:     by_value
      - .offset:         32
        .size:           4
        .value_kind:     by_value
      - .address_space:  global
        .offset:         40
        .size:           8
        .value_kind:     global_buffer
      - .offset:         48
        .size:           4
        .value_kind:     hidden_block_count_x
      - .offset:         52
        .size:           4
        .value_kind:     hidden_block_count_y
      - .offset:         56
        .size:           4
        .value_kind:     hidden_block_count_z
      - .offset:         60
        .size:           2
        .value_kind:     hidden_group_size_x
      - .offset:         62
        .size:           2
        .value_kind:     hidden_group_size_y
      - .offset:         64
        .size:           2
        .value_kind:     hidden_group_size_z
      - .offset:         66
        .size:           2
        .value_kind:     hidden_remainder_x
      - .offset:         68
        .size:           2
        .value_kind:     hidden_remainder_y
      - .offset:         70
        .size:           2
        .value_kind:     hidden_remainder_z
      - .offset:         88
        .size:           8
        .value_kind:     hidden_global_offset_x
      - .offset:         96
        .size:           8
        .value_kind:     hidden_global_offset_y
      - .offset:         104
        .size:           8
        .value_kind:     hidden_global_offset_z
      - .offset:         112
        .size:           2
        .value_kind:     hidden_grid_dims
    .group_segment_fixed_size: 0
    .kernarg_segment_align: 8
    .kernarg_segment_size: 304
    .language:       OpenCL C
    .language_version:
      - 2
      - 0
    .max_flat_workgroup_size: 1024
    .name:           _ZN12_GLOBAL__N_121softmax_warp_backwardIdddLi6ELb1ELb0ELi32EEEvPT0_PKT_S5_iiiPKb
    .private_segment_fixed_size: 0
    .sgpr_count:     20
    .sgpr_spill_count: 0
    .symbol:         _ZN12_GLOBAL__N_121softmax_warp_backwardIdddLi6ELb1ELb0ELi32EEEvPT0_PKT_S5_iiiPKb.kd
    .uniform_work_group_size: 1
    .uses_dynamic_stack: false
    .vgpr_count:     34
    .vgpr_spill_count: 0
    .wavefront_size: 64
  - .agpr_count:     0
    .args:
      - .address_space:  global
        .offset:         0
        .size:           8
        .value_kind:     global_buffer
      - .address_space:  global
        .offset:         8
        .size:           8
        .value_kind:     global_buffer
      - .address_space:  global
        .offset:         16
        .size:           8
        .value_kind:     global_buffer
      - .offset:         24
        .size:           4
        .value_kind:     by_value
      - .offset:         28
        .size:           4
        .value_kind:     by_value
      - .offset:         32
        .size:           4
        .value_kind:     by_value
      - .address_space:  global
        .offset:         40
        .size:           8
        .value_kind:     global_buffer
      - .offset:         48
        .size:           4
        .value_kind:     hidden_block_count_x
      - .offset:         52
        .size:           4
        .value_kind:     hidden_block_count_y
      - .offset:         56
        .size:           4
        .value_kind:     hidden_block_count_z
      - .offset:         60
        .size:           2
        .value_kind:     hidden_group_size_x
      - .offset:         62
        .size:           2
        .value_kind:     hidden_group_size_y
      - .offset:         64
        .size:           2
        .value_kind:     hidden_group_size_z
      - .offset:         66
        .size:           2
        .value_kind:     hidden_remainder_x
      - .offset:         68
        .size:           2
        .value_kind:     hidden_remainder_y
      - .offset:         70
        .size:           2
        .value_kind:     hidden_remainder_z
      - .offset:         88
        .size:           8
        .value_kind:     hidden_global_offset_x
      - .offset:         96
        .size:           8
        .value_kind:     hidden_global_offset_y
      - .offset:         104
        .size:           8
        .value_kind:     hidden_global_offset_z
      - .offset:         112
        .size:           2
        .value_kind:     hidden_grid_dims
    .group_segment_fixed_size: 0
    .kernarg_segment_align: 8
    .kernarg_segment_size: 304
    .language:       OpenCL C
    .language_version:
      - 2
      - 0
    .max_flat_workgroup_size: 1024
    .name:           _ZN12_GLOBAL__N_121softmax_warp_backwardIdddLi7ELb1ELb0ELi64EEEvPT0_PKT_S5_iiiPKb
    .private_segment_fixed_size: 0
    .sgpr_count:     20
    .sgpr_spill_count: 0
    .symbol:         _ZN12_GLOBAL__N_121softmax_warp_backwardIdddLi7ELb1ELb0ELi64EEEvPT0_PKT_S5_iiiPKb.kd
    .uniform_work_group_size: 1
    .uses_dynamic_stack: false
    .vgpr_count:     34
    .vgpr_spill_count: 0
    .wavefront_size: 64
  - .agpr_count:     0
    .args:
      - .address_space:  global
        .offset:         0
        .size:           8
        .value_kind:     global_buffer
      - .address_space:  global
        .offset:         8
        .size:           8
        .value_kind:     global_buffer
      - .address_space:  global
        .offset:         16
        .size:           8
        .value_kind:     global_buffer
      - .offset:         24
        .size:           4
        .value_kind:     by_value
      - .offset:         28
        .size:           4
        .value_kind:     by_value
      - .offset:         32
        .size:           4
        .value_kind:     by_value
      - .address_space:  global
        .offset:         40
        .size:           8
        .value_kind:     global_buffer
      - .offset:         48
        .size:           4
        .value_kind:     hidden_block_count_x
      - .offset:         52
        .size:           4
        .value_kind:     hidden_block_count_y
      - .offset:         56
        .size:           4
        .value_kind:     hidden_block_count_z
      - .offset:         60
        .size:           2
        .value_kind:     hidden_group_size_x
      - .offset:         62
        .size:           2
        .value_kind:     hidden_group_size_y
      - .offset:         64
        .size:           2
        .value_kind:     hidden_group_size_z
      - .offset:         66
        .size:           2
        .value_kind:     hidden_remainder_x
      - .offset:         68
        .size:           2
        .value_kind:     hidden_remainder_y
      - .offset:         70
        .size:           2
        .value_kind:     hidden_remainder_z
      - .offset:         88
        .size:           8
        .value_kind:     hidden_global_offset_x
      - .offset:         96
        .size:           8
        .value_kind:     hidden_global_offset_y
      - .offset:         104
        .size:           8
        .value_kind:     hidden_global_offset_z
      - .offset:         112
        .size:           2
        .value_kind:     hidden_grid_dims
    .group_segment_fixed_size: 0
    .kernarg_segment_align: 8
    .kernarg_segment_size: 304
    .language:       OpenCL C
    .language_version:
      - 2
      - 0
    .max_flat_workgroup_size: 1024
    .name:           _ZN12_GLOBAL__N_121softmax_warp_backwardIdddLi7ELb1ELb0ELi32EEEvPT0_PKT_S5_iiiPKb
    .private_segment_fixed_size: 0
    .sgpr_count:     24
    .sgpr_spill_count: 0
    .symbol:         _ZN12_GLOBAL__N_121softmax_warp_backwardIdddLi7ELb1ELb0ELi32EEEvPT0_PKT_S5_iiiPKb.kd
    .uniform_work_group_size: 1
    .uses_dynamic_stack: false
    .vgpr_count:     50
    .vgpr_spill_count: 0
    .wavefront_size: 64
  - .agpr_count:     0
    .args:
      - .address_space:  global
        .offset:         0
        .size:           8
        .value_kind:     global_buffer
      - .address_space:  global
        .offset:         8
        .size:           8
        .value_kind:     global_buffer
      - .address_space:  global
        .offset:         16
        .size:           8
        .value_kind:     global_buffer
      - .offset:         24
        .size:           4
        .value_kind:     by_value
      - .offset:         28
        .size:           4
        .value_kind:     by_value
      - .offset:         32
        .size:           4
        .value_kind:     by_value
      - .address_space:  global
        .offset:         40
        .size:           8
        .value_kind:     global_buffer
      - .offset:         48
        .size:           4
        .value_kind:     hidden_block_count_x
      - .offset:         52
        .size:           4
        .value_kind:     hidden_block_count_y
      - .offset:         56
        .size:           4
        .value_kind:     hidden_block_count_z
      - .offset:         60
        .size:           2
        .value_kind:     hidden_group_size_x
      - .offset:         62
        .size:           2
        .value_kind:     hidden_group_size_y
      - .offset:         64
        .size:           2
        .value_kind:     hidden_group_size_z
      - .offset:         66
        .size:           2
        .value_kind:     hidden_remainder_x
      - .offset:         68
        .size:           2
        .value_kind:     hidden_remainder_y
      - .offset:         70
        .size:           2
        .value_kind:     hidden_remainder_z
      - .offset:         88
        .size:           8
        .value_kind:     hidden_global_offset_x
      - .offset:         96
        .size:           8
        .value_kind:     hidden_global_offset_y
      - .offset:         104
        .size:           8
        .value_kind:     hidden_global_offset_z
      - .offset:         112
        .size:           2
        .value_kind:     hidden_grid_dims
    .group_segment_fixed_size: 0
    .kernarg_segment_align: 8
    .kernarg_segment_size: 304
    .language:       OpenCL C
    .language_version:
      - 2
      - 0
    .max_flat_workgroup_size: 1024
    .name:           _ZN12_GLOBAL__N_121softmax_warp_backwardIdddLi8ELb1ELb0ELi64EEEvPT0_PKT_S5_iiiPKb
    .private_segment_fixed_size: 0
    .sgpr_count:     20
    .sgpr_spill_count: 0
    .symbol:         _ZN12_GLOBAL__N_121softmax_warp_backwardIdddLi8ELb1ELb0ELi64EEEvPT0_PKT_S5_iiiPKb.kd
    .uniform_work_group_size: 1
    .uses_dynamic_stack: false
    .vgpr_count:     28
    .vgpr_spill_count: 0
    .wavefront_size: 64
  - .agpr_count:     0
    .args:
      - .address_space:  global
        .offset:         0
        .size:           8
        .value_kind:     global_buffer
      - .address_space:  global
        .offset:         8
        .size:           8
        .value_kind:     global_buffer
      - .address_space:  global
        .offset:         16
        .size:           8
        .value_kind:     global_buffer
      - .offset:         24
        .size:           4
        .value_kind:     by_value
      - .offset:         28
        .size:           4
        .value_kind:     by_value
      - .offset:         32
        .size:           4
        .value_kind:     by_value
      - .address_space:  global
        .offset:         40
        .size:           8
        .value_kind:     global_buffer
      - .offset:         48
        .size:           4
        .value_kind:     hidden_block_count_x
      - .offset:         52
        .size:           4
        .value_kind:     hidden_block_count_y
      - .offset:         56
        .size:           4
        .value_kind:     hidden_block_count_z
      - .offset:         60
        .size:           2
        .value_kind:     hidden_group_size_x
      - .offset:         62
        .size:           2
        .value_kind:     hidden_group_size_y
      - .offset:         64
        .size:           2
        .value_kind:     hidden_group_size_z
      - .offset:         66
        .size:           2
        .value_kind:     hidden_remainder_x
      - .offset:         68
        .size:           2
        .value_kind:     hidden_remainder_y
      - .offset:         70
        .size:           2
        .value_kind:     hidden_remainder_z
      - .offset:         88
        .size:           8
        .value_kind:     hidden_global_offset_x
      - .offset:         96
        .size:           8
        .value_kind:     hidden_global_offset_y
      - .offset:         104
        .size:           8
        .value_kind:     hidden_global_offset_z
      - .offset:         112
        .size:           2
        .value_kind:     hidden_grid_dims
    .group_segment_fixed_size: 0
    .kernarg_segment_align: 8
    .kernarg_segment_size: 304
    .language:       OpenCL C
    .language_version:
      - 2
      - 0
    .max_flat_workgroup_size: 1024
    .name:           _ZN12_GLOBAL__N_121softmax_warp_backwardIdddLi8ELb1ELb0ELi32EEEvPT0_PKT_S5_iiiPKb
    .private_segment_fixed_size: 0
    .sgpr_count:     28
    .sgpr_spill_count: 0
    .symbol:         _ZN12_GLOBAL__N_121softmax_warp_backwardIdddLi8ELb1ELb0ELi32EEEvPT0_PKT_S5_iiiPKb.kd
    .uniform_work_group_size: 1
    .uses_dynamic_stack: false
    .vgpr_count:     44
    .vgpr_spill_count: 0
    .wavefront_size: 64
  - .agpr_count:     0
    .args:
      - .address_space:  global
        .offset:         0
        .size:           8
        .value_kind:     global_buffer
      - .address_space:  global
        .offset:         8
        .size:           8
        .value_kind:     global_buffer
      - .address_space:  global
        .offset:         16
        .size:           8
        .value_kind:     global_buffer
      - .offset:         24
        .size:           4
        .value_kind:     by_value
      - .offset:         28
        .size:           4
        .value_kind:     by_value
      - .offset:         32
        .size:           4
        .value_kind:     by_value
      - .address_space:  global
        .offset:         40
        .size:           8
        .value_kind:     global_buffer
      - .offset:         48
        .size:           4
        .value_kind:     hidden_block_count_x
      - .offset:         52
        .size:           4
        .value_kind:     hidden_block_count_y
      - .offset:         56
        .size:           4
        .value_kind:     hidden_block_count_z
      - .offset:         60
        .size:           2
        .value_kind:     hidden_group_size_x
      - .offset:         62
        .size:           2
        .value_kind:     hidden_group_size_y
      - .offset:         64
        .size:           2
        .value_kind:     hidden_group_size_z
      - .offset:         66
        .size:           2
        .value_kind:     hidden_remainder_x
      - .offset:         68
        .size:           2
        .value_kind:     hidden_remainder_y
      - .offset:         70
        .size:           2
        .value_kind:     hidden_remainder_z
      - .offset:         88
        .size:           8
        .value_kind:     hidden_global_offset_x
      - .offset:         96
        .size:           8
        .value_kind:     hidden_global_offset_y
      - .offset:         104
        .size:           8
        .value_kind:     hidden_global_offset_z
      - .offset:         112
        .size:           2
        .value_kind:     hidden_grid_dims
    .group_segment_fixed_size: 0
    .kernarg_segment_align: 8
    .kernarg_segment_size: 304
    .language:       OpenCL C
    .language_version:
      - 2
      - 0
    .max_flat_workgroup_size: 1024
    .name:           _ZN12_GLOBAL__N_121softmax_warp_backwardIdddLi9ELb1ELb0ELi64EEEvPT0_PKT_S5_iiiPKb
    .private_segment_fixed_size: 0
    .sgpr_count:     28
    .sgpr_spill_count: 0
    .symbol:         _ZN12_GLOBAL__N_121softmax_warp_backwardIdddLi9ELb1ELb0ELi64EEEvPT0_PKT_S5_iiiPKb.kd
    .uniform_work_group_size: 1
    .uses_dynamic_stack: false
    .vgpr_count:     44
    .vgpr_spill_count: 0
    .wavefront_size: 64
  - .agpr_count:     0
    .args:
      - .address_space:  global
        .offset:         0
        .size:           8
        .value_kind:     global_buffer
      - .address_space:  global
        .offset:         8
        .size:           8
        .value_kind:     global_buffer
      - .address_space:  global
        .offset:         16
        .size:           8
        .value_kind:     global_buffer
      - .offset:         24
        .size:           4
        .value_kind:     by_value
      - .offset:         28
        .size:           4
        .value_kind:     by_value
      - .offset:         32
        .size:           4
        .value_kind:     by_value
      - .address_space:  global
        .offset:         40
        .size:           8
        .value_kind:     global_buffer
      - .offset:         48
        .size:           4
        .value_kind:     hidden_block_count_x
      - .offset:         52
        .size:           4
        .value_kind:     hidden_block_count_y
      - .offset:         56
        .size:           4
        .value_kind:     hidden_block_count_z
      - .offset:         60
        .size:           2
        .value_kind:     hidden_group_size_x
      - .offset:         62
        .size:           2
        .value_kind:     hidden_group_size_y
      - .offset:         64
        .size:           2
        .value_kind:     hidden_group_size_z
      - .offset:         66
        .size:           2
        .value_kind:     hidden_remainder_x
      - .offset:         68
        .size:           2
        .value_kind:     hidden_remainder_y
      - .offset:         70
        .size:           2
        .value_kind:     hidden_remainder_z
      - .offset:         88
        .size:           8
        .value_kind:     hidden_global_offset_x
      - .offset:         96
        .size:           8
        .value_kind:     hidden_global_offset_y
      - .offset:         104
        .size:           8
        .value_kind:     hidden_global_offset_z
      - .offset:         112
        .size:           2
        .value_kind:     hidden_grid_dims
    .group_segment_fixed_size: 0
    .kernarg_segment_align: 8
    .kernarg_segment_size: 304
    .language:       OpenCL C
    .language_version:
      - 2
      - 0
    .max_flat_workgroup_size: 1024
    .name:           _ZN12_GLOBAL__N_121softmax_warp_backwardIdddLi9ELb1ELb0ELi32EEEvPT0_PKT_S5_iiiPKb
    .private_segment_fixed_size: 0
    .sgpr_count:     48
    .sgpr_spill_count: 0
    .symbol:         _ZN12_GLOBAL__N_121softmax_warp_backwardIdddLi9ELb1ELb0ELi32EEEvPT0_PKT_S5_iiiPKb.kd
    .uniform_work_group_size: 1
    .uses_dynamic_stack: false
    .vgpr_count:     76
    .vgpr_spill_count: 0
    .wavefront_size: 64
  - .agpr_count:     0
    .args:
      - .address_space:  global
        .offset:         0
        .size:           8
        .value_kind:     global_buffer
      - .address_space:  global
        .offset:         8
        .size:           8
        .value_kind:     global_buffer
      - .address_space:  global
        .offset:         16
        .size:           8
        .value_kind:     global_buffer
      - .offset:         24
        .size:           4
        .value_kind:     by_value
      - .offset:         28
        .size:           4
        .value_kind:     by_value
      - .offset:         32
        .size:           4
        .value_kind:     by_value
      - .address_space:  global
        .offset:         40
        .size:           8
        .value_kind:     global_buffer
      - .offset:         48
        .size:           4
        .value_kind:     hidden_block_count_x
      - .offset:         52
        .size:           4
        .value_kind:     hidden_block_count_y
      - .offset:         56
        .size:           4
        .value_kind:     hidden_block_count_z
      - .offset:         60
        .size:           2
        .value_kind:     hidden_group_size_x
      - .offset:         62
        .size:           2
        .value_kind:     hidden_group_size_y
      - .offset:         64
        .size:           2
        .value_kind:     hidden_group_size_z
      - .offset:         66
        .size:           2
        .value_kind:     hidden_remainder_x
      - .offset:         68
        .size:           2
        .value_kind:     hidden_remainder_y
      - .offset:         70
        .size:           2
        .value_kind:     hidden_remainder_z
      - .offset:         88
        .size:           8
        .value_kind:     hidden_global_offset_x
      - .offset:         96
        .size:           8
        .value_kind:     hidden_global_offset_y
      - .offset:         104
        .size:           8
        .value_kind:     hidden_global_offset_z
      - .offset:         112
        .size:           2
        .value_kind:     hidden_grid_dims
    .group_segment_fixed_size: 0
    .kernarg_segment_align: 8
    .kernarg_segment_size: 304
    .language:       OpenCL C
    .language_version:
      - 2
      - 0
    .max_flat_workgroup_size: 1024
    .name:           _ZN12_GLOBAL__N_121softmax_warp_backwardIdddLi10ELb1ELb0ELi64EEEvPT0_PKT_S5_iiiPKb
    .private_segment_fixed_size: 0
    .sgpr_count:     48
    .sgpr_spill_count: 0
    .symbol:         _ZN12_GLOBAL__N_121softmax_warp_backwardIdddLi10ELb1ELb0ELi64EEEvPT0_PKT_S5_iiiPKb.kd
    .uniform_work_group_size: 1
    .uses_dynamic_stack: false
    .vgpr_count:     76
    .vgpr_spill_count: 0
    .wavefront_size: 64
  - .agpr_count:     0
    .args:
      - .address_space:  global
        .offset:         0
        .size:           8
        .value_kind:     global_buffer
      - .address_space:  global
        .offset:         8
        .size:           8
        .value_kind:     global_buffer
      - .address_space:  global
        .offset:         16
        .size:           8
        .value_kind:     global_buffer
      - .offset:         24
        .size:           4
        .value_kind:     by_value
      - .offset:         28
        .size:           4
        .value_kind:     by_value
      - .offset:         32
        .size:           4
        .value_kind:     by_value
      - .address_space:  global
        .offset:         40
        .size:           8
        .value_kind:     global_buffer
      - .offset:         48
        .size:           4
        .value_kind:     hidden_block_count_x
      - .offset:         52
        .size:           4
        .value_kind:     hidden_block_count_y
      - .offset:         56
        .size:           4
        .value_kind:     hidden_block_count_z
      - .offset:         60
        .size:           2
        .value_kind:     hidden_group_size_x
      - .offset:         62
        .size:           2
        .value_kind:     hidden_group_size_y
      - .offset:         64
        .size:           2
        .value_kind:     hidden_group_size_z
      - .offset:         66
        .size:           2
        .value_kind:     hidden_remainder_x
      - .offset:         68
        .size:           2
        .value_kind:     hidden_remainder_y
      - .offset:         70
        .size:           2
        .value_kind:     hidden_remainder_z
      - .offset:         88
        .size:           8
        .value_kind:     hidden_global_offset_x
      - .offset:         96
        .size:           8
        .value_kind:     hidden_global_offset_y
      - .offset:         104
        .size:           8
        .value_kind:     hidden_global_offset_z
      - .offset:         112
        .size:           2
        .value_kind:     hidden_grid_dims
    .group_segment_fixed_size: 0
    .kernarg_segment_align: 8
    .kernarg_segment_size: 304
    .language:       OpenCL C
    .language_version:
      - 2
      - 0
    .max_flat_workgroup_size: 1024
    .name:           _ZN12_GLOBAL__N_121softmax_warp_backwardIdddLi10ELb1ELb0ELi32EEEvPT0_PKT_S5_iiiPKb
    .private_segment_fixed_size: 60
    .sgpr_count:     84
    .sgpr_spill_count: 0
    .symbol:         _ZN12_GLOBAL__N_121softmax_warp_backwardIdddLi10ELb1ELb0ELi32EEEvPT0_PKT_S5_iiiPKb.kd
    .uniform_work_group_size: 1
    .uses_dynamic_stack: false
    .vgpr_count:     128
    .vgpr_spill_count: 26
    .wavefront_size: 64
  - .agpr_count:     0
    .args:
      - .address_space:  global
        .offset:         0
        .size:           8
        .value_kind:     global_buffer
      - .address_space:  global
        .offset:         8
        .size:           8
        .value_kind:     global_buffer
      - .address_space:  global
        .offset:         16
        .size:           8
        .value_kind:     global_buffer
      - .offset:         24
        .size:           8
        .value_kind:     by_value
      - .offset:         32
        .size:           4
        .value_kind:     hidden_block_count_x
      - .offset:         36
        .size:           4
        .value_kind:     hidden_block_count_y
      - .offset:         40
        .size:           4
        .value_kind:     hidden_block_count_z
      - .offset:         44
        .size:           2
        .value_kind:     hidden_group_size_x
      - .offset:         46
        .size:           2
        .value_kind:     hidden_group_size_y
      - .offset:         48
        .size:           2
        .value_kind:     hidden_group_size_z
      - .offset:         50
        .size:           2
        .value_kind:     hidden_remainder_x
      - .offset:         52
        .size:           2
        .value_kind:     hidden_remainder_y
      - .offset:         54
        .size:           2
        .value_kind:     hidden_remainder_z
      - .offset:         72
        .size:           8
        .value_kind:     hidden_global_offset_x
      - .offset:         80
        .size:           8
        .value_kind:     hidden_global_offset_y
      - .offset:         88
        .size:           8
        .value_kind:     hidden_global_offset_z
      - .offset:         96
        .size:           2
        .value_kind:     hidden_grid_dims
      - .offset:         152
        .size:           4
        .value_kind:     hidden_dynamic_lds_size
    .group_segment_fixed_size: 0
    .kernarg_segment_align: 8
    .kernarg_segment_size: 288
    .language:       OpenCL C
    .language_version:
      - 2
      - 0
    .max_flat_workgroup_size: 1024
    .name:           _ZN2at6native12_GLOBAL__N_124cunn_SoftMaxBackwardSmemILi2EdddNS1_26LogSoftMaxBackwardEpilogueEEEvPT0_PKT2_S8_l
    .private_segment_fixed_size: 0
    .sgpr_count:     50
    .sgpr_spill_count: 0
    .symbol:         _ZN2at6native12_GLOBAL__N_124cunn_SoftMaxBackwardSmemILi2EdddNS1_26LogSoftMaxBackwardEpilogueEEEvPT0_PKT2_S8_l.kd
    .uniform_work_group_size: 1
    .uses_dynamic_stack: false
    .vgpr_count:     30
    .vgpr_spill_count: 0
    .wavefront_size: 64
  - .agpr_count:     0
    .args:
      - .address_space:  global
        .offset:         0
        .size:           8
        .value_kind:     global_buffer
      - .address_space:  global
        .offset:         8
        .size:           8
        .value_kind:     global_buffer
      - .address_space:  global
        .offset:         16
        .size:           8
        .value_kind:     global_buffer
      - .offset:         24
        .size:           8
        .value_kind:     by_value
      - .offset:         32
        .size:           4
        .value_kind:     hidden_block_count_x
      - .offset:         36
        .size:           4
        .value_kind:     hidden_block_count_y
      - .offset:         40
        .size:           4
        .value_kind:     hidden_block_count_z
      - .offset:         44
        .size:           2
        .value_kind:     hidden_group_size_x
      - .offset:         46
        .size:           2
        .value_kind:     hidden_group_size_y
      - .offset:         48
        .size:           2
        .value_kind:     hidden_group_size_z
      - .offset:         50
        .size:           2
        .value_kind:     hidden_remainder_x
      - .offset:         52
        .size:           2
        .value_kind:     hidden_remainder_y
      - .offset:         54
        .size:           2
        .value_kind:     hidden_remainder_z
      - .offset:         72
        .size:           8
        .value_kind:     hidden_global_offset_x
      - .offset:         80
        .size:           8
        .value_kind:     hidden_global_offset_y
      - .offset:         88
        .size:           8
        .value_kind:     hidden_global_offset_z
      - .offset:         96
        .size:           2
        .value_kind:     hidden_grid_dims
      - .offset:         152
        .size:           4
        .value_kind:     hidden_dynamic_lds_size
    .group_segment_fixed_size: 0
    .kernarg_segment_align: 8
    .kernarg_segment_size: 288
    .language:       OpenCL C
    .language_version:
      - 2
      - 0
    .max_flat_workgroup_size: 1024
    .name:           _ZN2at6native12_GLOBAL__N_120cunn_SoftMaxBackwardILi2EdddNS1_26LogSoftMaxBackwardEpilogueEEEvPT0_PKT2_S8_l
    .private_segment_fixed_size: 0
    .sgpr_count:     89
    .sgpr_spill_count: 0
    .symbol:         _ZN2at6native12_GLOBAL__N_120cunn_SoftMaxBackwardILi2EdddNS1_26LogSoftMaxBackwardEpilogueEEEvPT0_PKT2_S8_l.kd
    .uniform_work_group_size: 1
    .uses_dynamic_stack: false
    .vgpr_count:     42
    .vgpr_spill_count: 0
    .wavefront_size: 64
  - .agpr_count:     0
    .args:
      - .address_space:  global
        .offset:         0
        .size:           8
        .value_kind:     global_buffer
      - .address_space:  global
        .offset:         8
        .size:           8
        .value_kind:     global_buffer
      - .address_space:  global
        .offset:         16
        .size:           8
        .value_kind:     global_buffer
      - .offset:         24
        .size:           4
        .value_kind:     by_value
      - .offset:         28
        .size:           4
        .value_kind:     by_value
      - .offset:         32
        .size:           4
        .value_kind:     by_value
      - .address_space:  global
        .offset:         40
        .size:           8
        .value_kind:     global_buffer
      - .offset:         48
        .size:           4
        .value_kind:     hidden_block_count_x
      - .offset:         52
        .size:           4
        .value_kind:     hidden_block_count_y
      - .offset:         56
        .size:           4
        .value_kind:     hidden_block_count_z
      - .offset:         60
        .size:           2
        .value_kind:     hidden_group_size_x
      - .offset:         62
        .size:           2
        .value_kind:     hidden_group_size_y
      - .offset:         64
        .size:           2
        .value_kind:     hidden_group_size_z
      - .offset:         66
        .size:           2
        .value_kind:     hidden_remainder_x
      - .offset:         68
        .size:           2
        .value_kind:     hidden_remainder_y
      - .offset:         70
        .size:           2
        .value_kind:     hidden_remainder_z
      - .offset:         88
        .size:           8
        .value_kind:     hidden_global_offset_x
      - .offset:         96
        .size:           8
        .value_kind:     hidden_global_offset_y
      - .offset:         104
        .size:           8
        .value_kind:     hidden_global_offset_z
      - .offset:         112
        .size:           2
        .value_kind:     hidden_grid_dims
    .group_segment_fixed_size: 0
    .kernarg_segment_align: 8
    .kernarg_segment_size: 304
    .language:       OpenCL C
    .language_version:
      - 2
      - 0
    .max_flat_workgroup_size: 1024
    .name:           _ZN12_GLOBAL__N_121softmax_warp_backwardIfffLi0ELb1ELb0ELi64EEEvPT0_PKT_S5_iiiPKb
    .private_segment_fixed_size: 0
    .sgpr_count:     20
    .sgpr_spill_count: 0
    .symbol:         _ZN12_GLOBAL__N_121softmax_warp_backwardIfffLi0ELb1ELb0ELi64EEEvPT0_PKT_S5_iiiPKb.kd
    .uniform_work_group_size: 1
    .uses_dynamic_stack: false
    .vgpr_count:     11
    .vgpr_spill_count: 0
    .wavefront_size: 64
  - .agpr_count:     0
    .args:
      - .address_space:  global
        .offset:         0
        .size:           8
        .value_kind:     global_buffer
      - .address_space:  global
        .offset:         8
        .size:           8
        .value_kind:     global_buffer
      - .address_space:  global
        .offset:         16
        .size:           8
        .value_kind:     global_buffer
      - .offset:         24
        .size:           4
        .value_kind:     by_value
      - .offset:         28
        .size:           4
        .value_kind:     by_value
      - .offset:         32
        .size:           4
        .value_kind:     by_value
      - .address_space:  global
        .offset:         40
        .size:           8
        .value_kind:     global_buffer
      - .offset:         48
        .size:           4
        .value_kind:     hidden_block_count_x
      - .offset:         52
        .size:           4
        .value_kind:     hidden_block_count_y
      - .offset:         56
        .size:           4
        .value_kind:     hidden_block_count_z
      - .offset:         60
        .size:           2
        .value_kind:     hidden_group_size_x
      - .offset:         62
        .size:           2
        .value_kind:     hidden_group_size_y
      - .offset:         64
        .size:           2
        .value_kind:     hidden_group_size_z
      - .offset:         66
        .size:           2
        .value_kind:     hidden_remainder_x
      - .offset:         68
        .size:           2
        .value_kind:     hidden_remainder_y
      - .offset:         70
        .size:           2
        .value_kind:     hidden_remainder_z
      - .offset:         88
        .size:           8
        .value_kind:     hidden_global_offset_x
      - .offset:         96
        .size:           8
        .value_kind:     hidden_global_offset_y
      - .offset:         104
        .size:           8
        .value_kind:     hidden_global_offset_z
      - .offset:         112
        .size:           2
        .value_kind:     hidden_grid_dims
    .group_segment_fixed_size: 0
    .kernarg_segment_align: 8
    .kernarg_segment_size: 304
    .language:       OpenCL C
    .language_version:
      - 2
      - 0
    .max_flat_workgroup_size: 1024
    .name:           _ZN12_GLOBAL__N_121softmax_warp_backwardIfffLi0ELb1ELb0ELi32EEEvPT0_PKT_S5_iiiPKb
    .private_segment_fixed_size: 0
    .sgpr_count:     20
    .sgpr_spill_count: 0
    .symbol:         _ZN12_GLOBAL__N_121softmax_warp_backwardIfffLi0ELb1ELb0ELi32EEEvPT0_PKT_S5_iiiPKb.kd
    .uniform_work_group_size: 1
    .uses_dynamic_stack: false
    .vgpr_count:     11
    .vgpr_spill_count: 0
    .wavefront_size: 64
  - .agpr_count:     0
    .args:
      - .address_space:  global
        .offset:         0
        .size:           8
        .value_kind:     global_buffer
      - .address_space:  global
        .offset:         8
        .size:           8
        .value_kind:     global_buffer
      - .address_space:  global
        .offset:         16
        .size:           8
        .value_kind:     global_buffer
      - .offset:         24
        .size:           4
        .value_kind:     by_value
      - .offset:         28
        .size:           4
        .value_kind:     by_value
      - .offset:         32
        .size:           4
        .value_kind:     by_value
      - .address_space:  global
        .offset:         40
        .size:           8
        .value_kind:     global_buffer
      - .offset:         48
        .size:           4
        .value_kind:     hidden_block_count_x
      - .offset:         52
        .size:           4
        .value_kind:     hidden_block_count_y
      - .offset:         56
        .size:           4
        .value_kind:     hidden_block_count_z
      - .offset:         60
        .size:           2
        .value_kind:     hidden_group_size_x
      - .offset:         62
        .size:           2
        .value_kind:     hidden_group_size_y
      - .offset:         64
        .size:           2
        .value_kind:     hidden_group_size_z
      - .offset:         66
        .size:           2
        .value_kind:     hidden_remainder_x
      - .offset:         68
        .size:           2
        .value_kind:     hidden_remainder_y
      - .offset:         70
        .size:           2
        .value_kind:     hidden_remainder_z
      - .offset:         88
        .size:           8
        .value_kind:     hidden_global_offset_x
      - .offset:         96
        .size:           8
        .value_kind:     hidden_global_offset_y
      - .offset:         104
        .size:           8
        .value_kind:     hidden_global_offset_z
      - .offset:         112
        .size:           2
        .value_kind:     hidden_grid_dims
    .group_segment_fixed_size: 0
    .kernarg_segment_align: 8
    .kernarg_segment_size: 304
    .language:       OpenCL C
    .language_version:
      - 2
      - 0
    .max_flat_workgroup_size: 1024
    .name:           _ZN12_GLOBAL__N_121softmax_warp_backwardIfffLi1ELb1ELb0ELi64EEEvPT0_PKT_S5_iiiPKb
    .private_segment_fixed_size: 0
    .sgpr_count:     20
    .sgpr_spill_count: 0
    .symbol:         _ZN12_GLOBAL__N_121softmax_warp_backwardIfffLi1ELb1ELb0ELi64EEEvPT0_PKT_S5_iiiPKb.kd
    .uniform_work_group_size: 1
    .uses_dynamic_stack: false
    .vgpr_count:     12
    .vgpr_spill_count: 0
    .wavefront_size: 64
  - .agpr_count:     0
    .args:
      - .address_space:  global
        .offset:         0
        .size:           8
        .value_kind:     global_buffer
      - .address_space:  global
        .offset:         8
        .size:           8
        .value_kind:     global_buffer
      - .address_space:  global
        .offset:         16
        .size:           8
        .value_kind:     global_buffer
      - .offset:         24
        .size:           4
        .value_kind:     by_value
      - .offset:         28
        .size:           4
        .value_kind:     by_value
      - .offset:         32
        .size:           4
        .value_kind:     by_value
      - .address_space:  global
        .offset:         40
        .size:           8
        .value_kind:     global_buffer
      - .offset:         48
        .size:           4
        .value_kind:     hidden_block_count_x
      - .offset:         52
        .size:           4
        .value_kind:     hidden_block_count_y
      - .offset:         56
        .size:           4
        .value_kind:     hidden_block_count_z
      - .offset:         60
        .size:           2
        .value_kind:     hidden_group_size_x
      - .offset:         62
        .size:           2
        .value_kind:     hidden_group_size_y
      - .offset:         64
        .size:           2
        .value_kind:     hidden_group_size_z
      - .offset:         66
        .size:           2
        .value_kind:     hidden_remainder_x
      - .offset:         68
        .size:           2
        .value_kind:     hidden_remainder_y
      - .offset:         70
        .size:           2
        .value_kind:     hidden_remainder_z
      - .offset:         88
        .size:           8
        .value_kind:     hidden_global_offset_x
      - .offset:         96
        .size:           8
        .value_kind:     hidden_global_offset_y
      - .offset:         104
        .size:           8
        .value_kind:     hidden_global_offset_z
      - .offset:         112
        .size:           2
        .value_kind:     hidden_grid_dims
    .group_segment_fixed_size: 0
    .kernarg_segment_align: 8
    .kernarg_segment_size: 304
    .language:       OpenCL C
    .language_version:
      - 2
      - 0
    .max_flat_workgroup_size: 1024
    .name:           _ZN12_GLOBAL__N_121softmax_warp_backwardIfffLi1ELb1ELb0ELi32EEEvPT0_PKT_S5_iiiPKb
    .private_segment_fixed_size: 0
    .sgpr_count:     20
    .sgpr_spill_count: 0
    .symbol:         _ZN12_GLOBAL__N_121softmax_warp_backwardIfffLi1ELb1ELb0ELi32EEEvPT0_PKT_S5_iiiPKb.kd
    .uniform_work_group_size: 1
    .uses_dynamic_stack: false
    .vgpr_count:     12
    .vgpr_spill_count: 0
    .wavefront_size: 64
  - .agpr_count:     0
    .args:
      - .address_space:  global
        .offset:         0
        .size:           8
        .value_kind:     global_buffer
      - .address_space:  global
        .offset:         8
        .size:           8
        .value_kind:     global_buffer
      - .address_space:  global
        .offset:         16
        .size:           8
        .value_kind:     global_buffer
      - .offset:         24
        .size:           4
        .value_kind:     by_value
      - .offset:         28
        .size:           4
        .value_kind:     by_value
      - .offset:         32
        .size:           4
        .value_kind:     by_value
      - .address_space:  global
        .offset:         40
        .size:           8
        .value_kind:     global_buffer
      - .offset:         48
        .size:           4
        .value_kind:     hidden_block_count_x
      - .offset:         52
        .size:           4
        .value_kind:     hidden_block_count_y
      - .offset:         56
        .size:           4
        .value_kind:     hidden_block_count_z
      - .offset:         60
        .size:           2
        .value_kind:     hidden_group_size_x
      - .offset:         62
        .size:           2
        .value_kind:     hidden_group_size_y
      - .offset:         64
        .size:           2
        .value_kind:     hidden_group_size_z
      - .offset:         66
        .size:           2
        .value_kind:     hidden_remainder_x
      - .offset:         68
        .size:           2
        .value_kind:     hidden_remainder_y
      - .offset:         70
        .size:           2
        .value_kind:     hidden_remainder_z
      - .offset:         88
        .size:           8
        .value_kind:     hidden_global_offset_x
      - .offset:         96
        .size:           8
        .value_kind:     hidden_global_offset_y
      - .offset:         104
        .size:           8
        .value_kind:     hidden_global_offset_z
      - .offset:         112
        .size:           2
        .value_kind:     hidden_grid_dims
    .group_segment_fixed_size: 0
    .kernarg_segment_align: 8
    .kernarg_segment_size: 304
    .language:       OpenCL C
    .language_version:
      - 2
      - 0
    .max_flat_workgroup_size: 1024
    .name:           _ZN12_GLOBAL__N_121softmax_warp_backwardIfffLi2ELb1ELb0ELi64EEEvPT0_PKT_S5_iiiPKb
    .private_segment_fixed_size: 0
    .sgpr_count:     20
    .sgpr_spill_count: 0
    .symbol:         _ZN12_GLOBAL__N_121softmax_warp_backwardIfffLi2ELb1ELb0ELi64EEEvPT0_PKT_S5_iiiPKb.kd
    .uniform_work_group_size: 1
    .uses_dynamic_stack: false
    .vgpr_count:     14
    .vgpr_spill_count: 0
    .wavefront_size: 64
  - .agpr_count:     0
    .args:
      - .address_space:  global
        .offset:         0
        .size:           8
        .value_kind:     global_buffer
      - .address_space:  global
        .offset:         8
        .size:           8
        .value_kind:     global_buffer
      - .address_space:  global
        .offset:         16
        .size:           8
        .value_kind:     global_buffer
      - .offset:         24
        .size:           4
        .value_kind:     by_value
      - .offset:         28
        .size:           4
        .value_kind:     by_value
      - .offset:         32
        .size:           4
        .value_kind:     by_value
      - .address_space:  global
        .offset:         40
        .size:           8
        .value_kind:     global_buffer
      - .offset:         48
        .size:           4
        .value_kind:     hidden_block_count_x
      - .offset:         52
        .size:           4
        .value_kind:     hidden_block_count_y
      - .offset:         56
        .size:           4
        .value_kind:     hidden_block_count_z
      - .offset:         60
        .size:           2
        .value_kind:     hidden_group_size_x
      - .offset:         62
        .size:           2
        .value_kind:     hidden_group_size_y
      - .offset:         64
        .size:           2
        .value_kind:     hidden_group_size_z
      - .offset:         66
        .size:           2
        .value_kind:     hidden_remainder_x
      - .offset:         68
        .size:           2
        .value_kind:     hidden_remainder_y
      - .offset:         70
        .size:           2
        .value_kind:     hidden_remainder_z
      - .offset:         88
        .size:           8
        .value_kind:     hidden_global_offset_x
      - .offset:         96
        .size:           8
        .value_kind:     hidden_global_offset_y
      - .offset:         104
        .size:           8
        .value_kind:     hidden_global_offset_z
      - .offset:         112
        .size:           2
        .value_kind:     hidden_grid_dims
    .group_segment_fixed_size: 0
    .kernarg_segment_align: 8
    .kernarg_segment_size: 304
    .language:       OpenCL C
    .language_version:
      - 2
      - 0
    .max_flat_workgroup_size: 1024
    .name:           _ZN12_GLOBAL__N_121softmax_warp_backwardIfffLi2ELb1ELb0ELi32EEEvPT0_PKT_S5_iiiPKb
    .private_segment_fixed_size: 0
    .sgpr_count:     20
    .sgpr_spill_count: 0
    .symbol:         _ZN12_GLOBAL__N_121softmax_warp_backwardIfffLi2ELb1ELb0ELi32EEEvPT0_PKT_S5_iiiPKb.kd
    .uniform_work_group_size: 1
    .uses_dynamic_stack: false
    .vgpr_count:     14
    .vgpr_spill_count: 0
    .wavefront_size: 64
  - .agpr_count:     0
    .args:
      - .address_space:  global
        .offset:         0
        .size:           8
        .value_kind:     global_buffer
      - .address_space:  global
        .offset:         8
        .size:           8
        .value_kind:     global_buffer
      - .address_space:  global
        .offset:         16
        .size:           8
        .value_kind:     global_buffer
      - .offset:         24
        .size:           4
        .value_kind:     by_value
      - .offset:         28
        .size:           4
        .value_kind:     by_value
      - .offset:         32
        .size:           4
        .value_kind:     by_value
      - .address_space:  global
        .offset:         40
        .size:           8
        .value_kind:     global_buffer
      - .offset:         48
        .size:           4
        .value_kind:     hidden_block_count_x
      - .offset:         52
        .size:           4
        .value_kind:     hidden_block_count_y
      - .offset:         56
        .size:           4
        .value_kind:     hidden_block_count_z
      - .offset:         60
        .size:           2
        .value_kind:     hidden_group_size_x
      - .offset:         62
        .size:           2
        .value_kind:     hidden_group_size_y
      - .offset:         64
        .size:           2
        .value_kind:     hidden_group_size_z
      - .offset:         66
        .size:           2
        .value_kind:     hidden_remainder_x
      - .offset:         68
        .size:           2
        .value_kind:     hidden_remainder_y
      - .offset:         70
        .size:           2
        .value_kind:     hidden_remainder_z
      - .offset:         88
        .size:           8
        .value_kind:     hidden_global_offset_x
      - .offset:         96
        .size:           8
        .value_kind:     hidden_global_offset_y
      - .offset:         104
        .size:           8
        .value_kind:     hidden_global_offset_z
      - .offset:         112
        .size:           2
        .value_kind:     hidden_grid_dims
    .group_segment_fixed_size: 0
    .kernarg_segment_align: 8
    .kernarg_segment_size: 304
    .language:       OpenCL C
    .language_version:
      - 2
      - 0
    .max_flat_workgroup_size: 1024
    .name:           _ZN12_GLOBAL__N_121softmax_warp_backwardIfffLi3ELb1ELb0ELi64EEEvPT0_PKT_S5_iiiPKb
    .private_segment_fixed_size: 0
    .sgpr_count:     20
    .sgpr_spill_count: 0
    .symbol:         _ZN12_GLOBAL__N_121softmax_warp_backwardIfffLi3ELb1ELb0ELi64EEEvPT0_PKT_S5_iiiPKb.kd
    .uniform_work_group_size: 1
    .uses_dynamic_stack: false
    .vgpr_count:     14
    .vgpr_spill_count: 0
    .wavefront_size: 64
  - .agpr_count:     0
    .args:
      - .address_space:  global
        .offset:         0
        .size:           8
        .value_kind:     global_buffer
      - .address_space:  global
        .offset:         8
        .size:           8
        .value_kind:     global_buffer
      - .address_space:  global
        .offset:         16
        .size:           8
        .value_kind:     global_buffer
      - .offset:         24
        .size:           4
        .value_kind:     by_value
      - .offset:         28
        .size:           4
        .value_kind:     by_value
      - .offset:         32
        .size:           4
        .value_kind:     by_value
      - .address_space:  global
        .offset:         40
        .size:           8
        .value_kind:     global_buffer
      - .offset:         48
        .size:           4
        .value_kind:     hidden_block_count_x
      - .offset:         52
        .size:           4
        .value_kind:     hidden_block_count_y
      - .offset:         56
        .size:           4
        .value_kind:     hidden_block_count_z
      - .offset:         60
        .size:           2
        .value_kind:     hidden_group_size_x
      - .offset:         62
        .size:           2
        .value_kind:     hidden_group_size_y
      - .offset:         64
        .size:           2
        .value_kind:     hidden_group_size_z
      - .offset:         66
        .size:           2
        .value_kind:     hidden_remainder_x
      - .offset:         68
        .size:           2
        .value_kind:     hidden_remainder_y
      - .offset:         70
        .size:           2
        .value_kind:     hidden_remainder_z
      - .offset:         88
        .size:           8
        .value_kind:     hidden_global_offset_x
      - .offset:         96
        .size:           8
        .value_kind:     hidden_global_offset_y
      - .offset:         104
        .size:           8
        .value_kind:     hidden_global_offset_z
      - .offset:         112
        .size:           2
        .value_kind:     hidden_grid_dims
    .group_segment_fixed_size: 0
    .kernarg_segment_align: 8
    .kernarg_segment_size: 304
    .language:       OpenCL C
    .language_version:
      - 2
      - 0
    .max_flat_workgroup_size: 1024
    .name:           _ZN12_GLOBAL__N_121softmax_warp_backwardIfffLi3ELb1ELb0ELi32EEEvPT0_PKT_S5_iiiPKb
    .private_segment_fixed_size: 0
    .sgpr_count:     20
    .sgpr_spill_count: 0
    .symbol:         _ZN12_GLOBAL__N_121softmax_warp_backwardIfffLi3ELb1ELb0ELi32EEEvPT0_PKT_S5_iiiPKb.kd
    .uniform_work_group_size: 1
    .uses_dynamic_stack: false
    .vgpr_count:     14
    .vgpr_spill_count: 0
    .wavefront_size: 64
  - .agpr_count:     0
    .args:
      - .address_space:  global
        .offset:         0
        .size:           8
        .value_kind:     global_buffer
      - .address_space:  global
        .offset:         8
        .size:           8
        .value_kind:     global_buffer
      - .address_space:  global
        .offset:         16
        .size:           8
        .value_kind:     global_buffer
      - .offset:         24
        .size:           4
        .value_kind:     by_value
      - .offset:         28
        .size:           4
        .value_kind:     by_value
      - .offset:         32
        .size:           4
        .value_kind:     by_value
      - .address_space:  global
        .offset:         40
        .size:           8
        .value_kind:     global_buffer
      - .offset:         48
        .size:           4
        .value_kind:     hidden_block_count_x
      - .offset:         52
        .size:           4
        .value_kind:     hidden_block_count_y
      - .offset:         56
        .size:           4
        .value_kind:     hidden_block_count_z
      - .offset:         60
        .size:           2
        .value_kind:     hidden_group_size_x
      - .offset:         62
        .size:           2
        .value_kind:     hidden_group_size_y
      - .offset:         64
        .size:           2
        .value_kind:     hidden_group_size_z
      - .offset:         66
        .size:           2
        .value_kind:     hidden_remainder_x
      - .offset:         68
        .size:           2
        .value_kind:     hidden_remainder_y
      - .offset:         70
        .size:           2
        .value_kind:     hidden_remainder_z
      - .offset:         88
        .size:           8
        .value_kind:     hidden_global_offset_x
      - .offset:         96
        .size:           8
        .value_kind:     hidden_global_offset_y
      - .offset:         104
        .size:           8
        .value_kind:     hidden_global_offset_z
      - .offset:         112
        .size:           2
        .value_kind:     hidden_grid_dims
    .group_segment_fixed_size: 0
    .kernarg_segment_align: 8
    .kernarg_segment_size: 304
    .language:       OpenCL C
    .language_version:
      - 2
      - 0
    .max_flat_workgroup_size: 1024
    .name:           _ZN12_GLOBAL__N_121softmax_warp_backwardIfffLi4ELb1ELb0ELi64EEEvPT0_PKT_S5_iiiPKb
    .private_segment_fixed_size: 0
    .sgpr_count:     20
    .sgpr_spill_count: 0
    .symbol:         _ZN12_GLOBAL__N_121softmax_warp_backwardIfffLi4ELb1ELb0ELi64EEEvPT0_PKT_S5_iiiPKb.kd
    .uniform_work_group_size: 1
    .uses_dynamic_stack: false
    .vgpr_count:     14
    .vgpr_spill_count: 0
    .wavefront_size: 64
  - .agpr_count:     0
    .args:
      - .address_space:  global
        .offset:         0
        .size:           8
        .value_kind:     global_buffer
      - .address_space:  global
        .offset:         8
        .size:           8
        .value_kind:     global_buffer
      - .address_space:  global
        .offset:         16
        .size:           8
        .value_kind:     global_buffer
      - .offset:         24
        .size:           4
        .value_kind:     by_value
      - .offset:         28
        .size:           4
        .value_kind:     by_value
      - .offset:         32
        .size:           4
        .value_kind:     by_value
      - .address_space:  global
        .offset:         40
        .size:           8
        .value_kind:     global_buffer
      - .offset:         48
        .size:           4
        .value_kind:     hidden_block_count_x
      - .offset:         52
        .size:           4
        .value_kind:     hidden_block_count_y
      - .offset:         56
        .size:           4
        .value_kind:     hidden_block_count_z
      - .offset:         60
        .size:           2
        .value_kind:     hidden_group_size_x
      - .offset:         62
        .size:           2
        .value_kind:     hidden_group_size_y
      - .offset:         64
        .size:           2
        .value_kind:     hidden_group_size_z
      - .offset:         66
        .size:           2
        .value_kind:     hidden_remainder_x
      - .offset:         68
        .size:           2
        .value_kind:     hidden_remainder_y
      - .offset:         70
        .size:           2
        .value_kind:     hidden_remainder_z
      - .offset:         88
        .size:           8
        .value_kind:     hidden_global_offset_x
      - .offset:         96
        .size:           8
        .value_kind:     hidden_global_offset_y
      - .offset:         104
        .size:           8
        .value_kind:     hidden_global_offset_z
      - .offset:         112
        .size:           2
        .value_kind:     hidden_grid_dims
    .group_segment_fixed_size: 0
    .kernarg_segment_align: 8
    .kernarg_segment_size: 304
    .language:       OpenCL C
    .language_version:
      - 2
      - 0
    .max_flat_workgroup_size: 1024
    .name:           _ZN12_GLOBAL__N_121softmax_warp_backwardIfffLi4ELb1ELb0ELi32EEEvPT0_PKT_S5_iiiPKb
    .private_segment_fixed_size: 0
    .sgpr_count:     20
    .sgpr_spill_count: 0
    .symbol:         _ZN12_GLOBAL__N_121softmax_warp_backwardIfffLi4ELb1ELb0ELi32EEEvPT0_PKT_S5_iiiPKb.kd
    .uniform_work_group_size: 1
    .uses_dynamic_stack: false
    .vgpr_count:     14
    .vgpr_spill_count: 0
    .wavefront_size: 64
  - .agpr_count:     0
    .args:
      - .address_space:  global
        .offset:         0
        .size:           8
        .value_kind:     global_buffer
      - .address_space:  global
        .offset:         8
        .size:           8
        .value_kind:     global_buffer
      - .address_space:  global
        .offset:         16
        .size:           8
        .value_kind:     global_buffer
      - .offset:         24
        .size:           4
        .value_kind:     by_value
      - .offset:         28
        .size:           4
        .value_kind:     by_value
      - .offset:         32
        .size:           4
        .value_kind:     by_value
      - .address_space:  global
        .offset:         40
        .size:           8
        .value_kind:     global_buffer
      - .offset:         48
        .size:           4
        .value_kind:     hidden_block_count_x
      - .offset:         52
        .size:           4
        .value_kind:     hidden_block_count_y
      - .offset:         56
        .size:           4
        .value_kind:     hidden_block_count_z
      - .offset:         60
        .size:           2
        .value_kind:     hidden_group_size_x
      - .offset:         62
        .size:           2
        .value_kind:     hidden_group_size_y
      - .offset:         64
        .size:           2
        .value_kind:     hidden_group_size_z
      - .offset:         66
        .size:           2
        .value_kind:     hidden_remainder_x
      - .offset:         68
        .size:           2
        .value_kind:     hidden_remainder_y
      - .offset:         70
        .size:           2
        .value_kind:     hidden_remainder_z
      - .offset:         88
        .size:           8
        .value_kind:     hidden_global_offset_x
      - .offset:         96
        .size:           8
        .value_kind:     hidden_global_offset_y
      - .offset:         104
        .size:           8
        .value_kind:     hidden_global_offset_z
      - .offset:         112
        .size:           2
        .value_kind:     hidden_grid_dims
    .group_segment_fixed_size: 0
    .kernarg_segment_align: 8
    .kernarg_segment_size: 304
    .language:       OpenCL C
    .language_version:
      - 2
      - 0
    .max_flat_workgroup_size: 1024
    .name:           _ZN12_GLOBAL__N_121softmax_warp_backwardIfffLi5ELb1ELb0ELi64EEEvPT0_PKT_S5_iiiPKb
    .private_segment_fixed_size: 0
    .sgpr_count:     20
    .sgpr_spill_count: 0
    .symbol:         _ZN12_GLOBAL__N_121softmax_warp_backwardIfffLi5ELb1ELb0ELi64EEEvPT0_PKT_S5_iiiPKb.kd
    .uniform_work_group_size: 1
    .uses_dynamic_stack: false
    .vgpr_count:     14
    .vgpr_spill_count: 0
    .wavefront_size: 64
  - .agpr_count:     0
    .args:
      - .address_space:  global
        .offset:         0
        .size:           8
        .value_kind:     global_buffer
      - .address_space:  global
        .offset:         8
        .size:           8
        .value_kind:     global_buffer
      - .address_space:  global
        .offset:         16
        .size:           8
        .value_kind:     global_buffer
      - .offset:         24
        .size:           4
        .value_kind:     by_value
      - .offset:         28
        .size:           4
        .value_kind:     by_value
      - .offset:         32
        .size:           4
        .value_kind:     by_value
      - .address_space:  global
        .offset:         40
        .size:           8
        .value_kind:     global_buffer
      - .offset:         48
        .size:           4
        .value_kind:     hidden_block_count_x
      - .offset:         52
        .size:           4
        .value_kind:     hidden_block_count_y
      - .offset:         56
        .size:           4
        .value_kind:     hidden_block_count_z
      - .offset:         60
        .size:           2
        .value_kind:     hidden_group_size_x
      - .offset:         62
        .size:           2
        .value_kind:     hidden_group_size_y
      - .offset:         64
        .size:           2
        .value_kind:     hidden_group_size_z
      - .offset:         66
        .size:           2
        .value_kind:     hidden_remainder_x
      - .offset:         68
        .size:           2
        .value_kind:     hidden_remainder_y
      - .offset:         70
        .size:           2
        .value_kind:     hidden_remainder_z
      - .offset:         88
        .size:           8
        .value_kind:     hidden_global_offset_x
      - .offset:         96
        .size:           8
        .value_kind:     hidden_global_offset_y
      - .offset:         104
        .size:           8
        .value_kind:     hidden_global_offset_z
      - .offset:         112
        .size:           2
        .value_kind:     hidden_grid_dims
    .group_segment_fixed_size: 0
    .kernarg_segment_align: 8
    .kernarg_segment_size: 304
    .language:       OpenCL C
    .language_version:
      - 2
      - 0
    .max_flat_workgroup_size: 1024
    .name:           _ZN12_GLOBAL__N_121softmax_warp_backwardIfffLi5ELb1ELb0ELi32EEEvPT0_PKT_S5_iiiPKb
    .private_segment_fixed_size: 0
    .sgpr_count:     20
    .sgpr_spill_count: 0
    .symbol:         _ZN12_GLOBAL__N_121softmax_warp_backwardIfffLi5ELb1ELb0ELi32EEEvPT0_PKT_S5_iiiPKb.kd
    .uniform_work_group_size: 1
    .uses_dynamic_stack: false
    .vgpr_count:     14
    .vgpr_spill_count: 0
    .wavefront_size: 64
  - .agpr_count:     0
    .args:
      - .address_space:  global
        .offset:         0
        .size:           8
        .value_kind:     global_buffer
      - .address_space:  global
        .offset:         8
        .size:           8
        .value_kind:     global_buffer
      - .address_space:  global
        .offset:         16
        .size:           8
        .value_kind:     global_buffer
      - .offset:         24
        .size:           4
        .value_kind:     by_value
      - .offset:         28
        .size:           4
        .value_kind:     by_value
      - .offset:         32
        .size:           4
        .value_kind:     by_value
      - .address_space:  global
        .offset:         40
        .size:           8
        .value_kind:     global_buffer
      - .offset:         48
        .size:           4
        .value_kind:     hidden_block_count_x
      - .offset:         52
        .size:           4
        .value_kind:     hidden_block_count_y
      - .offset:         56
        .size:           4
        .value_kind:     hidden_block_count_z
      - .offset:         60
        .size:           2
        .value_kind:     hidden_group_size_x
      - .offset:         62
        .size:           2
        .value_kind:     hidden_group_size_y
      - .offset:         64
        .size:           2
        .value_kind:     hidden_group_size_z
      - .offset:         66
        .size:           2
        .value_kind:     hidden_remainder_x
      - .offset:         68
        .size:           2
        .value_kind:     hidden_remainder_y
      - .offset:         70
        .size:           2
        .value_kind:     hidden_remainder_z
      - .offset:         88
        .size:           8
        .value_kind:     hidden_global_offset_x
      - .offset:         96
        .size:           8
        .value_kind:     hidden_global_offset_y
      - .offset:         104
        .size:           8
        .value_kind:     hidden_global_offset_z
      - .offset:         112
        .size:           2
        .value_kind:     hidden_grid_dims
    .group_segment_fixed_size: 0
    .kernarg_segment_align: 8
    .kernarg_segment_size: 304
    .language:       OpenCL C
    .language_version:
      - 2
      - 0
    .max_flat_workgroup_size: 1024
    .name:           _ZN12_GLOBAL__N_121softmax_warp_backwardIfffLi6ELb1ELb0ELi64EEEvPT0_PKT_S5_iiiPKb
    .private_segment_fixed_size: 0
    .sgpr_count:     20
    .sgpr_spill_count: 0
    .symbol:         _ZN12_GLOBAL__N_121softmax_warp_backwardIfffLi6ELb1ELb0ELi64EEEvPT0_PKT_S5_iiiPKb.kd
    .uniform_work_group_size: 1
    .uses_dynamic_stack: false
    .vgpr_count:     14
    .vgpr_spill_count: 0
    .wavefront_size: 64
  - .agpr_count:     0
    .args:
      - .address_space:  global
        .offset:         0
        .size:           8
        .value_kind:     global_buffer
      - .address_space:  global
        .offset:         8
        .size:           8
        .value_kind:     global_buffer
      - .address_space:  global
        .offset:         16
        .size:           8
        .value_kind:     global_buffer
      - .offset:         24
        .size:           4
        .value_kind:     by_value
      - .offset:         28
        .size:           4
        .value_kind:     by_value
      - .offset:         32
        .size:           4
        .value_kind:     by_value
      - .address_space:  global
        .offset:         40
        .size:           8
        .value_kind:     global_buffer
      - .offset:         48
        .size:           4
        .value_kind:     hidden_block_count_x
      - .offset:         52
        .size:           4
        .value_kind:     hidden_block_count_y
      - .offset:         56
        .size:           4
        .value_kind:     hidden_block_count_z
      - .offset:         60
        .size:           2
        .value_kind:     hidden_group_size_x
      - .offset:         62
        .size:           2
        .value_kind:     hidden_group_size_y
      - .offset:         64
        .size:           2
        .value_kind:     hidden_group_size_z
      - .offset:         66
        .size:           2
        .value_kind:     hidden_remainder_x
      - .offset:         68
        .size:           2
        .value_kind:     hidden_remainder_y
      - .offset:         70
        .size:           2
        .value_kind:     hidden_remainder_z
      - .offset:         88
        .size:           8
        .value_kind:     hidden_global_offset_x
      - .offset:         96
        .size:           8
        .value_kind:     hidden_global_offset_y
      - .offset:         104
        .size:           8
        .value_kind:     hidden_global_offset_z
      - .offset:         112
        .size:           2
        .value_kind:     hidden_grid_dims
    .group_segment_fixed_size: 0
    .kernarg_segment_align: 8
    .kernarg_segment_size: 304
    .language:       OpenCL C
    .language_version:
      - 2
      - 0
    .max_flat_workgroup_size: 1024
    .name:           _ZN12_GLOBAL__N_121softmax_warp_backwardIfffLi6ELb1ELb0ELi32EEEvPT0_PKT_S5_iiiPKb
    .private_segment_fixed_size: 0
    .sgpr_count:     20
    .sgpr_spill_count: 0
    .symbol:         _ZN12_GLOBAL__N_121softmax_warp_backwardIfffLi6ELb1ELb0ELi32EEEvPT0_PKT_S5_iiiPKb.kd
    .uniform_work_group_size: 1
    .uses_dynamic_stack: false
    .vgpr_count:     18
    .vgpr_spill_count: 0
    .wavefront_size: 64
  - .agpr_count:     0
    .args:
      - .address_space:  global
        .offset:         0
        .size:           8
        .value_kind:     global_buffer
      - .address_space:  global
        .offset:         8
        .size:           8
        .value_kind:     global_buffer
      - .address_space:  global
        .offset:         16
        .size:           8
        .value_kind:     global_buffer
      - .offset:         24
        .size:           4
        .value_kind:     by_value
      - .offset:         28
        .size:           4
        .value_kind:     by_value
      - .offset:         32
        .size:           4
        .value_kind:     by_value
      - .address_space:  global
        .offset:         40
        .size:           8
        .value_kind:     global_buffer
      - .offset:         48
        .size:           4
        .value_kind:     hidden_block_count_x
      - .offset:         52
        .size:           4
        .value_kind:     hidden_block_count_y
      - .offset:         56
        .size:           4
        .value_kind:     hidden_block_count_z
      - .offset:         60
        .size:           2
        .value_kind:     hidden_group_size_x
      - .offset:         62
        .size:           2
        .value_kind:     hidden_group_size_y
      - .offset:         64
        .size:           2
        .value_kind:     hidden_group_size_z
      - .offset:         66
        .size:           2
        .value_kind:     hidden_remainder_x
      - .offset:         68
        .size:           2
        .value_kind:     hidden_remainder_y
      - .offset:         70
        .size:           2
        .value_kind:     hidden_remainder_z
      - .offset:         88
        .size:           8
        .value_kind:     hidden_global_offset_x
      - .offset:         96
        .size:           8
        .value_kind:     hidden_global_offset_y
      - .offset:         104
        .size:           8
        .value_kind:     hidden_global_offset_z
      - .offset:         112
        .size:           2
        .value_kind:     hidden_grid_dims
    .group_segment_fixed_size: 0
    .kernarg_segment_align: 8
    .kernarg_segment_size: 304
    .language:       OpenCL C
    .language_version:
      - 2
      - 0
    .max_flat_workgroup_size: 1024
    .name:           _ZN12_GLOBAL__N_121softmax_warp_backwardIfffLi7ELb1ELb0ELi64EEEvPT0_PKT_S5_iiiPKb
    .private_segment_fixed_size: 0
    .sgpr_count:     20
    .sgpr_spill_count: 0
    .symbol:         _ZN12_GLOBAL__N_121softmax_warp_backwardIfffLi7ELb1ELb0ELi64EEEvPT0_PKT_S5_iiiPKb.kd
    .uniform_work_group_size: 1
    .uses_dynamic_stack: false
    .vgpr_count:     18
    .vgpr_spill_count: 0
    .wavefront_size: 64
  - .agpr_count:     0
    .args:
      - .address_space:  global
        .offset:         0
        .size:           8
        .value_kind:     global_buffer
      - .address_space:  global
        .offset:         8
        .size:           8
        .value_kind:     global_buffer
      - .address_space:  global
        .offset:         16
        .size:           8
        .value_kind:     global_buffer
      - .offset:         24
        .size:           4
        .value_kind:     by_value
      - .offset:         28
        .size:           4
        .value_kind:     by_value
      - .offset:         32
        .size:           4
        .value_kind:     by_value
      - .address_space:  global
        .offset:         40
        .size:           8
        .value_kind:     global_buffer
      - .offset:         48
        .size:           4
        .value_kind:     hidden_block_count_x
      - .offset:         52
        .size:           4
        .value_kind:     hidden_block_count_y
      - .offset:         56
        .size:           4
        .value_kind:     hidden_block_count_z
      - .offset:         60
        .size:           2
        .value_kind:     hidden_group_size_x
      - .offset:         62
        .size:           2
        .value_kind:     hidden_group_size_y
      - .offset:         64
        .size:           2
        .value_kind:     hidden_group_size_z
      - .offset:         66
        .size:           2
        .value_kind:     hidden_remainder_x
      - .offset:         68
        .size:           2
        .value_kind:     hidden_remainder_y
      - .offset:         70
        .size:           2
        .value_kind:     hidden_remainder_z
      - .offset:         88
        .size:           8
        .value_kind:     hidden_global_offset_x
      - .offset:         96
        .size:           8
        .value_kind:     hidden_global_offset_y
      - .offset:         104
        .size:           8
        .value_kind:     hidden_global_offset_z
      - .offset:         112
        .size:           2
        .value_kind:     hidden_grid_dims
    .group_segment_fixed_size: 0
    .kernarg_segment_align: 8
    .kernarg_segment_size: 304
    .language:       OpenCL C
    .language_version:
      - 2
      - 0
    .max_flat_workgroup_size: 1024
    .name:           _ZN12_GLOBAL__N_121softmax_warp_backwardIfffLi7ELb1ELb0ELi32EEEvPT0_PKT_S5_iiiPKb
    .private_segment_fixed_size: 0
    .sgpr_count:     24
    .sgpr_spill_count: 0
    .symbol:         _ZN12_GLOBAL__N_121softmax_warp_backwardIfffLi7ELb1ELb0ELi32EEEvPT0_PKT_S5_iiiPKb.kd
    .uniform_work_group_size: 1
    .uses_dynamic_stack: false
    .vgpr_count:     26
    .vgpr_spill_count: 0
    .wavefront_size: 64
  - .agpr_count:     0
    .args:
      - .address_space:  global
        .offset:         0
        .size:           8
        .value_kind:     global_buffer
      - .address_space:  global
        .offset:         8
        .size:           8
        .value_kind:     global_buffer
      - .address_space:  global
        .offset:         16
        .size:           8
        .value_kind:     global_buffer
      - .offset:         24
        .size:           4
        .value_kind:     by_value
      - .offset:         28
        .size:           4
        .value_kind:     by_value
      - .offset:         32
        .size:           4
        .value_kind:     by_value
      - .address_space:  global
        .offset:         40
        .size:           8
        .value_kind:     global_buffer
      - .offset:         48
        .size:           4
        .value_kind:     hidden_block_count_x
      - .offset:         52
        .size:           4
        .value_kind:     hidden_block_count_y
      - .offset:         56
        .size:           4
        .value_kind:     hidden_block_count_z
      - .offset:         60
        .size:           2
        .value_kind:     hidden_group_size_x
      - .offset:         62
        .size:           2
        .value_kind:     hidden_group_size_y
      - .offset:         64
        .size:           2
        .value_kind:     hidden_group_size_z
      - .offset:         66
        .size:           2
        .value_kind:     hidden_remainder_x
      - .offset:         68
        .size:           2
        .value_kind:     hidden_remainder_y
      - .offset:         70
        .size:           2
        .value_kind:     hidden_remainder_z
      - .offset:         88
        .size:           8
        .value_kind:     hidden_global_offset_x
      - .offset:         96
        .size:           8
        .value_kind:     hidden_global_offset_y
      - .offset:         104
        .size:           8
        .value_kind:     hidden_global_offset_z
      - .offset:         112
        .size:           2
        .value_kind:     hidden_grid_dims
    .group_segment_fixed_size: 0
    .kernarg_segment_align: 8
    .kernarg_segment_size: 304
    .language:       OpenCL C
    .language_version:
      - 2
      - 0
    .max_flat_workgroup_size: 1024
    .name:           _ZN12_GLOBAL__N_121softmax_warp_backwardIfffLi8ELb1ELb0ELi64EEEvPT0_PKT_S5_iiiPKb
    .private_segment_fixed_size: 0
    .sgpr_count:     20
    .sgpr_spill_count: 0
    .symbol:         _ZN12_GLOBAL__N_121softmax_warp_backwardIfffLi8ELb1ELb0ELi64EEEvPT0_PKT_S5_iiiPKb.kd
    .uniform_work_group_size: 1
    .uses_dynamic_stack: false
    .vgpr_count:     15
    .vgpr_spill_count: 0
    .wavefront_size: 64
  - .agpr_count:     0
    .args:
      - .address_space:  global
        .offset:         0
        .size:           8
        .value_kind:     global_buffer
      - .address_space:  global
        .offset:         8
        .size:           8
        .value_kind:     global_buffer
      - .address_space:  global
        .offset:         16
        .size:           8
        .value_kind:     global_buffer
      - .offset:         24
        .size:           4
        .value_kind:     by_value
      - .offset:         28
        .size:           4
        .value_kind:     by_value
      - .offset:         32
        .size:           4
        .value_kind:     by_value
      - .address_space:  global
        .offset:         40
        .size:           8
        .value_kind:     global_buffer
      - .offset:         48
        .size:           4
        .value_kind:     hidden_block_count_x
      - .offset:         52
        .size:           4
        .value_kind:     hidden_block_count_y
      - .offset:         56
        .size:           4
        .value_kind:     hidden_block_count_z
      - .offset:         60
        .size:           2
        .value_kind:     hidden_group_size_x
      - .offset:         62
        .size:           2
        .value_kind:     hidden_group_size_y
      - .offset:         64
        .size:           2
        .value_kind:     hidden_group_size_z
      - .offset:         66
        .size:           2
        .value_kind:     hidden_remainder_x
      - .offset:         68
        .size:           2
        .value_kind:     hidden_remainder_y
      - .offset:         70
        .size:           2
        .value_kind:     hidden_remainder_z
      - .offset:         88
        .size:           8
        .value_kind:     hidden_global_offset_x
      - .offset:         96
        .size:           8
        .value_kind:     hidden_global_offset_y
      - .offset:         104
        .size:           8
        .value_kind:     hidden_global_offset_z
      - .offset:         112
        .size:           2
        .value_kind:     hidden_grid_dims
    .group_segment_fixed_size: 0
    .kernarg_segment_align: 8
    .kernarg_segment_size: 304
    .language:       OpenCL C
    .language_version:
      - 2
      - 0
    .max_flat_workgroup_size: 1024
    .name:           _ZN12_GLOBAL__N_121softmax_warp_backwardIfffLi8ELb1ELb0ELi32EEEvPT0_PKT_S5_iiiPKb
    .private_segment_fixed_size: 0
    .sgpr_count:     28
    .sgpr_spill_count: 0
    .symbol:         _ZN12_GLOBAL__N_121softmax_warp_backwardIfffLi8ELb1ELb0ELi32EEEvPT0_PKT_S5_iiiPKb.kd
    .uniform_work_group_size: 1
    .uses_dynamic_stack: false
    .vgpr_count:     23
    .vgpr_spill_count: 0
    .wavefront_size: 64
  - .agpr_count:     0
    .args:
      - .address_space:  global
        .offset:         0
        .size:           8
        .value_kind:     global_buffer
      - .address_space:  global
        .offset:         8
        .size:           8
        .value_kind:     global_buffer
      - .address_space:  global
        .offset:         16
        .size:           8
        .value_kind:     global_buffer
      - .offset:         24
        .size:           4
        .value_kind:     by_value
      - .offset:         28
        .size:           4
        .value_kind:     by_value
      - .offset:         32
        .size:           4
        .value_kind:     by_value
      - .address_space:  global
        .offset:         40
        .size:           8
        .value_kind:     global_buffer
      - .offset:         48
        .size:           4
        .value_kind:     hidden_block_count_x
      - .offset:         52
        .size:           4
        .value_kind:     hidden_block_count_y
      - .offset:         56
        .size:           4
        .value_kind:     hidden_block_count_z
      - .offset:         60
        .size:           2
        .value_kind:     hidden_group_size_x
      - .offset:         62
        .size:           2
        .value_kind:     hidden_group_size_y
      - .offset:         64
        .size:           2
        .value_kind:     hidden_group_size_z
      - .offset:         66
        .size:           2
        .value_kind:     hidden_remainder_x
      - .offset:         68
        .size:           2
        .value_kind:     hidden_remainder_y
      - .offset:         70
        .size:           2
        .value_kind:     hidden_remainder_z
      - .offset:         88
        .size:           8
        .value_kind:     hidden_global_offset_x
      - .offset:         96
        .size:           8
        .value_kind:     hidden_global_offset_y
      - .offset:         104
        .size:           8
        .value_kind:     hidden_global_offset_z
      - .offset:         112
        .size:           2
        .value_kind:     hidden_grid_dims
    .group_segment_fixed_size: 0
    .kernarg_segment_align: 8
    .kernarg_segment_size: 304
    .language:       OpenCL C
    .language_version:
      - 2
      - 0
    .max_flat_workgroup_size: 1024
    .name:           _ZN12_GLOBAL__N_121softmax_warp_backwardIfffLi9ELb1ELb0ELi64EEEvPT0_PKT_S5_iiiPKb
    .private_segment_fixed_size: 0
    .sgpr_count:     28
    .sgpr_spill_count: 0
    .symbol:         _ZN12_GLOBAL__N_121softmax_warp_backwardIfffLi9ELb1ELb0ELi64EEEvPT0_PKT_S5_iiiPKb.kd
    .uniform_work_group_size: 1
    .uses_dynamic_stack: false
    .vgpr_count:     23
    .vgpr_spill_count: 0
    .wavefront_size: 64
  - .agpr_count:     0
    .args:
      - .address_space:  global
        .offset:         0
        .size:           8
        .value_kind:     global_buffer
      - .address_space:  global
        .offset:         8
        .size:           8
        .value_kind:     global_buffer
      - .address_space:  global
        .offset:         16
        .size:           8
        .value_kind:     global_buffer
      - .offset:         24
        .size:           4
        .value_kind:     by_value
      - .offset:         28
        .size:           4
        .value_kind:     by_value
      - .offset:         32
        .size:           4
        .value_kind:     by_value
      - .address_space:  global
        .offset:         40
        .size:           8
        .value_kind:     global_buffer
      - .offset:         48
        .size:           4
        .value_kind:     hidden_block_count_x
      - .offset:         52
        .size:           4
        .value_kind:     hidden_block_count_y
      - .offset:         56
        .size:           4
        .value_kind:     hidden_block_count_z
      - .offset:         60
        .size:           2
        .value_kind:     hidden_group_size_x
      - .offset:         62
        .size:           2
        .value_kind:     hidden_group_size_y
      - .offset:         64
        .size:           2
        .value_kind:     hidden_group_size_z
      - .offset:         66
        .size:           2
        .value_kind:     hidden_remainder_x
      - .offset:         68
        .size:           2
        .value_kind:     hidden_remainder_y
      - .offset:         70
        .size:           2
        .value_kind:     hidden_remainder_z
      - .offset:         88
        .size:           8
        .value_kind:     hidden_global_offset_x
      - .offset:         96
        .size:           8
        .value_kind:     hidden_global_offset_y
      - .offset:         104
        .size:           8
        .value_kind:     hidden_global_offset_z
      - .offset:         112
        .size:           2
        .value_kind:     hidden_grid_dims
    .group_segment_fixed_size: 0
    .kernarg_segment_align: 8
    .kernarg_segment_size: 304
    .language:       OpenCL C
    .language_version:
      - 2
      - 0
    .max_flat_workgroup_size: 1024
    .name:           _ZN12_GLOBAL__N_121softmax_warp_backwardIfffLi9ELb1ELb0ELi32EEEvPT0_PKT_S5_iiiPKb
    .private_segment_fixed_size: 0
    .sgpr_count:     48
    .sgpr_spill_count: 0
    .symbol:         _ZN12_GLOBAL__N_121softmax_warp_backwardIfffLi9ELb1ELb0ELi32EEEvPT0_PKT_S5_iiiPKb.kd
    .uniform_work_group_size: 1
    .uses_dynamic_stack: false
    .vgpr_count:     39
    .vgpr_spill_count: 0
    .wavefront_size: 64
  - .agpr_count:     0
    .args:
      - .address_space:  global
        .offset:         0
        .size:           8
        .value_kind:     global_buffer
      - .address_space:  global
        .offset:         8
        .size:           8
        .value_kind:     global_buffer
      - .address_space:  global
        .offset:         16
        .size:           8
        .value_kind:     global_buffer
      - .offset:         24
        .size:           4
        .value_kind:     by_value
      - .offset:         28
        .size:           4
        .value_kind:     by_value
      - .offset:         32
        .size:           4
        .value_kind:     by_value
      - .address_space:  global
        .offset:         40
        .size:           8
        .value_kind:     global_buffer
      - .offset:         48
        .size:           4
        .value_kind:     hidden_block_count_x
      - .offset:         52
        .size:           4
        .value_kind:     hidden_block_count_y
      - .offset:         56
        .size:           4
        .value_kind:     hidden_block_count_z
      - .offset:         60
        .size:           2
        .value_kind:     hidden_group_size_x
      - .offset:         62
        .size:           2
        .value_kind:     hidden_group_size_y
      - .offset:         64
        .size:           2
        .value_kind:     hidden_group_size_z
      - .offset:         66
        .size:           2
        .value_kind:     hidden_remainder_x
      - .offset:         68
        .size:           2
        .value_kind:     hidden_remainder_y
      - .offset:         70
        .size:           2
        .value_kind:     hidden_remainder_z
      - .offset:         88
        .size:           8
        .value_kind:     hidden_global_offset_x
      - .offset:         96
        .size:           8
        .value_kind:     hidden_global_offset_y
      - .offset:         104
        .size:           8
        .value_kind:     hidden_global_offset_z
      - .offset:         112
        .size:           2
        .value_kind:     hidden_grid_dims
    .group_segment_fixed_size: 0
    .kernarg_segment_align: 8
    .kernarg_segment_size: 304
    .language:       OpenCL C
    .language_version:
      - 2
      - 0
    .max_flat_workgroup_size: 1024
    .name:           _ZN12_GLOBAL__N_121softmax_warp_backwardIfffLi10ELb1ELb0ELi64EEEvPT0_PKT_S5_iiiPKb
    .private_segment_fixed_size: 0
    .sgpr_count:     48
    .sgpr_spill_count: 0
    .symbol:         _ZN12_GLOBAL__N_121softmax_warp_backwardIfffLi10ELb1ELb0ELi64EEEvPT0_PKT_S5_iiiPKb.kd
    .uniform_work_group_size: 1
    .uses_dynamic_stack: false
    .vgpr_count:     39
    .vgpr_spill_count: 0
    .wavefront_size: 64
  - .agpr_count:     0
    .args:
      - .address_space:  global
        .offset:         0
        .size:           8
        .value_kind:     global_buffer
      - .address_space:  global
        .offset:         8
        .size:           8
        .value_kind:     global_buffer
      - .address_space:  global
        .offset:         16
        .size:           8
        .value_kind:     global_buffer
      - .offset:         24
        .size:           4
        .value_kind:     by_value
      - .offset:         28
        .size:           4
        .value_kind:     by_value
      - .offset:         32
        .size:           4
        .value_kind:     by_value
      - .address_space:  global
        .offset:         40
        .size:           8
        .value_kind:     global_buffer
      - .offset:         48
        .size:           4
        .value_kind:     hidden_block_count_x
      - .offset:         52
        .size:           4
        .value_kind:     hidden_block_count_y
      - .offset:         56
        .size:           4
        .value_kind:     hidden_block_count_z
      - .offset:         60
        .size:           2
        .value_kind:     hidden_group_size_x
      - .offset:         62
        .size:           2
        .value_kind:     hidden_group_size_y
      - .offset:         64
        .size:           2
        .value_kind:     hidden_group_size_z
      - .offset:         66
        .size:           2
        .value_kind:     hidden_remainder_x
      - .offset:         68
        .size:           2
        .value_kind:     hidden_remainder_y
      - .offset:         70
        .size:           2
        .value_kind:     hidden_remainder_z
      - .offset:         88
        .size:           8
        .value_kind:     hidden_global_offset_x
      - .offset:         96
        .size:           8
        .value_kind:     hidden_global_offset_y
      - .offset:         104
        .size:           8
        .value_kind:     hidden_global_offset_z
      - .offset:         112
        .size:           2
        .value_kind:     hidden_grid_dims
    .group_segment_fixed_size: 0
    .kernarg_segment_align: 8
    .kernarg_segment_size: 304
    .language:       OpenCL C
    .language_version:
      - 2
      - 0
    .max_flat_workgroup_size: 1024
    .name:           _ZN12_GLOBAL__N_121softmax_warp_backwardIfffLi10ELb1ELb0ELi32EEEvPT0_PKT_S5_iiiPKb
    .private_segment_fixed_size: 0
    .sgpr_count:     78
    .sgpr_spill_count: 0
    .symbol:         _ZN12_GLOBAL__N_121softmax_warp_backwardIfffLi10ELb1ELb0ELi32EEEvPT0_PKT_S5_iiiPKb.kd
    .uniform_work_group_size: 1
    .uses_dynamic_stack: false
    .vgpr_count:     71
    .vgpr_spill_count: 0
    .wavefront_size: 64
  - .agpr_count:     0
    .args:
      - .address_space:  global
        .offset:         0
        .size:           8
        .value_kind:     global_buffer
      - .address_space:  global
        .offset:         8
        .size:           8
        .value_kind:     global_buffer
      - .address_space:  global
        .offset:         16
        .size:           8
        .value_kind:     global_buffer
      - .offset:         24
        .size:           8
        .value_kind:     by_value
      - .offset:         32
        .size:           4
        .value_kind:     hidden_block_count_x
      - .offset:         36
        .size:           4
        .value_kind:     hidden_block_count_y
      - .offset:         40
        .size:           4
        .value_kind:     hidden_block_count_z
      - .offset:         44
        .size:           2
        .value_kind:     hidden_group_size_x
      - .offset:         46
        .size:           2
        .value_kind:     hidden_group_size_y
      - .offset:         48
        .size:           2
        .value_kind:     hidden_group_size_z
      - .offset:         50
        .size:           2
        .value_kind:     hidden_remainder_x
      - .offset:         52
        .size:           2
        .value_kind:     hidden_remainder_y
      - .offset:         54
        .size:           2
        .value_kind:     hidden_remainder_z
      - .offset:         72
        .size:           8
        .value_kind:     hidden_global_offset_x
      - .offset:         80
        .size:           8
        .value_kind:     hidden_global_offset_y
      - .offset:         88
        .size:           8
        .value_kind:     hidden_global_offset_z
      - .offset:         96
        .size:           2
        .value_kind:     hidden_grid_dims
      - .offset:         152
        .size:           4
        .value_kind:     hidden_dynamic_lds_size
    .group_segment_fixed_size: 0
    .kernarg_segment_align: 8
    .kernarg_segment_size: 288
    .language:       OpenCL C
    .language_version:
      - 2
      - 0
    .max_flat_workgroup_size: 1024
    .name:           _ZN2at6native12_GLOBAL__N_124cunn_SoftMaxBackwardSmemILi4EfffNS1_26LogSoftMaxBackwardEpilogueEEEvPT0_PKT2_S8_l
    .private_segment_fixed_size: 0
    .sgpr_count:     24
    .sgpr_spill_count: 0
    .symbol:         _ZN2at6native12_GLOBAL__N_124cunn_SoftMaxBackwardSmemILi4EfffNS1_26LogSoftMaxBackwardEpilogueEEEvPT0_PKT2_S8_l.kd
    .uniform_work_group_size: 1
    .uses_dynamic_stack: false
    .vgpr_count:     30
    .vgpr_spill_count: 0
    .wavefront_size: 64
  - .agpr_count:     0
    .args:
      - .address_space:  global
        .offset:         0
        .size:           8
        .value_kind:     global_buffer
      - .address_space:  global
        .offset:         8
        .size:           8
        .value_kind:     global_buffer
      - .address_space:  global
        .offset:         16
        .size:           8
        .value_kind:     global_buffer
      - .offset:         24
        .size:           8
        .value_kind:     by_value
      - .offset:         32
        .size:           4
        .value_kind:     hidden_block_count_x
      - .offset:         36
        .size:           4
        .value_kind:     hidden_block_count_y
      - .offset:         40
        .size:           4
        .value_kind:     hidden_block_count_z
      - .offset:         44
        .size:           2
        .value_kind:     hidden_group_size_x
      - .offset:         46
        .size:           2
        .value_kind:     hidden_group_size_y
      - .offset:         48
        .size:           2
        .value_kind:     hidden_group_size_z
      - .offset:         50
        .size:           2
        .value_kind:     hidden_remainder_x
      - .offset:         52
        .size:           2
        .value_kind:     hidden_remainder_y
      - .offset:         54
        .size:           2
        .value_kind:     hidden_remainder_z
      - .offset:         72
        .size:           8
        .value_kind:     hidden_global_offset_x
      - .offset:         80
        .size:           8
        .value_kind:     hidden_global_offset_y
      - .offset:         88
        .size:           8
        .value_kind:     hidden_global_offset_z
      - .offset:         96
        .size:           2
        .value_kind:     hidden_grid_dims
      - .offset:         152
        .size:           4
        .value_kind:     hidden_dynamic_lds_size
    .group_segment_fixed_size: 0
    .kernarg_segment_align: 8
    .kernarg_segment_size: 288
    .language:       OpenCL C
    .language_version:
      - 2
      - 0
    .max_flat_workgroup_size: 1024
    .name:           _ZN2at6native12_GLOBAL__N_120cunn_SoftMaxBackwardILi4EfffNS1_26LogSoftMaxBackwardEpilogueEEEvPT0_PKT2_S8_l
    .private_segment_fixed_size: 0
    .sgpr_count:     88
    .sgpr_spill_count: 0
    .symbol:         _ZN2at6native12_GLOBAL__N_120cunn_SoftMaxBackwardILi4EfffNS1_26LogSoftMaxBackwardEpilogueEEEvPT0_PKT2_S8_l.kd
    .uniform_work_group_size: 1
    .uses_dynamic_stack: false
    .vgpr_count:     37
    .vgpr_spill_count: 0
    .wavefront_size: 64
  - .agpr_count:     0
    .args:
      - .address_space:  global
        .offset:         0
        .size:           8
        .value_kind:     global_buffer
      - .address_space:  global
        .offset:         8
        .size:           8
        .value_kind:     global_buffer
      - .address_space:  global
        .offset:         16
        .size:           8
        .value_kind:     global_buffer
      - .offset:         24
        .size:           4
        .value_kind:     by_value
      - .offset:         28
        .size:           4
        .value_kind:     by_value
      - .offset:         32
        .size:           4
        .value_kind:     by_value
      - .address_space:  global
        .offset:         40
        .size:           8
        .value_kind:     global_buffer
      - .offset:         48
        .size:           4
        .value_kind:     hidden_block_count_x
      - .offset:         52
        .size:           4
        .value_kind:     hidden_block_count_y
      - .offset:         56
        .size:           4
        .value_kind:     hidden_block_count_z
      - .offset:         60
        .size:           2
        .value_kind:     hidden_group_size_x
      - .offset:         62
        .size:           2
        .value_kind:     hidden_group_size_y
      - .offset:         64
        .size:           2
        .value_kind:     hidden_group_size_z
      - .offset:         66
        .size:           2
        .value_kind:     hidden_remainder_x
      - .offset:         68
        .size:           2
        .value_kind:     hidden_remainder_y
      - .offset:         70
        .size:           2
        .value_kind:     hidden_remainder_z
      - .offset:         88
        .size:           8
        .value_kind:     hidden_global_offset_x
      - .offset:         96
        .size:           8
        .value_kind:     hidden_global_offset_y
      - .offset:         104
        .size:           8
        .value_kind:     hidden_global_offset_z
      - .offset:         112
        .size:           2
        .value_kind:     hidden_grid_dims
    .group_segment_fixed_size: 0
    .kernarg_segment_align: 8
    .kernarg_segment_size: 304
    .language:       OpenCL C
    .language_version:
      - 2
      - 0
    .max_flat_workgroup_size: 1024
    .name:           _ZN12_GLOBAL__N_121softmax_warp_backwardIN3c104HalfES2_fLi0ELb1ELb0ELi64EEEvPT0_PKT_S7_iiiPKb
    .private_segment_fixed_size: 0
    .sgpr_count:     20
    .sgpr_spill_count: 0
    .symbol:         _ZN12_GLOBAL__N_121softmax_warp_backwardIN3c104HalfES2_fLi0ELb1ELb0ELi64EEEvPT0_PKT_S7_iiiPKb.kd
    .uniform_work_group_size: 1
    .uses_dynamic_stack: false
    .vgpr_count:     11
    .vgpr_spill_count: 0
    .wavefront_size: 64
  - .agpr_count:     0
    .args:
      - .address_space:  global
        .offset:         0
        .size:           8
        .value_kind:     global_buffer
      - .address_space:  global
        .offset:         8
        .size:           8
        .value_kind:     global_buffer
      - .address_space:  global
        .offset:         16
        .size:           8
        .value_kind:     global_buffer
      - .offset:         24
        .size:           4
        .value_kind:     by_value
      - .offset:         28
        .size:           4
        .value_kind:     by_value
      - .offset:         32
        .size:           4
        .value_kind:     by_value
      - .address_space:  global
        .offset:         40
        .size:           8
        .value_kind:     global_buffer
      - .offset:         48
        .size:           4
        .value_kind:     hidden_block_count_x
      - .offset:         52
        .size:           4
        .value_kind:     hidden_block_count_y
      - .offset:         56
        .size:           4
        .value_kind:     hidden_block_count_z
      - .offset:         60
        .size:           2
        .value_kind:     hidden_group_size_x
      - .offset:         62
        .size:           2
        .value_kind:     hidden_group_size_y
      - .offset:         64
        .size:           2
        .value_kind:     hidden_group_size_z
      - .offset:         66
        .size:           2
        .value_kind:     hidden_remainder_x
      - .offset:         68
        .size:           2
        .value_kind:     hidden_remainder_y
      - .offset:         70
        .size:           2
        .value_kind:     hidden_remainder_z
      - .offset:         88
        .size:           8
        .value_kind:     hidden_global_offset_x
      - .offset:         96
        .size:           8
        .value_kind:     hidden_global_offset_y
      - .offset:         104
        .size:           8
        .value_kind:     hidden_global_offset_z
      - .offset:         112
        .size:           2
        .value_kind:     hidden_grid_dims
    .group_segment_fixed_size: 0
    .kernarg_segment_align: 8
    .kernarg_segment_size: 304
    .language:       OpenCL C
    .language_version:
      - 2
      - 0
    .max_flat_workgroup_size: 1024
    .name:           _ZN12_GLOBAL__N_121softmax_warp_backwardIN3c104HalfES2_fLi0ELb1ELb0ELi32EEEvPT0_PKT_S7_iiiPKb
    .private_segment_fixed_size: 0
    .sgpr_count:     20
    .sgpr_spill_count: 0
    .symbol:         _ZN12_GLOBAL__N_121softmax_warp_backwardIN3c104HalfES2_fLi0ELb1ELb0ELi32EEEvPT0_PKT_S7_iiiPKb.kd
    .uniform_work_group_size: 1
    .uses_dynamic_stack: false
    .vgpr_count:     11
    .vgpr_spill_count: 0
    .wavefront_size: 64
  - .agpr_count:     0
    .args:
      - .address_space:  global
        .offset:         0
        .size:           8
        .value_kind:     global_buffer
      - .address_space:  global
        .offset:         8
        .size:           8
        .value_kind:     global_buffer
      - .address_space:  global
        .offset:         16
        .size:           8
        .value_kind:     global_buffer
      - .offset:         24
        .size:           4
        .value_kind:     by_value
      - .offset:         28
        .size:           4
        .value_kind:     by_value
      - .offset:         32
        .size:           4
        .value_kind:     by_value
      - .address_space:  global
        .offset:         40
        .size:           8
        .value_kind:     global_buffer
      - .offset:         48
        .size:           4
        .value_kind:     hidden_block_count_x
      - .offset:         52
        .size:           4
        .value_kind:     hidden_block_count_y
      - .offset:         56
        .size:           4
        .value_kind:     hidden_block_count_z
      - .offset:         60
        .size:           2
        .value_kind:     hidden_group_size_x
      - .offset:         62
        .size:           2
        .value_kind:     hidden_group_size_y
      - .offset:         64
        .size:           2
        .value_kind:     hidden_group_size_z
      - .offset:         66
        .size:           2
        .value_kind:     hidden_remainder_x
      - .offset:         68
        .size:           2
        .value_kind:     hidden_remainder_y
      - .offset:         70
        .size:           2
        .value_kind:     hidden_remainder_z
      - .offset:         88
        .size:           8
        .value_kind:     hidden_global_offset_x
      - .offset:         96
        .size:           8
        .value_kind:     hidden_global_offset_y
      - .offset:         104
        .size:           8
        .value_kind:     hidden_global_offset_z
      - .offset:         112
        .size:           2
        .value_kind:     hidden_grid_dims
    .group_segment_fixed_size: 0
    .kernarg_segment_align: 8
    .kernarg_segment_size: 304
    .language:       OpenCL C
    .language_version:
      - 2
      - 0
    .max_flat_workgroup_size: 1024
    .name:           _ZN12_GLOBAL__N_121softmax_warp_backwardIN3c104HalfES2_fLi1ELb1ELb0ELi64EEEvPT0_PKT_S7_iiiPKb
    .private_segment_fixed_size: 0
    .sgpr_count:     20
    .sgpr_spill_count: 0
    .symbol:         _ZN12_GLOBAL__N_121softmax_warp_backwardIN3c104HalfES2_fLi1ELb1ELb0ELi64EEEvPT0_PKT_S7_iiiPKb.kd
    .uniform_work_group_size: 1
    .uses_dynamic_stack: false
    .vgpr_count:     12
    .vgpr_spill_count: 0
    .wavefront_size: 64
  - .agpr_count:     0
    .args:
      - .address_space:  global
        .offset:         0
        .size:           8
        .value_kind:     global_buffer
      - .address_space:  global
        .offset:         8
        .size:           8
        .value_kind:     global_buffer
      - .address_space:  global
        .offset:         16
        .size:           8
        .value_kind:     global_buffer
      - .offset:         24
        .size:           4
        .value_kind:     by_value
      - .offset:         28
        .size:           4
        .value_kind:     by_value
      - .offset:         32
        .size:           4
        .value_kind:     by_value
      - .address_space:  global
        .offset:         40
        .size:           8
        .value_kind:     global_buffer
      - .offset:         48
        .size:           4
        .value_kind:     hidden_block_count_x
      - .offset:         52
        .size:           4
        .value_kind:     hidden_block_count_y
      - .offset:         56
        .size:           4
        .value_kind:     hidden_block_count_z
      - .offset:         60
        .size:           2
        .value_kind:     hidden_group_size_x
      - .offset:         62
        .size:           2
        .value_kind:     hidden_group_size_y
      - .offset:         64
        .size:           2
        .value_kind:     hidden_group_size_z
      - .offset:         66
        .size:           2
        .value_kind:     hidden_remainder_x
      - .offset:         68
        .size:           2
        .value_kind:     hidden_remainder_y
      - .offset:         70
        .size:           2
        .value_kind:     hidden_remainder_z
      - .offset:         88
        .size:           8
        .value_kind:     hidden_global_offset_x
      - .offset:         96
        .size:           8
        .value_kind:     hidden_global_offset_y
      - .offset:         104
        .size:           8
        .value_kind:     hidden_global_offset_z
      - .offset:         112
        .size:           2
        .value_kind:     hidden_grid_dims
    .group_segment_fixed_size: 0
    .kernarg_segment_align: 8
    .kernarg_segment_size: 304
    .language:       OpenCL C
    .language_version:
      - 2
      - 0
    .max_flat_workgroup_size: 1024
    .name:           _ZN12_GLOBAL__N_121softmax_warp_backwardIN3c104HalfES2_fLi1ELb1ELb0ELi32EEEvPT0_PKT_S7_iiiPKb
    .private_segment_fixed_size: 0
    .sgpr_count:     20
    .sgpr_spill_count: 0
    .symbol:         _ZN12_GLOBAL__N_121softmax_warp_backwardIN3c104HalfES2_fLi1ELb1ELb0ELi32EEEvPT0_PKT_S7_iiiPKb.kd
    .uniform_work_group_size: 1
    .uses_dynamic_stack: false
    .vgpr_count:     12
    .vgpr_spill_count: 0
    .wavefront_size: 64
  - .agpr_count:     0
    .args:
      - .address_space:  global
        .offset:         0
        .size:           8
        .value_kind:     global_buffer
      - .address_space:  global
        .offset:         8
        .size:           8
        .value_kind:     global_buffer
      - .address_space:  global
        .offset:         16
        .size:           8
        .value_kind:     global_buffer
      - .offset:         24
        .size:           4
        .value_kind:     by_value
      - .offset:         28
        .size:           4
        .value_kind:     by_value
      - .offset:         32
        .size:           4
        .value_kind:     by_value
      - .address_space:  global
        .offset:         40
        .size:           8
        .value_kind:     global_buffer
      - .offset:         48
        .size:           4
        .value_kind:     hidden_block_count_x
      - .offset:         52
        .size:           4
        .value_kind:     hidden_block_count_y
      - .offset:         56
        .size:           4
        .value_kind:     hidden_block_count_z
      - .offset:         60
        .size:           2
        .value_kind:     hidden_group_size_x
      - .offset:         62
        .size:           2
        .value_kind:     hidden_group_size_y
      - .offset:         64
        .size:           2
        .value_kind:     hidden_group_size_z
      - .offset:         66
        .size:           2
        .value_kind:     hidden_remainder_x
      - .offset:         68
        .size:           2
        .value_kind:     hidden_remainder_y
      - .offset:         70
        .size:           2
        .value_kind:     hidden_remainder_z
      - .offset:         88
        .size:           8
        .value_kind:     hidden_global_offset_x
      - .offset:         96
        .size:           8
        .value_kind:     hidden_global_offset_y
      - .offset:         104
        .size:           8
        .value_kind:     hidden_global_offset_z
      - .offset:         112
        .size:           2
        .value_kind:     hidden_grid_dims
    .group_segment_fixed_size: 0
    .kernarg_segment_align: 8
    .kernarg_segment_size: 304
    .language:       OpenCL C
    .language_version:
      - 2
      - 0
    .max_flat_workgroup_size: 1024
    .name:           _ZN12_GLOBAL__N_121softmax_warp_backwardIN3c104HalfES2_fLi2ELb1ELb0ELi64EEEvPT0_PKT_S7_iiiPKb
    .private_segment_fixed_size: 0
    .sgpr_count:     20
    .sgpr_spill_count: 0
    .symbol:         _ZN12_GLOBAL__N_121softmax_warp_backwardIN3c104HalfES2_fLi2ELb1ELb0ELi64EEEvPT0_PKT_S7_iiiPKb.kd
    .uniform_work_group_size: 1
    .uses_dynamic_stack: false
    .vgpr_count:     14
    .vgpr_spill_count: 0
    .wavefront_size: 64
  - .agpr_count:     0
    .args:
      - .address_space:  global
        .offset:         0
        .size:           8
        .value_kind:     global_buffer
      - .address_space:  global
        .offset:         8
        .size:           8
        .value_kind:     global_buffer
      - .address_space:  global
        .offset:         16
        .size:           8
        .value_kind:     global_buffer
      - .offset:         24
        .size:           4
        .value_kind:     by_value
      - .offset:         28
        .size:           4
        .value_kind:     by_value
      - .offset:         32
        .size:           4
        .value_kind:     by_value
      - .address_space:  global
        .offset:         40
        .size:           8
        .value_kind:     global_buffer
      - .offset:         48
        .size:           4
        .value_kind:     hidden_block_count_x
      - .offset:         52
        .size:           4
        .value_kind:     hidden_block_count_y
      - .offset:         56
        .size:           4
        .value_kind:     hidden_block_count_z
      - .offset:         60
        .size:           2
        .value_kind:     hidden_group_size_x
      - .offset:         62
        .size:           2
        .value_kind:     hidden_group_size_y
      - .offset:         64
        .size:           2
        .value_kind:     hidden_group_size_z
      - .offset:         66
        .size:           2
        .value_kind:     hidden_remainder_x
      - .offset:         68
        .size:           2
        .value_kind:     hidden_remainder_y
      - .offset:         70
        .size:           2
        .value_kind:     hidden_remainder_z
      - .offset:         88
        .size:           8
        .value_kind:     hidden_global_offset_x
      - .offset:         96
        .size:           8
        .value_kind:     hidden_global_offset_y
      - .offset:         104
        .size:           8
        .value_kind:     hidden_global_offset_z
      - .offset:         112
        .size:           2
        .value_kind:     hidden_grid_dims
    .group_segment_fixed_size: 0
    .kernarg_segment_align: 8
    .kernarg_segment_size: 304
    .language:       OpenCL C
    .language_version:
      - 2
      - 0
    .max_flat_workgroup_size: 1024
    .name:           _ZN12_GLOBAL__N_121softmax_warp_backwardIN3c104HalfES2_fLi2ELb1ELb0ELi32EEEvPT0_PKT_S7_iiiPKb
    .private_segment_fixed_size: 0
    .sgpr_count:     20
    .sgpr_spill_count: 0
    .symbol:         _ZN12_GLOBAL__N_121softmax_warp_backwardIN3c104HalfES2_fLi2ELb1ELb0ELi32EEEvPT0_PKT_S7_iiiPKb.kd
    .uniform_work_group_size: 1
    .uses_dynamic_stack: false
    .vgpr_count:     14
    .vgpr_spill_count: 0
    .wavefront_size: 64
  - .agpr_count:     0
    .args:
      - .address_space:  global
        .offset:         0
        .size:           8
        .value_kind:     global_buffer
      - .address_space:  global
        .offset:         8
        .size:           8
        .value_kind:     global_buffer
      - .address_space:  global
        .offset:         16
        .size:           8
        .value_kind:     global_buffer
      - .offset:         24
        .size:           4
        .value_kind:     by_value
      - .offset:         28
        .size:           4
        .value_kind:     by_value
      - .offset:         32
        .size:           4
        .value_kind:     by_value
      - .address_space:  global
        .offset:         40
        .size:           8
        .value_kind:     global_buffer
      - .offset:         48
        .size:           4
        .value_kind:     hidden_block_count_x
      - .offset:         52
        .size:           4
        .value_kind:     hidden_block_count_y
      - .offset:         56
        .size:           4
        .value_kind:     hidden_block_count_z
      - .offset:         60
        .size:           2
        .value_kind:     hidden_group_size_x
      - .offset:         62
        .size:           2
        .value_kind:     hidden_group_size_y
      - .offset:         64
        .size:           2
        .value_kind:     hidden_group_size_z
      - .offset:         66
        .size:           2
        .value_kind:     hidden_remainder_x
      - .offset:         68
        .size:           2
        .value_kind:     hidden_remainder_y
      - .offset:         70
        .size:           2
        .value_kind:     hidden_remainder_z
      - .offset:         88
        .size:           8
        .value_kind:     hidden_global_offset_x
      - .offset:         96
        .size:           8
        .value_kind:     hidden_global_offset_y
      - .offset:         104
        .size:           8
        .value_kind:     hidden_global_offset_z
      - .offset:         112
        .size:           2
        .value_kind:     hidden_grid_dims
    .group_segment_fixed_size: 0
    .kernarg_segment_align: 8
    .kernarg_segment_size: 304
    .language:       OpenCL C
    .language_version:
      - 2
      - 0
    .max_flat_workgroup_size: 1024
    .name:           _ZN12_GLOBAL__N_121softmax_warp_backwardIN3c104HalfES2_fLi3ELb1ELb0ELi64EEEvPT0_PKT_S7_iiiPKb
    .private_segment_fixed_size: 0
    .sgpr_count:     20
    .sgpr_spill_count: 0
    .symbol:         _ZN12_GLOBAL__N_121softmax_warp_backwardIN3c104HalfES2_fLi3ELb1ELb0ELi64EEEvPT0_PKT_S7_iiiPKb.kd
    .uniform_work_group_size: 1
    .uses_dynamic_stack: false
    .vgpr_count:     14
    .vgpr_spill_count: 0
    .wavefront_size: 64
  - .agpr_count:     0
    .args:
      - .address_space:  global
        .offset:         0
        .size:           8
        .value_kind:     global_buffer
      - .address_space:  global
        .offset:         8
        .size:           8
        .value_kind:     global_buffer
      - .address_space:  global
        .offset:         16
        .size:           8
        .value_kind:     global_buffer
      - .offset:         24
        .size:           4
        .value_kind:     by_value
      - .offset:         28
        .size:           4
        .value_kind:     by_value
      - .offset:         32
        .size:           4
        .value_kind:     by_value
      - .address_space:  global
        .offset:         40
        .size:           8
        .value_kind:     global_buffer
      - .offset:         48
        .size:           4
        .value_kind:     hidden_block_count_x
      - .offset:         52
        .size:           4
        .value_kind:     hidden_block_count_y
      - .offset:         56
        .size:           4
        .value_kind:     hidden_block_count_z
      - .offset:         60
        .size:           2
        .value_kind:     hidden_group_size_x
      - .offset:         62
        .size:           2
        .value_kind:     hidden_group_size_y
      - .offset:         64
        .size:           2
        .value_kind:     hidden_group_size_z
      - .offset:         66
        .size:           2
        .value_kind:     hidden_remainder_x
      - .offset:         68
        .size:           2
        .value_kind:     hidden_remainder_y
      - .offset:         70
        .size:           2
        .value_kind:     hidden_remainder_z
      - .offset:         88
        .size:           8
        .value_kind:     hidden_global_offset_x
      - .offset:         96
        .size:           8
        .value_kind:     hidden_global_offset_y
      - .offset:         104
        .size:           8
        .value_kind:     hidden_global_offset_z
      - .offset:         112
        .size:           2
        .value_kind:     hidden_grid_dims
    .group_segment_fixed_size: 0
    .kernarg_segment_align: 8
    .kernarg_segment_size: 304
    .language:       OpenCL C
    .language_version:
      - 2
      - 0
    .max_flat_workgroup_size: 1024
    .name:           _ZN12_GLOBAL__N_121softmax_warp_backwardIN3c104HalfES2_fLi3ELb1ELb0ELi32EEEvPT0_PKT_S7_iiiPKb
    .private_segment_fixed_size: 0
    .sgpr_count:     20
    .sgpr_spill_count: 0
    .symbol:         _ZN12_GLOBAL__N_121softmax_warp_backwardIN3c104HalfES2_fLi3ELb1ELb0ELi32EEEvPT0_PKT_S7_iiiPKb.kd
    .uniform_work_group_size: 1
    .uses_dynamic_stack: false
    .vgpr_count:     14
    .vgpr_spill_count: 0
    .wavefront_size: 64
  - .agpr_count:     0
    .args:
      - .address_space:  global
        .offset:         0
        .size:           8
        .value_kind:     global_buffer
      - .address_space:  global
        .offset:         8
        .size:           8
        .value_kind:     global_buffer
      - .address_space:  global
        .offset:         16
        .size:           8
        .value_kind:     global_buffer
      - .offset:         24
        .size:           4
        .value_kind:     by_value
      - .offset:         28
        .size:           4
        .value_kind:     by_value
      - .offset:         32
        .size:           4
        .value_kind:     by_value
      - .address_space:  global
        .offset:         40
        .size:           8
        .value_kind:     global_buffer
      - .offset:         48
        .size:           4
        .value_kind:     hidden_block_count_x
      - .offset:         52
        .size:           4
        .value_kind:     hidden_block_count_y
      - .offset:         56
        .size:           4
        .value_kind:     hidden_block_count_z
      - .offset:         60
        .size:           2
        .value_kind:     hidden_group_size_x
      - .offset:         62
        .size:           2
        .value_kind:     hidden_group_size_y
      - .offset:         64
        .size:           2
        .value_kind:     hidden_group_size_z
      - .offset:         66
        .size:           2
        .value_kind:     hidden_remainder_x
      - .offset:         68
        .size:           2
        .value_kind:     hidden_remainder_y
      - .offset:         70
        .size:           2
        .value_kind:     hidden_remainder_z
      - .offset:         88
        .size:           8
        .value_kind:     hidden_global_offset_x
      - .offset:         96
        .size:           8
        .value_kind:     hidden_global_offset_y
      - .offset:         104
        .size:           8
        .value_kind:     hidden_global_offset_z
      - .offset:         112
        .size:           2
        .value_kind:     hidden_grid_dims
    .group_segment_fixed_size: 0
    .kernarg_segment_align: 8
    .kernarg_segment_size: 304
    .language:       OpenCL C
    .language_version:
      - 2
      - 0
    .max_flat_workgroup_size: 1024
    .name:           _ZN12_GLOBAL__N_121softmax_warp_backwardIN3c104HalfES2_fLi4ELb1ELb0ELi64EEEvPT0_PKT_S7_iiiPKb
    .private_segment_fixed_size: 0
    .sgpr_count:     20
    .sgpr_spill_count: 0
    .symbol:         _ZN12_GLOBAL__N_121softmax_warp_backwardIN3c104HalfES2_fLi4ELb1ELb0ELi64EEEvPT0_PKT_S7_iiiPKb.kd
    .uniform_work_group_size: 1
    .uses_dynamic_stack: false
    .vgpr_count:     14
    .vgpr_spill_count: 0
    .wavefront_size: 64
  - .agpr_count:     0
    .args:
      - .address_space:  global
        .offset:         0
        .size:           8
        .value_kind:     global_buffer
      - .address_space:  global
        .offset:         8
        .size:           8
        .value_kind:     global_buffer
      - .address_space:  global
        .offset:         16
        .size:           8
        .value_kind:     global_buffer
      - .offset:         24
        .size:           4
        .value_kind:     by_value
      - .offset:         28
        .size:           4
        .value_kind:     by_value
      - .offset:         32
        .size:           4
        .value_kind:     by_value
      - .address_space:  global
        .offset:         40
        .size:           8
        .value_kind:     global_buffer
      - .offset:         48
        .size:           4
        .value_kind:     hidden_block_count_x
      - .offset:         52
        .size:           4
        .value_kind:     hidden_block_count_y
      - .offset:         56
        .size:           4
        .value_kind:     hidden_block_count_z
      - .offset:         60
        .size:           2
        .value_kind:     hidden_group_size_x
      - .offset:         62
        .size:           2
        .value_kind:     hidden_group_size_y
      - .offset:         64
        .size:           2
        .value_kind:     hidden_group_size_z
      - .offset:         66
        .size:           2
        .value_kind:     hidden_remainder_x
      - .offset:         68
        .size:           2
        .value_kind:     hidden_remainder_y
      - .offset:         70
        .size:           2
        .value_kind:     hidden_remainder_z
      - .offset:         88
        .size:           8
        .value_kind:     hidden_global_offset_x
      - .offset:         96
        .size:           8
        .value_kind:     hidden_global_offset_y
      - .offset:         104
        .size:           8
        .value_kind:     hidden_global_offset_z
      - .offset:         112
        .size:           2
        .value_kind:     hidden_grid_dims
    .group_segment_fixed_size: 0
    .kernarg_segment_align: 8
    .kernarg_segment_size: 304
    .language:       OpenCL C
    .language_version:
      - 2
      - 0
    .max_flat_workgroup_size: 1024
    .name:           _ZN12_GLOBAL__N_121softmax_warp_backwardIN3c104HalfES2_fLi4ELb1ELb0ELi32EEEvPT0_PKT_S7_iiiPKb
    .private_segment_fixed_size: 0
    .sgpr_count:     20
    .sgpr_spill_count: 0
    .symbol:         _ZN12_GLOBAL__N_121softmax_warp_backwardIN3c104HalfES2_fLi4ELb1ELb0ELi32EEEvPT0_PKT_S7_iiiPKb.kd
    .uniform_work_group_size: 1
    .uses_dynamic_stack: false
    .vgpr_count:     14
    .vgpr_spill_count: 0
    .wavefront_size: 64
  - .agpr_count:     0
    .args:
      - .address_space:  global
        .offset:         0
        .size:           8
        .value_kind:     global_buffer
      - .address_space:  global
        .offset:         8
        .size:           8
        .value_kind:     global_buffer
      - .address_space:  global
        .offset:         16
        .size:           8
        .value_kind:     global_buffer
      - .offset:         24
        .size:           4
        .value_kind:     by_value
      - .offset:         28
        .size:           4
        .value_kind:     by_value
      - .offset:         32
        .size:           4
        .value_kind:     by_value
      - .address_space:  global
        .offset:         40
        .size:           8
        .value_kind:     global_buffer
      - .offset:         48
        .size:           4
        .value_kind:     hidden_block_count_x
      - .offset:         52
        .size:           4
        .value_kind:     hidden_block_count_y
      - .offset:         56
        .size:           4
        .value_kind:     hidden_block_count_z
      - .offset:         60
        .size:           2
        .value_kind:     hidden_group_size_x
      - .offset:         62
        .size:           2
        .value_kind:     hidden_group_size_y
      - .offset:         64
        .size:           2
        .value_kind:     hidden_group_size_z
      - .offset:         66
        .size:           2
        .value_kind:     hidden_remainder_x
      - .offset:         68
        .size:           2
        .value_kind:     hidden_remainder_y
      - .offset:         70
        .size:           2
        .value_kind:     hidden_remainder_z
      - .offset:         88
        .size:           8
        .value_kind:     hidden_global_offset_x
      - .offset:         96
        .size:           8
        .value_kind:     hidden_global_offset_y
      - .offset:         104
        .size:           8
        .value_kind:     hidden_global_offset_z
      - .offset:         112
        .size:           2
        .value_kind:     hidden_grid_dims
    .group_segment_fixed_size: 0
    .kernarg_segment_align: 8
    .kernarg_segment_size: 304
    .language:       OpenCL C
    .language_version:
      - 2
      - 0
    .max_flat_workgroup_size: 1024
    .name:           _ZN12_GLOBAL__N_121softmax_warp_backwardIN3c104HalfES2_fLi5ELb1ELb0ELi64EEEvPT0_PKT_S7_iiiPKb
    .private_segment_fixed_size: 0
    .sgpr_count:     20
    .sgpr_spill_count: 0
    .symbol:         _ZN12_GLOBAL__N_121softmax_warp_backwardIN3c104HalfES2_fLi5ELb1ELb0ELi64EEEvPT0_PKT_S7_iiiPKb.kd
    .uniform_work_group_size: 1
    .uses_dynamic_stack: false
    .vgpr_count:     14
    .vgpr_spill_count: 0
    .wavefront_size: 64
  - .agpr_count:     0
    .args:
      - .address_space:  global
        .offset:         0
        .size:           8
        .value_kind:     global_buffer
      - .address_space:  global
        .offset:         8
        .size:           8
        .value_kind:     global_buffer
      - .address_space:  global
        .offset:         16
        .size:           8
        .value_kind:     global_buffer
      - .offset:         24
        .size:           4
        .value_kind:     by_value
      - .offset:         28
        .size:           4
        .value_kind:     by_value
      - .offset:         32
        .size:           4
        .value_kind:     by_value
      - .address_space:  global
        .offset:         40
        .size:           8
        .value_kind:     global_buffer
      - .offset:         48
        .size:           4
        .value_kind:     hidden_block_count_x
      - .offset:         52
        .size:           4
        .value_kind:     hidden_block_count_y
      - .offset:         56
        .size:           4
        .value_kind:     hidden_block_count_z
      - .offset:         60
        .size:           2
        .value_kind:     hidden_group_size_x
      - .offset:         62
        .size:           2
        .value_kind:     hidden_group_size_y
      - .offset:         64
        .size:           2
        .value_kind:     hidden_group_size_z
      - .offset:         66
        .size:           2
        .value_kind:     hidden_remainder_x
      - .offset:         68
        .size:           2
        .value_kind:     hidden_remainder_y
      - .offset:         70
        .size:           2
        .value_kind:     hidden_remainder_z
      - .offset:         88
        .size:           8
        .value_kind:     hidden_global_offset_x
      - .offset:         96
        .size:           8
        .value_kind:     hidden_global_offset_y
      - .offset:         104
        .size:           8
        .value_kind:     hidden_global_offset_z
      - .offset:         112
        .size:           2
        .value_kind:     hidden_grid_dims
    .group_segment_fixed_size: 0
    .kernarg_segment_align: 8
    .kernarg_segment_size: 304
    .language:       OpenCL C
    .language_version:
      - 2
      - 0
    .max_flat_workgroup_size: 1024
    .name:           _ZN12_GLOBAL__N_121softmax_warp_backwardIN3c104HalfES2_fLi5ELb1ELb0ELi32EEEvPT0_PKT_S7_iiiPKb
    .private_segment_fixed_size: 0
    .sgpr_count:     20
    .sgpr_spill_count: 0
    .symbol:         _ZN12_GLOBAL__N_121softmax_warp_backwardIN3c104HalfES2_fLi5ELb1ELb0ELi32EEEvPT0_PKT_S7_iiiPKb.kd
    .uniform_work_group_size: 1
    .uses_dynamic_stack: false
    .vgpr_count:     14
    .vgpr_spill_count: 0
    .wavefront_size: 64
  - .agpr_count:     0
    .args:
      - .address_space:  global
        .offset:         0
        .size:           8
        .value_kind:     global_buffer
      - .address_space:  global
        .offset:         8
        .size:           8
        .value_kind:     global_buffer
      - .address_space:  global
        .offset:         16
        .size:           8
        .value_kind:     global_buffer
      - .offset:         24
        .size:           4
        .value_kind:     by_value
      - .offset:         28
        .size:           4
        .value_kind:     by_value
      - .offset:         32
        .size:           4
        .value_kind:     by_value
      - .address_space:  global
        .offset:         40
        .size:           8
        .value_kind:     global_buffer
      - .offset:         48
        .size:           4
        .value_kind:     hidden_block_count_x
      - .offset:         52
        .size:           4
        .value_kind:     hidden_block_count_y
      - .offset:         56
        .size:           4
        .value_kind:     hidden_block_count_z
      - .offset:         60
        .size:           2
        .value_kind:     hidden_group_size_x
      - .offset:         62
        .size:           2
        .value_kind:     hidden_group_size_y
      - .offset:         64
        .size:           2
        .value_kind:     hidden_group_size_z
      - .offset:         66
        .size:           2
        .value_kind:     hidden_remainder_x
      - .offset:         68
        .size:           2
        .value_kind:     hidden_remainder_y
      - .offset:         70
        .size:           2
        .value_kind:     hidden_remainder_z
      - .offset:         88
        .size:           8
        .value_kind:     hidden_global_offset_x
      - .offset:         96
        .size:           8
        .value_kind:     hidden_global_offset_y
      - .offset:         104
        .size:           8
        .value_kind:     hidden_global_offset_z
      - .offset:         112
        .size:           2
        .value_kind:     hidden_grid_dims
    .group_segment_fixed_size: 0
    .kernarg_segment_align: 8
    .kernarg_segment_size: 304
    .language:       OpenCL C
    .language_version:
      - 2
      - 0
    .max_flat_workgroup_size: 1024
    .name:           _ZN12_GLOBAL__N_121softmax_warp_backwardIN3c104HalfES2_fLi6ELb1ELb0ELi64EEEvPT0_PKT_S7_iiiPKb
    .private_segment_fixed_size: 0
    .sgpr_count:     20
    .sgpr_spill_count: 0
    .symbol:         _ZN12_GLOBAL__N_121softmax_warp_backwardIN3c104HalfES2_fLi6ELb1ELb0ELi64EEEvPT0_PKT_S7_iiiPKb.kd
    .uniform_work_group_size: 1
    .uses_dynamic_stack: false
    .vgpr_count:     14
    .vgpr_spill_count: 0
    .wavefront_size: 64
  - .agpr_count:     0
    .args:
      - .address_space:  global
        .offset:         0
        .size:           8
        .value_kind:     global_buffer
      - .address_space:  global
        .offset:         8
        .size:           8
        .value_kind:     global_buffer
      - .address_space:  global
        .offset:         16
        .size:           8
        .value_kind:     global_buffer
      - .offset:         24
        .size:           4
        .value_kind:     by_value
      - .offset:         28
        .size:           4
        .value_kind:     by_value
      - .offset:         32
        .size:           4
        .value_kind:     by_value
      - .address_space:  global
        .offset:         40
        .size:           8
        .value_kind:     global_buffer
      - .offset:         48
        .size:           4
        .value_kind:     hidden_block_count_x
      - .offset:         52
        .size:           4
        .value_kind:     hidden_block_count_y
      - .offset:         56
        .size:           4
        .value_kind:     hidden_block_count_z
      - .offset:         60
        .size:           2
        .value_kind:     hidden_group_size_x
      - .offset:         62
        .size:           2
        .value_kind:     hidden_group_size_y
      - .offset:         64
        .size:           2
        .value_kind:     hidden_group_size_z
      - .offset:         66
        .size:           2
        .value_kind:     hidden_remainder_x
      - .offset:         68
        .size:           2
        .value_kind:     hidden_remainder_y
      - .offset:         70
        .size:           2
        .value_kind:     hidden_remainder_z
      - .offset:         88
        .size:           8
        .value_kind:     hidden_global_offset_x
      - .offset:         96
        .size:           8
        .value_kind:     hidden_global_offset_y
      - .offset:         104
        .size:           8
        .value_kind:     hidden_global_offset_z
      - .offset:         112
        .size:           2
        .value_kind:     hidden_grid_dims
    .group_segment_fixed_size: 0
    .kernarg_segment_align: 8
    .kernarg_segment_size: 304
    .language:       OpenCL C
    .language_version:
      - 2
      - 0
    .max_flat_workgroup_size: 1024
    .name:           _ZN12_GLOBAL__N_121softmax_warp_backwardIN3c104HalfES2_fLi6ELb1ELb0ELi32EEEvPT0_PKT_S7_iiiPKb
    .private_segment_fixed_size: 0
    .sgpr_count:     20
    .sgpr_spill_count: 0
    .symbol:         _ZN12_GLOBAL__N_121softmax_warp_backwardIN3c104HalfES2_fLi6ELb1ELb0ELi32EEEvPT0_PKT_S7_iiiPKb.kd
    .uniform_work_group_size: 1
    .uses_dynamic_stack: false
    .vgpr_count:     18
    .vgpr_spill_count: 0
    .wavefront_size: 64
  - .agpr_count:     0
    .args:
      - .address_space:  global
        .offset:         0
        .size:           8
        .value_kind:     global_buffer
      - .address_space:  global
        .offset:         8
        .size:           8
        .value_kind:     global_buffer
      - .address_space:  global
        .offset:         16
        .size:           8
        .value_kind:     global_buffer
      - .offset:         24
        .size:           4
        .value_kind:     by_value
      - .offset:         28
        .size:           4
        .value_kind:     by_value
      - .offset:         32
        .size:           4
        .value_kind:     by_value
      - .address_space:  global
        .offset:         40
        .size:           8
        .value_kind:     global_buffer
      - .offset:         48
        .size:           4
        .value_kind:     hidden_block_count_x
      - .offset:         52
        .size:           4
        .value_kind:     hidden_block_count_y
      - .offset:         56
        .size:           4
        .value_kind:     hidden_block_count_z
      - .offset:         60
        .size:           2
        .value_kind:     hidden_group_size_x
      - .offset:         62
        .size:           2
        .value_kind:     hidden_group_size_y
      - .offset:         64
        .size:           2
        .value_kind:     hidden_group_size_z
      - .offset:         66
        .size:           2
        .value_kind:     hidden_remainder_x
      - .offset:         68
        .size:           2
        .value_kind:     hidden_remainder_y
      - .offset:         70
        .size:           2
        .value_kind:     hidden_remainder_z
      - .offset:         88
        .size:           8
        .value_kind:     hidden_global_offset_x
      - .offset:         96
        .size:           8
        .value_kind:     hidden_global_offset_y
      - .offset:         104
        .size:           8
        .value_kind:     hidden_global_offset_z
      - .offset:         112
        .size:           2
        .value_kind:     hidden_grid_dims
    .group_segment_fixed_size: 0
    .kernarg_segment_align: 8
    .kernarg_segment_size: 304
    .language:       OpenCL C
    .language_version:
      - 2
      - 0
    .max_flat_workgroup_size: 1024
    .name:           _ZN12_GLOBAL__N_121softmax_warp_backwardIN3c104HalfES2_fLi7ELb1ELb0ELi64EEEvPT0_PKT_S7_iiiPKb
    .private_segment_fixed_size: 0
    .sgpr_count:     20
    .sgpr_spill_count: 0
    .symbol:         _ZN12_GLOBAL__N_121softmax_warp_backwardIN3c104HalfES2_fLi7ELb1ELb0ELi64EEEvPT0_PKT_S7_iiiPKb.kd
    .uniform_work_group_size: 1
    .uses_dynamic_stack: false
    .vgpr_count:     18
    .vgpr_spill_count: 0
    .wavefront_size: 64
  - .agpr_count:     0
    .args:
      - .address_space:  global
        .offset:         0
        .size:           8
        .value_kind:     global_buffer
      - .address_space:  global
        .offset:         8
        .size:           8
        .value_kind:     global_buffer
      - .address_space:  global
        .offset:         16
        .size:           8
        .value_kind:     global_buffer
      - .offset:         24
        .size:           4
        .value_kind:     by_value
      - .offset:         28
        .size:           4
        .value_kind:     by_value
      - .offset:         32
        .size:           4
        .value_kind:     by_value
      - .address_space:  global
        .offset:         40
        .size:           8
        .value_kind:     global_buffer
      - .offset:         48
        .size:           4
        .value_kind:     hidden_block_count_x
      - .offset:         52
        .size:           4
        .value_kind:     hidden_block_count_y
      - .offset:         56
        .size:           4
        .value_kind:     hidden_block_count_z
      - .offset:         60
        .size:           2
        .value_kind:     hidden_group_size_x
      - .offset:         62
        .size:           2
        .value_kind:     hidden_group_size_y
      - .offset:         64
        .size:           2
        .value_kind:     hidden_group_size_z
      - .offset:         66
        .size:           2
        .value_kind:     hidden_remainder_x
      - .offset:         68
        .size:           2
        .value_kind:     hidden_remainder_y
      - .offset:         70
        .size:           2
        .value_kind:     hidden_remainder_z
      - .offset:         88
        .size:           8
        .value_kind:     hidden_global_offset_x
      - .offset:         96
        .size:           8
        .value_kind:     hidden_global_offset_y
      - .offset:         104
        .size:           8
        .value_kind:     hidden_global_offset_z
      - .offset:         112
        .size:           2
        .value_kind:     hidden_grid_dims
    .group_segment_fixed_size: 0
    .kernarg_segment_align: 8
    .kernarg_segment_size: 304
    .language:       OpenCL C
    .language_version:
      - 2
      - 0
    .max_flat_workgroup_size: 1024
    .name:           _ZN12_GLOBAL__N_121softmax_warp_backwardIN3c104HalfES2_fLi7ELb1ELb0ELi32EEEvPT0_PKT_S7_iiiPKb
    .private_segment_fixed_size: 0
    .sgpr_count:     24
    .sgpr_spill_count: 0
    .symbol:         _ZN12_GLOBAL__N_121softmax_warp_backwardIN3c104HalfES2_fLi7ELb1ELb0ELi32EEEvPT0_PKT_S7_iiiPKb.kd
    .uniform_work_group_size: 1
    .uses_dynamic_stack: false
    .vgpr_count:     26
    .vgpr_spill_count: 0
    .wavefront_size: 64
  - .agpr_count:     0
    .args:
      - .address_space:  global
        .offset:         0
        .size:           8
        .value_kind:     global_buffer
      - .address_space:  global
        .offset:         8
        .size:           8
        .value_kind:     global_buffer
      - .address_space:  global
        .offset:         16
        .size:           8
        .value_kind:     global_buffer
      - .offset:         24
        .size:           4
        .value_kind:     by_value
      - .offset:         28
        .size:           4
        .value_kind:     by_value
      - .offset:         32
        .size:           4
        .value_kind:     by_value
      - .address_space:  global
        .offset:         40
        .size:           8
        .value_kind:     global_buffer
      - .offset:         48
        .size:           4
        .value_kind:     hidden_block_count_x
      - .offset:         52
        .size:           4
        .value_kind:     hidden_block_count_y
      - .offset:         56
        .size:           4
        .value_kind:     hidden_block_count_z
      - .offset:         60
        .size:           2
        .value_kind:     hidden_group_size_x
      - .offset:         62
        .size:           2
        .value_kind:     hidden_group_size_y
      - .offset:         64
        .size:           2
        .value_kind:     hidden_group_size_z
      - .offset:         66
        .size:           2
        .value_kind:     hidden_remainder_x
      - .offset:         68
        .size:           2
        .value_kind:     hidden_remainder_y
      - .offset:         70
        .size:           2
        .value_kind:     hidden_remainder_z
      - .offset:         88
        .size:           8
        .value_kind:     hidden_global_offset_x
      - .offset:         96
        .size:           8
        .value_kind:     hidden_global_offset_y
      - .offset:         104
        .size:           8
        .value_kind:     hidden_global_offset_z
      - .offset:         112
        .size:           2
        .value_kind:     hidden_grid_dims
    .group_segment_fixed_size: 0
    .kernarg_segment_align: 8
    .kernarg_segment_size: 304
    .language:       OpenCL C
    .language_version:
      - 2
      - 0
    .max_flat_workgroup_size: 1024
    .name:           _ZN12_GLOBAL__N_121softmax_warp_backwardIN3c104HalfES2_fLi8ELb1ELb0ELi64EEEvPT0_PKT_S7_iiiPKb
    .private_segment_fixed_size: 0
    .sgpr_count:     20
    .sgpr_spill_count: 0
    .symbol:         _ZN12_GLOBAL__N_121softmax_warp_backwardIN3c104HalfES2_fLi8ELb1ELb0ELi64EEEvPT0_PKT_S7_iiiPKb.kd
    .uniform_work_group_size: 1
    .uses_dynamic_stack: false
    .vgpr_count:     16
    .vgpr_spill_count: 0
    .wavefront_size: 64
  - .agpr_count:     0
    .args:
      - .address_space:  global
        .offset:         0
        .size:           8
        .value_kind:     global_buffer
      - .address_space:  global
        .offset:         8
        .size:           8
        .value_kind:     global_buffer
      - .address_space:  global
        .offset:         16
        .size:           8
        .value_kind:     global_buffer
      - .offset:         24
        .size:           4
        .value_kind:     by_value
      - .offset:         28
        .size:           4
        .value_kind:     by_value
      - .offset:         32
        .size:           4
        .value_kind:     by_value
      - .address_space:  global
        .offset:         40
        .size:           8
        .value_kind:     global_buffer
      - .offset:         48
        .size:           4
        .value_kind:     hidden_block_count_x
      - .offset:         52
        .size:           4
        .value_kind:     hidden_block_count_y
      - .offset:         56
        .size:           4
        .value_kind:     hidden_block_count_z
      - .offset:         60
        .size:           2
        .value_kind:     hidden_group_size_x
      - .offset:         62
        .size:           2
        .value_kind:     hidden_group_size_y
      - .offset:         64
        .size:           2
        .value_kind:     hidden_group_size_z
      - .offset:         66
        .size:           2
        .value_kind:     hidden_remainder_x
      - .offset:         68
        .size:           2
        .value_kind:     hidden_remainder_y
      - .offset:         70
        .size:           2
        .value_kind:     hidden_remainder_z
      - .offset:         88
        .size:           8
        .value_kind:     hidden_global_offset_x
      - .offset:         96
        .size:           8
        .value_kind:     hidden_global_offset_y
      - .offset:         104
        .size:           8
        .value_kind:     hidden_global_offset_z
      - .offset:         112
        .size:           2
        .value_kind:     hidden_grid_dims
    .group_segment_fixed_size: 0
    .kernarg_segment_align: 8
    .kernarg_segment_size: 304
    .language:       OpenCL C
    .language_version:
      - 2
      - 0
    .max_flat_workgroup_size: 1024
    .name:           _ZN12_GLOBAL__N_121softmax_warp_backwardIN3c104HalfES2_fLi8ELb1ELb0ELi32EEEvPT0_PKT_S7_iiiPKb
    .private_segment_fixed_size: 0
    .sgpr_count:     28
    .sgpr_spill_count: 0
    .symbol:         _ZN12_GLOBAL__N_121softmax_warp_backwardIN3c104HalfES2_fLi8ELb1ELb0ELi32EEEvPT0_PKT_S7_iiiPKb.kd
    .uniform_work_group_size: 1
    .uses_dynamic_stack: false
    .vgpr_count:     24
    .vgpr_spill_count: 0
    .wavefront_size: 64
  - .agpr_count:     0
    .args:
      - .address_space:  global
        .offset:         0
        .size:           8
        .value_kind:     global_buffer
      - .address_space:  global
        .offset:         8
        .size:           8
        .value_kind:     global_buffer
      - .address_space:  global
        .offset:         16
        .size:           8
        .value_kind:     global_buffer
      - .offset:         24
        .size:           4
        .value_kind:     by_value
      - .offset:         28
        .size:           4
        .value_kind:     by_value
      - .offset:         32
        .size:           4
        .value_kind:     by_value
      - .address_space:  global
        .offset:         40
        .size:           8
        .value_kind:     global_buffer
      - .offset:         48
        .size:           4
        .value_kind:     hidden_block_count_x
      - .offset:         52
        .size:           4
        .value_kind:     hidden_block_count_y
      - .offset:         56
        .size:           4
        .value_kind:     hidden_block_count_z
      - .offset:         60
        .size:           2
        .value_kind:     hidden_group_size_x
      - .offset:         62
        .size:           2
        .value_kind:     hidden_group_size_y
      - .offset:         64
        .size:           2
        .value_kind:     hidden_group_size_z
      - .offset:         66
        .size:           2
        .value_kind:     hidden_remainder_x
      - .offset:         68
        .size:           2
        .value_kind:     hidden_remainder_y
      - .offset:         70
        .size:           2
        .value_kind:     hidden_remainder_z
      - .offset:         88
        .size:           8
        .value_kind:     hidden_global_offset_x
      - .offset:         96
        .size:           8
        .value_kind:     hidden_global_offset_y
      - .offset:         104
        .size:           8
        .value_kind:     hidden_global_offset_z
      - .offset:         112
        .size:           2
        .value_kind:     hidden_grid_dims
    .group_segment_fixed_size: 0
    .kernarg_segment_align: 8
    .kernarg_segment_size: 304
    .language:       OpenCL C
    .language_version:
      - 2
      - 0
    .max_flat_workgroup_size: 1024
    .name:           _ZN12_GLOBAL__N_121softmax_warp_backwardIN3c104HalfES2_fLi9ELb1ELb0ELi64EEEvPT0_PKT_S7_iiiPKb
    .private_segment_fixed_size: 0
    .sgpr_count:     28
    .sgpr_spill_count: 0
    .symbol:         _ZN12_GLOBAL__N_121softmax_warp_backwardIN3c104HalfES2_fLi9ELb1ELb0ELi64EEEvPT0_PKT_S7_iiiPKb.kd
    .uniform_work_group_size: 1
    .uses_dynamic_stack: false
    .vgpr_count:     24
    .vgpr_spill_count: 0
    .wavefront_size: 64
  - .agpr_count:     0
    .args:
      - .address_space:  global
        .offset:         0
        .size:           8
        .value_kind:     global_buffer
      - .address_space:  global
        .offset:         8
        .size:           8
        .value_kind:     global_buffer
      - .address_space:  global
        .offset:         16
        .size:           8
        .value_kind:     global_buffer
      - .offset:         24
        .size:           4
        .value_kind:     by_value
      - .offset:         28
        .size:           4
        .value_kind:     by_value
      - .offset:         32
        .size:           4
        .value_kind:     by_value
      - .address_space:  global
        .offset:         40
        .size:           8
        .value_kind:     global_buffer
      - .offset:         48
        .size:           4
        .value_kind:     hidden_block_count_x
      - .offset:         52
        .size:           4
        .value_kind:     hidden_block_count_y
      - .offset:         56
        .size:           4
        .value_kind:     hidden_block_count_z
      - .offset:         60
        .size:           2
        .value_kind:     hidden_group_size_x
      - .offset:         62
        .size:           2
        .value_kind:     hidden_group_size_y
      - .offset:         64
        .size:           2
        .value_kind:     hidden_group_size_z
      - .offset:         66
        .size:           2
        .value_kind:     hidden_remainder_x
      - .offset:         68
        .size:           2
        .value_kind:     hidden_remainder_y
      - .offset:         70
        .size:           2
        .value_kind:     hidden_remainder_z
      - .offset:         88
        .size:           8
        .value_kind:     hidden_global_offset_x
      - .offset:         96
        .size:           8
        .value_kind:     hidden_global_offset_y
      - .offset:         104
        .size:           8
        .value_kind:     hidden_global_offset_z
      - .offset:         112
        .size:           2
        .value_kind:     hidden_grid_dims
    .group_segment_fixed_size: 0
    .kernarg_segment_align: 8
    .kernarg_segment_size: 304
    .language:       OpenCL C
    .language_version:
      - 2
      - 0
    .max_flat_workgroup_size: 1024
    .name:           _ZN12_GLOBAL__N_121softmax_warp_backwardIN3c104HalfES2_fLi9ELb1ELb0ELi32EEEvPT0_PKT_S7_iiiPKb
    .private_segment_fixed_size: 0
    .sgpr_count:     48
    .sgpr_spill_count: 0
    .symbol:         _ZN12_GLOBAL__N_121softmax_warp_backwardIN3c104HalfES2_fLi9ELb1ELb0ELi32EEEvPT0_PKT_S7_iiiPKb.kd
    .uniform_work_group_size: 1
    .uses_dynamic_stack: false
    .vgpr_count:     40
    .vgpr_spill_count: 0
    .wavefront_size: 64
  - .agpr_count:     0
    .args:
      - .address_space:  global
        .offset:         0
        .size:           8
        .value_kind:     global_buffer
      - .address_space:  global
        .offset:         8
        .size:           8
        .value_kind:     global_buffer
      - .address_space:  global
        .offset:         16
        .size:           8
        .value_kind:     global_buffer
      - .offset:         24
        .size:           4
        .value_kind:     by_value
      - .offset:         28
        .size:           4
        .value_kind:     by_value
      - .offset:         32
        .size:           4
        .value_kind:     by_value
      - .address_space:  global
        .offset:         40
        .size:           8
        .value_kind:     global_buffer
      - .offset:         48
        .size:           4
        .value_kind:     hidden_block_count_x
      - .offset:         52
        .size:           4
        .value_kind:     hidden_block_count_y
      - .offset:         56
        .size:           4
        .value_kind:     hidden_block_count_z
      - .offset:         60
        .size:           2
        .value_kind:     hidden_group_size_x
      - .offset:         62
        .size:           2
        .value_kind:     hidden_group_size_y
      - .offset:         64
        .size:           2
        .value_kind:     hidden_group_size_z
      - .offset:         66
        .size:           2
        .value_kind:     hidden_remainder_x
      - .offset:         68
        .size:           2
        .value_kind:     hidden_remainder_y
      - .offset:         70
        .size:           2
        .value_kind:     hidden_remainder_z
      - .offset:         88
        .size:           8
        .value_kind:     hidden_global_offset_x
      - .offset:         96
        .size:           8
        .value_kind:     hidden_global_offset_y
      - .offset:         104
        .size:           8
        .value_kind:     hidden_global_offset_z
      - .offset:         112
        .size:           2
        .value_kind:     hidden_grid_dims
    .group_segment_fixed_size: 0
    .kernarg_segment_align: 8
    .kernarg_segment_size: 304
    .language:       OpenCL C
    .language_version:
      - 2
      - 0
    .max_flat_workgroup_size: 1024
    .name:           _ZN12_GLOBAL__N_121softmax_warp_backwardIN3c104HalfES2_fLi10ELb1ELb0ELi64EEEvPT0_PKT_S7_iiiPKb
    .private_segment_fixed_size: 0
    .sgpr_count:     48
    .sgpr_spill_count: 0
    .symbol:         _ZN12_GLOBAL__N_121softmax_warp_backwardIN3c104HalfES2_fLi10ELb1ELb0ELi64EEEvPT0_PKT_S7_iiiPKb.kd
    .uniform_work_group_size: 1
    .uses_dynamic_stack: false
    .vgpr_count:     39
    .vgpr_spill_count: 0
    .wavefront_size: 64
  - .agpr_count:     0
    .args:
      - .address_space:  global
        .offset:         0
        .size:           8
        .value_kind:     global_buffer
      - .address_space:  global
        .offset:         8
        .size:           8
        .value_kind:     global_buffer
      - .address_space:  global
        .offset:         16
        .size:           8
        .value_kind:     global_buffer
      - .offset:         24
        .size:           4
        .value_kind:     by_value
      - .offset:         28
        .size:           4
        .value_kind:     by_value
      - .offset:         32
        .size:           4
        .value_kind:     by_value
      - .address_space:  global
        .offset:         40
        .size:           8
        .value_kind:     global_buffer
      - .offset:         48
        .size:           4
        .value_kind:     hidden_block_count_x
      - .offset:         52
        .size:           4
        .value_kind:     hidden_block_count_y
      - .offset:         56
        .size:           4
        .value_kind:     hidden_block_count_z
      - .offset:         60
        .size:           2
        .value_kind:     hidden_group_size_x
      - .offset:         62
        .size:           2
        .value_kind:     hidden_group_size_y
      - .offset:         64
        .size:           2
        .value_kind:     hidden_group_size_z
      - .offset:         66
        .size:           2
        .value_kind:     hidden_remainder_x
      - .offset:         68
        .size:           2
        .value_kind:     hidden_remainder_y
      - .offset:         70
        .size:           2
        .value_kind:     hidden_remainder_z
      - .offset:         88
        .size:           8
        .value_kind:     hidden_global_offset_x
      - .offset:         96
        .size:           8
        .value_kind:     hidden_global_offset_y
      - .offset:         104
        .size:           8
        .value_kind:     hidden_global_offset_z
      - .offset:         112
        .size:           2
        .value_kind:     hidden_grid_dims
    .group_segment_fixed_size: 0
    .kernarg_segment_align: 8
    .kernarg_segment_size: 304
    .language:       OpenCL C
    .language_version:
      - 2
      - 0
    .max_flat_workgroup_size: 1024
    .name:           _ZN12_GLOBAL__N_121softmax_warp_backwardIN3c104HalfES2_fLi10ELb1ELb0ELi32EEEvPT0_PKT_S7_iiiPKb
    .private_segment_fixed_size: 0
    .sgpr_count:     78
    .sgpr_spill_count: 0
    .symbol:         _ZN12_GLOBAL__N_121softmax_warp_backwardIN3c104HalfES2_fLi10ELb1ELb0ELi32EEEvPT0_PKT_S7_iiiPKb.kd
    .uniform_work_group_size: 1
    .uses_dynamic_stack: false
    .vgpr_count:     71
    .vgpr_spill_count: 0
    .wavefront_size: 64
  - .agpr_count:     0
    .args:
      - .address_space:  global
        .offset:         0
        .size:           8
        .value_kind:     global_buffer
      - .address_space:  global
        .offset:         8
        .size:           8
        .value_kind:     global_buffer
      - .address_space:  global
        .offset:         16
        .size:           8
        .value_kind:     global_buffer
      - .offset:         24
        .size:           8
        .value_kind:     by_value
      - .offset:         32
        .size:           4
        .value_kind:     hidden_block_count_x
      - .offset:         36
        .size:           4
        .value_kind:     hidden_block_count_y
      - .offset:         40
        .size:           4
        .value_kind:     hidden_block_count_z
      - .offset:         44
        .size:           2
        .value_kind:     hidden_group_size_x
      - .offset:         46
        .size:           2
        .value_kind:     hidden_group_size_y
      - .offset:         48
        .size:           2
        .value_kind:     hidden_group_size_z
      - .offset:         50
        .size:           2
        .value_kind:     hidden_remainder_x
      - .offset:         52
        .size:           2
        .value_kind:     hidden_remainder_y
      - .offset:         54
        .size:           2
        .value_kind:     hidden_remainder_z
      - .offset:         72
        .size:           8
        .value_kind:     hidden_global_offset_x
      - .offset:         80
        .size:           8
        .value_kind:     hidden_global_offset_y
      - .offset:         88
        .size:           8
        .value_kind:     hidden_global_offset_z
      - .offset:         96
        .size:           2
        .value_kind:     hidden_grid_dims
      - .offset:         152
        .size:           4
        .value_kind:     hidden_dynamic_lds_size
    .group_segment_fixed_size: 0
    .kernarg_segment_align: 8
    .kernarg_segment_size: 288
    .language:       OpenCL C
    .language_version:
      - 2
      - 0
    .max_flat_workgroup_size: 1024
    .name:           _ZN2at6native12_GLOBAL__N_124cunn_SoftMaxBackwardSmemILi8EN3c104HalfEfS4_NS1_26LogSoftMaxBackwardEpilogueEEEvPT0_PKT2_SA_l
    .private_segment_fixed_size: 0
    .sgpr_count:     31
    .sgpr_spill_count: 0
    .symbol:         _ZN2at6native12_GLOBAL__N_124cunn_SoftMaxBackwardSmemILi8EN3c104HalfEfS4_NS1_26LogSoftMaxBackwardEpilogueEEEvPT0_PKT2_SA_l.kd
    .uniform_work_group_size: 1
    .uses_dynamic_stack: false
    .vgpr_count:     56
    .vgpr_spill_count: 0
    .wavefront_size: 64
  - .agpr_count:     0
    .args:
      - .address_space:  global
        .offset:         0
        .size:           8
        .value_kind:     global_buffer
      - .address_space:  global
        .offset:         8
        .size:           8
        .value_kind:     global_buffer
      - .address_space:  global
        .offset:         16
        .size:           8
        .value_kind:     global_buffer
      - .offset:         24
        .size:           8
        .value_kind:     by_value
      - .offset:         32
        .size:           4
        .value_kind:     hidden_block_count_x
      - .offset:         36
        .size:           4
        .value_kind:     hidden_block_count_y
      - .offset:         40
        .size:           4
        .value_kind:     hidden_block_count_z
      - .offset:         44
        .size:           2
        .value_kind:     hidden_group_size_x
      - .offset:         46
        .size:           2
        .value_kind:     hidden_group_size_y
      - .offset:         48
        .size:           2
        .value_kind:     hidden_group_size_z
      - .offset:         50
        .size:           2
        .value_kind:     hidden_remainder_x
      - .offset:         52
        .size:           2
        .value_kind:     hidden_remainder_y
      - .offset:         54
        .size:           2
        .value_kind:     hidden_remainder_z
      - .offset:         72
        .size:           8
        .value_kind:     hidden_global_offset_x
      - .offset:         80
        .size:           8
        .value_kind:     hidden_global_offset_y
      - .offset:         88
        .size:           8
        .value_kind:     hidden_global_offset_z
      - .offset:         96
        .size:           2
        .value_kind:     hidden_grid_dims
      - .offset:         152
        .size:           4
        .value_kind:     hidden_dynamic_lds_size
    .group_segment_fixed_size: 0
    .kernarg_segment_align: 8
    .kernarg_segment_size: 288
    .language:       OpenCL C
    .language_version:
      - 2
      - 0
    .max_flat_workgroup_size: 1024
    .name:           _ZN2at6native12_GLOBAL__N_120cunn_SoftMaxBackwardILi8EN3c104HalfEfS4_NS1_26LogSoftMaxBackwardEpilogueEEEvPT0_PKT2_SA_l
    .private_segment_fixed_size: 0
    .sgpr_count:     54
    .sgpr_spill_count: 0
    .symbol:         _ZN2at6native12_GLOBAL__N_120cunn_SoftMaxBackwardILi8EN3c104HalfEfS4_NS1_26LogSoftMaxBackwardEpilogueEEEvPT0_PKT2_SA_l.kd
    .uniform_work_group_size: 1
    .uses_dynamic_stack: false
    .vgpr_count:     64
    .vgpr_spill_count: 0
    .wavefront_size: 64
  - .agpr_count:     0
    .args:
      - .address_space:  global
        .offset:         0
        .size:           8
        .value_kind:     global_buffer
      - .address_space:  global
        .offset:         8
        .size:           8
        .value_kind:     global_buffer
      - .address_space:  global
        .offset:         16
        .size:           8
        .value_kind:     global_buffer
      - .offset:         24
        .size:           4
        .value_kind:     by_value
      - .offset:         28
        .size:           4
        .value_kind:     by_value
      - .offset:         32
        .size:           4
        .value_kind:     by_value
      - .address_space:  global
        .offset:         40
        .size:           8
        .value_kind:     global_buffer
      - .offset:         48
        .size:           4
        .value_kind:     hidden_block_count_x
      - .offset:         52
        .size:           4
        .value_kind:     hidden_block_count_y
      - .offset:         56
        .size:           4
        .value_kind:     hidden_block_count_z
      - .offset:         60
        .size:           2
        .value_kind:     hidden_group_size_x
      - .offset:         62
        .size:           2
        .value_kind:     hidden_group_size_y
      - .offset:         64
        .size:           2
        .value_kind:     hidden_group_size_z
      - .offset:         66
        .size:           2
        .value_kind:     hidden_remainder_x
      - .offset:         68
        .size:           2
        .value_kind:     hidden_remainder_y
      - .offset:         70
        .size:           2
        .value_kind:     hidden_remainder_z
      - .offset:         88
        .size:           8
        .value_kind:     hidden_global_offset_x
      - .offset:         96
        .size:           8
        .value_kind:     hidden_global_offset_y
      - .offset:         104
        .size:           8
        .value_kind:     hidden_global_offset_z
      - .offset:         112
        .size:           2
        .value_kind:     hidden_grid_dims
    .group_segment_fixed_size: 0
    .kernarg_segment_align: 8
    .kernarg_segment_size: 304
    .language:       OpenCL C
    .language_version:
      - 2
      - 0
    .max_flat_workgroup_size: 1024
    .name:           _ZN12_GLOBAL__N_121softmax_warp_backwardIfN3c104HalfEfLi0ELb1ELb0ELi64EEEvPT0_PKT_S7_iiiPKb
    .private_segment_fixed_size: 0
    .sgpr_count:     20
    .sgpr_spill_count: 0
    .symbol:         _ZN12_GLOBAL__N_121softmax_warp_backwardIfN3c104HalfEfLi0ELb1ELb0ELi64EEEvPT0_PKT_S7_iiiPKb.kd
    .uniform_work_group_size: 1
    .uses_dynamic_stack: false
    .vgpr_count:     11
    .vgpr_spill_count: 0
    .wavefront_size: 64
  - .agpr_count:     0
    .args:
      - .address_space:  global
        .offset:         0
        .size:           8
        .value_kind:     global_buffer
      - .address_space:  global
        .offset:         8
        .size:           8
        .value_kind:     global_buffer
      - .address_space:  global
        .offset:         16
        .size:           8
        .value_kind:     global_buffer
      - .offset:         24
        .size:           4
        .value_kind:     by_value
      - .offset:         28
        .size:           4
        .value_kind:     by_value
      - .offset:         32
        .size:           4
        .value_kind:     by_value
      - .address_space:  global
        .offset:         40
        .size:           8
        .value_kind:     global_buffer
      - .offset:         48
        .size:           4
        .value_kind:     hidden_block_count_x
      - .offset:         52
        .size:           4
        .value_kind:     hidden_block_count_y
      - .offset:         56
        .size:           4
        .value_kind:     hidden_block_count_z
      - .offset:         60
        .size:           2
        .value_kind:     hidden_group_size_x
      - .offset:         62
        .size:           2
        .value_kind:     hidden_group_size_y
      - .offset:         64
        .size:           2
        .value_kind:     hidden_group_size_z
      - .offset:         66
        .size:           2
        .value_kind:     hidden_remainder_x
      - .offset:         68
        .size:           2
        .value_kind:     hidden_remainder_y
      - .offset:         70
        .size:           2
        .value_kind:     hidden_remainder_z
      - .offset:         88
        .size:           8
        .value_kind:     hidden_global_offset_x
      - .offset:         96
        .size:           8
        .value_kind:     hidden_global_offset_y
      - .offset:         104
        .size:           8
        .value_kind:     hidden_global_offset_z
      - .offset:         112
        .size:           2
        .value_kind:     hidden_grid_dims
    .group_segment_fixed_size: 0
    .kernarg_segment_align: 8
    .kernarg_segment_size: 304
    .language:       OpenCL C
    .language_version:
      - 2
      - 0
    .max_flat_workgroup_size: 1024
    .name:           _ZN12_GLOBAL__N_121softmax_warp_backwardIfN3c104HalfEfLi0ELb1ELb0ELi32EEEvPT0_PKT_S7_iiiPKb
    .private_segment_fixed_size: 0
    .sgpr_count:     20
    .sgpr_spill_count: 0
    .symbol:         _ZN12_GLOBAL__N_121softmax_warp_backwardIfN3c104HalfEfLi0ELb1ELb0ELi32EEEvPT0_PKT_S7_iiiPKb.kd
    .uniform_work_group_size: 1
    .uses_dynamic_stack: false
    .vgpr_count:     11
    .vgpr_spill_count: 0
    .wavefront_size: 64
  - .agpr_count:     0
    .args:
      - .address_space:  global
        .offset:         0
        .size:           8
        .value_kind:     global_buffer
      - .address_space:  global
        .offset:         8
        .size:           8
        .value_kind:     global_buffer
      - .address_space:  global
        .offset:         16
        .size:           8
        .value_kind:     global_buffer
      - .offset:         24
        .size:           4
        .value_kind:     by_value
      - .offset:         28
        .size:           4
        .value_kind:     by_value
      - .offset:         32
        .size:           4
        .value_kind:     by_value
      - .address_space:  global
        .offset:         40
        .size:           8
        .value_kind:     global_buffer
      - .offset:         48
        .size:           4
        .value_kind:     hidden_block_count_x
      - .offset:         52
        .size:           4
        .value_kind:     hidden_block_count_y
      - .offset:         56
        .size:           4
        .value_kind:     hidden_block_count_z
      - .offset:         60
        .size:           2
        .value_kind:     hidden_group_size_x
      - .offset:         62
        .size:           2
        .value_kind:     hidden_group_size_y
      - .offset:         64
        .size:           2
        .value_kind:     hidden_group_size_z
      - .offset:         66
        .size:           2
        .value_kind:     hidden_remainder_x
      - .offset:         68
        .size:           2
        .value_kind:     hidden_remainder_y
      - .offset:         70
        .size:           2
        .value_kind:     hidden_remainder_z
      - .offset:         88
        .size:           8
        .value_kind:     hidden_global_offset_x
      - .offset:         96
        .size:           8
        .value_kind:     hidden_global_offset_y
      - .offset:         104
        .size:           8
        .value_kind:     hidden_global_offset_z
      - .offset:         112
        .size:           2
        .value_kind:     hidden_grid_dims
    .group_segment_fixed_size: 0
    .kernarg_segment_align: 8
    .kernarg_segment_size: 304
    .language:       OpenCL C
    .language_version:
      - 2
      - 0
    .max_flat_workgroup_size: 1024
    .name:           _ZN12_GLOBAL__N_121softmax_warp_backwardIfN3c104HalfEfLi1ELb1ELb0ELi64EEEvPT0_PKT_S7_iiiPKb
    .private_segment_fixed_size: 0
    .sgpr_count:     20
    .sgpr_spill_count: 0
    .symbol:         _ZN12_GLOBAL__N_121softmax_warp_backwardIfN3c104HalfEfLi1ELb1ELb0ELi64EEEvPT0_PKT_S7_iiiPKb.kd
    .uniform_work_group_size: 1
    .uses_dynamic_stack: false
    .vgpr_count:     12
    .vgpr_spill_count: 0
    .wavefront_size: 64
  - .agpr_count:     0
    .args:
      - .address_space:  global
        .offset:         0
        .size:           8
        .value_kind:     global_buffer
      - .address_space:  global
        .offset:         8
        .size:           8
        .value_kind:     global_buffer
      - .address_space:  global
        .offset:         16
        .size:           8
        .value_kind:     global_buffer
      - .offset:         24
        .size:           4
        .value_kind:     by_value
      - .offset:         28
        .size:           4
        .value_kind:     by_value
      - .offset:         32
        .size:           4
        .value_kind:     by_value
      - .address_space:  global
        .offset:         40
        .size:           8
        .value_kind:     global_buffer
      - .offset:         48
        .size:           4
        .value_kind:     hidden_block_count_x
      - .offset:         52
        .size:           4
        .value_kind:     hidden_block_count_y
      - .offset:         56
        .size:           4
        .value_kind:     hidden_block_count_z
      - .offset:         60
        .size:           2
        .value_kind:     hidden_group_size_x
      - .offset:         62
        .size:           2
        .value_kind:     hidden_group_size_y
      - .offset:         64
        .size:           2
        .value_kind:     hidden_group_size_z
      - .offset:         66
        .size:           2
        .value_kind:     hidden_remainder_x
      - .offset:         68
        .size:           2
        .value_kind:     hidden_remainder_y
      - .offset:         70
        .size:           2
        .value_kind:     hidden_remainder_z
      - .offset:         88
        .size:           8
        .value_kind:     hidden_global_offset_x
      - .offset:         96
        .size:           8
        .value_kind:     hidden_global_offset_y
      - .offset:         104
        .size:           8
        .value_kind:     hidden_global_offset_z
      - .offset:         112
        .size:           2
        .value_kind:     hidden_grid_dims
    .group_segment_fixed_size: 0
    .kernarg_segment_align: 8
    .kernarg_segment_size: 304
    .language:       OpenCL C
    .language_version:
      - 2
      - 0
    .max_flat_workgroup_size: 1024
    .name:           _ZN12_GLOBAL__N_121softmax_warp_backwardIfN3c104HalfEfLi1ELb1ELb0ELi32EEEvPT0_PKT_S7_iiiPKb
    .private_segment_fixed_size: 0
    .sgpr_count:     20
    .sgpr_spill_count: 0
    .symbol:         _ZN12_GLOBAL__N_121softmax_warp_backwardIfN3c104HalfEfLi1ELb1ELb0ELi32EEEvPT0_PKT_S7_iiiPKb.kd
    .uniform_work_group_size: 1
    .uses_dynamic_stack: false
    .vgpr_count:     12
    .vgpr_spill_count: 0
    .wavefront_size: 64
  - .agpr_count:     0
    .args:
      - .address_space:  global
        .offset:         0
        .size:           8
        .value_kind:     global_buffer
      - .address_space:  global
        .offset:         8
        .size:           8
        .value_kind:     global_buffer
      - .address_space:  global
        .offset:         16
        .size:           8
        .value_kind:     global_buffer
      - .offset:         24
        .size:           4
        .value_kind:     by_value
      - .offset:         28
        .size:           4
        .value_kind:     by_value
      - .offset:         32
        .size:           4
        .value_kind:     by_value
      - .address_space:  global
        .offset:         40
        .size:           8
        .value_kind:     global_buffer
      - .offset:         48
        .size:           4
        .value_kind:     hidden_block_count_x
      - .offset:         52
        .size:           4
        .value_kind:     hidden_block_count_y
      - .offset:         56
        .size:           4
        .value_kind:     hidden_block_count_z
      - .offset:         60
        .size:           2
        .value_kind:     hidden_group_size_x
      - .offset:         62
        .size:           2
        .value_kind:     hidden_group_size_y
      - .offset:         64
        .size:           2
        .value_kind:     hidden_group_size_z
      - .offset:         66
        .size:           2
        .value_kind:     hidden_remainder_x
      - .offset:         68
        .size:           2
        .value_kind:     hidden_remainder_y
      - .offset:         70
        .size:           2
        .value_kind:     hidden_remainder_z
      - .offset:         88
        .size:           8
        .value_kind:     hidden_global_offset_x
      - .offset:         96
        .size:           8
        .value_kind:     hidden_global_offset_y
      - .offset:         104
        .size:           8
        .value_kind:     hidden_global_offset_z
      - .offset:         112
        .size:           2
        .value_kind:     hidden_grid_dims
    .group_segment_fixed_size: 0
    .kernarg_segment_align: 8
    .kernarg_segment_size: 304
    .language:       OpenCL C
    .language_version:
      - 2
      - 0
    .max_flat_workgroup_size: 1024
    .name:           _ZN12_GLOBAL__N_121softmax_warp_backwardIfN3c104HalfEfLi2ELb1ELb0ELi64EEEvPT0_PKT_S7_iiiPKb
    .private_segment_fixed_size: 0
    .sgpr_count:     20
    .sgpr_spill_count: 0
    .symbol:         _ZN12_GLOBAL__N_121softmax_warp_backwardIfN3c104HalfEfLi2ELb1ELb0ELi64EEEvPT0_PKT_S7_iiiPKb.kd
    .uniform_work_group_size: 1
    .uses_dynamic_stack: false
    .vgpr_count:     14
    .vgpr_spill_count: 0
    .wavefront_size: 64
  - .agpr_count:     0
    .args:
      - .address_space:  global
        .offset:         0
        .size:           8
        .value_kind:     global_buffer
      - .address_space:  global
        .offset:         8
        .size:           8
        .value_kind:     global_buffer
      - .address_space:  global
        .offset:         16
        .size:           8
        .value_kind:     global_buffer
      - .offset:         24
        .size:           4
        .value_kind:     by_value
      - .offset:         28
        .size:           4
        .value_kind:     by_value
      - .offset:         32
        .size:           4
        .value_kind:     by_value
      - .address_space:  global
        .offset:         40
        .size:           8
        .value_kind:     global_buffer
      - .offset:         48
        .size:           4
        .value_kind:     hidden_block_count_x
      - .offset:         52
        .size:           4
        .value_kind:     hidden_block_count_y
      - .offset:         56
        .size:           4
        .value_kind:     hidden_block_count_z
      - .offset:         60
        .size:           2
        .value_kind:     hidden_group_size_x
      - .offset:         62
        .size:           2
        .value_kind:     hidden_group_size_y
      - .offset:         64
        .size:           2
        .value_kind:     hidden_group_size_z
      - .offset:         66
        .size:           2
        .value_kind:     hidden_remainder_x
      - .offset:         68
        .size:           2
        .value_kind:     hidden_remainder_y
      - .offset:         70
        .size:           2
        .value_kind:     hidden_remainder_z
      - .offset:         88
        .size:           8
        .value_kind:     hidden_global_offset_x
      - .offset:         96
        .size:           8
        .value_kind:     hidden_global_offset_y
      - .offset:         104
        .size:           8
        .value_kind:     hidden_global_offset_z
      - .offset:         112
        .size:           2
        .value_kind:     hidden_grid_dims
    .group_segment_fixed_size: 0
    .kernarg_segment_align: 8
    .kernarg_segment_size: 304
    .language:       OpenCL C
    .language_version:
      - 2
      - 0
    .max_flat_workgroup_size: 1024
    .name:           _ZN12_GLOBAL__N_121softmax_warp_backwardIfN3c104HalfEfLi2ELb1ELb0ELi32EEEvPT0_PKT_S7_iiiPKb
    .private_segment_fixed_size: 0
    .sgpr_count:     20
    .sgpr_spill_count: 0
    .symbol:         _ZN12_GLOBAL__N_121softmax_warp_backwardIfN3c104HalfEfLi2ELb1ELb0ELi32EEEvPT0_PKT_S7_iiiPKb.kd
    .uniform_work_group_size: 1
    .uses_dynamic_stack: false
    .vgpr_count:     14
    .vgpr_spill_count: 0
    .wavefront_size: 64
  - .agpr_count:     0
    .args:
      - .address_space:  global
        .offset:         0
        .size:           8
        .value_kind:     global_buffer
      - .address_space:  global
        .offset:         8
        .size:           8
        .value_kind:     global_buffer
      - .address_space:  global
        .offset:         16
        .size:           8
        .value_kind:     global_buffer
      - .offset:         24
        .size:           4
        .value_kind:     by_value
      - .offset:         28
        .size:           4
        .value_kind:     by_value
      - .offset:         32
        .size:           4
        .value_kind:     by_value
      - .address_space:  global
        .offset:         40
        .size:           8
        .value_kind:     global_buffer
      - .offset:         48
        .size:           4
        .value_kind:     hidden_block_count_x
      - .offset:         52
        .size:           4
        .value_kind:     hidden_block_count_y
      - .offset:         56
        .size:           4
        .value_kind:     hidden_block_count_z
      - .offset:         60
        .size:           2
        .value_kind:     hidden_group_size_x
      - .offset:         62
        .size:           2
        .value_kind:     hidden_group_size_y
      - .offset:         64
        .size:           2
        .value_kind:     hidden_group_size_z
      - .offset:         66
        .size:           2
        .value_kind:     hidden_remainder_x
      - .offset:         68
        .size:           2
        .value_kind:     hidden_remainder_y
      - .offset:         70
        .size:           2
        .value_kind:     hidden_remainder_z
      - .offset:         88
        .size:           8
        .value_kind:     hidden_global_offset_x
      - .offset:         96
        .size:           8
        .value_kind:     hidden_global_offset_y
      - .offset:         104
        .size:           8
        .value_kind:     hidden_global_offset_z
      - .offset:         112
        .size:           2
        .value_kind:     hidden_grid_dims
    .group_segment_fixed_size: 0
    .kernarg_segment_align: 8
    .kernarg_segment_size: 304
    .language:       OpenCL C
    .language_version:
      - 2
      - 0
    .max_flat_workgroup_size: 1024
    .name:           _ZN12_GLOBAL__N_121softmax_warp_backwardIfN3c104HalfEfLi3ELb1ELb0ELi64EEEvPT0_PKT_S7_iiiPKb
    .private_segment_fixed_size: 0
    .sgpr_count:     20
    .sgpr_spill_count: 0
    .symbol:         _ZN12_GLOBAL__N_121softmax_warp_backwardIfN3c104HalfEfLi3ELb1ELb0ELi64EEEvPT0_PKT_S7_iiiPKb.kd
    .uniform_work_group_size: 1
    .uses_dynamic_stack: false
    .vgpr_count:     14
    .vgpr_spill_count: 0
    .wavefront_size: 64
  - .agpr_count:     0
    .args:
      - .address_space:  global
        .offset:         0
        .size:           8
        .value_kind:     global_buffer
      - .address_space:  global
        .offset:         8
        .size:           8
        .value_kind:     global_buffer
      - .address_space:  global
        .offset:         16
        .size:           8
        .value_kind:     global_buffer
      - .offset:         24
        .size:           4
        .value_kind:     by_value
      - .offset:         28
        .size:           4
        .value_kind:     by_value
      - .offset:         32
        .size:           4
        .value_kind:     by_value
      - .address_space:  global
        .offset:         40
        .size:           8
        .value_kind:     global_buffer
      - .offset:         48
        .size:           4
        .value_kind:     hidden_block_count_x
      - .offset:         52
        .size:           4
        .value_kind:     hidden_block_count_y
      - .offset:         56
        .size:           4
        .value_kind:     hidden_block_count_z
      - .offset:         60
        .size:           2
        .value_kind:     hidden_group_size_x
      - .offset:         62
        .size:           2
        .value_kind:     hidden_group_size_y
      - .offset:         64
        .size:           2
        .value_kind:     hidden_group_size_z
      - .offset:         66
        .size:           2
        .value_kind:     hidden_remainder_x
      - .offset:         68
        .size:           2
        .value_kind:     hidden_remainder_y
      - .offset:         70
        .size:           2
        .value_kind:     hidden_remainder_z
      - .offset:         88
        .size:           8
        .value_kind:     hidden_global_offset_x
      - .offset:         96
        .size:           8
        .value_kind:     hidden_global_offset_y
      - .offset:         104
        .size:           8
        .value_kind:     hidden_global_offset_z
      - .offset:         112
        .size:           2
        .value_kind:     hidden_grid_dims
    .group_segment_fixed_size: 0
    .kernarg_segment_align: 8
    .kernarg_segment_size: 304
    .language:       OpenCL C
    .language_version:
      - 2
      - 0
    .max_flat_workgroup_size: 1024
    .name:           _ZN12_GLOBAL__N_121softmax_warp_backwardIfN3c104HalfEfLi3ELb1ELb0ELi32EEEvPT0_PKT_S7_iiiPKb
    .private_segment_fixed_size: 0
    .sgpr_count:     20
    .sgpr_spill_count: 0
    .symbol:         _ZN12_GLOBAL__N_121softmax_warp_backwardIfN3c104HalfEfLi3ELb1ELb0ELi32EEEvPT0_PKT_S7_iiiPKb.kd
    .uniform_work_group_size: 1
    .uses_dynamic_stack: false
    .vgpr_count:     14
    .vgpr_spill_count: 0
    .wavefront_size: 64
  - .agpr_count:     0
    .args:
      - .address_space:  global
        .offset:         0
        .size:           8
        .value_kind:     global_buffer
      - .address_space:  global
        .offset:         8
        .size:           8
        .value_kind:     global_buffer
      - .address_space:  global
        .offset:         16
        .size:           8
        .value_kind:     global_buffer
      - .offset:         24
        .size:           4
        .value_kind:     by_value
      - .offset:         28
        .size:           4
        .value_kind:     by_value
      - .offset:         32
        .size:           4
        .value_kind:     by_value
      - .address_space:  global
        .offset:         40
        .size:           8
        .value_kind:     global_buffer
      - .offset:         48
        .size:           4
        .value_kind:     hidden_block_count_x
      - .offset:         52
        .size:           4
        .value_kind:     hidden_block_count_y
      - .offset:         56
        .size:           4
        .value_kind:     hidden_block_count_z
      - .offset:         60
        .size:           2
        .value_kind:     hidden_group_size_x
      - .offset:         62
        .size:           2
        .value_kind:     hidden_group_size_y
      - .offset:         64
        .size:           2
        .value_kind:     hidden_group_size_z
      - .offset:         66
        .size:           2
        .value_kind:     hidden_remainder_x
      - .offset:         68
        .size:           2
        .value_kind:     hidden_remainder_y
      - .offset:         70
        .size:           2
        .value_kind:     hidden_remainder_z
      - .offset:         88
        .size:           8
        .value_kind:     hidden_global_offset_x
      - .offset:         96
        .size:           8
        .value_kind:     hidden_global_offset_y
      - .offset:         104
        .size:           8
        .value_kind:     hidden_global_offset_z
      - .offset:         112
        .size:           2
        .value_kind:     hidden_grid_dims
    .group_segment_fixed_size: 0
    .kernarg_segment_align: 8
    .kernarg_segment_size: 304
    .language:       OpenCL C
    .language_version:
      - 2
      - 0
    .max_flat_workgroup_size: 1024
    .name:           _ZN12_GLOBAL__N_121softmax_warp_backwardIfN3c104HalfEfLi4ELb1ELb0ELi64EEEvPT0_PKT_S7_iiiPKb
    .private_segment_fixed_size: 0
    .sgpr_count:     20
    .sgpr_spill_count: 0
    .symbol:         _ZN12_GLOBAL__N_121softmax_warp_backwardIfN3c104HalfEfLi4ELb1ELb0ELi64EEEvPT0_PKT_S7_iiiPKb.kd
    .uniform_work_group_size: 1
    .uses_dynamic_stack: false
    .vgpr_count:     14
    .vgpr_spill_count: 0
    .wavefront_size: 64
  - .agpr_count:     0
    .args:
      - .address_space:  global
        .offset:         0
        .size:           8
        .value_kind:     global_buffer
      - .address_space:  global
        .offset:         8
        .size:           8
        .value_kind:     global_buffer
      - .address_space:  global
        .offset:         16
        .size:           8
        .value_kind:     global_buffer
      - .offset:         24
        .size:           4
        .value_kind:     by_value
      - .offset:         28
        .size:           4
        .value_kind:     by_value
      - .offset:         32
        .size:           4
        .value_kind:     by_value
      - .address_space:  global
        .offset:         40
        .size:           8
        .value_kind:     global_buffer
      - .offset:         48
        .size:           4
        .value_kind:     hidden_block_count_x
      - .offset:         52
        .size:           4
        .value_kind:     hidden_block_count_y
      - .offset:         56
        .size:           4
        .value_kind:     hidden_block_count_z
      - .offset:         60
        .size:           2
        .value_kind:     hidden_group_size_x
      - .offset:         62
        .size:           2
        .value_kind:     hidden_group_size_y
      - .offset:         64
        .size:           2
        .value_kind:     hidden_group_size_z
      - .offset:         66
        .size:           2
        .value_kind:     hidden_remainder_x
      - .offset:         68
        .size:           2
        .value_kind:     hidden_remainder_y
      - .offset:         70
        .size:           2
        .value_kind:     hidden_remainder_z
      - .offset:         88
        .size:           8
        .value_kind:     hidden_global_offset_x
      - .offset:         96
        .size:           8
        .value_kind:     hidden_global_offset_y
      - .offset:         104
        .size:           8
        .value_kind:     hidden_global_offset_z
      - .offset:         112
        .size:           2
        .value_kind:     hidden_grid_dims
    .group_segment_fixed_size: 0
    .kernarg_segment_align: 8
    .kernarg_segment_size: 304
    .language:       OpenCL C
    .language_version:
      - 2
      - 0
    .max_flat_workgroup_size: 1024
    .name:           _ZN12_GLOBAL__N_121softmax_warp_backwardIfN3c104HalfEfLi4ELb1ELb0ELi32EEEvPT0_PKT_S7_iiiPKb
    .private_segment_fixed_size: 0
    .sgpr_count:     20
    .sgpr_spill_count: 0
    .symbol:         _ZN12_GLOBAL__N_121softmax_warp_backwardIfN3c104HalfEfLi4ELb1ELb0ELi32EEEvPT0_PKT_S7_iiiPKb.kd
    .uniform_work_group_size: 1
    .uses_dynamic_stack: false
    .vgpr_count:     14
    .vgpr_spill_count: 0
    .wavefront_size: 64
  - .agpr_count:     0
    .args:
      - .address_space:  global
        .offset:         0
        .size:           8
        .value_kind:     global_buffer
      - .address_space:  global
        .offset:         8
        .size:           8
        .value_kind:     global_buffer
      - .address_space:  global
        .offset:         16
        .size:           8
        .value_kind:     global_buffer
      - .offset:         24
        .size:           4
        .value_kind:     by_value
      - .offset:         28
        .size:           4
        .value_kind:     by_value
      - .offset:         32
        .size:           4
        .value_kind:     by_value
      - .address_space:  global
        .offset:         40
        .size:           8
        .value_kind:     global_buffer
      - .offset:         48
        .size:           4
        .value_kind:     hidden_block_count_x
      - .offset:         52
        .size:           4
        .value_kind:     hidden_block_count_y
      - .offset:         56
        .size:           4
        .value_kind:     hidden_block_count_z
      - .offset:         60
        .size:           2
        .value_kind:     hidden_group_size_x
      - .offset:         62
        .size:           2
        .value_kind:     hidden_group_size_y
      - .offset:         64
        .size:           2
        .value_kind:     hidden_group_size_z
      - .offset:         66
        .size:           2
        .value_kind:     hidden_remainder_x
      - .offset:         68
        .size:           2
        .value_kind:     hidden_remainder_y
      - .offset:         70
        .size:           2
        .value_kind:     hidden_remainder_z
      - .offset:         88
        .size:           8
        .value_kind:     hidden_global_offset_x
      - .offset:         96
        .size:           8
        .value_kind:     hidden_global_offset_y
      - .offset:         104
        .size:           8
        .value_kind:     hidden_global_offset_z
      - .offset:         112
        .size:           2
        .value_kind:     hidden_grid_dims
    .group_segment_fixed_size: 0
    .kernarg_segment_align: 8
    .kernarg_segment_size: 304
    .language:       OpenCL C
    .language_version:
      - 2
      - 0
    .max_flat_workgroup_size: 1024
    .name:           _ZN12_GLOBAL__N_121softmax_warp_backwardIfN3c104HalfEfLi5ELb1ELb0ELi64EEEvPT0_PKT_S7_iiiPKb
    .private_segment_fixed_size: 0
    .sgpr_count:     20
    .sgpr_spill_count: 0
    .symbol:         _ZN12_GLOBAL__N_121softmax_warp_backwardIfN3c104HalfEfLi5ELb1ELb0ELi64EEEvPT0_PKT_S7_iiiPKb.kd
    .uniform_work_group_size: 1
    .uses_dynamic_stack: false
    .vgpr_count:     14
    .vgpr_spill_count: 0
    .wavefront_size: 64
  - .agpr_count:     0
    .args:
      - .address_space:  global
        .offset:         0
        .size:           8
        .value_kind:     global_buffer
      - .address_space:  global
        .offset:         8
        .size:           8
        .value_kind:     global_buffer
      - .address_space:  global
        .offset:         16
        .size:           8
        .value_kind:     global_buffer
      - .offset:         24
        .size:           4
        .value_kind:     by_value
      - .offset:         28
        .size:           4
        .value_kind:     by_value
      - .offset:         32
        .size:           4
        .value_kind:     by_value
      - .address_space:  global
        .offset:         40
        .size:           8
        .value_kind:     global_buffer
      - .offset:         48
        .size:           4
        .value_kind:     hidden_block_count_x
      - .offset:         52
        .size:           4
        .value_kind:     hidden_block_count_y
      - .offset:         56
        .size:           4
        .value_kind:     hidden_block_count_z
      - .offset:         60
        .size:           2
        .value_kind:     hidden_group_size_x
      - .offset:         62
        .size:           2
        .value_kind:     hidden_group_size_y
      - .offset:         64
        .size:           2
        .value_kind:     hidden_group_size_z
      - .offset:         66
        .size:           2
        .value_kind:     hidden_remainder_x
      - .offset:         68
        .size:           2
        .value_kind:     hidden_remainder_y
      - .offset:         70
        .size:           2
        .value_kind:     hidden_remainder_z
      - .offset:         88
        .size:           8
        .value_kind:     hidden_global_offset_x
      - .offset:         96
        .size:           8
        .value_kind:     hidden_global_offset_y
      - .offset:         104
        .size:           8
        .value_kind:     hidden_global_offset_z
      - .offset:         112
        .size:           2
        .value_kind:     hidden_grid_dims
    .group_segment_fixed_size: 0
    .kernarg_segment_align: 8
    .kernarg_segment_size: 304
    .language:       OpenCL C
    .language_version:
      - 2
      - 0
    .max_flat_workgroup_size: 1024
    .name:           _ZN12_GLOBAL__N_121softmax_warp_backwardIfN3c104HalfEfLi5ELb1ELb0ELi32EEEvPT0_PKT_S7_iiiPKb
    .private_segment_fixed_size: 0
    .sgpr_count:     20
    .sgpr_spill_count: 0
    .symbol:         _ZN12_GLOBAL__N_121softmax_warp_backwardIfN3c104HalfEfLi5ELb1ELb0ELi32EEEvPT0_PKT_S7_iiiPKb.kd
    .uniform_work_group_size: 1
    .uses_dynamic_stack: false
    .vgpr_count:     14
    .vgpr_spill_count: 0
    .wavefront_size: 64
  - .agpr_count:     0
    .args:
      - .address_space:  global
        .offset:         0
        .size:           8
        .value_kind:     global_buffer
      - .address_space:  global
        .offset:         8
        .size:           8
        .value_kind:     global_buffer
      - .address_space:  global
        .offset:         16
        .size:           8
        .value_kind:     global_buffer
      - .offset:         24
        .size:           4
        .value_kind:     by_value
      - .offset:         28
        .size:           4
        .value_kind:     by_value
      - .offset:         32
        .size:           4
        .value_kind:     by_value
      - .address_space:  global
        .offset:         40
        .size:           8
        .value_kind:     global_buffer
      - .offset:         48
        .size:           4
        .value_kind:     hidden_block_count_x
      - .offset:         52
        .size:           4
        .value_kind:     hidden_block_count_y
      - .offset:         56
        .size:           4
        .value_kind:     hidden_block_count_z
      - .offset:         60
        .size:           2
        .value_kind:     hidden_group_size_x
      - .offset:         62
        .size:           2
        .value_kind:     hidden_group_size_y
      - .offset:         64
        .size:           2
        .value_kind:     hidden_group_size_z
      - .offset:         66
        .size:           2
        .value_kind:     hidden_remainder_x
      - .offset:         68
        .size:           2
        .value_kind:     hidden_remainder_y
      - .offset:         70
        .size:           2
        .value_kind:     hidden_remainder_z
      - .offset:         88
        .size:           8
        .value_kind:     hidden_global_offset_x
      - .offset:         96
        .size:           8
        .value_kind:     hidden_global_offset_y
      - .offset:         104
        .size:           8
        .value_kind:     hidden_global_offset_z
      - .offset:         112
        .size:           2
        .value_kind:     hidden_grid_dims
    .group_segment_fixed_size: 0
    .kernarg_segment_align: 8
    .kernarg_segment_size: 304
    .language:       OpenCL C
    .language_version:
      - 2
      - 0
    .max_flat_workgroup_size: 1024
    .name:           _ZN12_GLOBAL__N_121softmax_warp_backwardIfN3c104HalfEfLi6ELb1ELb0ELi64EEEvPT0_PKT_S7_iiiPKb
    .private_segment_fixed_size: 0
    .sgpr_count:     20
    .sgpr_spill_count: 0
    .symbol:         _ZN12_GLOBAL__N_121softmax_warp_backwardIfN3c104HalfEfLi6ELb1ELb0ELi64EEEvPT0_PKT_S7_iiiPKb.kd
    .uniform_work_group_size: 1
    .uses_dynamic_stack: false
    .vgpr_count:     14
    .vgpr_spill_count: 0
    .wavefront_size: 64
  - .agpr_count:     0
    .args:
      - .address_space:  global
        .offset:         0
        .size:           8
        .value_kind:     global_buffer
      - .address_space:  global
        .offset:         8
        .size:           8
        .value_kind:     global_buffer
      - .address_space:  global
        .offset:         16
        .size:           8
        .value_kind:     global_buffer
      - .offset:         24
        .size:           4
        .value_kind:     by_value
      - .offset:         28
        .size:           4
        .value_kind:     by_value
      - .offset:         32
        .size:           4
        .value_kind:     by_value
      - .address_space:  global
        .offset:         40
        .size:           8
        .value_kind:     global_buffer
      - .offset:         48
        .size:           4
        .value_kind:     hidden_block_count_x
      - .offset:         52
        .size:           4
        .value_kind:     hidden_block_count_y
      - .offset:         56
        .size:           4
        .value_kind:     hidden_block_count_z
      - .offset:         60
        .size:           2
        .value_kind:     hidden_group_size_x
      - .offset:         62
        .size:           2
        .value_kind:     hidden_group_size_y
      - .offset:         64
        .size:           2
        .value_kind:     hidden_group_size_z
      - .offset:         66
        .size:           2
        .value_kind:     hidden_remainder_x
      - .offset:         68
        .size:           2
        .value_kind:     hidden_remainder_y
      - .offset:         70
        .size:           2
        .value_kind:     hidden_remainder_z
      - .offset:         88
        .size:           8
        .value_kind:     hidden_global_offset_x
      - .offset:         96
        .size:           8
        .value_kind:     hidden_global_offset_y
      - .offset:         104
        .size:           8
        .value_kind:     hidden_global_offset_z
      - .offset:         112
        .size:           2
        .value_kind:     hidden_grid_dims
    .group_segment_fixed_size: 0
    .kernarg_segment_align: 8
    .kernarg_segment_size: 304
    .language:       OpenCL C
    .language_version:
      - 2
      - 0
    .max_flat_workgroup_size: 1024
    .name:           _ZN12_GLOBAL__N_121softmax_warp_backwardIfN3c104HalfEfLi6ELb1ELb0ELi32EEEvPT0_PKT_S7_iiiPKb
    .private_segment_fixed_size: 0
    .sgpr_count:     20
    .sgpr_spill_count: 0
    .symbol:         _ZN12_GLOBAL__N_121softmax_warp_backwardIfN3c104HalfEfLi6ELb1ELb0ELi32EEEvPT0_PKT_S7_iiiPKb.kd
    .uniform_work_group_size: 1
    .uses_dynamic_stack: false
    .vgpr_count:     18
    .vgpr_spill_count: 0
    .wavefront_size: 64
  - .agpr_count:     0
    .args:
      - .address_space:  global
        .offset:         0
        .size:           8
        .value_kind:     global_buffer
      - .address_space:  global
        .offset:         8
        .size:           8
        .value_kind:     global_buffer
      - .address_space:  global
        .offset:         16
        .size:           8
        .value_kind:     global_buffer
      - .offset:         24
        .size:           4
        .value_kind:     by_value
      - .offset:         28
        .size:           4
        .value_kind:     by_value
      - .offset:         32
        .size:           4
        .value_kind:     by_value
      - .address_space:  global
        .offset:         40
        .size:           8
        .value_kind:     global_buffer
      - .offset:         48
        .size:           4
        .value_kind:     hidden_block_count_x
      - .offset:         52
        .size:           4
        .value_kind:     hidden_block_count_y
      - .offset:         56
        .size:           4
        .value_kind:     hidden_block_count_z
      - .offset:         60
        .size:           2
        .value_kind:     hidden_group_size_x
      - .offset:         62
        .size:           2
        .value_kind:     hidden_group_size_y
      - .offset:         64
        .size:           2
        .value_kind:     hidden_group_size_z
      - .offset:         66
        .size:           2
        .value_kind:     hidden_remainder_x
      - .offset:         68
        .size:           2
        .value_kind:     hidden_remainder_y
      - .offset:         70
        .size:           2
        .value_kind:     hidden_remainder_z
      - .offset:         88
        .size:           8
        .value_kind:     hidden_global_offset_x
      - .offset:         96
        .size:           8
        .value_kind:     hidden_global_offset_y
      - .offset:         104
        .size:           8
        .value_kind:     hidden_global_offset_z
      - .offset:         112
        .size:           2
        .value_kind:     hidden_grid_dims
    .group_segment_fixed_size: 0
    .kernarg_segment_align: 8
    .kernarg_segment_size: 304
    .language:       OpenCL C
    .language_version:
      - 2
      - 0
    .max_flat_workgroup_size: 1024
    .name:           _ZN12_GLOBAL__N_121softmax_warp_backwardIfN3c104HalfEfLi7ELb1ELb0ELi64EEEvPT0_PKT_S7_iiiPKb
    .private_segment_fixed_size: 0
    .sgpr_count:     20
    .sgpr_spill_count: 0
    .symbol:         _ZN12_GLOBAL__N_121softmax_warp_backwardIfN3c104HalfEfLi7ELb1ELb0ELi64EEEvPT0_PKT_S7_iiiPKb.kd
    .uniform_work_group_size: 1
    .uses_dynamic_stack: false
    .vgpr_count:     18
    .vgpr_spill_count: 0
    .wavefront_size: 64
  - .agpr_count:     0
    .args:
      - .address_space:  global
        .offset:         0
        .size:           8
        .value_kind:     global_buffer
      - .address_space:  global
        .offset:         8
        .size:           8
        .value_kind:     global_buffer
      - .address_space:  global
        .offset:         16
        .size:           8
        .value_kind:     global_buffer
      - .offset:         24
        .size:           4
        .value_kind:     by_value
      - .offset:         28
        .size:           4
        .value_kind:     by_value
      - .offset:         32
        .size:           4
        .value_kind:     by_value
      - .address_space:  global
        .offset:         40
        .size:           8
        .value_kind:     global_buffer
      - .offset:         48
        .size:           4
        .value_kind:     hidden_block_count_x
      - .offset:         52
        .size:           4
        .value_kind:     hidden_block_count_y
      - .offset:         56
        .size:           4
        .value_kind:     hidden_block_count_z
      - .offset:         60
        .size:           2
        .value_kind:     hidden_group_size_x
      - .offset:         62
        .size:           2
        .value_kind:     hidden_group_size_y
      - .offset:         64
        .size:           2
        .value_kind:     hidden_group_size_z
      - .offset:         66
        .size:           2
        .value_kind:     hidden_remainder_x
      - .offset:         68
        .size:           2
        .value_kind:     hidden_remainder_y
      - .offset:         70
        .size:           2
        .value_kind:     hidden_remainder_z
      - .offset:         88
        .size:           8
        .value_kind:     hidden_global_offset_x
      - .offset:         96
        .size:           8
        .value_kind:     hidden_global_offset_y
      - .offset:         104
        .size:           8
        .value_kind:     hidden_global_offset_z
      - .offset:         112
        .size:           2
        .value_kind:     hidden_grid_dims
    .group_segment_fixed_size: 0
    .kernarg_segment_align: 8
    .kernarg_segment_size: 304
    .language:       OpenCL C
    .language_version:
      - 2
      - 0
    .max_flat_workgroup_size: 1024
    .name:           _ZN12_GLOBAL__N_121softmax_warp_backwardIfN3c104HalfEfLi7ELb1ELb0ELi32EEEvPT0_PKT_S7_iiiPKb
    .private_segment_fixed_size: 0
    .sgpr_count:     24
    .sgpr_spill_count: 0
    .symbol:         _ZN12_GLOBAL__N_121softmax_warp_backwardIfN3c104HalfEfLi7ELb1ELb0ELi32EEEvPT0_PKT_S7_iiiPKb.kd
    .uniform_work_group_size: 1
    .uses_dynamic_stack: false
    .vgpr_count:     26
    .vgpr_spill_count: 0
    .wavefront_size: 64
  - .agpr_count:     0
    .args:
      - .address_space:  global
        .offset:         0
        .size:           8
        .value_kind:     global_buffer
      - .address_space:  global
        .offset:         8
        .size:           8
        .value_kind:     global_buffer
      - .address_space:  global
        .offset:         16
        .size:           8
        .value_kind:     global_buffer
      - .offset:         24
        .size:           4
        .value_kind:     by_value
      - .offset:         28
        .size:           4
        .value_kind:     by_value
      - .offset:         32
        .size:           4
        .value_kind:     by_value
      - .address_space:  global
        .offset:         40
        .size:           8
        .value_kind:     global_buffer
      - .offset:         48
        .size:           4
        .value_kind:     hidden_block_count_x
      - .offset:         52
        .size:           4
        .value_kind:     hidden_block_count_y
      - .offset:         56
        .size:           4
        .value_kind:     hidden_block_count_z
      - .offset:         60
        .size:           2
        .value_kind:     hidden_group_size_x
      - .offset:         62
        .size:           2
        .value_kind:     hidden_group_size_y
      - .offset:         64
        .size:           2
        .value_kind:     hidden_group_size_z
      - .offset:         66
        .size:           2
        .value_kind:     hidden_remainder_x
      - .offset:         68
        .size:           2
        .value_kind:     hidden_remainder_y
      - .offset:         70
        .size:           2
        .value_kind:     hidden_remainder_z
      - .offset:         88
        .size:           8
        .value_kind:     hidden_global_offset_x
      - .offset:         96
        .size:           8
        .value_kind:     hidden_global_offset_y
      - .offset:         104
        .size:           8
        .value_kind:     hidden_global_offset_z
      - .offset:         112
        .size:           2
        .value_kind:     hidden_grid_dims
    .group_segment_fixed_size: 0
    .kernarg_segment_align: 8
    .kernarg_segment_size: 304
    .language:       OpenCL C
    .language_version:
      - 2
      - 0
    .max_flat_workgroup_size: 1024
    .name:           _ZN12_GLOBAL__N_121softmax_warp_backwardIfN3c104HalfEfLi8ELb1ELb0ELi64EEEvPT0_PKT_S7_iiiPKb
    .private_segment_fixed_size: 0
    .sgpr_count:     20
    .sgpr_spill_count: 0
    .symbol:         _ZN12_GLOBAL__N_121softmax_warp_backwardIfN3c104HalfEfLi8ELb1ELb0ELi64EEEvPT0_PKT_S7_iiiPKb.kd
    .uniform_work_group_size: 1
    .uses_dynamic_stack: false
    .vgpr_count:     15
    .vgpr_spill_count: 0
    .wavefront_size: 64
  - .agpr_count:     0
    .args:
      - .address_space:  global
        .offset:         0
        .size:           8
        .value_kind:     global_buffer
      - .address_space:  global
        .offset:         8
        .size:           8
        .value_kind:     global_buffer
      - .address_space:  global
        .offset:         16
        .size:           8
        .value_kind:     global_buffer
      - .offset:         24
        .size:           4
        .value_kind:     by_value
      - .offset:         28
        .size:           4
        .value_kind:     by_value
      - .offset:         32
        .size:           4
        .value_kind:     by_value
      - .address_space:  global
        .offset:         40
        .size:           8
        .value_kind:     global_buffer
      - .offset:         48
        .size:           4
        .value_kind:     hidden_block_count_x
      - .offset:         52
        .size:           4
        .value_kind:     hidden_block_count_y
      - .offset:         56
        .size:           4
        .value_kind:     hidden_block_count_z
      - .offset:         60
        .size:           2
        .value_kind:     hidden_group_size_x
      - .offset:         62
        .size:           2
        .value_kind:     hidden_group_size_y
      - .offset:         64
        .size:           2
        .value_kind:     hidden_group_size_z
      - .offset:         66
        .size:           2
        .value_kind:     hidden_remainder_x
      - .offset:         68
        .size:           2
        .value_kind:     hidden_remainder_y
      - .offset:         70
        .size:           2
        .value_kind:     hidden_remainder_z
      - .offset:         88
        .size:           8
        .value_kind:     hidden_global_offset_x
      - .offset:         96
        .size:           8
        .value_kind:     hidden_global_offset_y
      - .offset:         104
        .size:           8
        .value_kind:     hidden_global_offset_z
      - .offset:         112
        .size:           2
        .value_kind:     hidden_grid_dims
    .group_segment_fixed_size: 0
    .kernarg_segment_align: 8
    .kernarg_segment_size: 304
    .language:       OpenCL C
    .language_version:
      - 2
      - 0
    .max_flat_workgroup_size: 1024
    .name:           _ZN12_GLOBAL__N_121softmax_warp_backwardIfN3c104HalfEfLi8ELb1ELb0ELi32EEEvPT0_PKT_S7_iiiPKb
    .private_segment_fixed_size: 0
    .sgpr_count:     28
    .sgpr_spill_count: 0
    .symbol:         _ZN12_GLOBAL__N_121softmax_warp_backwardIfN3c104HalfEfLi8ELb1ELb0ELi32EEEvPT0_PKT_S7_iiiPKb.kd
    .uniform_work_group_size: 1
    .uses_dynamic_stack: false
    .vgpr_count:     23
    .vgpr_spill_count: 0
    .wavefront_size: 64
  - .agpr_count:     0
    .args:
      - .address_space:  global
        .offset:         0
        .size:           8
        .value_kind:     global_buffer
      - .address_space:  global
        .offset:         8
        .size:           8
        .value_kind:     global_buffer
      - .address_space:  global
        .offset:         16
        .size:           8
        .value_kind:     global_buffer
      - .offset:         24
        .size:           4
        .value_kind:     by_value
      - .offset:         28
        .size:           4
        .value_kind:     by_value
      - .offset:         32
        .size:           4
        .value_kind:     by_value
      - .address_space:  global
        .offset:         40
        .size:           8
        .value_kind:     global_buffer
      - .offset:         48
        .size:           4
        .value_kind:     hidden_block_count_x
      - .offset:         52
        .size:           4
        .value_kind:     hidden_block_count_y
      - .offset:         56
        .size:           4
        .value_kind:     hidden_block_count_z
      - .offset:         60
        .size:           2
        .value_kind:     hidden_group_size_x
      - .offset:         62
        .size:           2
        .value_kind:     hidden_group_size_y
      - .offset:         64
        .size:           2
        .value_kind:     hidden_group_size_z
      - .offset:         66
        .size:           2
        .value_kind:     hidden_remainder_x
      - .offset:         68
        .size:           2
        .value_kind:     hidden_remainder_y
      - .offset:         70
        .size:           2
        .value_kind:     hidden_remainder_z
      - .offset:         88
        .size:           8
        .value_kind:     hidden_global_offset_x
      - .offset:         96
        .size:           8
        .value_kind:     hidden_global_offset_y
      - .offset:         104
        .size:           8
        .value_kind:     hidden_global_offset_z
      - .offset:         112
        .size:           2
        .value_kind:     hidden_grid_dims
    .group_segment_fixed_size: 0
    .kernarg_segment_align: 8
    .kernarg_segment_size: 304
    .language:       OpenCL C
    .language_version:
      - 2
      - 0
    .max_flat_workgroup_size: 1024
    .name:           _ZN12_GLOBAL__N_121softmax_warp_backwardIfN3c104HalfEfLi9ELb1ELb0ELi64EEEvPT0_PKT_S7_iiiPKb
    .private_segment_fixed_size: 0
    .sgpr_count:     28
    .sgpr_spill_count: 0
    .symbol:         _ZN12_GLOBAL__N_121softmax_warp_backwardIfN3c104HalfEfLi9ELb1ELb0ELi64EEEvPT0_PKT_S7_iiiPKb.kd
    .uniform_work_group_size: 1
    .uses_dynamic_stack: false
    .vgpr_count:     23
    .vgpr_spill_count: 0
    .wavefront_size: 64
  - .agpr_count:     0
    .args:
      - .address_space:  global
        .offset:         0
        .size:           8
        .value_kind:     global_buffer
      - .address_space:  global
        .offset:         8
        .size:           8
        .value_kind:     global_buffer
      - .address_space:  global
        .offset:         16
        .size:           8
        .value_kind:     global_buffer
      - .offset:         24
        .size:           4
        .value_kind:     by_value
      - .offset:         28
        .size:           4
        .value_kind:     by_value
      - .offset:         32
        .size:           4
        .value_kind:     by_value
      - .address_space:  global
        .offset:         40
        .size:           8
        .value_kind:     global_buffer
      - .offset:         48
        .size:           4
        .value_kind:     hidden_block_count_x
      - .offset:         52
        .size:           4
        .value_kind:     hidden_block_count_y
      - .offset:         56
        .size:           4
        .value_kind:     hidden_block_count_z
      - .offset:         60
        .size:           2
        .value_kind:     hidden_group_size_x
      - .offset:         62
        .size:           2
        .value_kind:     hidden_group_size_y
      - .offset:         64
        .size:           2
        .value_kind:     hidden_group_size_z
      - .offset:         66
        .size:           2
        .value_kind:     hidden_remainder_x
      - .offset:         68
        .size:           2
        .value_kind:     hidden_remainder_y
      - .offset:         70
        .size:           2
        .value_kind:     hidden_remainder_z
      - .offset:         88
        .size:           8
        .value_kind:     hidden_global_offset_x
      - .offset:         96
        .size:           8
        .value_kind:     hidden_global_offset_y
      - .offset:         104
        .size:           8
        .value_kind:     hidden_global_offset_z
      - .offset:         112
        .size:           2
        .value_kind:     hidden_grid_dims
    .group_segment_fixed_size: 0
    .kernarg_segment_align: 8
    .kernarg_segment_size: 304
    .language:       OpenCL C
    .language_version:
      - 2
      - 0
    .max_flat_workgroup_size: 1024
    .name:           _ZN12_GLOBAL__N_121softmax_warp_backwardIfN3c104HalfEfLi9ELb1ELb0ELi32EEEvPT0_PKT_S7_iiiPKb
    .private_segment_fixed_size: 0
    .sgpr_count:     48
    .sgpr_spill_count: 0
    .symbol:         _ZN12_GLOBAL__N_121softmax_warp_backwardIfN3c104HalfEfLi9ELb1ELb0ELi32EEEvPT0_PKT_S7_iiiPKb.kd
    .uniform_work_group_size: 1
    .uses_dynamic_stack: false
    .vgpr_count:     39
    .vgpr_spill_count: 0
    .wavefront_size: 64
  - .agpr_count:     0
    .args:
      - .address_space:  global
        .offset:         0
        .size:           8
        .value_kind:     global_buffer
      - .address_space:  global
        .offset:         8
        .size:           8
        .value_kind:     global_buffer
      - .address_space:  global
        .offset:         16
        .size:           8
        .value_kind:     global_buffer
      - .offset:         24
        .size:           4
        .value_kind:     by_value
      - .offset:         28
        .size:           4
        .value_kind:     by_value
      - .offset:         32
        .size:           4
        .value_kind:     by_value
      - .address_space:  global
        .offset:         40
        .size:           8
        .value_kind:     global_buffer
      - .offset:         48
        .size:           4
        .value_kind:     hidden_block_count_x
      - .offset:         52
        .size:           4
        .value_kind:     hidden_block_count_y
      - .offset:         56
        .size:           4
        .value_kind:     hidden_block_count_z
      - .offset:         60
        .size:           2
        .value_kind:     hidden_group_size_x
      - .offset:         62
        .size:           2
        .value_kind:     hidden_group_size_y
      - .offset:         64
        .size:           2
        .value_kind:     hidden_group_size_z
      - .offset:         66
        .size:           2
        .value_kind:     hidden_remainder_x
      - .offset:         68
        .size:           2
        .value_kind:     hidden_remainder_y
      - .offset:         70
        .size:           2
        .value_kind:     hidden_remainder_z
      - .offset:         88
        .size:           8
        .value_kind:     hidden_global_offset_x
      - .offset:         96
        .size:           8
        .value_kind:     hidden_global_offset_y
      - .offset:         104
        .size:           8
        .value_kind:     hidden_global_offset_z
      - .offset:         112
        .size:           2
        .value_kind:     hidden_grid_dims
    .group_segment_fixed_size: 0
    .kernarg_segment_align: 8
    .kernarg_segment_size: 304
    .language:       OpenCL C
    .language_version:
      - 2
      - 0
    .max_flat_workgroup_size: 1024
    .name:           _ZN12_GLOBAL__N_121softmax_warp_backwardIfN3c104HalfEfLi10ELb1ELb0ELi64EEEvPT0_PKT_S7_iiiPKb
    .private_segment_fixed_size: 0
    .sgpr_count:     48
    .sgpr_spill_count: 0
    .symbol:         _ZN12_GLOBAL__N_121softmax_warp_backwardIfN3c104HalfEfLi10ELb1ELb0ELi64EEEvPT0_PKT_S7_iiiPKb.kd
    .uniform_work_group_size: 1
    .uses_dynamic_stack: false
    .vgpr_count:     39
    .vgpr_spill_count: 0
    .wavefront_size: 64
  - .agpr_count:     0
    .args:
      - .address_space:  global
        .offset:         0
        .size:           8
        .value_kind:     global_buffer
      - .address_space:  global
        .offset:         8
        .size:           8
        .value_kind:     global_buffer
      - .address_space:  global
        .offset:         16
        .size:           8
        .value_kind:     global_buffer
      - .offset:         24
        .size:           4
        .value_kind:     by_value
      - .offset:         28
        .size:           4
        .value_kind:     by_value
      - .offset:         32
        .size:           4
        .value_kind:     by_value
      - .address_space:  global
        .offset:         40
        .size:           8
        .value_kind:     global_buffer
      - .offset:         48
        .size:           4
        .value_kind:     hidden_block_count_x
      - .offset:         52
        .size:           4
        .value_kind:     hidden_block_count_y
      - .offset:         56
        .size:           4
        .value_kind:     hidden_block_count_z
      - .offset:         60
        .size:           2
        .value_kind:     hidden_group_size_x
      - .offset:         62
        .size:           2
        .value_kind:     hidden_group_size_y
      - .offset:         64
        .size:           2
        .value_kind:     hidden_group_size_z
      - .offset:         66
        .size:           2
        .value_kind:     hidden_remainder_x
      - .offset:         68
        .size:           2
        .value_kind:     hidden_remainder_y
      - .offset:         70
        .size:           2
        .value_kind:     hidden_remainder_z
      - .offset:         88
        .size:           8
        .value_kind:     hidden_global_offset_x
      - .offset:         96
        .size:           8
        .value_kind:     hidden_global_offset_y
      - .offset:         104
        .size:           8
        .value_kind:     hidden_global_offset_z
      - .offset:         112
        .size:           2
        .value_kind:     hidden_grid_dims
    .group_segment_fixed_size: 0
    .kernarg_segment_align: 8
    .kernarg_segment_size: 304
    .language:       OpenCL C
    .language_version:
      - 2
      - 0
    .max_flat_workgroup_size: 1024
    .name:           _ZN12_GLOBAL__N_121softmax_warp_backwardIfN3c104HalfEfLi10ELb1ELb0ELi32EEEvPT0_PKT_S7_iiiPKb
    .private_segment_fixed_size: 0
    .sgpr_count:     78
    .sgpr_spill_count: 0
    .symbol:         _ZN12_GLOBAL__N_121softmax_warp_backwardIfN3c104HalfEfLi10ELb1ELb0ELi32EEEvPT0_PKT_S7_iiiPKb.kd
    .uniform_work_group_size: 1
    .uses_dynamic_stack: false
    .vgpr_count:     71
    .vgpr_spill_count: 0
    .wavefront_size: 64
  - .agpr_count:     0
    .args:
      - .address_space:  global
        .offset:         0
        .size:           8
        .value_kind:     global_buffer
      - .address_space:  global
        .offset:         8
        .size:           8
        .value_kind:     global_buffer
      - .address_space:  global
        .offset:         16
        .size:           8
        .value_kind:     global_buffer
      - .offset:         24
        .size:           8
        .value_kind:     by_value
      - .offset:         32
        .size:           4
        .value_kind:     hidden_block_count_x
      - .offset:         36
        .size:           4
        .value_kind:     hidden_block_count_y
      - .offset:         40
        .size:           4
        .value_kind:     hidden_block_count_z
      - .offset:         44
        .size:           2
        .value_kind:     hidden_group_size_x
      - .offset:         46
        .size:           2
        .value_kind:     hidden_group_size_y
      - .offset:         48
        .size:           2
        .value_kind:     hidden_group_size_z
      - .offset:         50
        .size:           2
        .value_kind:     hidden_remainder_x
      - .offset:         52
        .size:           2
        .value_kind:     hidden_remainder_y
      - .offset:         54
        .size:           2
        .value_kind:     hidden_remainder_z
      - .offset:         72
        .size:           8
        .value_kind:     hidden_global_offset_x
      - .offset:         80
        .size:           8
        .value_kind:     hidden_global_offset_y
      - .offset:         88
        .size:           8
        .value_kind:     hidden_global_offset_z
      - .offset:         96
        .size:           2
        .value_kind:     hidden_grid_dims
      - .offset:         152
        .size:           4
        .value_kind:     hidden_dynamic_lds_size
    .group_segment_fixed_size: 0
    .kernarg_segment_align: 8
    .kernarg_segment_size: 288
    .language:       OpenCL C
    .language_version:
      - 2
      - 0
    .max_flat_workgroup_size: 1024
    .name:           _ZN2at6native12_GLOBAL__N_124cunn_SoftMaxBackwardSmemILi4EN3c104HalfEffNS1_26LogSoftMaxBackwardEpilogueEEEvPT0_PKT2_SA_l
    .private_segment_fixed_size: 0
    .sgpr_count:     26
    .sgpr_spill_count: 0
    .symbol:         _ZN2at6native12_GLOBAL__N_124cunn_SoftMaxBackwardSmemILi4EN3c104HalfEffNS1_26LogSoftMaxBackwardEpilogueEEEvPT0_PKT2_SA_l.kd
    .uniform_work_group_size: 1
    .uses_dynamic_stack: false
    .vgpr_count:     32
    .vgpr_spill_count: 0
    .wavefront_size: 64
  - .agpr_count:     0
    .args:
      - .address_space:  global
        .offset:         0
        .size:           8
        .value_kind:     global_buffer
      - .address_space:  global
        .offset:         8
        .size:           8
        .value_kind:     global_buffer
      - .address_space:  global
        .offset:         16
        .size:           8
        .value_kind:     global_buffer
      - .offset:         24
        .size:           8
        .value_kind:     by_value
      - .offset:         32
        .size:           4
        .value_kind:     hidden_block_count_x
      - .offset:         36
        .size:           4
        .value_kind:     hidden_block_count_y
      - .offset:         40
        .size:           4
        .value_kind:     hidden_block_count_z
      - .offset:         44
        .size:           2
        .value_kind:     hidden_group_size_x
      - .offset:         46
        .size:           2
        .value_kind:     hidden_group_size_y
      - .offset:         48
        .size:           2
        .value_kind:     hidden_group_size_z
      - .offset:         50
        .size:           2
        .value_kind:     hidden_remainder_x
      - .offset:         52
        .size:           2
        .value_kind:     hidden_remainder_y
      - .offset:         54
        .size:           2
        .value_kind:     hidden_remainder_z
      - .offset:         72
        .size:           8
        .value_kind:     hidden_global_offset_x
      - .offset:         80
        .size:           8
        .value_kind:     hidden_global_offset_y
      - .offset:         88
        .size:           8
        .value_kind:     hidden_global_offset_z
      - .offset:         96
        .size:           2
        .value_kind:     hidden_grid_dims
      - .offset:         152
        .size:           4
        .value_kind:     hidden_dynamic_lds_size
    .group_segment_fixed_size: 0
    .kernarg_segment_align: 8
    .kernarg_segment_size: 288
    .language:       OpenCL C
    .language_version:
      - 2
      - 0
    .max_flat_workgroup_size: 1024
    .name:           _ZN2at6native12_GLOBAL__N_120cunn_SoftMaxBackwardILi4EN3c104HalfEffNS1_26LogSoftMaxBackwardEpilogueEEEvPT0_PKT2_SA_l
    .private_segment_fixed_size: 0
    .sgpr_count:     78
    .sgpr_spill_count: 0
    .symbol:         _ZN2at6native12_GLOBAL__N_120cunn_SoftMaxBackwardILi4EN3c104HalfEffNS1_26LogSoftMaxBackwardEpilogueEEEvPT0_PKT2_SA_l.kd
    .uniform_work_group_size: 1
    .uses_dynamic_stack: false
    .vgpr_count:     38
    .vgpr_spill_count: 0
    .wavefront_size: 64
  - .agpr_count:     0
    .args:
      - .address_space:  global
        .offset:         0
        .size:           8
        .value_kind:     global_buffer
      - .address_space:  global
        .offset:         8
        .size:           8
        .value_kind:     global_buffer
      - .address_space:  global
        .offset:         16
        .size:           8
        .value_kind:     global_buffer
      - .offset:         24
        .size:           4
        .value_kind:     by_value
      - .offset:         28
        .size:           4
        .value_kind:     by_value
      - .offset:         32
        .size:           4
        .value_kind:     by_value
      - .address_space:  global
        .offset:         40
        .size:           8
        .value_kind:     global_buffer
      - .offset:         48
        .size:           4
        .value_kind:     hidden_block_count_x
      - .offset:         52
        .size:           4
        .value_kind:     hidden_block_count_y
      - .offset:         56
        .size:           4
        .value_kind:     hidden_block_count_z
      - .offset:         60
        .size:           2
        .value_kind:     hidden_group_size_x
      - .offset:         62
        .size:           2
        .value_kind:     hidden_group_size_y
      - .offset:         64
        .size:           2
        .value_kind:     hidden_group_size_z
      - .offset:         66
        .size:           2
        .value_kind:     hidden_remainder_x
      - .offset:         68
        .size:           2
        .value_kind:     hidden_remainder_y
      - .offset:         70
        .size:           2
        .value_kind:     hidden_remainder_z
      - .offset:         88
        .size:           8
        .value_kind:     hidden_global_offset_x
      - .offset:         96
        .size:           8
        .value_kind:     hidden_global_offset_y
      - .offset:         104
        .size:           8
        .value_kind:     hidden_global_offset_z
      - .offset:         112
        .size:           2
        .value_kind:     hidden_grid_dims
    .group_segment_fixed_size: 0
    .kernarg_segment_align: 8
    .kernarg_segment_size: 304
    .language:       OpenCL C
    .language_version:
      - 2
      - 0
    .max_flat_workgroup_size: 1024
    .name:           _ZN12_GLOBAL__N_121softmax_warp_backwardIN3c108BFloat16ES2_fLi0ELb1ELb0ELi64EEEvPT0_PKT_S7_iiiPKb
    .private_segment_fixed_size: 0
    .sgpr_count:     20
    .sgpr_spill_count: 0
    .symbol:         _ZN12_GLOBAL__N_121softmax_warp_backwardIN3c108BFloat16ES2_fLi0ELb1ELb0ELi64EEEvPT0_PKT_S7_iiiPKb.kd
    .uniform_work_group_size: 1
    .uses_dynamic_stack: false
    .vgpr_count:     11
    .vgpr_spill_count: 0
    .wavefront_size: 64
  - .agpr_count:     0
    .args:
      - .address_space:  global
        .offset:         0
        .size:           8
        .value_kind:     global_buffer
      - .address_space:  global
        .offset:         8
        .size:           8
        .value_kind:     global_buffer
      - .address_space:  global
        .offset:         16
        .size:           8
        .value_kind:     global_buffer
      - .offset:         24
        .size:           4
        .value_kind:     by_value
      - .offset:         28
        .size:           4
        .value_kind:     by_value
      - .offset:         32
        .size:           4
        .value_kind:     by_value
      - .address_space:  global
        .offset:         40
        .size:           8
        .value_kind:     global_buffer
      - .offset:         48
        .size:           4
        .value_kind:     hidden_block_count_x
      - .offset:         52
        .size:           4
        .value_kind:     hidden_block_count_y
      - .offset:         56
        .size:           4
        .value_kind:     hidden_block_count_z
      - .offset:         60
        .size:           2
        .value_kind:     hidden_group_size_x
      - .offset:         62
        .size:           2
        .value_kind:     hidden_group_size_y
      - .offset:         64
        .size:           2
        .value_kind:     hidden_group_size_z
      - .offset:         66
        .size:           2
        .value_kind:     hidden_remainder_x
      - .offset:         68
        .size:           2
        .value_kind:     hidden_remainder_y
      - .offset:         70
        .size:           2
        .value_kind:     hidden_remainder_z
      - .offset:         88
        .size:           8
        .value_kind:     hidden_global_offset_x
      - .offset:         96
        .size:           8
        .value_kind:     hidden_global_offset_y
      - .offset:         104
        .size:           8
        .value_kind:     hidden_global_offset_z
      - .offset:         112
        .size:           2
        .value_kind:     hidden_grid_dims
    .group_segment_fixed_size: 0
    .kernarg_segment_align: 8
    .kernarg_segment_size: 304
    .language:       OpenCL C
    .language_version:
      - 2
      - 0
    .max_flat_workgroup_size: 1024
    .name:           _ZN12_GLOBAL__N_121softmax_warp_backwardIN3c108BFloat16ES2_fLi0ELb1ELb0ELi32EEEvPT0_PKT_S7_iiiPKb
    .private_segment_fixed_size: 0
    .sgpr_count:     20
    .sgpr_spill_count: 0
    .symbol:         _ZN12_GLOBAL__N_121softmax_warp_backwardIN3c108BFloat16ES2_fLi0ELb1ELb0ELi32EEEvPT0_PKT_S7_iiiPKb.kd
    .uniform_work_group_size: 1
    .uses_dynamic_stack: false
    .vgpr_count:     11
    .vgpr_spill_count: 0
    .wavefront_size: 64
  - .agpr_count:     0
    .args:
      - .address_space:  global
        .offset:         0
        .size:           8
        .value_kind:     global_buffer
      - .address_space:  global
        .offset:         8
        .size:           8
        .value_kind:     global_buffer
      - .address_space:  global
        .offset:         16
        .size:           8
        .value_kind:     global_buffer
      - .offset:         24
        .size:           4
        .value_kind:     by_value
      - .offset:         28
        .size:           4
        .value_kind:     by_value
      - .offset:         32
        .size:           4
        .value_kind:     by_value
      - .address_space:  global
        .offset:         40
        .size:           8
        .value_kind:     global_buffer
      - .offset:         48
        .size:           4
        .value_kind:     hidden_block_count_x
      - .offset:         52
        .size:           4
        .value_kind:     hidden_block_count_y
      - .offset:         56
        .size:           4
        .value_kind:     hidden_block_count_z
      - .offset:         60
        .size:           2
        .value_kind:     hidden_group_size_x
      - .offset:         62
        .size:           2
        .value_kind:     hidden_group_size_y
      - .offset:         64
        .size:           2
        .value_kind:     hidden_group_size_z
      - .offset:         66
        .size:           2
        .value_kind:     hidden_remainder_x
      - .offset:         68
        .size:           2
        .value_kind:     hidden_remainder_y
      - .offset:         70
        .size:           2
        .value_kind:     hidden_remainder_z
      - .offset:         88
        .size:           8
        .value_kind:     hidden_global_offset_x
      - .offset:         96
        .size:           8
        .value_kind:     hidden_global_offset_y
      - .offset:         104
        .size:           8
        .value_kind:     hidden_global_offset_z
      - .offset:         112
        .size:           2
        .value_kind:     hidden_grid_dims
    .group_segment_fixed_size: 0
    .kernarg_segment_align: 8
    .kernarg_segment_size: 304
    .language:       OpenCL C
    .language_version:
      - 2
      - 0
    .max_flat_workgroup_size: 1024
    .name:           _ZN12_GLOBAL__N_121softmax_warp_backwardIN3c108BFloat16ES2_fLi1ELb1ELb0ELi64EEEvPT0_PKT_S7_iiiPKb
    .private_segment_fixed_size: 0
    .sgpr_count:     20
    .sgpr_spill_count: 0
    .symbol:         _ZN12_GLOBAL__N_121softmax_warp_backwardIN3c108BFloat16ES2_fLi1ELb1ELb0ELi64EEEvPT0_PKT_S7_iiiPKb.kd
    .uniform_work_group_size: 1
    .uses_dynamic_stack: false
    .vgpr_count:     12
    .vgpr_spill_count: 0
    .wavefront_size: 64
  - .agpr_count:     0
    .args:
      - .address_space:  global
        .offset:         0
        .size:           8
        .value_kind:     global_buffer
      - .address_space:  global
        .offset:         8
        .size:           8
        .value_kind:     global_buffer
      - .address_space:  global
        .offset:         16
        .size:           8
        .value_kind:     global_buffer
      - .offset:         24
        .size:           4
        .value_kind:     by_value
      - .offset:         28
        .size:           4
        .value_kind:     by_value
      - .offset:         32
        .size:           4
        .value_kind:     by_value
      - .address_space:  global
        .offset:         40
        .size:           8
        .value_kind:     global_buffer
      - .offset:         48
        .size:           4
        .value_kind:     hidden_block_count_x
      - .offset:         52
        .size:           4
        .value_kind:     hidden_block_count_y
      - .offset:         56
        .size:           4
        .value_kind:     hidden_block_count_z
      - .offset:         60
        .size:           2
        .value_kind:     hidden_group_size_x
      - .offset:         62
        .size:           2
        .value_kind:     hidden_group_size_y
      - .offset:         64
        .size:           2
        .value_kind:     hidden_group_size_z
      - .offset:         66
        .size:           2
        .value_kind:     hidden_remainder_x
      - .offset:         68
        .size:           2
        .value_kind:     hidden_remainder_y
      - .offset:         70
        .size:           2
        .value_kind:     hidden_remainder_z
      - .offset:         88
        .size:           8
        .value_kind:     hidden_global_offset_x
      - .offset:         96
        .size:           8
        .value_kind:     hidden_global_offset_y
      - .offset:         104
        .size:           8
        .value_kind:     hidden_global_offset_z
      - .offset:         112
        .size:           2
        .value_kind:     hidden_grid_dims
    .group_segment_fixed_size: 0
    .kernarg_segment_align: 8
    .kernarg_segment_size: 304
    .language:       OpenCL C
    .language_version:
      - 2
      - 0
    .max_flat_workgroup_size: 1024
    .name:           _ZN12_GLOBAL__N_121softmax_warp_backwardIN3c108BFloat16ES2_fLi1ELb1ELb0ELi32EEEvPT0_PKT_S7_iiiPKb
    .private_segment_fixed_size: 0
    .sgpr_count:     20
    .sgpr_spill_count: 0
    .symbol:         _ZN12_GLOBAL__N_121softmax_warp_backwardIN3c108BFloat16ES2_fLi1ELb1ELb0ELi32EEEvPT0_PKT_S7_iiiPKb.kd
    .uniform_work_group_size: 1
    .uses_dynamic_stack: false
    .vgpr_count:     12
    .vgpr_spill_count: 0
    .wavefront_size: 64
  - .agpr_count:     0
    .args:
      - .address_space:  global
        .offset:         0
        .size:           8
        .value_kind:     global_buffer
      - .address_space:  global
        .offset:         8
        .size:           8
        .value_kind:     global_buffer
      - .address_space:  global
        .offset:         16
        .size:           8
        .value_kind:     global_buffer
      - .offset:         24
        .size:           4
        .value_kind:     by_value
      - .offset:         28
        .size:           4
        .value_kind:     by_value
      - .offset:         32
        .size:           4
        .value_kind:     by_value
      - .address_space:  global
        .offset:         40
        .size:           8
        .value_kind:     global_buffer
      - .offset:         48
        .size:           4
        .value_kind:     hidden_block_count_x
      - .offset:         52
        .size:           4
        .value_kind:     hidden_block_count_y
      - .offset:         56
        .size:           4
        .value_kind:     hidden_block_count_z
      - .offset:         60
        .size:           2
        .value_kind:     hidden_group_size_x
      - .offset:         62
        .size:           2
        .value_kind:     hidden_group_size_y
      - .offset:         64
        .size:           2
        .value_kind:     hidden_group_size_z
      - .offset:         66
        .size:           2
        .value_kind:     hidden_remainder_x
      - .offset:         68
        .size:           2
        .value_kind:     hidden_remainder_y
      - .offset:         70
        .size:           2
        .value_kind:     hidden_remainder_z
      - .offset:         88
        .size:           8
        .value_kind:     hidden_global_offset_x
      - .offset:         96
        .size:           8
        .value_kind:     hidden_global_offset_y
      - .offset:         104
        .size:           8
        .value_kind:     hidden_global_offset_z
      - .offset:         112
        .size:           2
        .value_kind:     hidden_grid_dims
    .group_segment_fixed_size: 0
    .kernarg_segment_align: 8
    .kernarg_segment_size: 304
    .language:       OpenCL C
    .language_version:
      - 2
      - 0
    .max_flat_workgroup_size: 1024
    .name:           _ZN12_GLOBAL__N_121softmax_warp_backwardIN3c108BFloat16ES2_fLi2ELb1ELb0ELi64EEEvPT0_PKT_S7_iiiPKb
    .private_segment_fixed_size: 0
    .sgpr_count:     20
    .sgpr_spill_count: 0
    .symbol:         _ZN12_GLOBAL__N_121softmax_warp_backwardIN3c108BFloat16ES2_fLi2ELb1ELb0ELi64EEEvPT0_PKT_S7_iiiPKb.kd
    .uniform_work_group_size: 1
    .uses_dynamic_stack: false
    .vgpr_count:     14
    .vgpr_spill_count: 0
    .wavefront_size: 64
  - .agpr_count:     0
    .args:
      - .address_space:  global
        .offset:         0
        .size:           8
        .value_kind:     global_buffer
      - .address_space:  global
        .offset:         8
        .size:           8
        .value_kind:     global_buffer
      - .address_space:  global
        .offset:         16
        .size:           8
        .value_kind:     global_buffer
      - .offset:         24
        .size:           4
        .value_kind:     by_value
      - .offset:         28
        .size:           4
        .value_kind:     by_value
      - .offset:         32
        .size:           4
        .value_kind:     by_value
      - .address_space:  global
        .offset:         40
        .size:           8
        .value_kind:     global_buffer
      - .offset:         48
        .size:           4
        .value_kind:     hidden_block_count_x
      - .offset:         52
        .size:           4
        .value_kind:     hidden_block_count_y
      - .offset:         56
        .size:           4
        .value_kind:     hidden_block_count_z
      - .offset:         60
        .size:           2
        .value_kind:     hidden_group_size_x
      - .offset:         62
        .size:           2
        .value_kind:     hidden_group_size_y
      - .offset:         64
        .size:           2
        .value_kind:     hidden_group_size_z
      - .offset:         66
        .size:           2
        .value_kind:     hidden_remainder_x
      - .offset:         68
        .size:           2
        .value_kind:     hidden_remainder_y
      - .offset:         70
        .size:           2
        .value_kind:     hidden_remainder_z
      - .offset:         88
        .size:           8
        .value_kind:     hidden_global_offset_x
      - .offset:         96
        .size:           8
        .value_kind:     hidden_global_offset_y
      - .offset:         104
        .size:           8
        .value_kind:     hidden_global_offset_z
      - .offset:         112
        .size:           2
        .value_kind:     hidden_grid_dims
    .group_segment_fixed_size: 0
    .kernarg_segment_align: 8
    .kernarg_segment_size: 304
    .language:       OpenCL C
    .language_version:
      - 2
      - 0
    .max_flat_workgroup_size: 1024
    .name:           _ZN12_GLOBAL__N_121softmax_warp_backwardIN3c108BFloat16ES2_fLi2ELb1ELb0ELi32EEEvPT0_PKT_S7_iiiPKb
    .private_segment_fixed_size: 0
    .sgpr_count:     20
    .sgpr_spill_count: 0
    .symbol:         _ZN12_GLOBAL__N_121softmax_warp_backwardIN3c108BFloat16ES2_fLi2ELb1ELb0ELi32EEEvPT0_PKT_S7_iiiPKb.kd
    .uniform_work_group_size: 1
    .uses_dynamic_stack: false
    .vgpr_count:     14
    .vgpr_spill_count: 0
    .wavefront_size: 64
  - .agpr_count:     0
    .args:
      - .address_space:  global
        .offset:         0
        .size:           8
        .value_kind:     global_buffer
      - .address_space:  global
        .offset:         8
        .size:           8
        .value_kind:     global_buffer
      - .address_space:  global
        .offset:         16
        .size:           8
        .value_kind:     global_buffer
      - .offset:         24
        .size:           4
        .value_kind:     by_value
      - .offset:         28
        .size:           4
        .value_kind:     by_value
      - .offset:         32
        .size:           4
        .value_kind:     by_value
      - .address_space:  global
        .offset:         40
        .size:           8
        .value_kind:     global_buffer
      - .offset:         48
        .size:           4
        .value_kind:     hidden_block_count_x
      - .offset:         52
        .size:           4
        .value_kind:     hidden_block_count_y
      - .offset:         56
        .size:           4
        .value_kind:     hidden_block_count_z
      - .offset:         60
        .size:           2
        .value_kind:     hidden_group_size_x
      - .offset:         62
        .size:           2
        .value_kind:     hidden_group_size_y
      - .offset:         64
        .size:           2
        .value_kind:     hidden_group_size_z
      - .offset:         66
        .size:           2
        .value_kind:     hidden_remainder_x
      - .offset:         68
        .size:           2
        .value_kind:     hidden_remainder_y
      - .offset:         70
        .size:           2
        .value_kind:     hidden_remainder_z
      - .offset:         88
        .size:           8
        .value_kind:     hidden_global_offset_x
      - .offset:         96
        .size:           8
        .value_kind:     hidden_global_offset_y
      - .offset:         104
        .size:           8
        .value_kind:     hidden_global_offset_z
      - .offset:         112
        .size:           2
        .value_kind:     hidden_grid_dims
    .group_segment_fixed_size: 0
    .kernarg_segment_align: 8
    .kernarg_segment_size: 304
    .language:       OpenCL C
    .language_version:
      - 2
      - 0
    .max_flat_workgroup_size: 1024
    .name:           _ZN12_GLOBAL__N_121softmax_warp_backwardIN3c108BFloat16ES2_fLi3ELb1ELb0ELi64EEEvPT0_PKT_S7_iiiPKb
    .private_segment_fixed_size: 0
    .sgpr_count:     20
    .sgpr_spill_count: 0
    .symbol:         _ZN12_GLOBAL__N_121softmax_warp_backwardIN3c108BFloat16ES2_fLi3ELb1ELb0ELi64EEEvPT0_PKT_S7_iiiPKb.kd
    .uniform_work_group_size: 1
    .uses_dynamic_stack: false
    .vgpr_count:     14
    .vgpr_spill_count: 0
    .wavefront_size: 64
  - .agpr_count:     0
    .args:
      - .address_space:  global
        .offset:         0
        .size:           8
        .value_kind:     global_buffer
      - .address_space:  global
        .offset:         8
        .size:           8
        .value_kind:     global_buffer
      - .address_space:  global
        .offset:         16
        .size:           8
        .value_kind:     global_buffer
      - .offset:         24
        .size:           4
        .value_kind:     by_value
      - .offset:         28
        .size:           4
        .value_kind:     by_value
      - .offset:         32
        .size:           4
        .value_kind:     by_value
      - .address_space:  global
        .offset:         40
        .size:           8
        .value_kind:     global_buffer
      - .offset:         48
        .size:           4
        .value_kind:     hidden_block_count_x
      - .offset:         52
        .size:           4
        .value_kind:     hidden_block_count_y
      - .offset:         56
        .size:           4
        .value_kind:     hidden_block_count_z
      - .offset:         60
        .size:           2
        .value_kind:     hidden_group_size_x
      - .offset:         62
        .size:           2
        .value_kind:     hidden_group_size_y
      - .offset:         64
        .size:           2
        .value_kind:     hidden_group_size_z
      - .offset:         66
        .size:           2
        .value_kind:     hidden_remainder_x
      - .offset:         68
        .size:           2
        .value_kind:     hidden_remainder_y
      - .offset:         70
        .size:           2
        .value_kind:     hidden_remainder_z
      - .offset:         88
        .size:           8
        .value_kind:     hidden_global_offset_x
      - .offset:         96
        .size:           8
        .value_kind:     hidden_global_offset_y
      - .offset:         104
        .size:           8
        .value_kind:     hidden_global_offset_z
      - .offset:         112
        .size:           2
        .value_kind:     hidden_grid_dims
    .group_segment_fixed_size: 0
    .kernarg_segment_align: 8
    .kernarg_segment_size: 304
    .language:       OpenCL C
    .language_version:
      - 2
      - 0
    .max_flat_workgroup_size: 1024
    .name:           _ZN12_GLOBAL__N_121softmax_warp_backwardIN3c108BFloat16ES2_fLi3ELb1ELb0ELi32EEEvPT0_PKT_S7_iiiPKb
    .private_segment_fixed_size: 0
    .sgpr_count:     20
    .sgpr_spill_count: 0
    .symbol:         _ZN12_GLOBAL__N_121softmax_warp_backwardIN3c108BFloat16ES2_fLi3ELb1ELb0ELi32EEEvPT0_PKT_S7_iiiPKb.kd
    .uniform_work_group_size: 1
    .uses_dynamic_stack: false
    .vgpr_count:     14
    .vgpr_spill_count: 0
    .wavefront_size: 64
  - .agpr_count:     0
    .args:
      - .address_space:  global
        .offset:         0
        .size:           8
        .value_kind:     global_buffer
      - .address_space:  global
        .offset:         8
        .size:           8
        .value_kind:     global_buffer
      - .address_space:  global
        .offset:         16
        .size:           8
        .value_kind:     global_buffer
      - .offset:         24
        .size:           4
        .value_kind:     by_value
      - .offset:         28
        .size:           4
        .value_kind:     by_value
      - .offset:         32
        .size:           4
        .value_kind:     by_value
      - .address_space:  global
        .offset:         40
        .size:           8
        .value_kind:     global_buffer
      - .offset:         48
        .size:           4
        .value_kind:     hidden_block_count_x
      - .offset:         52
        .size:           4
        .value_kind:     hidden_block_count_y
      - .offset:         56
        .size:           4
        .value_kind:     hidden_block_count_z
      - .offset:         60
        .size:           2
        .value_kind:     hidden_group_size_x
      - .offset:         62
        .size:           2
        .value_kind:     hidden_group_size_y
      - .offset:         64
        .size:           2
        .value_kind:     hidden_group_size_z
      - .offset:         66
        .size:           2
        .value_kind:     hidden_remainder_x
      - .offset:         68
        .size:           2
        .value_kind:     hidden_remainder_y
      - .offset:         70
        .size:           2
        .value_kind:     hidden_remainder_z
      - .offset:         88
        .size:           8
        .value_kind:     hidden_global_offset_x
      - .offset:         96
        .size:           8
        .value_kind:     hidden_global_offset_y
      - .offset:         104
        .size:           8
        .value_kind:     hidden_global_offset_z
      - .offset:         112
        .size:           2
        .value_kind:     hidden_grid_dims
    .group_segment_fixed_size: 0
    .kernarg_segment_align: 8
    .kernarg_segment_size: 304
    .language:       OpenCL C
    .language_version:
      - 2
      - 0
    .max_flat_workgroup_size: 1024
    .name:           _ZN12_GLOBAL__N_121softmax_warp_backwardIN3c108BFloat16ES2_fLi4ELb1ELb0ELi64EEEvPT0_PKT_S7_iiiPKb
    .private_segment_fixed_size: 0
    .sgpr_count:     20
    .sgpr_spill_count: 0
    .symbol:         _ZN12_GLOBAL__N_121softmax_warp_backwardIN3c108BFloat16ES2_fLi4ELb1ELb0ELi64EEEvPT0_PKT_S7_iiiPKb.kd
    .uniform_work_group_size: 1
    .uses_dynamic_stack: false
    .vgpr_count:     14
    .vgpr_spill_count: 0
    .wavefront_size: 64
  - .agpr_count:     0
    .args:
      - .address_space:  global
        .offset:         0
        .size:           8
        .value_kind:     global_buffer
      - .address_space:  global
        .offset:         8
        .size:           8
        .value_kind:     global_buffer
      - .address_space:  global
        .offset:         16
        .size:           8
        .value_kind:     global_buffer
      - .offset:         24
        .size:           4
        .value_kind:     by_value
      - .offset:         28
        .size:           4
        .value_kind:     by_value
      - .offset:         32
        .size:           4
        .value_kind:     by_value
      - .address_space:  global
        .offset:         40
        .size:           8
        .value_kind:     global_buffer
      - .offset:         48
        .size:           4
        .value_kind:     hidden_block_count_x
      - .offset:         52
        .size:           4
        .value_kind:     hidden_block_count_y
      - .offset:         56
        .size:           4
        .value_kind:     hidden_block_count_z
      - .offset:         60
        .size:           2
        .value_kind:     hidden_group_size_x
      - .offset:         62
        .size:           2
        .value_kind:     hidden_group_size_y
      - .offset:         64
        .size:           2
        .value_kind:     hidden_group_size_z
      - .offset:         66
        .size:           2
        .value_kind:     hidden_remainder_x
      - .offset:         68
        .size:           2
        .value_kind:     hidden_remainder_y
      - .offset:         70
        .size:           2
        .value_kind:     hidden_remainder_z
      - .offset:         88
        .size:           8
        .value_kind:     hidden_global_offset_x
      - .offset:         96
        .size:           8
        .value_kind:     hidden_global_offset_y
      - .offset:         104
        .size:           8
        .value_kind:     hidden_global_offset_z
      - .offset:         112
        .size:           2
        .value_kind:     hidden_grid_dims
    .group_segment_fixed_size: 0
    .kernarg_segment_align: 8
    .kernarg_segment_size: 304
    .language:       OpenCL C
    .language_version:
      - 2
      - 0
    .max_flat_workgroup_size: 1024
    .name:           _ZN12_GLOBAL__N_121softmax_warp_backwardIN3c108BFloat16ES2_fLi4ELb1ELb0ELi32EEEvPT0_PKT_S7_iiiPKb
    .private_segment_fixed_size: 0
    .sgpr_count:     20
    .sgpr_spill_count: 0
    .symbol:         _ZN12_GLOBAL__N_121softmax_warp_backwardIN3c108BFloat16ES2_fLi4ELb1ELb0ELi32EEEvPT0_PKT_S7_iiiPKb.kd
    .uniform_work_group_size: 1
    .uses_dynamic_stack: false
    .vgpr_count:     14
    .vgpr_spill_count: 0
    .wavefront_size: 64
  - .agpr_count:     0
    .args:
      - .address_space:  global
        .offset:         0
        .size:           8
        .value_kind:     global_buffer
      - .address_space:  global
        .offset:         8
        .size:           8
        .value_kind:     global_buffer
      - .address_space:  global
        .offset:         16
        .size:           8
        .value_kind:     global_buffer
      - .offset:         24
        .size:           4
        .value_kind:     by_value
      - .offset:         28
        .size:           4
        .value_kind:     by_value
      - .offset:         32
        .size:           4
        .value_kind:     by_value
      - .address_space:  global
        .offset:         40
        .size:           8
        .value_kind:     global_buffer
      - .offset:         48
        .size:           4
        .value_kind:     hidden_block_count_x
      - .offset:         52
        .size:           4
        .value_kind:     hidden_block_count_y
      - .offset:         56
        .size:           4
        .value_kind:     hidden_block_count_z
      - .offset:         60
        .size:           2
        .value_kind:     hidden_group_size_x
      - .offset:         62
        .size:           2
        .value_kind:     hidden_group_size_y
      - .offset:         64
        .size:           2
        .value_kind:     hidden_group_size_z
      - .offset:         66
        .size:           2
        .value_kind:     hidden_remainder_x
      - .offset:         68
        .size:           2
        .value_kind:     hidden_remainder_y
      - .offset:         70
        .size:           2
        .value_kind:     hidden_remainder_z
      - .offset:         88
        .size:           8
        .value_kind:     hidden_global_offset_x
      - .offset:         96
        .size:           8
        .value_kind:     hidden_global_offset_y
      - .offset:         104
        .size:           8
        .value_kind:     hidden_global_offset_z
      - .offset:         112
        .size:           2
        .value_kind:     hidden_grid_dims
    .group_segment_fixed_size: 0
    .kernarg_segment_align: 8
    .kernarg_segment_size: 304
    .language:       OpenCL C
    .language_version:
      - 2
      - 0
    .max_flat_workgroup_size: 1024
    .name:           _ZN12_GLOBAL__N_121softmax_warp_backwardIN3c108BFloat16ES2_fLi5ELb1ELb0ELi64EEEvPT0_PKT_S7_iiiPKb
    .private_segment_fixed_size: 0
    .sgpr_count:     20
    .sgpr_spill_count: 0
    .symbol:         _ZN12_GLOBAL__N_121softmax_warp_backwardIN3c108BFloat16ES2_fLi5ELb1ELb0ELi64EEEvPT0_PKT_S7_iiiPKb.kd
    .uniform_work_group_size: 1
    .uses_dynamic_stack: false
    .vgpr_count:     14
    .vgpr_spill_count: 0
    .wavefront_size: 64
  - .agpr_count:     0
    .args:
      - .address_space:  global
        .offset:         0
        .size:           8
        .value_kind:     global_buffer
      - .address_space:  global
        .offset:         8
        .size:           8
        .value_kind:     global_buffer
      - .address_space:  global
        .offset:         16
        .size:           8
        .value_kind:     global_buffer
      - .offset:         24
        .size:           4
        .value_kind:     by_value
      - .offset:         28
        .size:           4
        .value_kind:     by_value
      - .offset:         32
        .size:           4
        .value_kind:     by_value
      - .address_space:  global
        .offset:         40
        .size:           8
        .value_kind:     global_buffer
      - .offset:         48
        .size:           4
        .value_kind:     hidden_block_count_x
      - .offset:         52
        .size:           4
        .value_kind:     hidden_block_count_y
      - .offset:         56
        .size:           4
        .value_kind:     hidden_block_count_z
      - .offset:         60
        .size:           2
        .value_kind:     hidden_group_size_x
      - .offset:         62
        .size:           2
        .value_kind:     hidden_group_size_y
      - .offset:         64
        .size:           2
        .value_kind:     hidden_group_size_z
      - .offset:         66
        .size:           2
        .value_kind:     hidden_remainder_x
      - .offset:         68
        .size:           2
        .value_kind:     hidden_remainder_y
      - .offset:         70
        .size:           2
        .value_kind:     hidden_remainder_z
      - .offset:         88
        .size:           8
        .value_kind:     hidden_global_offset_x
      - .offset:         96
        .size:           8
        .value_kind:     hidden_global_offset_y
      - .offset:         104
        .size:           8
        .value_kind:     hidden_global_offset_z
      - .offset:         112
        .size:           2
        .value_kind:     hidden_grid_dims
    .group_segment_fixed_size: 0
    .kernarg_segment_align: 8
    .kernarg_segment_size: 304
    .language:       OpenCL C
    .language_version:
      - 2
      - 0
    .max_flat_workgroup_size: 1024
    .name:           _ZN12_GLOBAL__N_121softmax_warp_backwardIN3c108BFloat16ES2_fLi5ELb1ELb0ELi32EEEvPT0_PKT_S7_iiiPKb
    .private_segment_fixed_size: 0
    .sgpr_count:     20
    .sgpr_spill_count: 0
    .symbol:         _ZN12_GLOBAL__N_121softmax_warp_backwardIN3c108BFloat16ES2_fLi5ELb1ELb0ELi32EEEvPT0_PKT_S7_iiiPKb.kd
    .uniform_work_group_size: 1
    .uses_dynamic_stack: false
    .vgpr_count:     14
    .vgpr_spill_count: 0
    .wavefront_size: 64
  - .agpr_count:     0
    .args:
      - .address_space:  global
        .offset:         0
        .size:           8
        .value_kind:     global_buffer
      - .address_space:  global
        .offset:         8
        .size:           8
        .value_kind:     global_buffer
      - .address_space:  global
        .offset:         16
        .size:           8
        .value_kind:     global_buffer
      - .offset:         24
        .size:           4
        .value_kind:     by_value
      - .offset:         28
        .size:           4
        .value_kind:     by_value
      - .offset:         32
        .size:           4
        .value_kind:     by_value
      - .address_space:  global
        .offset:         40
        .size:           8
        .value_kind:     global_buffer
      - .offset:         48
        .size:           4
        .value_kind:     hidden_block_count_x
      - .offset:         52
        .size:           4
        .value_kind:     hidden_block_count_y
      - .offset:         56
        .size:           4
        .value_kind:     hidden_block_count_z
      - .offset:         60
        .size:           2
        .value_kind:     hidden_group_size_x
      - .offset:         62
        .size:           2
        .value_kind:     hidden_group_size_y
      - .offset:         64
        .size:           2
        .value_kind:     hidden_group_size_z
      - .offset:         66
        .size:           2
        .value_kind:     hidden_remainder_x
      - .offset:         68
        .size:           2
        .value_kind:     hidden_remainder_y
      - .offset:         70
        .size:           2
        .value_kind:     hidden_remainder_z
      - .offset:         88
        .size:           8
        .value_kind:     hidden_global_offset_x
      - .offset:         96
        .size:           8
        .value_kind:     hidden_global_offset_y
      - .offset:         104
        .size:           8
        .value_kind:     hidden_global_offset_z
      - .offset:         112
        .size:           2
        .value_kind:     hidden_grid_dims
    .group_segment_fixed_size: 0
    .kernarg_segment_align: 8
    .kernarg_segment_size: 304
    .language:       OpenCL C
    .language_version:
      - 2
      - 0
    .max_flat_workgroup_size: 1024
    .name:           _ZN12_GLOBAL__N_121softmax_warp_backwardIN3c108BFloat16ES2_fLi6ELb1ELb0ELi64EEEvPT0_PKT_S7_iiiPKb
    .private_segment_fixed_size: 0
    .sgpr_count:     20
    .sgpr_spill_count: 0
    .symbol:         _ZN12_GLOBAL__N_121softmax_warp_backwardIN3c108BFloat16ES2_fLi6ELb1ELb0ELi64EEEvPT0_PKT_S7_iiiPKb.kd
    .uniform_work_group_size: 1
    .uses_dynamic_stack: false
    .vgpr_count:     14
    .vgpr_spill_count: 0
    .wavefront_size: 64
  - .agpr_count:     0
    .args:
      - .address_space:  global
        .offset:         0
        .size:           8
        .value_kind:     global_buffer
      - .address_space:  global
        .offset:         8
        .size:           8
        .value_kind:     global_buffer
      - .address_space:  global
        .offset:         16
        .size:           8
        .value_kind:     global_buffer
      - .offset:         24
        .size:           4
        .value_kind:     by_value
      - .offset:         28
        .size:           4
        .value_kind:     by_value
      - .offset:         32
        .size:           4
        .value_kind:     by_value
      - .address_space:  global
        .offset:         40
        .size:           8
        .value_kind:     global_buffer
      - .offset:         48
        .size:           4
        .value_kind:     hidden_block_count_x
      - .offset:         52
        .size:           4
        .value_kind:     hidden_block_count_y
      - .offset:         56
        .size:           4
        .value_kind:     hidden_block_count_z
      - .offset:         60
        .size:           2
        .value_kind:     hidden_group_size_x
      - .offset:         62
        .size:           2
        .value_kind:     hidden_group_size_y
      - .offset:         64
        .size:           2
        .value_kind:     hidden_group_size_z
      - .offset:         66
        .size:           2
        .value_kind:     hidden_remainder_x
      - .offset:         68
        .size:           2
        .value_kind:     hidden_remainder_y
      - .offset:         70
        .size:           2
        .value_kind:     hidden_remainder_z
      - .offset:         88
        .size:           8
        .value_kind:     hidden_global_offset_x
      - .offset:         96
        .size:           8
        .value_kind:     hidden_global_offset_y
      - .offset:         104
        .size:           8
        .value_kind:     hidden_global_offset_z
      - .offset:         112
        .size:           2
        .value_kind:     hidden_grid_dims
    .group_segment_fixed_size: 0
    .kernarg_segment_align: 8
    .kernarg_segment_size: 304
    .language:       OpenCL C
    .language_version:
      - 2
      - 0
    .max_flat_workgroup_size: 1024
    .name:           _ZN12_GLOBAL__N_121softmax_warp_backwardIN3c108BFloat16ES2_fLi6ELb1ELb0ELi32EEEvPT0_PKT_S7_iiiPKb
    .private_segment_fixed_size: 0
    .sgpr_count:     20
    .sgpr_spill_count: 0
    .symbol:         _ZN12_GLOBAL__N_121softmax_warp_backwardIN3c108BFloat16ES2_fLi6ELb1ELb0ELi32EEEvPT0_PKT_S7_iiiPKb.kd
    .uniform_work_group_size: 1
    .uses_dynamic_stack: false
    .vgpr_count:     20
    .vgpr_spill_count: 0
    .wavefront_size: 64
  - .agpr_count:     0
    .args:
      - .address_space:  global
        .offset:         0
        .size:           8
        .value_kind:     global_buffer
      - .address_space:  global
        .offset:         8
        .size:           8
        .value_kind:     global_buffer
      - .address_space:  global
        .offset:         16
        .size:           8
        .value_kind:     global_buffer
      - .offset:         24
        .size:           4
        .value_kind:     by_value
      - .offset:         28
        .size:           4
        .value_kind:     by_value
      - .offset:         32
        .size:           4
        .value_kind:     by_value
      - .address_space:  global
        .offset:         40
        .size:           8
        .value_kind:     global_buffer
      - .offset:         48
        .size:           4
        .value_kind:     hidden_block_count_x
      - .offset:         52
        .size:           4
        .value_kind:     hidden_block_count_y
      - .offset:         56
        .size:           4
        .value_kind:     hidden_block_count_z
      - .offset:         60
        .size:           2
        .value_kind:     hidden_group_size_x
      - .offset:         62
        .size:           2
        .value_kind:     hidden_group_size_y
      - .offset:         64
        .size:           2
        .value_kind:     hidden_group_size_z
      - .offset:         66
        .size:           2
        .value_kind:     hidden_remainder_x
      - .offset:         68
        .size:           2
        .value_kind:     hidden_remainder_y
      - .offset:         70
        .size:           2
        .value_kind:     hidden_remainder_z
      - .offset:         88
        .size:           8
        .value_kind:     hidden_global_offset_x
      - .offset:         96
        .size:           8
        .value_kind:     hidden_global_offset_y
      - .offset:         104
        .size:           8
        .value_kind:     hidden_global_offset_z
      - .offset:         112
        .size:           2
        .value_kind:     hidden_grid_dims
    .group_segment_fixed_size: 0
    .kernarg_segment_align: 8
    .kernarg_segment_size: 304
    .language:       OpenCL C
    .language_version:
      - 2
      - 0
    .max_flat_workgroup_size: 1024
    .name:           _ZN12_GLOBAL__N_121softmax_warp_backwardIN3c108BFloat16ES2_fLi7ELb1ELb0ELi64EEEvPT0_PKT_S7_iiiPKb
    .private_segment_fixed_size: 0
    .sgpr_count:     20
    .sgpr_spill_count: 0
    .symbol:         _ZN12_GLOBAL__N_121softmax_warp_backwardIN3c108BFloat16ES2_fLi7ELb1ELb0ELi64EEEvPT0_PKT_S7_iiiPKb.kd
    .uniform_work_group_size: 1
    .uses_dynamic_stack: false
    .vgpr_count:     20
    .vgpr_spill_count: 0
    .wavefront_size: 64
  - .agpr_count:     0
    .args:
      - .address_space:  global
        .offset:         0
        .size:           8
        .value_kind:     global_buffer
      - .address_space:  global
        .offset:         8
        .size:           8
        .value_kind:     global_buffer
      - .address_space:  global
        .offset:         16
        .size:           8
        .value_kind:     global_buffer
      - .offset:         24
        .size:           4
        .value_kind:     by_value
      - .offset:         28
        .size:           4
        .value_kind:     by_value
      - .offset:         32
        .size:           4
        .value_kind:     by_value
      - .address_space:  global
        .offset:         40
        .size:           8
        .value_kind:     global_buffer
      - .offset:         48
        .size:           4
        .value_kind:     hidden_block_count_x
      - .offset:         52
        .size:           4
        .value_kind:     hidden_block_count_y
      - .offset:         56
        .size:           4
        .value_kind:     hidden_block_count_z
      - .offset:         60
        .size:           2
        .value_kind:     hidden_group_size_x
      - .offset:         62
        .size:           2
        .value_kind:     hidden_group_size_y
      - .offset:         64
        .size:           2
        .value_kind:     hidden_group_size_z
      - .offset:         66
        .size:           2
        .value_kind:     hidden_remainder_x
      - .offset:         68
        .size:           2
        .value_kind:     hidden_remainder_y
      - .offset:         70
        .size:           2
        .value_kind:     hidden_remainder_z
      - .offset:         88
        .size:           8
        .value_kind:     hidden_global_offset_x
      - .offset:         96
        .size:           8
        .value_kind:     hidden_global_offset_y
      - .offset:         104
        .size:           8
        .value_kind:     hidden_global_offset_z
      - .offset:         112
        .size:           2
        .value_kind:     hidden_grid_dims
    .group_segment_fixed_size: 0
    .kernarg_segment_align: 8
    .kernarg_segment_size: 304
    .language:       OpenCL C
    .language_version:
      - 2
      - 0
    .max_flat_workgroup_size: 1024
    .name:           _ZN12_GLOBAL__N_121softmax_warp_backwardIN3c108BFloat16ES2_fLi7ELb1ELb0ELi32EEEvPT0_PKT_S7_iiiPKb
    .private_segment_fixed_size: 0
    .sgpr_count:     24
    .sgpr_spill_count: 0
    .symbol:         _ZN12_GLOBAL__N_121softmax_warp_backwardIN3c108BFloat16ES2_fLi7ELb1ELb0ELi32EEEvPT0_PKT_S7_iiiPKb.kd
    .uniform_work_group_size: 1
    .uses_dynamic_stack: false
    .vgpr_count:     28
    .vgpr_spill_count: 0
    .wavefront_size: 64
  - .agpr_count:     0
    .args:
      - .address_space:  global
        .offset:         0
        .size:           8
        .value_kind:     global_buffer
      - .address_space:  global
        .offset:         8
        .size:           8
        .value_kind:     global_buffer
      - .address_space:  global
        .offset:         16
        .size:           8
        .value_kind:     global_buffer
      - .offset:         24
        .size:           4
        .value_kind:     by_value
      - .offset:         28
        .size:           4
        .value_kind:     by_value
      - .offset:         32
        .size:           4
        .value_kind:     by_value
      - .address_space:  global
        .offset:         40
        .size:           8
        .value_kind:     global_buffer
      - .offset:         48
        .size:           4
        .value_kind:     hidden_block_count_x
      - .offset:         52
        .size:           4
        .value_kind:     hidden_block_count_y
      - .offset:         56
        .size:           4
        .value_kind:     hidden_block_count_z
      - .offset:         60
        .size:           2
        .value_kind:     hidden_group_size_x
      - .offset:         62
        .size:           2
        .value_kind:     hidden_group_size_y
      - .offset:         64
        .size:           2
        .value_kind:     hidden_group_size_z
      - .offset:         66
        .size:           2
        .value_kind:     hidden_remainder_x
      - .offset:         68
        .size:           2
        .value_kind:     hidden_remainder_y
      - .offset:         70
        .size:           2
        .value_kind:     hidden_remainder_z
      - .offset:         88
        .size:           8
        .value_kind:     hidden_global_offset_x
      - .offset:         96
        .size:           8
        .value_kind:     hidden_global_offset_y
      - .offset:         104
        .size:           8
        .value_kind:     hidden_global_offset_z
      - .offset:         112
        .size:           2
        .value_kind:     hidden_grid_dims
    .group_segment_fixed_size: 0
    .kernarg_segment_align: 8
    .kernarg_segment_size: 304
    .language:       OpenCL C
    .language_version:
      - 2
      - 0
    .max_flat_workgroup_size: 1024
    .name:           _ZN12_GLOBAL__N_121softmax_warp_backwardIN3c108BFloat16ES2_fLi8ELb1ELb0ELi64EEEvPT0_PKT_S7_iiiPKb
    .private_segment_fixed_size: 0
    .sgpr_count:     20
    .sgpr_spill_count: 0
    .symbol:         _ZN12_GLOBAL__N_121softmax_warp_backwardIN3c108BFloat16ES2_fLi8ELb1ELb0ELi64EEEvPT0_PKT_S7_iiiPKb.kd
    .uniform_work_group_size: 1
    .uses_dynamic_stack: false
    .vgpr_count:     16
    .vgpr_spill_count: 0
    .wavefront_size: 64
  - .agpr_count:     0
    .args:
      - .address_space:  global
        .offset:         0
        .size:           8
        .value_kind:     global_buffer
      - .address_space:  global
        .offset:         8
        .size:           8
        .value_kind:     global_buffer
      - .address_space:  global
        .offset:         16
        .size:           8
        .value_kind:     global_buffer
      - .offset:         24
        .size:           4
        .value_kind:     by_value
      - .offset:         28
        .size:           4
        .value_kind:     by_value
      - .offset:         32
        .size:           4
        .value_kind:     by_value
      - .address_space:  global
        .offset:         40
        .size:           8
        .value_kind:     global_buffer
      - .offset:         48
        .size:           4
        .value_kind:     hidden_block_count_x
      - .offset:         52
        .size:           4
        .value_kind:     hidden_block_count_y
      - .offset:         56
        .size:           4
        .value_kind:     hidden_block_count_z
      - .offset:         60
        .size:           2
        .value_kind:     hidden_group_size_x
      - .offset:         62
        .size:           2
        .value_kind:     hidden_group_size_y
      - .offset:         64
        .size:           2
        .value_kind:     hidden_group_size_z
      - .offset:         66
        .size:           2
        .value_kind:     hidden_remainder_x
      - .offset:         68
        .size:           2
        .value_kind:     hidden_remainder_y
      - .offset:         70
        .size:           2
        .value_kind:     hidden_remainder_z
      - .offset:         88
        .size:           8
        .value_kind:     hidden_global_offset_x
      - .offset:         96
        .size:           8
        .value_kind:     hidden_global_offset_y
      - .offset:         104
        .size:           8
        .value_kind:     hidden_global_offset_z
      - .offset:         112
        .size:           2
        .value_kind:     hidden_grid_dims
    .group_segment_fixed_size: 0
    .kernarg_segment_align: 8
    .kernarg_segment_size: 304
    .language:       OpenCL C
    .language_version:
      - 2
      - 0
    .max_flat_workgroup_size: 1024
    .name:           _ZN12_GLOBAL__N_121softmax_warp_backwardIN3c108BFloat16ES2_fLi8ELb1ELb0ELi32EEEvPT0_PKT_S7_iiiPKb
    .private_segment_fixed_size: 0
    .sgpr_count:     28
    .sgpr_spill_count: 0
    .symbol:         _ZN12_GLOBAL__N_121softmax_warp_backwardIN3c108BFloat16ES2_fLi8ELb1ELb0ELi32EEEvPT0_PKT_S7_iiiPKb.kd
    .uniform_work_group_size: 1
    .uses_dynamic_stack: false
    .vgpr_count:     24
    .vgpr_spill_count: 0
    .wavefront_size: 64
  - .agpr_count:     0
    .args:
      - .address_space:  global
        .offset:         0
        .size:           8
        .value_kind:     global_buffer
      - .address_space:  global
        .offset:         8
        .size:           8
        .value_kind:     global_buffer
      - .address_space:  global
        .offset:         16
        .size:           8
        .value_kind:     global_buffer
      - .offset:         24
        .size:           4
        .value_kind:     by_value
      - .offset:         28
        .size:           4
        .value_kind:     by_value
      - .offset:         32
        .size:           4
        .value_kind:     by_value
      - .address_space:  global
        .offset:         40
        .size:           8
        .value_kind:     global_buffer
      - .offset:         48
        .size:           4
        .value_kind:     hidden_block_count_x
      - .offset:         52
        .size:           4
        .value_kind:     hidden_block_count_y
      - .offset:         56
        .size:           4
        .value_kind:     hidden_block_count_z
      - .offset:         60
        .size:           2
        .value_kind:     hidden_group_size_x
      - .offset:         62
        .size:           2
        .value_kind:     hidden_group_size_y
      - .offset:         64
        .size:           2
        .value_kind:     hidden_group_size_z
      - .offset:         66
        .size:           2
        .value_kind:     hidden_remainder_x
      - .offset:         68
        .size:           2
        .value_kind:     hidden_remainder_y
      - .offset:         70
        .size:           2
        .value_kind:     hidden_remainder_z
      - .offset:         88
        .size:           8
        .value_kind:     hidden_global_offset_x
      - .offset:         96
        .size:           8
        .value_kind:     hidden_global_offset_y
      - .offset:         104
        .size:           8
        .value_kind:     hidden_global_offset_z
      - .offset:         112
        .size:           2
        .value_kind:     hidden_grid_dims
    .group_segment_fixed_size: 0
    .kernarg_segment_align: 8
    .kernarg_segment_size: 304
    .language:       OpenCL C
    .language_version:
      - 2
      - 0
    .max_flat_workgroup_size: 1024
    .name:           _ZN12_GLOBAL__N_121softmax_warp_backwardIN3c108BFloat16ES2_fLi9ELb1ELb0ELi64EEEvPT0_PKT_S7_iiiPKb
    .private_segment_fixed_size: 0
    .sgpr_count:     28
    .sgpr_spill_count: 0
    .symbol:         _ZN12_GLOBAL__N_121softmax_warp_backwardIN3c108BFloat16ES2_fLi9ELb1ELb0ELi64EEEvPT0_PKT_S7_iiiPKb.kd
    .uniform_work_group_size: 1
    .uses_dynamic_stack: false
    .vgpr_count:     24
    .vgpr_spill_count: 0
    .wavefront_size: 64
  - .agpr_count:     0
    .args:
      - .address_space:  global
        .offset:         0
        .size:           8
        .value_kind:     global_buffer
      - .address_space:  global
        .offset:         8
        .size:           8
        .value_kind:     global_buffer
      - .address_space:  global
        .offset:         16
        .size:           8
        .value_kind:     global_buffer
      - .offset:         24
        .size:           4
        .value_kind:     by_value
      - .offset:         28
        .size:           4
        .value_kind:     by_value
      - .offset:         32
        .size:           4
        .value_kind:     by_value
      - .address_space:  global
        .offset:         40
        .size:           8
        .value_kind:     global_buffer
      - .offset:         48
        .size:           4
        .value_kind:     hidden_block_count_x
      - .offset:         52
        .size:           4
        .value_kind:     hidden_block_count_y
      - .offset:         56
        .size:           4
        .value_kind:     hidden_block_count_z
      - .offset:         60
        .size:           2
        .value_kind:     hidden_group_size_x
      - .offset:         62
        .size:           2
        .value_kind:     hidden_group_size_y
      - .offset:         64
        .size:           2
        .value_kind:     hidden_group_size_z
      - .offset:         66
        .size:           2
        .value_kind:     hidden_remainder_x
      - .offset:         68
        .size:           2
        .value_kind:     hidden_remainder_y
      - .offset:         70
        .size:           2
        .value_kind:     hidden_remainder_z
      - .offset:         88
        .size:           8
        .value_kind:     hidden_global_offset_x
      - .offset:         96
        .size:           8
        .value_kind:     hidden_global_offset_y
      - .offset:         104
        .size:           8
        .value_kind:     hidden_global_offset_z
      - .offset:         112
        .size:           2
        .value_kind:     hidden_grid_dims
    .group_segment_fixed_size: 0
    .kernarg_segment_align: 8
    .kernarg_segment_size: 304
    .language:       OpenCL C
    .language_version:
      - 2
      - 0
    .max_flat_workgroup_size: 1024
    .name:           _ZN12_GLOBAL__N_121softmax_warp_backwardIN3c108BFloat16ES2_fLi9ELb1ELb0ELi32EEEvPT0_PKT_S7_iiiPKb
    .private_segment_fixed_size: 0
    .sgpr_count:     48
    .sgpr_spill_count: 0
    .symbol:         _ZN12_GLOBAL__N_121softmax_warp_backwardIN3c108BFloat16ES2_fLi9ELb1ELb0ELi32EEEvPT0_PKT_S7_iiiPKb.kd
    .uniform_work_group_size: 1
    .uses_dynamic_stack: false
    .vgpr_count:     40
    .vgpr_spill_count: 0
    .wavefront_size: 64
  - .agpr_count:     0
    .args:
      - .address_space:  global
        .offset:         0
        .size:           8
        .value_kind:     global_buffer
      - .address_space:  global
        .offset:         8
        .size:           8
        .value_kind:     global_buffer
      - .address_space:  global
        .offset:         16
        .size:           8
        .value_kind:     global_buffer
      - .offset:         24
        .size:           4
        .value_kind:     by_value
      - .offset:         28
        .size:           4
        .value_kind:     by_value
      - .offset:         32
        .size:           4
        .value_kind:     by_value
      - .address_space:  global
        .offset:         40
        .size:           8
        .value_kind:     global_buffer
      - .offset:         48
        .size:           4
        .value_kind:     hidden_block_count_x
      - .offset:         52
        .size:           4
        .value_kind:     hidden_block_count_y
      - .offset:         56
        .size:           4
        .value_kind:     hidden_block_count_z
      - .offset:         60
        .size:           2
        .value_kind:     hidden_group_size_x
      - .offset:         62
        .size:           2
        .value_kind:     hidden_group_size_y
      - .offset:         64
        .size:           2
        .value_kind:     hidden_group_size_z
      - .offset:         66
        .size:           2
        .value_kind:     hidden_remainder_x
      - .offset:         68
        .size:           2
        .value_kind:     hidden_remainder_y
      - .offset:         70
        .size:           2
        .value_kind:     hidden_remainder_z
      - .offset:         88
        .size:           8
        .value_kind:     hidden_global_offset_x
      - .offset:         96
        .size:           8
        .value_kind:     hidden_global_offset_y
      - .offset:         104
        .size:           8
        .value_kind:     hidden_global_offset_z
      - .offset:         112
        .size:           2
        .value_kind:     hidden_grid_dims
    .group_segment_fixed_size: 0
    .kernarg_segment_align: 8
    .kernarg_segment_size: 304
    .language:       OpenCL C
    .language_version:
      - 2
      - 0
    .max_flat_workgroup_size: 1024
    .name:           _ZN12_GLOBAL__N_121softmax_warp_backwardIN3c108BFloat16ES2_fLi10ELb1ELb0ELi64EEEvPT0_PKT_S7_iiiPKb
    .private_segment_fixed_size: 0
    .sgpr_count:     48
    .sgpr_spill_count: 0
    .symbol:         _ZN12_GLOBAL__N_121softmax_warp_backwardIN3c108BFloat16ES2_fLi10ELb1ELb0ELi64EEEvPT0_PKT_S7_iiiPKb.kd
    .uniform_work_group_size: 1
    .uses_dynamic_stack: false
    .vgpr_count:     39
    .vgpr_spill_count: 0
    .wavefront_size: 64
  - .agpr_count:     0
    .args:
      - .address_space:  global
        .offset:         0
        .size:           8
        .value_kind:     global_buffer
      - .address_space:  global
        .offset:         8
        .size:           8
        .value_kind:     global_buffer
      - .address_space:  global
        .offset:         16
        .size:           8
        .value_kind:     global_buffer
      - .offset:         24
        .size:           4
        .value_kind:     by_value
      - .offset:         28
        .size:           4
        .value_kind:     by_value
      - .offset:         32
        .size:           4
        .value_kind:     by_value
      - .address_space:  global
        .offset:         40
        .size:           8
        .value_kind:     global_buffer
      - .offset:         48
        .size:           4
        .value_kind:     hidden_block_count_x
      - .offset:         52
        .size:           4
        .value_kind:     hidden_block_count_y
      - .offset:         56
        .size:           4
        .value_kind:     hidden_block_count_z
      - .offset:         60
        .size:           2
        .value_kind:     hidden_group_size_x
      - .offset:         62
        .size:           2
        .value_kind:     hidden_group_size_y
      - .offset:         64
        .size:           2
        .value_kind:     hidden_group_size_z
      - .offset:         66
        .size:           2
        .value_kind:     hidden_remainder_x
      - .offset:         68
        .size:           2
        .value_kind:     hidden_remainder_y
      - .offset:         70
        .size:           2
        .value_kind:     hidden_remainder_z
      - .offset:         88
        .size:           8
        .value_kind:     hidden_global_offset_x
      - .offset:         96
        .size:           8
        .value_kind:     hidden_global_offset_y
      - .offset:         104
        .size:           8
        .value_kind:     hidden_global_offset_z
      - .offset:         112
        .size:           2
        .value_kind:     hidden_grid_dims
    .group_segment_fixed_size: 0
    .kernarg_segment_align: 8
    .kernarg_segment_size: 304
    .language:       OpenCL C
    .language_version:
      - 2
      - 0
    .max_flat_workgroup_size: 1024
    .name:           _ZN12_GLOBAL__N_121softmax_warp_backwardIN3c108BFloat16ES2_fLi10ELb1ELb0ELi32EEEvPT0_PKT_S7_iiiPKb
    .private_segment_fixed_size: 0
    .sgpr_count:     78
    .sgpr_spill_count: 0
    .symbol:         _ZN12_GLOBAL__N_121softmax_warp_backwardIN3c108BFloat16ES2_fLi10ELb1ELb0ELi32EEEvPT0_PKT_S7_iiiPKb.kd
    .uniform_work_group_size: 1
    .uses_dynamic_stack: false
    .vgpr_count:     71
    .vgpr_spill_count: 0
    .wavefront_size: 64
  - .agpr_count:     0
    .args:
      - .address_space:  global
        .offset:         0
        .size:           8
        .value_kind:     global_buffer
      - .address_space:  global
        .offset:         8
        .size:           8
        .value_kind:     global_buffer
      - .address_space:  global
        .offset:         16
        .size:           8
        .value_kind:     global_buffer
      - .offset:         24
        .size:           8
        .value_kind:     by_value
      - .offset:         32
        .size:           4
        .value_kind:     hidden_block_count_x
      - .offset:         36
        .size:           4
        .value_kind:     hidden_block_count_y
      - .offset:         40
        .size:           4
        .value_kind:     hidden_block_count_z
      - .offset:         44
        .size:           2
        .value_kind:     hidden_group_size_x
      - .offset:         46
        .size:           2
        .value_kind:     hidden_group_size_y
      - .offset:         48
        .size:           2
        .value_kind:     hidden_group_size_z
      - .offset:         50
        .size:           2
        .value_kind:     hidden_remainder_x
      - .offset:         52
        .size:           2
        .value_kind:     hidden_remainder_y
      - .offset:         54
        .size:           2
        .value_kind:     hidden_remainder_z
      - .offset:         72
        .size:           8
        .value_kind:     hidden_global_offset_x
      - .offset:         80
        .size:           8
        .value_kind:     hidden_global_offset_y
      - .offset:         88
        .size:           8
        .value_kind:     hidden_global_offset_z
      - .offset:         96
        .size:           2
        .value_kind:     hidden_grid_dims
      - .offset:         152
        .size:           4
        .value_kind:     hidden_dynamic_lds_size
    .group_segment_fixed_size: 0
    .kernarg_segment_align: 8
    .kernarg_segment_size: 288
    .language:       OpenCL C
    .language_version:
      - 2
      - 0
    .max_flat_workgroup_size: 1024
    .name:           _ZN2at6native12_GLOBAL__N_124cunn_SoftMaxBackwardSmemILi8EN3c108BFloat16EfS4_NS1_26LogSoftMaxBackwardEpilogueEEEvPT0_PKT2_SA_l
    .private_segment_fixed_size: 0
    .sgpr_count:     32
    .sgpr_spill_count: 0
    .symbol:         _ZN2at6native12_GLOBAL__N_124cunn_SoftMaxBackwardSmemILi8EN3c108BFloat16EfS4_NS1_26LogSoftMaxBackwardEpilogueEEEvPT0_PKT2_SA_l.kd
    .uniform_work_group_size: 1
    .uses_dynamic_stack: false
    .vgpr_count:     53
    .vgpr_spill_count: 0
    .wavefront_size: 64
  - .agpr_count:     0
    .args:
      - .address_space:  global
        .offset:         0
        .size:           8
        .value_kind:     global_buffer
      - .address_space:  global
        .offset:         8
        .size:           8
        .value_kind:     global_buffer
      - .address_space:  global
        .offset:         16
        .size:           8
        .value_kind:     global_buffer
      - .offset:         24
        .size:           8
        .value_kind:     by_value
      - .offset:         32
        .size:           4
        .value_kind:     hidden_block_count_x
      - .offset:         36
        .size:           4
        .value_kind:     hidden_block_count_y
      - .offset:         40
        .size:           4
        .value_kind:     hidden_block_count_z
      - .offset:         44
        .size:           2
        .value_kind:     hidden_group_size_x
      - .offset:         46
        .size:           2
        .value_kind:     hidden_group_size_y
      - .offset:         48
        .size:           2
        .value_kind:     hidden_group_size_z
      - .offset:         50
        .size:           2
        .value_kind:     hidden_remainder_x
      - .offset:         52
        .size:           2
        .value_kind:     hidden_remainder_y
      - .offset:         54
        .size:           2
        .value_kind:     hidden_remainder_z
      - .offset:         72
        .size:           8
        .value_kind:     hidden_global_offset_x
      - .offset:         80
        .size:           8
        .value_kind:     hidden_global_offset_y
      - .offset:         88
        .size:           8
        .value_kind:     hidden_global_offset_z
      - .offset:         96
        .size:           2
        .value_kind:     hidden_grid_dims
      - .offset:         152
        .size:           4
        .value_kind:     hidden_dynamic_lds_size
    .group_segment_fixed_size: 0
    .kernarg_segment_align: 8
    .kernarg_segment_size: 288
    .language:       OpenCL C
    .language_version:
      - 2
      - 0
    .max_flat_workgroup_size: 1024
    .name:           _ZN2at6native12_GLOBAL__N_120cunn_SoftMaxBackwardILi8EN3c108BFloat16EfS4_NS1_26LogSoftMaxBackwardEpilogueEEEvPT0_PKT2_SA_l
    .private_segment_fixed_size: 0
    .sgpr_count:     54
    .sgpr_spill_count: 0
    .symbol:         _ZN2at6native12_GLOBAL__N_120cunn_SoftMaxBackwardILi8EN3c108BFloat16EfS4_NS1_26LogSoftMaxBackwardEpilogueEEEvPT0_PKT2_SA_l.kd
    .uniform_work_group_size: 1
    .uses_dynamic_stack: false
    .vgpr_count:     64
    .vgpr_spill_count: 0
    .wavefront_size: 64
  - .agpr_count:     0
    .args:
      - .address_space:  global
        .offset:         0
        .size:           8
        .value_kind:     global_buffer
      - .address_space:  global
        .offset:         8
        .size:           8
        .value_kind:     global_buffer
      - .address_space:  global
        .offset:         16
        .size:           8
        .value_kind:     global_buffer
      - .offset:         24
        .size:           4
        .value_kind:     by_value
      - .offset:         28
        .size:           4
        .value_kind:     by_value
      - .offset:         32
        .size:           4
        .value_kind:     by_value
      - .address_space:  global
        .offset:         40
        .size:           8
        .value_kind:     global_buffer
      - .offset:         48
        .size:           4
        .value_kind:     hidden_block_count_x
      - .offset:         52
        .size:           4
        .value_kind:     hidden_block_count_y
      - .offset:         56
        .size:           4
        .value_kind:     hidden_block_count_z
      - .offset:         60
        .size:           2
        .value_kind:     hidden_group_size_x
      - .offset:         62
        .size:           2
        .value_kind:     hidden_group_size_y
      - .offset:         64
        .size:           2
        .value_kind:     hidden_group_size_z
      - .offset:         66
        .size:           2
        .value_kind:     hidden_remainder_x
      - .offset:         68
        .size:           2
        .value_kind:     hidden_remainder_y
      - .offset:         70
        .size:           2
        .value_kind:     hidden_remainder_z
      - .offset:         88
        .size:           8
        .value_kind:     hidden_global_offset_x
      - .offset:         96
        .size:           8
        .value_kind:     hidden_global_offset_y
      - .offset:         104
        .size:           8
        .value_kind:     hidden_global_offset_z
      - .offset:         112
        .size:           2
        .value_kind:     hidden_grid_dims
    .group_segment_fixed_size: 0
    .kernarg_segment_align: 8
    .kernarg_segment_size: 304
    .language:       OpenCL C
    .language_version:
      - 2
      - 0
    .max_flat_workgroup_size: 1024
    .name:           _ZN12_GLOBAL__N_121softmax_warp_backwardIfN3c108BFloat16EfLi0ELb1ELb0ELi64EEEvPT0_PKT_S7_iiiPKb
    .private_segment_fixed_size: 0
    .sgpr_count:     20
    .sgpr_spill_count: 0
    .symbol:         _ZN12_GLOBAL__N_121softmax_warp_backwardIfN3c108BFloat16EfLi0ELb1ELb0ELi64EEEvPT0_PKT_S7_iiiPKb.kd
    .uniform_work_group_size: 1
    .uses_dynamic_stack: false
    .vgpr_count:     11
    .vgpr_spill_count: 0
    .wavefront_size: 64
  - .agpr_count:     0
    .args:
      - .address_space:  global
        .offset:         0
        .size:           8
        .value_kind:     global_buffer
      - .address_space:  global
        .offset:         8
        .size:           8
        .value_kind:     global_buffer
      - .address_space:  global
        .offset:         16
        .size:           8
        .value_kind:     global_buffer
      - .offset:         24
        .size:           4
        .value_kind:     by_value
      - .offset:         28
        .size:           4
        .value_kind:     by_value
      - .offset:         32
        .size:           4
        .value_kind:     by_value
      - .address_space:  global
        .offset:         40
        .size:           8
        .value_kind:     global_buffer
      - .offset:         48
        .size:           4
        .value_kind:     hidden_block_count_x
      - .offset:         52
        .size:           4
        .value_kind:     hidden_block_count_y
      - .offset:         56
        .size:           4
        .value_kind:     hidden_block_count_z
      - .offset:         60
        .size:           2
        .value_kind:     hidden_group_size_x
      - .offset:         62
        .size:           2
        .value_kind:     hidden_group_size_y
      - .offset:         64
        .size:           2
        .value_kind:     hidden_group_size_z
      - .offset:         66
        .size:           2
        .value_kind:     hidden_remainder_x
      - .offset:         68
        .size:           2
        .value_kind:     hidden_remainder_y
      - .offset:         70
        .size:           2
        .value_kind:     hidden_remainder_z
      - .offset:         88
        .size:           8
        .value_kind:     hidden_global_offset_x
      - .offset:         96
        .size:           8
        .value_kind:     hidden_global_offset_y
      - .offset:         104
        .size:           8
        .value_kind:     hidden_global_offset_z
      - .offset:         112
        .size:           2
        .value_kind:     hidden_grid_dims
    .group_segment_fixed_size: 0
    .kernarg_segment_align: 8
    .kernarg_segment_size: 304
    .language:       OpenCL C
    .language_version:
      - 2
      - 0
    .max_flat_workgroup_size: 1024
    .name:           _ZN12_GLOBAL__N_121softmax_warp_backwardIfN3c108BFloat16EfLi0ELb1ELb0ELi32EEEvPT0_PKT_S7_iiiPKb
    .private_segment_fixed_size: 0
    .sgpr_count:     20
    .sgpr_spill_count: 0
    .symbol:         _ZN12_GLOBAL__N_121softmax_warp_backwardIfN3c108BFloat16EfLi0ELb1ELb0ELi32EEEvPT0_PKT_S7_iiiPKb.kd
    .uniform_work_group_size: 1
    .uses_dynamic_stack: false
    .vgpr_count:     11
    .vgpr_spill_count: 0
    .wavefront_size: 64
  - .agpr_count:     0
    .args:
      - .address_space:  global
        .offset:         0
        .size:           8
        .value_kind:     global_buffer
      - .address_space:  global
        .offset:         8
        .size:           8
        .value_kind:     global_buffer
      - .address_space:  global
        .offset:         16
        .size:           8
        .value_kind:     global_buffer
      - .offset:         24
        .size:           4
        .value_kind:     by_value
      - .offset:         28
        .size:           4
        .value_kind:     by_value
      - .offset:         32
        .size:           4
        .value_kind:     by_value
      - .address_space:  global
        .offset:         40
        .size:           8
        .value_kind:     global_buffer
      - .offset:         48
        .size:           4
        .value_kind:     hidden_block_count_x
      - .offset:         52
        .size:           4
        .value_kind:     hidden_block_count_y
      - .offset:         56
        .size:           4
        .value_kind:     hidden_block_count_z
      - .offset:         60
        .size:           2
        .value_kind:     hidden_group_size_x
      - .offset:         62
        .size:           2
        .value_kind:     hidden_group_size_y
      - .offset:         64
        .size:           2
        .value_kind:     hidden_group_size_z
      - .offset:         66
        .size:           2
        .value_kind:     hidden_remainder_x
      - .offset:         68
        .size:           2
        .value_kind:     hidden_remainder_y
      - .offset:         70
        .size:           2
        .value_kind:     hidden_remainder_z
      - .offset:         88
        .size:           8
        .value_kind:     hidden_global_offset_x
      - .offset:         96
        .size:           8
        .value_kind:     hidden_global_offset_y
      - .offset:         104
        .size:           8
        .value_kind:     hidden_global_offset_z
      - .offset:         112
        .size:           2
        .value_kind:     hidden_grid_dims
    .group_segment_fixed_size: 0
    .kernarg_segment_align: 8
    .kernarg_segment_size: 304
    .language:       OpenCL C
    .language_version:
      - 2
      - 0
    .max_flat_workgroup_size: 1024
    .name:           _ZN12_GLOBAL__N_121softmax_warp_backwardIfN3c108BFloat16EfLi1ELb1ELb0ELi64EEEvPT0_PKT_S7_iiiPKb
    .private_segment_fixed_size: 0
    .sgpr_count:     20
    .sgpr_spill_count: 0
    .symbol:         _ZN12_GLOBAL__N_121softmax_warp_backwardIfN3c108BFloat16EfLi1ELb1ELb0ELi64EEEvPT0_PKT_S7_iiiPKb.kd
    .uniform_work_group_size: 1
    .uses_dynamic_stack: false
    .vgpr_count:     12
    .vgpr_spill_count: 0
    .wavefront_size: 64
  - .agpr_count:     0
    .args:
      - .address_space:  global
        .offset:         0
        .size:           8
        .value_kind:     global_buffer
      - .address_space:  global
        .offset:         8
        .size:           8
        .value_kind:     global_buffer
      - .address_space:  global
        .offset:         16
        .size:           8
        .value_kind:     global_buffer
      - .offset:         24
        .size:           4
        .value_kind:     by_value
      - .offset:         28
        .size:           4
        .value_kind:     by_value
      - .offset:         32
        .size:           4
        .value_kind:     by_value
      - .address_space:  global
        .offset:         40
        .size:           8
        .value_kind:     global_buffer
      - .offset:         48
        .size:           4
        .value_kind:     hidden_block_count_x
      - .offset:         52
        .size:           4
        .value_kind:     hidden_block_count_y
      - .offset:         56
        .size:           4
        .value_kind:     hidden_block_count_z
      - .offset:         60
        .size:           2
        .value_kind:     hidden_group_size_x
      - .offset:         62
        .size:           2
        .value_kind:     hidden_group_size_y
      - .offset:         64
        .size:           2
        .value_kind:     hidden_group_size_z
      - .offset:         66
        .size:           2
        .value_kind:     hidden_remainder_x
      - .offset:         68
        .size:           2
        .value_kind:     hidden_remainder_y
      - .offset:         70
        .size:           2
        .value_kind:     hidden_remainder_z
      - .offset:         88
        .size:           8
        .value_kind:     hidden_global_offset_x
      - .offset:         96
        .size:           8
        .value_kind:     hidden_global_offset_y
      - .offset:         104
        .size:           8
        .value_kind:     hidden_global_offset_z
      - .offset:         112
        .size:           2
        .value_kind:     hidden_grid_dims
    .group_segment_fixed_size: 0
    .kernarg_segment_align: 8
    .kernarg_segment_size: 304
    .language:       OpenCL C
    .language_version:
      - 2
      - 0
    .max_flat_workgroup_size: 1024
    .name:           _ZN12_GLOBAL__N_121softmax_warp_backwardIfN3c108BFloat16EfLi1ELb1ELb0ELi32EEEvPT0_PKT_S7_iiiPKb
    .private_segment_fixed_size: 0
    .sgpr_count:     20
    .sgpr_spill_count: 0
    .symbol:         _ZN12_GLOBAL__N_121softmax_warp_backwardIfN3c108BFloat16EfLi1ELb1ELb0ELi32EEEvPT0_PKT_S7_iiiPKb.kd
    .uniform_work_group_size: 1
    .uses_dynamic_stack: false
    .vgpr_count:     12
    .vgpr_spill_count: 0
    .wavefront_size: 64
  - .agpr_count:     0
    .args:
      - .address_space:  global
        .offset:         0
        .size:           8
        .value_kind:     global_buffer
      - .address_space:  global
        .offset:         8
        .size:           8
        .value_kind:     global_buffer
      - .address_space:  global
        .offset:         16
        .size:           8
        .value_kind:     global_buffer
      - .offset:         24
        .size:           4
        .value_kind:     by_value
      - .offset:         28
        .size:           4
        .value_kind:     by_value
      - .offset:         32
        .size:           4
        .value_kind:     by_value
      - .address_space:  global
        .offset:         40
        .size:           8
        .value_kind:     global_buffer
      - .offset:         48
        .size:           4
        .value_kind:     hidden_block_count_x
      - .offset:         52
        .size:           4
        .value_kind:     hidden_block_count_y
      - .offset:         56
        .size:           4
        .value_kind:     hidden_block_count_z
      - .offset:         60
        .size:           2
        .value_kind:     hidden_group_size_x
      - .offset:         62
        .size:           2
        .value_kind:     hidden_group_size_y
      - .offset:         64
        .size:           2
        .value_kind:     hidden_group_size_z
      - .offset:         66
        .size:           2
        .value_kind:     hidden_remainder_x
      - .offset:         68
        .size:           2
        .value_kind:     hidden_remainder_y
      - .offset:         70
        .size:           2
        .value_kind:     hidden_remainder_z
      - .offset:         88
        .size:           8
        .value_kind:     hidden_global_offset_x
      - .offset:         96
        .size:           8
        .value_kind:     hidden_global_offset_y
      - .offset:         104
        .size:           8
        .value_kind:     hidden_global_offset_z
      - .offset:         112
        .size:           2
        .value_kind:     hidden_grid_dims
    .group_segment_fixed_size: 0
    .kernarg_segment_align: 8
    .kernarg_segment_size: 304
    .language:       OpenCL C
    .language_version:
      - 2
      - 0
    .max_flat_workgroup_size: 1024
    .name:           _ZN12_GLOBAL__N_121softmax_warp_backwardIfN3c108BFloat16EfLi2ELb1ELb0ELi64EEEvPT0_PKT_S7_iiiPKb
    .private_segment_fixed_size: 0
    .sgpr_count:     20
    .sgpr_spill_count: 0
    .symbol:         _ZN12_GLOBAL__N_121softmax_warp_backwardIfN3c108BFloat16EfLi2ELb1ELb0ELi64EEEvPT0_PKT_S7_iiiPKb.kd
    .uniform_work_group_size: 1
    .uses_dynamic_stack: false
    .vgpr_count:     14
    .vgpr_spill_count: 0
    .wavefront_size: 64
  - .agpr_count:     0
    .args:
      - .address_space:  global
        .offset:         0
        .size:           8
        .value_kind:     global_buffer
      - .address_space:  global
        .offset:         8
        .size:           8
        .value_kind:     global_buffer
      - .address_space:  global
        .offset:         16
        .size:           8
        .value_kind:     global_buffer
      - .offset:         24
        .size:           4
        .value_kind:     by_value
      - .offset:         28
        .size:           4
        .value_kind:     by_value
      - .offset:         32
        .size:           4
        .value_kind:     by_value
      - .address_space:  global
        .offset:         40
        .size:           8
        .value_kind:     global_buffer
      - .offset:         48
        .size:           4
        .value_kind:     hidden_block_count_x
      - .offset:         52
        .size:           4
        .value_kind:     hidden_block_count_y
      - .offset:         56
        .size:           4
        .value_kind:     hidden_block_count_z
      - .offset:         60
        .size:           2
        .value_kind:     hidden_group_size_x
      - .offset:         62
        .size:           2
        .value_kind:     hidden_group_size_y
      - .offset:         64
        .size:           2
        .value_kind:     hidden_group_size_z
      - .offset:         66
        .size:           2
        .value_kind:     hidden_remainder_x
      - .offset:         68
        .size:           2
        .value_kind:     hidden_remainder_y
      - .offset:         70
        .size:           2
        .value_kind:     hidden_remainder_z
      - .offset:         88
        .size:           8
        .value_kind:     hidden_global_offset_x
      - .offset:         96
        .size:           8
        .value_kind:     hidden_global_offset_y
      - .offset:         104
        .size:           8
        .value_kind:     hidden_global_offset_z
      - .offset:         112
        .size:           2
        .value_kind:     hidden_grid_dims
    .group_segment_fixed_size: 0
    .kernarg_segment_align: 8
    .kernarg_segment_size: 304
    .language:       OpenCL C
    .language_version:
      - 2
      - 0
    .max_flat_workgroup_size: 1024
    .name:           _ZN12_GLOBAL__N_121softmax_warp_backwardIfN3c108BFloat16EfLi2ELb1ELb0ELi32EEEvPT0_PKT_S7_iiiPKb
    .private_segment_fixed_size: 0
    .sgpr_count:     20
    .sgpr_spill_count: 0
    .symbol:         _ZN12_GLOBAL__N_121softmax_warp_backwardIfN3c108BFloat16EfLi2ELb1ELb0ELi32EEEvPT0_PKT_S7_iiiPKb.kd
    .uniform_work_group_size: 1
    .uses_dynamic_stack: false
    .vgpr_count:     14
    .vgpr_spill_count: 0
    .wavefront_size: 64
  - .agpr_count:     0
    .args:
      - .address_space:  global
        .offset:         0
        .size:           8
        .value_kind:     global_buffer
      - .address_space:  global
        .offset:         8
        .size:           8
        .value_kind:     global_buffer
      - .address_space:  global
        .offset:         16
        .size:           8
        .value_kind:     global_buffer
      - .offset:         24
        .size:           4
        .value_kind:     by_value
      - .offset:         28
        .size:           4
        .value_kind:     by_value
      - .offset:         32
        .size:           4
        .value_kind:     by_value
      - .address_space:  global
        .offset:         40
        .size:           8
        .value_kind:     global_buffer
      - .offset:         48
        .size:           4
        .value_kind:     hidden_block_count_x
      - .offset:         52
        .size:           4
        .value_kind:     hidden_block_count_y
      - .offset:         56
        .size:           4
        .value_kind:     hidden_block_count_z
      - .offset:         60
        .size:           2
        .value_kind:     hidden_group_size_x
      - .offset:         62
        .size:           2
        .value_kind:     hidden_group_size_y
      - .offset:         64
        .size:           2
        .value_kind:     hidden_group_size_z
      - .offset:         66
        .size:           2
        .value_kind:     hidden_remainder_x
      - .offset:         68
        .size:           2
        .value_kind:     hidden_remainder_y
      - .offset:         70
        .size:           2
        .value_kind:     hidden_remainder_z
      - .offset:         88
        .size:           8
        .value_kind:     hidden_global_offset_x
      - .offset:         96
        .size:           8
        .value_kind:     hidden_global_offset_y
      - .offset:         104
        .size:           8
        .value_kind:     hidden_global_offset_z
      - .offset:         112
        .size:           2
        .value_kind:     hidden_grid_dims
    .group_segment_fixed_size: 0
    .kernarg_segment_align: 8
    .kernarg_segment_size: 304
    .language:       OpenCL C
    .language_version:
      - 2
      - 0
    .max_flat_workgroup_size: 1024
    .name:           _ZN12_GLOBAL__N_121softmax_warp_backwardIfN3c108BFloat16EfLi3ELb1ELb0ELi64EEEvPT0_PKT_S7_iiiPKb
    .private_segment_fixed_size: 0
    .sgpr_count:     20
    .sgpr_spill_count: 0
    .symbol:         _ZN12_GLOBAL__N_121softmax_warp_backwardIfN3c108BFloat16EfLi3ELb1ELb0ELi64EEEvPT0_PKT_S7_iiiPKb.kd
    .uniform_work_group_size: 1
    .uses_dynamic_stack: false
    .vgpr_count:     14
    .vgpr_spill_count: 0
    .wavefront_size: 64
  - .agpr_count:     0
    .args:
      - .address_space:  global
        .offset:         0
        .size:           8
        .value_kind:     global_buffer
      - .address_space:  global
        .offset:         8
        .size:           8
        .value_kind:     global_buffer
      - .address_space:  global
        .offset:         16
        .size:           8
        .value_kind:     global_buffer
      - .offset:         24
        .size:           4
        .value_kind:     by_value
      - .offset:         28
        .size:           4
        .value_kind:     by_value
      - .offset:         32
        .size:           4
        .value_kind:     by_value
      - .address_space:  global
        .offset:         40
        .size:           8
        .value_kind:     global_buffer
      - .offset:         48
        .size:           4
        .value_kind:     hidden_block_count_x
      - .offset:         52
        .size:           4
        .value_kind:     hidden_block_count_y
      - .offset:         56
        .size:           4
        .value_kind:     hidden_block_count_z
      - .offset:         60
        .size:           2
        .value_kind:     hidden_group_size_x
      - .offset:         62
        .size:           2
        .value_kind:     hidden_group_size_y
      - .offset:         64
        .size:           2
        .value_kind:     hidden_group_size_z
      - .offset:         66
        .size:           2
        .value_kind:     hidden_remainder_x
      - .offset:         68
        .size:           2
        .value_kind:     hidden_remainder_y
      - .offset:         70
        .size:           2
        .value_kind:     hidden_remainder_z
      - .offset:         88
        .size:           8
        .value_kind:     hidden_global_offset_x
      - .offset:         96
        .size:           8
        .value_kind:     hidden_global_offset_y
      - .offset:         104
        .size:           8
        .value_kind:     hidden_global_offset_z
      - .offset:         112
        .size:           2
        .value_kind:     hidden_grid_dims
    .group_segment_fixed_size: 0
    .kernarg_segment_align: 8
    .kernarg_segment_size: 304
    .language:       OpenCL C
    .language_version:
      - 2
      - 0
    .max_flat_workgroup_size: 1024
    .name:           _ZN12_GLOBAL__N_121softmax_warp_backwardIfN3c108BFloat16EfLi3ELb1ELb0ELi32EEEvPT0_PKT_S7_iiiPKb
    .private_segment_fixed_size: 0
    .sgpr_count:     20
    .sgpr_spill_count: 0
    .symbol:         _ZN12_GLOBAL__N_121softmax_warp_backwardIfN3c108BFloat16EfLi3ELb1ELb0ELi32EEEvPT0_PKT_S7_iiiPKb.kd
    .uniform_work_group_size: 1
    .uses_dynamic_stack: false
    .vgpr_count:     14
    .vgpr_spill_count: 0
    .wavefront_size: 64
  - .agpr_count:     0
    .args:
      - .address_space:  global
        .offset:         0
        .size:           8
        .value_kind:     global_buffer
      - .address_space:  global
        .offset:         8
        .size:           8
        .value_kind:     global_buffer
      - .address_space:  global
        .offset:         16
        .size:           8
        .value_kind:     global_buffer
      - .offset:         24
        .size:           4
        .value_kind:     by_value
      - .offset:         28
        .size:           4
        .value_kind:     by_value
      - .offset:         32
        .size:           4
        .value_kind:     by_value
      - .address_space:  global
        .offset:         40
        .size:           8
        .value_kind:     global_buffer
      - .offset:         48
        .size:           4
        .value_kind:     hidden_block_count_x
      - .offset:         52
        .size:           4
        .value_kind:     hidden_block_count_y
      - .offset:         56
        .size:           4
        .value_kind:     hidden_block_count_z
      - .offset:         60
        .size:           2
        .value_kind:     hidden_group_size_x
      - .offset:         62
        .size:           2
        .value_kind:     hidden_group_size_y
      - .offset:         64
        .size:           2
        .value_kind:     hidden_group_size_z
      - .offset:         66
        .size:           2
        .value_kind:     hidden_remainder_x
      - .offset:         68
        .size:           2
        .value_kind:     hidden_remainder_y
      - .offset:         70
        .size:           2
        .value_kind:     hidden_remainder_z
      - .offset:         88
        .size:           8
        .value_kind:     hidden_global_offset_x
      - .offset:         96
        .size:           8
        .value_kind:     hidden_global_offset_y
      - .offset:         104
        .size:           8
        .value_kind:     hidden_global_offset_z
      - .offset:         112
        .size:           2
        .value_kind:     hidden_grid_dims
    .group_segment_fixed_size: 0
    .kernarg_segment_align: 8
    .kernarg_segment_size: 304
    .language:       OpenCL C
    .language_version:
      - 2
      - 0
    .max_flat_workgroup_size: 1024
    .name:           _ZN12_GLOBAL__N_121softmax_warp_backwardIfN3c108BFloat16EfLi4ELb1ELb0ELi64EEEvPT0_PKT_S7_iiiPKb
    .private_segment_fixed_size: 0
    .sgpr_count:     20
    .sgpr_spill_count: 0
    .symbol:         _ZN12_GLOBAL__N_121softmax_warp_backwardIfN3c108BFloat16EfLi4ELb1ELb0ELi64EEEvPT0_PKT_S7_iiiPKb.kd
    .uniform_work_group_size: 1
    .uses_dynamic_stack: false
    .vgpr_count:     14
    .vgpr_spill_count: 0
    .wavefront_size: 64
  - .agpr_count:     0
    .args:
      - .address_space:  global
        .offset:         0
        .size:           8
        .value_kind:     global_buffer
      - .address_space:  global
        .offset:         8
        .size:           8
        .value_kind:     global_buffer
      - .address_space:  global
        .offset:         16
        .size:           8
        .value_kind:     global_buffer
      - .offset:         24
        .size:           4
        .value_kind:     by_value
      - .offset:         28
        .size:           4
        .value_kind:     by_value
      - .offset:         32
        .size:           4
        .value_kind:     by_value
      - .address_space:  global
        .offset:         40
        .size:           8
        .value_kind:     global_buffer
      - .offset:         48
        .size:           4
        .value_kind:     hidden_block_count_x
      - .offset:         52
        .size:           4
        .value_kind:     hidden_block_count_y
      - .offset:         56
        .size:           4
        .value_kind:     hidden_block_count_z
      - .offset:         60
        .size:           2
        .value_kind:     hidden_group_size_x
      - .offset:         62
        .size:           2
        .value_kind:     hidden_group_size_y
      - .offset:         64
        .size:           2
        .value_kind:     hidden_group_size_z
      - .offset:         66
        .size:           2
        .value_kind:     hidden_remainder_x
      - .offset:         68
        .size:           2
        .value_kind:     hidden_remainder_y
      - .offset:         70
        .size:           2
        .value_kind:     hidden_remainder_z
      - .offset:         88
        .size:           8
        .value_kind:     hidden_global_offset_x
      - .offset:         96
        .size:           8
        .value_kind:     hidden_global_offset_y
      - .offset:         104
        .size:           8
        .value_kind:     hidden_global_offset_z
      - .offset:         112
        .size:           2
        .value_kind:     hidden_grid_dims
    .group_segment_fixed_size: 0
    .kernarg_segment_align: 8
    .kernarg_segment_size: 304
    .language:       OpenCL C
    .language_version:
      - 2
      - 0
    .max_flat_workgroup_size: 1024
    .name:           _ZN12_GLOBAL__N_121softmax_warp_backwardIfN3c108BFloat16EfLi4ELb1ELb0ELi32EEEvPT0_PKT_S7_iiiPKb
    .private_segment_fixed_size: 0
    .sgpr_count:     20
    .sgpr_spill_count: 0
    .symbol:         _ZN12_GLOBAL__N_121softmax_warp_backwardIfN3c108BFloat16EfLi4ELb1ELb0ELi32EEEvPT0_PKT_S7_iiiPKb.kd
    .uniform_work_group_size: 1
    .uses_dynamic_stack: false
    .vgpr_count:     14
    .vgpr_spill_count: 0
    .wavefront_size: 64
  - .agpr_count:     0
    .args:
      - .address_space:  global
        .offset:         0
        .size:           8
        .value_kind:     global_buffer
      - .address_space:  global
        .offset:         8
        .size:           8
        .value_kind:     global_buffer
      - .address_space:  global
        .offset:         16
        .size:           8
        .value_kind:     global_buffer
      - .offset:         24
        .size:           4
        .value_kind:     by_value
      - .offset:         28
        .size:           4
        .value_kind:     by_value
      - .offset:         32
        .size:           4
        .value_kind:     by_value
      - .address_space:  global
        .offset:         40
        .size:           8
        .value_kind:     global_buffer
      - .offset:         48
        .size:           4
        .value_kind:     hidden_block_count_x
      - .offset:         52
        .size:           4
        .value_kind:     hidden_block_count_y
      - .offset:         56
        .size:           4
        .value_kind:     hidden_block_count_z
      - .offset:         60
        .size:           2
        .value_kind:     hidden_group_size_x
      - .offset:         62
        .size:           2
        .value_kind:     hidden_group_size_y
      - .offset:         64
        .size:           2
        .value_kind:     hidden_group_size_z
      - .offset:         66
        .size:           2
        .value_kind:     hidden_remainder_x
      - .offset:         68
        .size:           2
        .value_kind:     hidden_remainder_y
      - .offset:         70
        .size:           2
        .value_kind:     hidden_remainder_z
      - .offset:         88
        .size:           8
        .value_kind:     hidden_global_offset_x
      - .offset:         96
        .size:           8
        .value_kind:     hidden_global_offset_y
      - .offset:         104
        .size:           8
        .value_kind:     hidden_global_offset_z
      - .offset:         112
        .size:           2
        .value_kind:     hidden_grid_dims
    .group_segment_fixed_size: 0
    .kernarg_segment_align: 8
    .kernarg_segment_size: 304
    .language:       OpenCL C
    .language_version:
      - 2
      - 0
    .max_flat_workgroup_size: 1024
    .name:           _ZN12_GLOBAL__N_121softmax_warp_backwardIfN3c108BFloat16EfLi5ELb1ELb0ELi64EEEvPT0_PKT_S7_iiiPKb
    .private_segment_fixed_size: 0
    .sgpr_count:     20
    .sgpr_spill_count: 0
    .symbol:         _ZN12_GLOBAL__N_121softmax_warp_backwardIfN3c108BFloat16EfLi5ELb1ELb0ELi64EEEvPT0_PKT_S7_iiiPKb.kd
    .uniform_work_group_size: 1
    .uses_dynamic_stack: false
    .vgpr_count:     14
    .vgpr_spill_count: 0
    .wavefront_size: 64
  - .agpr_count:     0
    .args:
      - .address_space:  global
        .offset:         0
        .size:           8
        .value_kind:     global_buffer
      - .address_space:  global
        .offset:         8
        .size:           8
        .value_kind:     global_buffer
      - .address_space:  global
        .offset:         16
        .size:           8
        .value_kind:     global_buffer
      - .offset:         24
        .size:           4
        .value_kind:     by_value
      - .offset:         28
        .size:           4
        .value_kind:     by_value
      - .offset:         32
        .size:           4
        .value_kind:     by_value
      - .address_space:  global
        .offset:         40
        .size:           8
        .value_kind:     global_buffer
      - .offset:         48
        .size:           4
        .value_kind:     hidden_block_count_x
      - .offset:         52
        .size:           4
        .value_kind:     hidden_block_count_y
      - .offset:         56
        .size:           4
        .value_kind:     hidden_block_count_z
      - .offset:         60
        .size:           2
        .value_kind:     hidden_group_size_x
      - .offset:         62
        .size:           2
        .value_kind:     hidden_group_size_y
      - .offset:         64
        .size:           2
        .value_kind:     hidden_group_size_z
      - .offset:         66
        .size:           2
        .value_kind:     hidden_remainder_x
      - .offset:         68
        .size:           2
        .value_kind:     hidden_remainder_y
      - .offset:         70
        .size:           2
        .value_kind:     hidden_remainder_z
      - .offset:         88
        .size:           8
        .value_kind:     hidden_global_offset_x
      - .offset:         96
        .size:           8
        .value_kind:     hidden_global_offset_y
      - .offset:         104
        .size:           8
        .value_kind:     hidden_global_offset_z
      - .offset:         112
        .size:           2
        .value_kind:     hidden_grid_dims
    .group_segment_fixed_size: 0
    .kernarg_segment_align: 8
    .kernarg_segment_size: 304
    .language:       OpenCL C
    .language_version:
      - 2
      - 0
    .max_flat_workgroup_size: 1024
    .name:           _ZN12_GLOBAL__N_121softmax_warp_backwardIfN3c108BFloat16EfLi5ELb1ELb0ELi32EEEvPT0_PKT_S7_iiiPKb
    .private_segment_fixed_size: 0
    .sgpr_count:     20
    .sgpr_spill_count: 0
    .symbol:         _ZN12_GLOBAL__N_121softmax_warp_backwardIfN3c108BFloat16EfLi5ELb1ELb0ELi32EEEvPT0_PKT_S7_iiiPKb.kd
    .uniform_work_group_size: 1
    .uses_dynamic_stack: false
    .vgpr_count:     14
    .vgpr_spill_count: 0
    .wavefront_size: 64
  - .agpr_count:     0
    .args:
      - .address_space:  global
        .offset:         0
        .size:           8
        .value_kind:     global_buffer
      - .address_space:  global
        .offset:         8
        .size:           8
        .value_kind:     global_buffer
      - .address_space:  global
        .offset:         16
        .size:           8
        .value_kind:     global_buffer
      - .offset:         24
        .size:           4
        .value_kind:     by_value
      - .offset:         28
        .size:           4
        .value_kind:     by_value
      - .offset:         32
        .size:           4
        .value_kind:     by_value
      - .address_space:  global
        .offset:         40
        .size:           8
        .value_kind:     global_buffer
      - .offset:         48
        .size:           4
        .value_kind:     hidden_block_count_x
      - .offset:         52
        .size:           4
        .value_kind:     hidden_block_count_y
      - .offset:         56
        .size:           4
        .value_kind:     hidden_block_count_z
      - .offset:         60
        .size:           2
        .value_kind:     hidden_group_size_x
      - .offset:         62
        .size:           2
        .value_kind:     hidden_group_size_y
      - .offset:         64
        .size:           2
        .value_kind:     hidden_group_size_z
      - .offset:         66
        .size:           2
        .value_kind:     hidden_remainder_x
      - .offset:         68
        .size:           2
        .value_kind:     hidden_remainder_y
      - .offset:         70
        .size:           2
        .value_kind:     hidden_remainder_z
      - .offset:         88
        .size:           8
        .value_kind:     hidden_global_offset_x
      - .offset:         96
        .size:           8
        .value_kind:     hidden_global_offset_y
      - .offset:         104
        .size:           8
        .value_kind:     hidden_global_offset_z
      - .offset:         112
        .size:           2
        .value_kind:     hidden_grid_dims
    .group_segment_fixed_size: 0
    .kernarg_segment_align: 8
    .kernarg_segment_size: 304
    .language:       OpenCL C
    .language_version:
      - 2
      - 0
    .max_flat_workgroup_size: 1024
    .name:           _ZN12_GLOBAL__N_121softmax_warp_backwardIfN3c108BFloat16EfLi6ELb1ELb0ELi64EEEvPT0_PKT_S7_iiiPKb
    .private_segment_fixed_size: 0
    .sgpr_count:     20
    .sgpr_spill_count: 0
    .symbol:         _ZN12_GLOBAL__N_121softmax_warp_backwardIfN3c108BFloat16EfLi6ELb1ELb0ELi64EEEvPT0_PKT_S7_iiiPKb.kd
    .uniform_work_group_size: 1
    .uses_dynamic_stack: false
    .vgpr_count:     14
    .vgpr_spill_count: 0
    .wavefront_size: 64
  - .agpr_count:     0
    .args:
      - .address_space:  global
        .offset:         0
        .size:           8
        .value_kind:     global_buffer
      - .address_space:  global
        .offset:         8
        .size:           8
        .value_kind:     global_buffer
      - .address_space:  global
        .offset:         16
        .size:           8
        .value_kind:     global_buffer
      - .offset:         24
        .size:           4
        .value_kind:     by_value
      - .offset:         28
        .size:           4
        .value_kind:     by_value
      - .offset:         32
        .size:           4
        .value_kind:     by_value
      - .address_space:  global
        .offset:         40
        .size:           8
        .value_kind:     global_buffer
      - .offset:         48
        .size:           4
        .value_kind:     hidden_block_count_x
      - .offset:         52
        .size:           4
        .value_kind:     hidden_block_count_y
      - .offset:         56
        .size:           4
        .value_kind:     hidden_block_count_z
      - .offset:         60
        .size:           2
        .value_kind:     hidden_group_size_x
      - .offset:         62
        .size:           2
        .value_kind:     hidden_group_size_y
      - .offset:         64
        .size:           2
        .value_kind:     hidden_group_size_z
      - .offset:         66
        .size:           2
        .value_kind:     hidden_remainder_x
      - .offset:         68
        .size:           2
        .value_kind:     hidden_remainder_y
      - .offset:         70
        .size:           2
        .value_kind:     hidden_remainder_z
      - .offset:         88
        .size:           8
        .value_kind:     hidden_global_offset_x
      - .offset:         96
        .size:           8
        .value_kind:     hidden_global_offset_y
      - .offset:         104
        .size:           8
        .value_kind:     hidden_global_offset_z
      - .offset:         112
        .size:           2
        .value_kind:     hidden_grid_dims
    .group_segment_fixed_size: 0
    .kernarg_segment_align: 8
    .kernarg_segment_size: 304
    .language:       OpenCL C
    .language_version:
      - 2
      - 0
    .max_flat_workgroup_size: 1024
    .name:           _ZN12_GLOBAL__N_121softmax_warp_backwardIfN3c108BFloat16EfLi6ELb1ELb0ELi32EEEvPT0_PKT_S7_iiiPKb
    .private_segment_fixed_size: 0
    .sgpr_count:     20
    .sgpr_spill_count: 0
    .symbol:         _ZN12_GLOBAL__N_121softmax_warp_backwardIfN3c108BFloat16EfLi6ELb1ELb0ELi32EEEvPT0_PKT_S7_iiiPKb.kd
    .uniform_work_group_size: 1
    .uses_dynamic_stack: false
    .vgpr_count:     18
    .vgpr_spill_count: 0
    .wavefront_size: 64
  - .agpr_count:     0
    .args:
      - .address_space:  global
        .offset:         0
        .size:           8
        .value_kind:     global_buffer
      - .address_space:  global
        .offset:         8
        .size:           8
        .value_kind:     global_buffer
      - .address_space:  global
        .offset:         16
        .size:           8
        .value_kind:     global_buffer
      - .offset:         24
        .size:           4
        .value_kind:     by_value
      - .offset:         28
        .size:           4
        .value_kind:     by_value
      - .offset:         32
        .size:           4
        .value_kind:     by_value
      - .address_space:  global
        .offset:         40
        .size:           8
        .value_kind:     global_buffer
      - .offset:         48
        .size:           4
        .value_kind:     hidden_block_count_x
      - .offset:         52
        .size:           4
        .value_kind:     hidden_block_count_y
      - .offset:         56
        .size:           4
        .value_kind:     hidden_block_count_z
      - .offset:         60
        .size:           2
        .value_kind:     hidden_group_size_x
      - .offset:         62
        .size:           2
        .value_kind:     hidden_group_size_y
      - .offset:         64
        .size:           2
        .value_kind:     hidden_group_size_z
      - .offset:         66
        .size:           2
        .value_kind:     hidden_remainder_x
      - .offset:         68
        .size:           2
        .value_kind:     hidden_remainder_y
      - .offset:         70
        .size:           2
        .value_kind:     hidden_remainder_z
      - .offset:         88
        .size:           8
        .value_kind:     hidden_global_offset_x
      - .offset:         96
        .size:           8
        .value_kind:     hidden_global_offset_y
      - .offset:         104
        .size:           8
        .value_kind:     hidden_global_offset_z
      - .offset:         112
        .size:           2
        .value_kind:     hidden_grid_dims
    .group_segment_fixed_size: 0
    .kernarg_segment_align: 8
    .kernarg_segment_size: 304
    .language:       OpenCL C
    .language_version:
      - 2
      - 0
    .max_flat_workgroup_size: 1024
    .name:           _ZN12_GLOBAL__N_121softmax_warp_backwardIfN3c108BFloat16EfLi7ELb1ELb0ELi64EEEvPT0_PKT_S7_iiiPKb
    .private_segment_fixed_size: 0
    .sgpr_count:     20
    .sgpr_spill_count: 0
    .symbol:         _ZN12_GLOBAL__N_121softmax_warp_backwardIfN3c108BFloat16EfLi7ELb1ELb0ELi64EEEvPT0_PKT_S7_iiiPKb.kd
    .uniform_work_group_size: 1
    .uses_dynamic_stack: false
    .vgpr_count:     18
    .vgpr_spill_count: 0
    .wavefront_size: 64
  - .agpr_count:     0
    .args:
      - .address_space:  global
        .offset:         0
        .size:           8
        .value_kind:     global_buffer
      - .address_space:  global
        .offset:         8
        .size:           8
        .value_kind:     global_buffer
      - .address_space:  global
        .offset:         16
        .size:           8
        .value_kind:     global_buffer
      - .offset:         24
        .size:           4
        .value_kind:     by_value
      - .offset:         28
        .size:           4
        .value_kind:     by_value
      - .offset:         32
        .size:           4
        .value_kind:     by_value
      - .address_space:  global
        .offset:         40
        .size:           8
        .value_kind:     global_buffer
      - .offset:         48
        .size:           4
        .value_kind:     hidden_block_count_x
      - .offset:         52
        .size:           4
        .value_kind:     hidden_block_count_y
      - .offset:         56
        .size:           4
        .value_kind:     hidden_block_count_z
      - .offset:         60
        .size:           2
        .value_kind:     hidden_group_size_x
      - .offset:         62
        .size:           2
        .value_kind:     hidden_group_size_y
      - .offset:         64
        .size:           2
        .value_kind:     hidden_group_size_z
      - .offset:         66
        .size:           2
        .value_kind:     hidden_remainder_x
      - .offset:         68
        .size:           2
        .value_kind:     hidden_remainder_y
      - .offset:         70
        .size:           2
        .value_kind:     hidden_remainder_z
      - .offset:         88
        .size:           8
        .value_kind:     hidden_global_offset_x
      - .offset:         96
        .size:           8
        .value_kind:     hidden_global_offset_y
      - .offset:         104
        .size:           8
        .value_kind:     hidden_global_offset_z
      - .offset:         112
        .size:           2
        .value_kind:     hidden_grid_dims
    .group_segment_fixed_size: 0
    .kernarg_segment_align: 8
    .kernarg_segment_size: 304
    .language:       OpenCL C
    .language_version:
      - 2
      - 0
    .max_flat_workgroup_size: 1024
    .name:           _ZN12_GLOBAL__N_121softmax_warp_backwardIfN3c108BFloat16EfLi7ELb1ELb0ELi32EEEvPT0_PKT_S7_iiiPKb
    .private_segment_fixed_size: 0
    .sgpr_count:     24
    .sgpr_spill_count: 0
    .symbol:         _ZN12_GLOBAL__N_121softmax_warp_backwardIfN3c108BFloat16EfLi7ELb1ELb0ELi32EEEvPT0_PKT_S7_iiiPKb.kd
    .uniform_work_group_size: 1
    .uses_dynamic_stack: false
    .vgpr_count:     26
    .vgpr_spill_count: 0
    .wavefront_size: 64
  - .agpr_count:     0
    .args:
      - .address_space:  global
        .offset:         0
        .size:           8
        .value_kind:     global_buffer
      - .address_space:  global
        .offset:         8
        .size:           8
        .value_kind:     global_buffer
      - .address_space:  global
        .offset:         16
        .size:           8
        .value_kind:     global_buffer
      - .offset:         24
        .size:           4
        .value_kind:     by_value
      - .offset:         28
        .size:           4
        .value_kind:     by_value
      - .offset:         32
        .size:           4
        .value_kind:     by_value
      - .address_space:  global
        .offset:         40
        .size:           8
        .value_kind:     global_buffer
      - .offset:         48
        .size:           4
        .value_kind:     hidden_block_count_x
      - .offset:         52
        .size:           4
        .value_kind:     hidden_block_count_y
      - .offset:         56
        .size:           4
        .value_kind:     hidden_block_count_z
      - .offset:         60
        .size:           2
        .value_kind:     hidden_group_size_x
      - .offset:         62
        .size:           2
        .value_kind:     hidden_group_size_y
      - .offset:         64
        .size:           2
        .value_kind:     hidden_group_size_z
      - .offset:         66
        .size:           2
        .value_kind:     hidden_remainder_x
      - .offset:         68
        .size:           2
        .value_kind:     hidden_remainder_y
      - .offset:         70
        .size:           2
        .value_kind:     hidden_remainder_z
      - .offset:         88
        .size:           8
        .value_kind:     hidden_global_offset_x
      - .offset:         96
        .size:           8
        .value_kind:     hidden_global_offset_y
      - .offset:         104
        .size:           8
        .value_kind:     hidden_global_offset_z
      - .offset:         112
        .size:           2
        .value_kind:     hidden_grid_dims
    .group_segment_fixed_size: 0
    .kernarg_segment_align: 8
    .kernarg_segment_size: 304
    .language:       OpenCL C
    .language_version:
      - 2
      - 0
    .max_flat_workgroup_size: 1024
    .name:           _ZN12_GLOBAL__N_121softmax_warp_backwardIfN3c108BFloat16EfLi8ELb1ELb0ELi64EEEvPT0_PKT_S7_iiiPKb
    .private_segment_fixed_size: 0
    .sgpr_count:     20
    .sgpr_spill_count: 0
    .symbol:         _ZN12_GLOBAL__N_121softmax_warp_backwardIfN3c108BFloat16EfLi8ELb1ELb0ELi64EEEvPT0_PKT_S7_iiiPKb.kd
    .uniform_work_group_size: 1
    .uses_dynamic_stack: false
    .vgpr_count:     15
    .vgpr_spill_count: 0
    .wavefront_size: 64
  - .agpr_count:     0
    .args:
      - .address_space:  global
        .offset:         0
        .size:           8
        .value_kind:     global_buffer
      - .address_space:  global
        .offset:         8
        .size:           8
        .value_kind:     global_buffer
      - .address_space:  global
        .offset:         16
        .size:           8
        .value_kind:     global_buffer
      - .offset:         24
        .size:           4
        .value_kind:     by_value
      - .offset:         28
        .size:           4
        .value_kind:     by_value
      - .offset:         32
        .size:           4
        .value_kind:     by_value
      - .address_space:  global
        .offset:         40
        .size:           8
        .value_kind:     global_buffer
      - .offset:         48
        .size:           4
        .value_kind:     hidden_block_count_x
      - .offset:         52
        .size:           4
        .value_kind:     hidden_block_count_y
      - .offset:         56
        .size:           4
        .value_kind:     hidden_block_count_z
      - .offset:         60
        .size:           2
        .value_kind:     hidden_group_size_x
      - .offset:         62
        .size:           2
        .value_kind:     hidden_group_size_y
      - .offset:         64
        .size:           2
        .value_kind:     hidden_group_size_z
      - .offset:         66
        .size:           2
        .value_kind:     hidden_remainder_x
      - .offset:         68
        .size:           2
        .value_kind:     hidden_remainder_y
      - .offset:         70
        .size:           2
        .value_kind:     hidden_remainder_z
      - .offset:         88
        .size:           8
        .value_kind:     hidden_global_offset_x
      - .offset:         96
        .size:           8
        .value_kind:     hidden_global_offset_y
      - .offset:         104
        .size:           8
        .value_kind:     hidden_global_offset_z
      - .offset:         112
        .size:           2
        .value_kind:     hidden_grid_dims
    .group_segment_fixed_size: 0
    .kernarg_segment_align: 8
    .kernarg_segment_size: 304
    .language:       OpenCL C
    .language_version:
      - 2
      - 0
    .max_flat_workgroup_size: 1024
    .name:           _ZN12_GLOBAL__N_121softmax_warp_backwardIfN3c108BFloat16EfLi8ELb1ELb0ELi32EEEvPT0_PKT_S7_iiiPKb
    .private_segment_fixed_size: 0
    .sgpr_count:     28
    .sgpr_spill_count: 0
    .symbol:         _ZN12_GLOBAL__N_121softmax_warp_backwardIfN3c108BFloat16EfLi8ELb1ELb0ELi32EEEvPT0_PKT_S7_iiiPKb.kd
    .uniform_work_group_size: 1
    .uses_dynamic_stack: false
    .vgpr_count:     23
    .vgpr_spill_count: 0
    .wavefront_size: 64
  - .agpr_count:     0
    .args:
      - .address_space:  global
        .offset:         0
        .size:           8
        .value_kind:     global_buffer
      - .address_space:  global
        .offset:         8
        .size:           8
        .value_kind:     global_buffer
      - .address_space:  global
        .offset:         16
        .size:           8
        .value_kind:     global_buffer
      - .offset:         24
        .size:           4
        .value_kind:     by_value
      - .offset:         28
        .size:           4
        .value_kind:     by_value
      - .offset:         32
        .size:           4
        .value_kind:     by_value
      - .address_space:  global
        .offset:         40
        .size:           8
        .value_kind:     global_buffer
      - .offset:         48
        .size:           4
        .value_kind:     hidden_block_count_x
      - .offset:         52
        .size:           4
        .value_kind:     hidden_block_count_y
      - .offset:         56
        .size:           4
        .value_kind:     hidden_block_count_z
      - .offset:         60
        .size:           2
        .value_kind:     hidden_group_size_x
      - .offset:         62
        .size:           2
        .value_kind:     hidden_group_size_y
      - .offset:         64
        .size:           2
        .value_kind:     hidden_group_size_z
      - .offset:         66
        .size:           2
        .value_kind:     hidden_remainder_x
      - .offset:         68
        .size:           2
        .value_kind:     hidden_remainder_y
      - .offset:         70
        .size:           2
        .value_kind:     hidden_remainder_z
      - .offset:         88
        .size:           8
        .value_kind:     hidden_global_offset_x
      - .offset:         96
        .size:           8
        .value_kind:     hidden_global_offset_y
      - .offset:         104
        .size:           8
        .value_kind:     hidden_global_offset_z
      - .offset:         112
        .size:           2
        .value_kind:     hidden_grid_dims
    .group_segment_fixed_size: 0
    .kernarg_segment_align: 8
    .kernarg_segment_size: 304
    .language:       OpenCL C
    .language_version:
      - 2
      - 0
    .max_flat_workgroup_size: 1024
    .name:           _ZN12_GLOBAL__N_121softmax_warp_backwardIfN3c108BFloat16EfLi9ELb1ELb0ELi64EEEvPT0_PKT_S7_iiiPKb
    .private_segment_fixed_size: 0
    .sgpr_count:     28
    .sgpr_spill_count: 0
    .symbol:         _ZN12_GLOBAL__N_121softmax_warp_backwardIfN3c108BFloat16EfLi9ELb1ELb0ELi64EEEvPT0_PKT_S7_iiiPKb.kd
    .uniform_work_group_size: 1
    .uses_dynamic_stack: false
    .vgpr_count:     23
    .vgpr_spill_count: 0
    .wavefront_size: 64
  - .agpr_count:     0
    .args:
      - .address_space:  global
        .offset:         0
        .size:           8
        .value_kind:     global_buffer
      - .address_space:  global
        .offset:         8
        .size:           8
        .value_kind:     global_buffer
      - .address_space:  global
        .offset:         16
        .size:           8
        .value_kind:     global_buffer
      - .offset:         24
        .size:           4
        .value_kind:     by_value
      - .offset:         28
        .size:           4
        .value_kind:     by_value
      - .offset:         32
        .size:           4
        .value_kind:     by_value
      - .address_space:  global
        .offset:         40
        .size:           8
        .value_kind:     global_buffer
      - .offset:         48
        .size:           4
        .value_kind:     hidden_block_count_x
      - .offset:         52
        .size:           4
        .value_kind:     hidden_block_count_y
      - .offset:         56
        .size:           4
        .value_kind:     hidden_block_count_z
      - .offset:         60
        .size:           2
        .value_kind:     hidden_group_size_x
      - .offset:         62
        .size:           2
        .value_kind:     hidden_group_size_y
      - .offset:         64
        .size:           2
        .value_kind:     hidden_group_size_z
      - .offset:         66
        .size:           2
        .value_kind:     hidden_remainder_x
      - .offset:         68
        .size:           2
        .value_kind:     hidden_remainder_y
      - .offset:         70
        .size:           2
        .value_kind:     hidden_remainder_z
      - .offset:         88
        .size:           8
        .value_kind:     hidden_global_offset_x
      - .offset:         96
        .size:           8
        .value_kind:     hidden_global_offset_y
      - .offset:         104
        .size:           8
        .value_kind:     hidden_global_offset_z
      - .offset:         112
        .size:           2
        .value_kind:     hidden_grid_dims
    .group_segment_fixed_size: 0
    .kernarg_segment_align: 8
    .kernarg_segment_size: 304
    .language:       OpenCL C
    .language_version:
      - 2
      - 0
    .max_flat_workgroup_size: 1024
    .name:           _ZN12_GLOBAL__N_121softmax_warp_backwardIfN3c108BFloat16EfLi9ELb1ELb0ELi32EEEvPT0_PKT_S7_iiiPKb
    .private_segment_fixed_size: 0
    .sgpr_count:     48
    .sgpr_spill_count: 0
    .symbol:         _ZN12_GLOBAL__N_121softmax_warp_backwardIfN3c108BFloat16EfLi9ELb1ELb0ELi32EEEvPT0_PKT_S7_iiiPKb.kd
    .uniform_work_group_size: 1
    .uses_dynamic_stack: false
    .vgpr_count:     39
    .vgpr_spill_count: 0
    .wavefront_size: 64
  - .agpr_count:     0
    .args:
      - .address_space:  global
        .offset:         0
        .size:           8
        .value_kind:     global_buffer
      - .address_space:  global
        .offset:         8
        .size:           8
        .value_kind:     global_buffer
      - .address_space:  global
        .offset:         16
        .size:           8
        .value_kind:     global_buffer
      - .offset:         24
        .size:           4
        .value_kind:     by_value
      - .offset:         28
        .size:           4
        .value_kind:     by_value
      - .offset:         32
        .size:           4
        .value_kind:     by_value
      - .address_space:  global
        .offset:         40
        .size:           8
        .value_kind:     global_buffer
      - .offset:         48
        .size:           4
        .value_kind:     hidden_block_count_x
      - .offset:         52
        .size:           4
        .value_kind:     hidden_block_count_y
      - .offset:         56
        .size:           4
        .value_kind:     hidden_block_count_z
      - .offset:         60
        .size:           2
        .value_kind:     hidden_group_size_x
      - .offset:         62
        .size:           2
        .value_kind:     hidden_group_size_y
      - .offset:         64
        .size:           2
        .value_kind:     hidden_group_size_z
      - .offset:         66
        .size:           2
        .value_kind:     hidden_remainder_x
      - .offset:         68
        .size:           2
        .value_kind:     hidden_remainder_y
      - .offset:         70
        .size:           2
        .value_kind:     hidden_remainder_z
      - .offset:         88
        .size:           8
        .value_kind:     hidden_global_offset_x
      - .offset:         96
        .size:           8
        .value_kind:     hidden_global_offset_y
      - .offset:         104
        .size:           8
        .value_kind:     hidden_global_offset_z
      - .offset:         112
        .size:           2
        .value_kind:     hidden_grid_dims
    .group_segment_fixed_size: 0
    .kernarg_segment_align: 8
    .kernarg_segment_size: 304
    .language:       OpenCL C
    .language_version:
      - 2
      - 0
    .max_flat_workgroup_size: 1024
    .name:           _ZN12_GLOBAL__N_121softmax_warp_backwardIfN3c108BFloat16EfLi10ELb1ELb0ELi64EEEvPT0_PKT_S7_iiiPKb
    .private_segment_fixed_size: 0
    .sgpr_count:     48
    .sgpr_spill_count: 0
    .symbol:         _ZN12_GLOBAL__N_121softmax_warp_backwardIfN3c108BFloat16EfLi10ELb1ELb0ELi64EEEvPT0_PKT_S7_iiiPKb.kd
    .uniform_work_group_size: 1
    .uses_dynamic_stack: false
    .vgpr_count:     39
    .vgpr_spill_count: 0
    .wavefront_size: 64
  - .agpr_count:     0
    .args:
      - .address_space:  global
        .offset:         0
        .size:           8
        .value_kind:     global_buffer
      - .address_space:  global
        .offset:         8
        .size:           8
        .value_kind:     global_buffer
      - .address_space:  global
        .offset:         16
        .size:           8
        .value_kind:     global_buffer
      - .offset:         24
        .size:           4
        .value_kind:     by_value
      - .offset:         28
        .size:           4
        .value_kind:     by_value
      - .offset:         32
        .size:           4
        .value_kind:     by_value
      - .address_space:  global
        .offset:         40
        .size:           8
        .value_kind:     global_buffer
      - .offset:         48
        .size:           4
        .value_kind:     hidden_block_count_x
      - .offset:         52
        .size:           4
        .value_kind:     hidden_block_count_y
      - .offset:         56
        .size:           4
        .value_kind:     hidden_block_count_z
      - .offset:         60
        .size:           2
        .value_kind:     hidden_group_size_x
      - .offset:         62
        .size:           2
        .value_kind:     hidden_group_size_y
      - .offset:         64
        .size:           2
        .value_kind:     hidden_group_size_z
      - .offset:         66
        .size:           2
        .value_kind:     hidden_remainder_x
      - .offset:         68
        .size:           2
        .value_kind:     hidden_remainder_y
      - .offset:         70
        .size:           2
        .value_kind:     hidden_remainder_z
      - .offset:         88
        .size:           8
        .value_kind:     hidden_global_offset_x
      - .offset:         96
        .size:           8
        .value_kind:     hidden_global_offset_y
      - .offset:         104
        .size:           8
        .value_kind:     hidden_global_offset_z
      - .offset:         112
        .size:           2
        .value_kind:     hidden_grid_dims
    .group_segment_fixed_size: 0
    .kernarg_segment_align: 8
    .kernarg_segment_size: 304
    .language:       OpenCL C
    .language_version:
      - 2
      - 0
    .max_flat_workgroup_size: 1024
    .name:           _ZN12_GLOBAL__N_121softmax_warp_backwardIfN3c108BFloat16EfLi10ELb1ELb0ELi32EEEvPT0_PKT_S7_iiiPKb
    .private_segment_fixed_size: 0
    .sgpr_count:     78
    .sgpr_spill_count: 0
    .symbol:         _ZN12_GLOBAL__N_121softmax_warp_backwardIfN3c108BFloat16EfLi10ELb1ELb0ELi32EEEvPT0_PKT_S7_iiiPKb.kd
    .uniform_work_group_size: 1
    .uses_dynamic_stack: false
    .vgpr_count:     71
    .vgpr_spill_count: 0
    .wavefront_size: 64
  - .agpr_count:     0
    .args:
      - .address_space:  global
        .offset:         0
        .size:           8
        .value_kind:     global_buffer
      - .address_space:  global
        .offset:         8
        .size:           8
        .value_kind:     global_buffer
      - .address_space:  global
        .offset:         16
        .size:           8
        .value_kind:     global_buffer
      - .offset:         24
        .size:           8
        .value_kind:     by_value
      - .offset:         32
        .size:           4
        .value_kind:     hidden_block_count_x
      - .offset:         36
        .size:           4
        .value_kind:     hidden_block_count_y
      - .offset:         40
        .size:           4
        .value_kind:     hidden_block_count_z
      - .offset:         44
        .size:           2
        .value_kind:     hidden_group_size_x
      - .offset:         46
        .size:           2
        .value_kind:     hidden_group_size_y
      - .offset:         48
        .size:           2
        .value_kind:     hidden_group_size_z
      - .offset:         50
        .size:           2
        .value_kind:     hidden_remainder_x
      - .offset:         52
        .size:           2
        .value_kind:     hidden_remainder_y
      - .offset:         54
        .size:           2
        .value_kind:     hidden_remainder_z
      - .offset:         72
        .size:           8
        .value_kind:     hidden_global_offset_x
      - .offset:         80
        .size:           8
        .value_kind:     hidden_global_offset_y
      - .offset:         88
        .size:           8
        .value_kind:     hidden_global_offset_z
      - .offset:         96
        .size:           2
        .value_kind:     hidden_grid_dims
      - .offset:         152
        .size:           4
        .value_kind:     hidden_dynamic_lds_size
    .group_segment_fixed_size: 0
    .kernarg_segment_align: 8
    .kernarg_segment_size: 288
    .language:       OpenCL C
    .language_version:
      - 2
      - 0
    .max_flat_workgroup_size: 1024
    .name:           _ZN2at6native12_GLOBAL__N_124cunn_SoftMaxBackwardSmemILi4EN3c108BFloat16EffNS1_26LogSoftMaxBackwardEpilogueEEEvPT0_PKT2_SA_l
    .private_segment_fixed_size: 0
    .sgpr_count:     24
    .sgpr_spill_count: 0
    .symbol:         _ZN2at6native12_GLOBAL__N_124cunn_SoftMaxBackwardSmemILi4EN3c108BFloat16EffNS1_26LogSoftMaxBackwardEpilogueEEEvPT0_PKT2_SA_l.kd
    .uniform_work_group_size: 1
    .uses_dynamic_stack: false
    .vgpr_count:     31
    .vgpr_spill_count: 0
    .wavefront_size: 64
  - .agpr_count:     0
    .args:
      - .address_space:  global
        .offset:         0
        .size:           8
        .value_kind:     global_buffer
      - .address_space:  global
        .offset:         8
        .size:           8
        .value_kind:     global_buffer
      - .address_space:  global
        .offset:         16
        .size:           8
        .value_kind:     global_buffer
      - .offset:         24
        .size:           8
        .value_kind:     by_value
      - .offset:         32
        .size:           4
        .value_kind:     hidden_block_count_x
      - .offset:         36
        .size:           4
        .value_kind:     hidden_block_count_y
      - .offset:         40
        .size:           4
        .value_kind:     hidden_block_count_z
      - .offset:         44
        .size:           2
        .value_kind:     hidden_group_size_x
      - .offset:         46
        .size:           2
        .value_kind:     hidden_group_size_y
      - .offset:         48
        .size:           2
        .value_kind:     hidden_group_size_z
      - .offset:         50
        .size:           2
        .value_kind:     hidden_remainder_x
      - .offset:         52
        .size:           2
        .value_kind:     hidden_remainder_y
      - .offset:         54
        .size:           2
        .value_kind:     hidden_remainder_z
      - .offset:         72
        .size:           8
        .value_kind:     hidden_global_offset_x
      - .offset:         80
        .size:           8
        .value_kind:     hidden_global_offset_y
      - .offset:         88
        .size:           8
        .value_kind:     hidden_global_offset_z
      - .offset:         96
        .size:           2
        .value_kind:     hidden_grid_dims
      - .offset:         152
        .size:           4
        .value_kind:     hidden_dynamic_lds_size
    .group_segment_fixed_size: 0
    .kernarg_segment_align: 8
    .kernarg_segment_size: 288
    .language:       OpenCL C
    .language_version:
      - 2
      - 0
    .max_flat_workgroup_size: 1024
    .name:           _ZN2at6native12_GLOBAL__N_120cunn_SoftMaxBackwardILi4EN3c108BFloat16EffNS1_26LogSoftMaxBackwardEpilogueEEEvPT0_PKT2_SA_l
    .private_segment_fixed_size: 0
    .sgpr_count:     78
    .sgpr_spill_count: 0
    .symbol:         _ZN2at6native12_GLOBAL__N_120cunn_SoftMaxBackwardILi4EN3c108BFloat16EffNS1_26LogSoftMaxBackwardEpilogueEEEvPT0_PKT2_SA_l.kd
    .uniform_work_group_size: 1
    .uses_dynamic_stack: false
    .vgpr_count:     40
    .vgpr_spill_count: 0
    .wavefront_size: 64
  - .agpr_count:     0
    .args:
      - .address_space:  global
        .offset:         0
        .size:           8
        .value_kind:     global_buffer
      - .address_space:  global
        .offset:         8
        .size:           8
        .value_kind:     global_buffer
      - .address_space:  global
        .offset:         16
        .size:           8
        .value_kind:     global_buffer
      - .offset:         24
        .size:           4
        .value_kind:     by_value
      - .offset:         28
        .size:           4
        .value_kind:     by_value
      - .offset:         32
        .size:           4
        .value_kind:     by_value
      - .offset:         40
        .size:           4
        .value_kind:     hidden_block_count_x
      - .offset:         44
        .size:           4
        .value_kind:     hidden_block_count_y
      - .offset:         48
        .size:           4
        .value_kind:     hidden_block_count_z
      - .offset:         52
        .size:           2
        .value_kind:     hidden_group_size_x
      - .offset:         54
        .size:           2
        .value_kind:     hidden_group_size_y
      - .offset:         56
        .size:           2
        .value_kind:     hidden_group_size_z
      - .offset:         58
        .size:           2
        .value_kind:     hidden_remainder_x
      - .offset:         60
        .size:           2
        .value_kind:     hidden_remainder_y
      - .offset:         62
        .size:           2
        .value_kind:     hidden_remainder_z
      - .offset:         80
        .size:           8
        .value_kind:     hidden_global_offset_x
      - .offset:         88
        .size:           8
        .value_kind:     hidden_global_offset_y
      - .offset:         96
        .size:           8
        .value_kind:     hidden_global_offset_z
      - .offset:         104
        .size:           2
        .value_kind:     hidden_grid_dims
      - .offset:         160
        .size:           4
        .value_kind:     hidden_dynamic_lds_size
    .group_segment_fixed_size: 0
    .kernarg_segment_align: 8
    .kernarg_segment_size: 296
    .language:       OpenCL C
    .language_version:
      - 2
      - 0
    .max_flat_workgroup_size: 1024
    .name:           _ZN2at6native12_GLOBAL__N_127cunn_SpatialSoftMaxBackwardIdddNS1_26LogSoftMaxBackwardEpilogueEEEvPT_PKT1_S8_jjj
    .private_segment_fixed_size: 0
    .sgpr_count:     54
    .sgpr_spill_count: 0
    .symbol:         _ZN2at6native12_GLOBAL__N_127cunn_SpatialSoftMaxBackwardIdddNS1_26LogSoftMaxBackwardEpilogueEEEvPT_PKT1_S8_jjj.kd
    .uniform_work_group_size: 1
    .uses_dynamic_stack: false
    .vgpr_count:     63
    .vgpr_spill_count: 0
    .wavefront_size: 64
  - .agpr_count:     0
    .args:
      - .address_space:  global
        .offset:         0
        .size:           8
        .value_kind:     global_buffer
      - .address_space:  global
        .offset:         8
        .size:           8
        .value_kind:     global_buffer
      - .address_space:  global
        .offset:         16
        .size:           8
        .value_kind:     global_buffer
      - .offset:         24
        .size:           4
        .value_kind:     by_value
      - .offset:         28
        .size:           4
        .value_kind:     by_value
      - .offset:         32
        .size:           4
        .value_kind:     by_value
      - .offset:         40
        .size:           4
        .value_kind:     hidden_block_count_x
      - .offset:         44
        .size:           4
        .value_kind:     hidden_block_count_y
      - .offset:         48
        .size:           4
        .value_kind:     hidden_block_count_z
      - .offset:         52
        .size:           2
        .value_kind:     hidden_group_size_x
      - .offset:         54
        .size:           2
        .value_kind:     hidden_group_size_y
      - .offset:         56
        .size:           2
        .value_kind:     hidden_group_size_z
      - .offset:         58
        .size:           2
        .value_kind:     hidden_remainder_x
      - .offset:         60
        .size:           2
        .value_kind:     hidden_remainder_y
      - .offset:         62
        .size:           2
        .value_kind:     hidden_remainder_z
      - .offset:         80
        .size:           8
        .value_kind:     hidden_global_offset_x
      - .offset:         88
        .size:           8
        .value_kind:     hidden_global_offset_y
      - .offset:         96
        .size:           8
        .value_kind:     hidden_global_offset_z
      - .offset:         104
        .size:           2
        .value_kind:     hidden_grid_dims
      - .offset:         160
        .size:           4
        .value_kind:     hidden_dynamic_lds_size
    .group_segment_fixed_size: 0
    .kernarg_segment_align: 8
    .kernarg_segment_size: 296
    .language:       OpenCL C
    .language_version:
      - 2
      - 0
    .max_flat_workgroup_size: 1024
    .name:           _ZN2at6native12_GLOBAL__N_127cunn_SpatialSoftMaxBackwardIfffNS1_26LogSoftMaxBackwardEpilogueEEEvPT_PKT1_S8_jjj
    .private_segment_fixed_size: 0
    .sgpr_count:     41
    .sgpr_spill_count: 0
    .symbol:         _ZN2at6native12_GLOBAL__N_127cunn_SpatialSoftMaxBackwardIfffNS1_26LogSoftMaxBackwardEpilogueEEEvPT_PKT1_S8_jjj.kd
    .uniform_work_group_size: 1
    .uses_dynamic_stack: false
    .vgpr_count:     22
    .vgpr_spill_count: 0
    .wavefront_size: 64
  - .agpr_count:     0
    .args:
      - .address_space:  global
        .offset:         0
        .size:           8
        .value_kind:     global_buffer
      - .address_space:  global
        .offset:         8
        .size:           8
        .value_kind:     global_buffer
      - .address_space:  global
        .offset:         16
        .size:           8
        .value_kind:     global_buffer
      - .offset:         24
        .size:           4
        .value_kind:     by_value
      - .offset:         28
        .size:           4
        .value_kind:     by_value
      - .offset:         32
        .size:           4
        .value_kind:     by_value
      - .offset:         40
        .size:           4
        .value_kind:     hidden_block_count_x
      - .offset:         44
        .size:           4
        .value_kind:     hidden_block_count_y
      - .offset:         48
        .size:           4
        .value_kind:     hidden_block_count_z
      - .offset:         52
        .size:           2
        .value_kind:     hidden_group_size_x
      - .offset:         54
        .size:           2
        .value_kind:     hidden_group_size_y
      - .offset:         56
        .size:           2
        .value_kind:     hidden_group_size_z
      - .offset:         58
        .size:           2
        .value_kind:     hidden_remainder_x
      - .offset:         60
        .size:           2
        .value_kind:     hidden_remainder_y
      - .offset:         62
        .size:           2
        .value_kind:     hidden_remainder_z
      - .offset:         80
        .size:           8
        .value_kind:     hidden_global_offset_x
      - .offset:         88
        .size:           8
        .value_kind:     hidden_global_offset_y
      - .offset:         96
        .size:           8
        .value_kind:     hidden_global_offset_z
      - .offset:         104
        .size:           2
        .value_kind:     hidden_grid_dims
      - .offset:         160
        .size:           4
        .value_kind:     hidden_dynamic_lds_size
    .group_segment_fixed_size: 0
    .kernarg_segment_align: 8
    .kernarg_segment_size: 296
    .language:       OpenCL C
    .language_version:
      - 2
      - 0
    .max_flat_workgroup_size: 1024
    .name:           _ZN2at6native12_GLOBAL__N_127cunn_SpatialSoftMaxBackwardIN3c104HalfEfS4_NS1_26LogSoftMaxBackwardEpilogueEEEvPT_PKT1_SA_jjj
    .private_segment_fixed_size: 0
    .sgpr_count:     42
    .sgpr_spill_count: 0
    .symbol:         _ZN2at6native12_GLOBAL__N_127cunn_SpatialSoftMaxBackwardIN3c104HalfEfS4_NS1_26LogSoftMaxBackwardEpilogueEEEvPT_PKT1_SA_jjj.kd
    .uniform_work_group_size: 1
    .uses_dynamic_stack: false
    .vgpr_count:     23
    .vgpr_spill_count: 0
    .wavefront_size: 64
  - .agpr_count:     0
    .args:
      - .address_space:  global
        .offset:         0
        .size:           8
        .value_kind:     global_buffer
      - .address_space:  global
        .offset:         8
        .size:           8
        .value_kind:     global_buffer
      - .address_space:  global
        .offset:         16
        .size:           8
        .value_kind:     global_buffer
      - .offset:         24
        .size:           4
        .value_kind:     by_value
      - .offset:         28
        .size:           4
        .value_kind:     by_value
      - .offset:         32
        .size:           4
        .value_kind:     by_value
      - .offset:         40
        .size:           4
        .value_kind:     hidden_block_count_x
      - .offset:         44
        .size:           4
        .value_kind:     hidden_block_count_y
      - .offset:         48
        .size:           4
        .value_kind:     hidden_block_count_z
      - .offset:         52
        .size:           2
        .value_kind:     hidden_group_size_x
      - .offset:         54
        .size:           2
        .value_kind:     hidden_group_size_y
      - .offset:         56
        .size:           2
        .value_kind:     hidden_group_size_z
      - .offset:         58
        .size:           2
        .value_kind:     hidden_remainder_x
      - .offset:         60
        .size:           2
        .value_kind:     hidden_remainder_y
      - .offset:         62
        .size:           2
        .value_kind:     hidden_remainder_z
      - .offset:         80
        .size:           8
        .value_kind:     hidden_global_offset_x
      - .offset:         88
        .size:           8
        .value_kind:     hidden_global_offset_y
      - .offset:         96
        .size:           8
        .value_kind:     hidden_global_offset_z
      - .offset:         104
        .size:           2
        .value_kind:     hidden_grid_dims
      - .offset:         160
        .size:           4
        .value_kind:     hidden_dynamic_lds_size
    .group_segment_fixed_size: 0
    .kernarg_segment_align: 8
    .kernarg_segment_size: 296
    .language:       OpenCL C
    .language_version:
      - 2
      - 0
    .max_flat_workgroup_size: 1024
    .name:           _ZN2at6native12_GLOBAL__N_127cunn_SpatialSoftMaxBackwardIN3c104HalfEffNS1_26LogSoftMaxBackwardEpilogueEEEvPT_PKT1_SA_jjj
    .private_segment_fixed_size: 0
    .sgpr_count:     54
    .sgpr_spill_count: 0
    .symbol:         _ZN2at6native12_GLOBAL__N_127cunn_SpatialSoftMaxBackwardIN3c104HalfEffNS1_26LogSoftMaxBackwardEpilogueEEEvPT_PKT1_SA_jjj.kd
    .uniform_work_group_size: 1
    .uses_dynamic_stack: false
    .vgpr_count:     29
    .vgpr_spill_count: 0
    .wavefront_size: 64
  - .agpr_count:     0
    .args:
      - .address_space:  global
        .offset:         0
        .size:           8
        .value_kind:     global_buffer
      - .address_space:  global
        .offset:         8
        .size:           8
        .value_kind:     global_buffer
      - .address_space:  global
        .offset:         16
        .size:           8
        .value_kind:     global_buffer
      - .offset:         24
        .size:           4
        .value_kind:     by_value
      - .offset:         28
        .size:           4
        .value_kind:     by_value
      - .offset:         32
        .size:           4
        .value_kind:     by_value
      - .offset:         40
        .size:           4
        .value_kind:     hidden_block_count_x
      - .offset:         44
        .size:           4
        .value_kind:     hidden_block_count_y
      - .offset:         48
        .size:           4
        .value_kind:     hidden_block_count_z
      - .offset:         52
        .size:           2
        .value_kind:     hidden_group_size_x
      - .offset:         54
        .size:           2
        .value_kind:     hidden_group_size_y
      - .offset:         56
        .size:           2
        .value_kind:     hidden_group_size_z
      - .offset:         58
        .size:           2
        .value_kind:     hidden_remainder_x
      - .offset:         60
        .size:           2
        .value_kind:     hidden_remainder_y
      - .offset:         62
        .size:           2
        .value_kind:     hidden_remainder_z
      - .offset:         80
        .size:           8
        .value_kind:     hidden_global_offset_x
      - .offset:         88
        .size:           8
        .value_kind:     hidden_global_offset_y
      - .offset:         96
        .size:           8
        .value_kind:     hidden_global_offset_z
      - .offset:         104
        .size:           2
        .value_kind:     hidden_grid_dims
      - .offset:         160
        .size:           4
        .value_kind:     hidden_dynamic_lds_size
    .group_segment_fixed_size: 0
    .kernarg_segment_align: 8
    .kernarg_segment_size: 296
    .language:       OpenCL C
    .language_version:
      - 2
      - 0
    .max_flat_workgroup_size: 1024
    .name:           _ZN2at6native12_GLOBAL__N_127cunn_SpatialSoftMaxBackwardIN3c108BFloat16EfS4_NS1_26LogSoftMaxBackwardEpilogueEEEvPT_PKT1_SA_jjj
    .private_segment_fixed_size: 0
    .sgpr_count:     42
    .sgpr_spill_count: 0
    .symbol:         _ZN2at6native12_GLOBAL__N_127cunn_SpatialSoftMaxBackwardIN3c108BFloat16EfS4_NS1_26LogSoftMaxBackwardEpilogueEEEvPT_PKT1_SA_jjj.kd
    .uniform_work_group_size: 1
    .uses_dynamic_stack: false
    .vgpr_count:     24
    .vgpr_spill_count: 0
    .wavefront_size: 64
  - .agpr_count:     0
    .args:
      - .address_space:  global
        .offset:         0
        .size:           8
        .value_kind:     global_buffer
      - .address_space:  global
        .offset:         8
        .size:           8
        .value_kind:     global_buffer
      - .address_space:  global
        .offset:         16
        .size:           8
        .value_kind:     global_buffer
      - .offset:         24
        .size:           4
        .value_kind:     by_value
      - .offset:         28
        .size:           4
        .value_kind:     by_value
      - .offset:         32
        .size:           4
        .value_kind:     by_value
      - .offset:         40
        .size:           4
        .value_kind:     hidden_block_count_x
      - .offset:         44
        .size:           4
        .value_kind:     hidden_block_count_y
      - .offset:         48
        .size:           4
        .value_kind:     hidden_block_count_z
      - .offset:         52
        .size:           2
        .value_kind:     hidden_group_size_x
      - .offset:         54
        .size:           2
        .value_kind:     hidden_group_size_y
      - .offset:         56
        .size:           2
        .value_kind:     hidden_group_size_z
      - .offset:         58
        .size:           2
        .value_kind:     hidden_remainder_x
      - .offset:         60
        .size:           2
        .value_kind:     hidden_remainder_y
      - .offset:         62
        .size:           2
        .value_kind:     hidden_remainder_z
      - .offset:         80
        .size:           8
        .value_kind:     hidden_global_offset_x
      - .offset:         88
        .size:           8
        .value_kind:     hidden_global_offset_y
      - .offset:         96
        .size:           8
        .value_kind:     hidden_global_offset_z
      - .offset:         104
        .size:           2
        .value_kind:     hidden_grid_dims
      - .offset:         160
        .size:           4
        .value_kind:     hidden_dynamic_lds_size
    .group_segment_fixed_size: 0
    .kernarg_segment_align: 8
    .kernarg_segment_size: 296
    .language:       OpenCL C
    .language_version:
      - 2
      - 0
    .max_flat_workgroup_size: 1024
    .name:           _ZN2at6native12_GLOBAL__N_127cunn_SpatialSoftMaxBackwardIN3c108BFloat16EffNS1_26LogSoftMaxBackwardEpilogueEEEvPT_PKT1_SA_jjj
    .private_segment_fixed_size: 0
    .sgpr_count:     56
    .sgpr_spill_count: 0
    .symbol:         _ZN2at6native12_GLOBAL__N_127cunn_SpatialSoftMaxBackwardIN3c108BFloat16EffNS1_26LogSoftMaxBackwardEpilogueEEEvPT_PKT1_SA_jjj.kd
    .uniform_work_group_size: 1
    .uses_dynamic_stack: false
    .vgpr_count:     29
    .vgpr_spill_count: 0
    .wavefront_size: 64
  - .agpr_count:     0
    .args:
      - .address_space:  global
        .offset:         0
        .size:           8
        .value_kind:     global_buffer
      - .address_space:  global
        .offset:         8
        .size:           8
        .value_kind:     global_buffer
      - .offset:         16
        .size:           4
        .value_kind:     by_value
      - .offset:         20
        .size:           4
        .value_kind:     by_value
      - .offset:         24
        .size:           4
        .value_kind:     by_value
      - .address_space:  global
        .offset:         32
        .size:           8
        .value_kind:     global_buffer
      - .offset:         40
        .size:           4
        .value_kind:     by_value
      - .offset:         44
        .size:           1
        .value_kind:     by_value
      - .offset:         48
        .size:           4
        .value_kind:     hidden_block_count_x
      - .offset:         52
        .size:           4
        .value_kind:     hidden_block_count_y
      - .offset:         56
        .size:           4
        .value_kind:     hidden_block_count_z
      - .offset:         60
        .size:           2
        .value_kind:     hidden_group_size_x
      - .offset:         62
        .size:           2
        .value_kind:     hidden_group_size_y
      - .offset:         64
        .size:           2
        .value_kind:     hidden_group_size_z
      - .offset:         66
        .size:           2
        .value_kind:     hidden_remainder_x
      - .offset:         68
        .size:           2
        .value_kind:     hidden_remainder_y
      - .offset:         70
        .size:           2
        .value_kind:     hidden_remainder_z
      - .offset:         88
        .size:           8
        .value_kind:     hidden_global_offset_x
      - .offset:         96
        .size:           8
        .value_kind:     hidden_global_offset_y
      - .offset:         104
        .size:           8
        .value_kind:     hidden_global_offset_z
      - .offset:         112
        .size:           2
        .value_kind:     hidden_grid_dims
    .group_segment_fixed_size: 0
    .kernarg_segment_align: 8
    .kernarg_segment_size: 304
    .language:       OpenCL C
    .language_version:
      - 2
      - 0
    .max_flat_workgroup_size: 1024
    .name:           _ZN12_GLOBAL__N_120softmax_warp_forwardIdddLi0ELb0ELb0ELi64EEEvPT0_PKT_iiiPKbib
    .private_segment_fixed_size: 0
    .sgpr_count:     20
    .sgpr_spill_count: 0
    .symbol:         _ZN12_GLOBAL__N_120softmax_warp_forwardIdddLi0ELb0ELb0ELi64EEEvPT0_PKT_iiiPKbib.kd
    .uniform_work_group_size: 1
    .uses_dynamic_stack: false
    .vgpr_count:     18
    .vgpr_spill_count: 0
    .wavefront_size: 64
  - .agpr_count:     0
    .args:
      - .address_space:  global
        .offset:         0
        .size:           8
        .value_kind:     global_buffer
      - .address_space:  global
        .offset:         8
        .size:           8
        .value_kind:     global_buffer
      - .offset:         16
        .size:           4
        .value_kind:     by_value
      - .offset:         20
        .size:           4
        .value_kind:     by_value
      - .offset:         24
        .size:           4
        .value_kind:     by_value
      - .address_space:  global
        .offset:         32
        .size:           8
        .value_kind:     global_buffer
      - .offset:         40
        .size:           4
        .value_kind:     by_value
      - .offset:         44
        .size:           1
        .value_kind:     by_value
      - .offset:         48
        .size:           4
        .value_kind:     hidden_block_count_x
      - .offset:         52
        .size:           4
        .value_kind:     hidden_block_count_y
      - .offset:         56
        .size:           4
        .value_kind:     hidden_block_count_z
      - .offset:         60
        .size:           2
        .value_kind:     hidden_group_size_x
      - .offset:         62
        .size:           2
        .value_kind:     hidden_group_size_y
      - .offset:         64
        .size:           2
        .value_kind:     hidden_group_size_z
      - .offset:         66
        .size:           2
        .value_kind:     hidden_remainder_x
      - .offset:         68
        .size:           2
        .value_kind:     hidden_remainder_y
      - .offset:         70
        .size:           2
        .value_kind:     hidden_remainder_z
      - .offset:         88
        .size:           8
        .value_kind:     hidden_global_offset_x
      - .offset:         96
        .size:           8
        .value_kind:     hidden_global_offset_y
      - .offset:         104
        .size:           8
        .value_kind:     hidden_global_offset_z
      - .offset:         112
        .size:           2
        .value_kind:     hidden_grid_dims
    .group_segment_fixed_size: 0
    .kernarg_segment_align: 8
    .kernarg_segment_size: 304
    .language:       OpenCL C
    .language_version:
      - 2
      - 0
    .max_flat_workgroup_size: 1024
    .name:           _ZN12_GLOBAL__N_120softmax_warp_forwardIdddLi0ELb0ELb0ELi32EEEvPT0_PKT_iiiPKbib
    .private_segment_fixed_size: 0
    .sgpr_count:     20
    .sgpr_spill_count: 0
    .symbol:         _ZN12_GLOBAL__N_120softmax_warp_forwardIdddLi0ELb0ELb0ELi32EEEvPT0_PKT_iiiPKbib.kd
    .uniform_work_group_size: 1
    .uses_dynamic_stack: false
    .vgpr_count:     18
    .vgpr_spill_count: 0
    .wavefront_size: 64
  - .agpr_count:     0
    .args:
      - .address_space:  global
        .offset:         0
        .size:           8
        .value_kind:     global_buffer
      - .address_space:  global
        .offset:         8
        .size:           8
        .value_kind:     global_buffer
      - .offset:         16
        .size:           4
        .value_kind:     by_value
      - .offset:         20
        .size:           4
        .value_kind:     by_value
      - .offset:         24
        .size:           4
        .value_kind:     by_value
      - .address_space:  global
        .offset:         32
        .size:           8
        .value_kind:     global_buffer
      - .offset:         40
        .size:           4
        .value_kind:     by_value
      - .offset:         44
        .size:           1
        .value_kind:     by_value
      - .offset:         48
        .size:           4
        .value_kind:     hidden_block_count_x
      - .offset:         52
        .size:           4
        .value_kind:     hidden_block_count_y
      - .offset:         56
        .size:           4
        .value_kind:     hidden_block_count_z
      - .offset:         60
        .size:           2
        .value_kind:     hidden_group_size_x
      - .offset:         62
        .size:           2
        .value_kind:     hidden_group_size_y
      - .offset:         64
        .size:           2
        .value_kind:     hidden_group_size_z
      - .offset:         66
        .size:           2
        .value_kind:     hidden_remainder_x
      - .offset:         68
        .size:           2
        .value_kind:     hidden_remainder_y
      - .offset:         70
        .size:           2
        .value_kind:     hidden_remainder_z
      - .offset:         88
        .size:           8
        .value_kind:     hidden_global_offset_x
      - .offset:         96
        .size:           8
        .value_kind:     hidden_global_offset_y
      - .offset:         104
        .size:           8
        .value_kind:     hidden_global_offset_z
      - .offset:         112
        .size:           2
        .value_kind:     hidden_grid_dims
    .group_segment_fixed_size: 0
    .kernarg_segment_align: 8
    .kernarg_segment_size: 304
    .language:       OpenCL C
    .language_version:
      - 2
      - 0
    .max_flat_workgroup_size: 1024
    .name:           _ZN12_GLOBAL__N_120softmax_warp_forwardIdddLi1ELb0ELb0ELi64EEEvPT0_PKT_iiiPKbib
    .private_segment_fixed_size: 0
    .sgpr_count:     44
    .sgpr_spill_count: 0
    .symbol:         _ZN12_GLOBAL__N_120softmax_warp_forwardIdddLi1ELb0ELb0ELi64EEEvPT0_PKT_iiiPKbib.kd
    .uniform_work_group_size: 1
    .uses_dynamic_stack: false
    .vgpr_count:     22
    .vgpr_spill_count: 0
    .wavefront_size: 64
  - .agpr_count:     0
    .args:
      - .address_space:  global
        .offset:         0
        .size:           8
        .value_kind:     global_buffer
      - .address_space:  global
        .offset:         8
        .size:           8
        .value_kind:     global_buffer
      - .offset:         16
        .size:           4
        .value_kind:     by_value
      - .offset:         20
        .size:           4
        .value_kind:     by_value
      - .offset:         24
        .size:           4
        .value_kind:     by_value
      - .address_space:  global
        .offset:         32
        .size:           8
        .value_kind:     global_buffer
      - .offset:         40
        .size:           4
        .value_kind:     by_value
      - .offset:         44
        .size:           1
        .value_kind:     by_value
      - .offset:         48
        .size:           4
        .value_kind:     hidden_block_count_x
      - .offset:         52
        .size:           4
        .value_kind:     hidden_block_count_y
      - .offset:         56
        .size:           4
        .value_kind:     hidden_block_count_z
      - .offset:         60
        .size:           2
        .value_kind:     hidden_group_size_x
      - .offset:         62
        .size:           2
        .value_kind:     hidden_group_size_y
      - .offset:         64
        .size:           2
        .value_kind:     hidden_group_size_z
      - .offset:         66
        .size:           2
        .value_kind:     hidden_remainder_x
      - .offset:         68
        .size:           2
        .value_kind:     hidden_remainder_y
      - .offset:         70
        .size:           2
        .value_kind:     hidden_remainder_z
      - .offset:         88
        .size:           8
        .value_kind:     hidden_global_offset_x
      - .offset:         96
        .size:           8
        .value_kind:     hidden_global_offset_y
      - .offset:         104
        .size:           8
        .value_kind:     hidden_global_offset_z
      - .offset:         112
        .size:           2
        .value_kind:     hidden_grid_dims
    .group_segment_fixed_size: 0
    .kernarg_segment_align: 8
    .kernarg_segment_size: 304
    .language:       OpenCL C
    .language_version:
      - 2
      - 0
    .max_flat_workgroup_size: 1024
    .name:           _ZN12_GLOBAL__N_120softmax_warp_forwardIdddLi1ELb0ELb0ELi32EEEvPT0_PKT_iiiPKbib
    .private_segment_fixed_size: 0
    .sgpr_count:     44
    .sgpr_spill_count: 0
    .symbol:         _ZN12_GLOBAL__N_120softmax_warp_forwardIdddLi1ELb0ELb0ELi32EEEvPT0_PKT_iiiPKbib.kd
    .uniform_work_group_size: 1
    .uses_dynamic_stack: false
    .vgpr_count:     22
    .vgpr_spill_count: 0
    .wavefront_size: 64
  - .agpr_count:     0
    .args:
      - .address_space:  global
        .offset:         0
        .size:           8
        .value_kind:     global_buffer
      - .address_space:  global
        .offset:         8
        .size:           8
        .value_kind:     global_buffer
      - .offset:         16
        .size:           4
        .value_kind:     by_value
      - .offset:         20
        .size:           4
        .value_kind:     by_value
      - .offset:         24
        .size:           4
        .value_kind:     by_value
      - .address_space:  global
        .offset:         32
        .size:           8
        .value_kind:     global_buffer
      - .offset:         40
        .size:           4
        .value_kind:     by_value
      - .offset:         44
        .size:           1
        .value_kind:     by_value
      - .offset:         48
        .size:           4
        .value_kind:     hidden_block_count_x
      - .offset:         52
        .size:           4
        .value_kind:     hidden_block_count_y
      - .offset:         56
        .size:           4
        .value_kind:     hidden_block_count_z
      - .offset:         60
        .size:           2
        .value_kind:     hidden_group_size_x
      - .offset:         62
        .size:           2
        .value_kind:     hidden_group_size_y
      - .offset:         64
        .size:           2
        .value_kind:     hidden_group_size_z
      - .offset:         66
        .size:           2
        .value_kind:     hidden_remainder_x
      - .offset:         68
        .size:           2
        .value_kind:     hidden_remainder_y
      - .offset:         70
        .size:           2
        .value_kind:     hidden_remainder_z
      - .offset:         88
        .size:           8
        .value_kind:     hidden_global_offset_x
      - .offset:         96
        .size:           8
        .value_kind:     hidden_global_offset_y
      - .offset:         104
        .size:           8
        .value_kind:     hidden_global_offset_z
      - .offset:         112
        .size:           2
        .value_kind:     hidden_grid_dims
    .group_segment_fixed_size: 0
    .kernarg_segment_align: 8
    .kernarg_segment_size: 304
    .language:       OpenCL C
    .language_version:
      - 2
      - 0
    .max_flat_workgroup_size: 1024
    .name:           _ZN12_GLOBAL__N_120softmax_warp_forwardIdddLi2ELb0ELb0ELi64EEEvPT0_PKT_iiiPKbib
    .private_segment_fixed_size: 0
    .sgpr_count:     44
    .sgpr_spill_count: 0
    .symbol:         _ZN12_GLOBAL__N_120softmax_warp_forwardIdddLi2ELb0ELb0ELi64EEEvPT0_PKT_iiiPKbib.kd
    .uniform_work_group_size: 1
    .uses_dynamic_stack: false
    .vgpr_count:     22
    .vgpr_spill_count: 0
    .wavefront_size: 64
  - .agpr_count:     0
    .args:
      - .address_space:  global
        .offset:         0
        .size:           8
        .value_kind:     global_buffer
      - .address_space:  global
        .offset:         8
        .size:           8
        .value_kind:     global_buffer
      - .offset:         16
        .size:           4
        .value_kind:     by_value
      - .offset:         20
        .size:           4
        .value_kind:     by_value
      - .offset:         24
        .size:           4
        .value_kind:     by_value
      - .address_space:  global
        .offset:         32
        .size:           8
        .value_kind:     global_buffer
      - .offset:         40
        .size:           4
        .value_kind:     by_value
      - .offset:         44
        .size:           1
        .value_kind:     by_value
      - .offset:         48
        .size:           4
        .value_kind:     hidden_block_count_x
      - .offset:         52
        .size:           4
        .value_kind:     hidden_block_count_y
      - .offset:         56
        .size:           4
        .value_kind:     hidden_block_count_z
      - .offset:         60
        .size:           2
        .value_kind:     hidden_group_size_x
      - .offset:         62
        .size:           2
        .value_kind:     hidden_group_size_y
      - .offset:         64
        .size:           2
        .value_kind:     hidden_group_size_z
      - .offset:         66
        .size:           2
        .value_kind:     hidden_remainder_x
      - .offset:         68
        .size:           2
        .value_kind:     hidden_remainder_y
      - .offset:         70
        .size:           2
        .value_kind:     hidden_remainder_z
      - .offset:         88
        .size:           8
        .value_kind:     hidden_global_offset_x
      - .offset:         96
        .size:           8
        .value_kind:     hidden_global_offset_y
      - .offset:         104
        .size:           8
        .value_kind:     hidden_global_offset_z
      - .offset:         112
        .size:           2
        .value_kind:     hidden_grid_dims
    .group_segment_fixed_size: 0
    .kernarg_segment_align: 8
    .kernarg_segment_size: 304
    .language:       OpenCL C
    .language_version:
      - 2
      - 0
    .max_flat_workgroup_size: 1024
    .name:           _ZN12_GLOBAL__N_120softmax_warp_forwardIdddLi2ELb0ELb0ELi32EEEvPT0_PKT_iiiPKbib
    .private_segment_fixed_size: 0
    .sgpr_count:     44
    .sgpr_spill_count: 0
    .symbol:         _ZN12_GLOBAL__N_120softmax_warp_forwardIdddLi2ELb0ELb0ELi32EEEvPT0_PKT_iiiPKbib.kd
    .uniform_work_group_size: 1
    .uses_dynamic_stack: false
    .vgpr_count:     22
    .vgpr_spill_count: 0
    .wavefront_size: 64
  - .agpr_count:     0
    .args:
      - .address_space:  global
        .offset:         0
        .size:           8
        .value_kind:     global_buffer
      - .address_space:  global
        .offset:         8
        .size:           8
        .value_kind:     global_buffer
      - .offset:         16
        .size:           4
        .value_kind:     by_value
      - .offset:         20
        .size:           4
        .value_kind:     by_value
      - .offset:         24
        .size:           4
        .value_kind:     by_value
      - .address_space:  global
        .offset:         32
        .size:           8
        .value_kind:     global_buffer
      - .offset:         40
        .size:           4
        .value_kind:     by_value
      - .offset:         44
        .size:           1
        .value_kind:     by_value
      - .offset:         48
        .size:           4
        .value_kind:     hidden_block_count_x
      - .offset:         52
        .size:           4
        .value_kind:     hidden_block_count_y
      - .offset:         56
        .size:           4
        .value_kind:     hidden_block_count_z
      - .offset:         60
        .size:           2
        .value_kind:     hidden_group_size_x
      - .offset:         62
        .size:           2
        .value_kind:     hidden_group_size_y
      - .offset:         64
        .size:           2
        .value_kind:     hidden_group_size_z
      - .offset:         66
        .size:           2
        .value_kind:     hidden_remainder_x
      - .offset:         68
        .size:           2
        .value_kind:     hidden_remainder_y
      - .offset:         70
        .size:           2
        .value_kind:     hidden_remainder_z
      - .offset:         88
        .size:           8
        .value_kind:     hidden_global_offset_x
      - .offset:         96
        .size:           8
        .value_kind:     hidden_global_offset_y
      - .offset:         104
        .size:           8
        .value_kind:     hidden_global_offset_z
      - .offset:         112
        .size:           2
        .value_kind:     hidden_grid_dims
    .group_segment_fixed_size: 0
    .kernarg_segment_align: 8
    .kernarg_segment_size: 304
    .language:       OpenCL C
    .language_version:
      - 2
      - 0
    .max_flat_workgroup_size: 1024
    .name:           _ZN12_GLOBAL__N_120softmax_warp_forwardIdddLi3ELb0ELb0ELi64EEEvPT0_PKT_iiiPKbib
    .private_segment_fixed_size: 0
    .sgpr_count:     44
    .sgpr_spill_count: 0
    .symbol:         _ZN12_GLOBAL__N_120softmax_warp_forwardIdddLi3ELb0ELb0ELi64EEEvPT0_PKT_iiiPKbib.kd
    .uniform_work_group_size: 1
    .uses_dynamic_stack: false
    .vgpr_count:     22
    .vgpr_spill_count: 0
    .wavefront_size: 64
  - .agpr_count:     0
    .args:
      - .address_space:  global
        .offset:         0
        .size:           8
        .value_kind:     global_buffer
      - .address_space:  global
        .offset:         8
        .size:           8
        .value_kind:     global_buffer
      - .offset:         16
        .size:           4
        .value_kind:     by_value
      - .offset:         20
        .size:           4
        .value_kind:     by_value
      - .offset:         24
        .size:           4
        .value_kind:     by_value
      - .address_space:  global
        .offset:         32
        .size:           8
        .value_kind:     global_buffer
      - .offset:         40
        .size:           4
        .value_kind:     by_value
      - .offset:         44
        .size:           1
        .value_kind:     by_value
      - .offset:         48
        .size:           4
        .value_kind:     hidden_block_count_x
      - .offset:         52
        .size:           4
        .value_kind:     hidden_block_count_y
      - .offset:         56
        .size:           4
        .value_kind:     hidden_block_count_z
      - .offset:         60
        .size:           2
        .value_kind:     hidden_group_size_x
      - .offset:         62
        .size:           2
        .value_kind:     hidden_group_size_y
      - .offset:         64
        .size:           2
        .value_kind:     hidden_group_size_z
      - .offset:         66
        .size:           2
        .value_kind:     hidden_remainder_x
      - .offset:         68
        .size:           2
        .value_kind:     hidden_remainder_y
      - .offset:         70
        .size:           2
        .value_kind:     hidden_remainder_z
      - .offset:         88
        .size:           8
        .value_kind:     hidden_global_offset_x
      - .offset:         96
        .size:           8
        .value_kind:     hidden_global_offset_y
      - .offset:         104
        .size:           8
        .value_kind:     hidden_global_offset_z
      - .offset:         112
        .size:           2
        .value_kind:     hidden_grid_dims
    .group_segment_fixed_size: 0
    .kernarg_segment_align: 8
    .kernarg_segment_size: 304
    .language:       OpenCL C
    .language_version:
      - 2
      - 0
    .max_flat_workgroup_size: 1024
    .name:           _ZN12_GLOBAL__N_120softmax_warp_forwardIdddLi3ELb0ELb0ELi32EEEvPT0_PKT_iiiPKbib
    .private_segment_fixed_size: 0
    .sgpr_count:     44
    .sgpr_spill_count: 0
    .symbol:         _ZN12_GLOBAL__N_120softmax_warp_forwardIdddLi3ELb0ELb0ELi32EEEvPT0_PKT_iiiPKbib.kd
    .uniform_work_group_size: 1
    .uses_dynamic_stack: false
    .vgpr_count:     22
    .vgpr_spill_count: 0
    .wavefront_size: 64
  - .agpr_count:     0
    .args:
      - .address_space:  global
        .offset:         0
        .size:           8
        .value_kind:     global_buffer
      - .address_space:  global
        .offset:         8
        .size:           8
        .value_kind:     global_buffer
      - .offset:         16
        .size:           4
        .value_kind:     by_value
      - .offset:         20
        .size:           4
        .value_kind:     by_value
      - .offset:         24
        .size:           4
        .value_kind:     by_value
      - .address_space:  global
        .offset:         32
        .size:           8
        .value_kind:     global_buffer
      - .offset:         40
        .size:           4
        .value_kind:     by_value
      - .offset:         44
        .size:           1
        .value_kind:     by_value
      - .offset:         48
        .size:           4
        .value_kind:     hidden_block_count_x
      - .offset:         52
        .size:           4
        .value_kind:     hidden_block_count_y
      - .offset:         56
        .size:           4
        .value_kind:     hidden_block_count_z
      - .offset:         60
        .size:           2
        .value_kind:     hidden_group_size_x
      - .offset:         62
        .size:           2
        .value_kind:     hidden_group_size_y
      - .offset:         64
        .size:           2
        .value_kind:     hidden_group_size_z
      - .offset:         66
        .size:           2
        .value_kind:     hidden_remainder_x
      - .offset:         68
        .size:           2
        .value_kind:     hidden_remainder_y
      - .offset:         70
        .size:           2
        .value_kind:     hidden_remainder_z
      - .offset:         88
        .size:           8
        .value_kind:     hidden_global_offset_x
      - .offset:         96
        .size:           8
        .value_kind:     hidden_global_offset_y
      - .offset:         104
        .size:           8
        .value_kind:     hidden_global_offset_z
      - .offset:         112
        .size:           2
        .value_kind:     hidden_grid_dims
    .group_segment_fixed_size: 0
    .kernarg_segment_align: 8
    .kernarg_segment_size: 304
    .language:       OpenCL C
    .language_version:
      - 2
      - 0
    .max_flat_workgroup_size: 1024
    .name:           _ZN12_GLOBAL__N_120softmax_warp_forwardIdddLi4ELb0ELb0ELi64EEEvPT0_PKT_iiiPKbib
    .private_segment_fixed_size: 0
    .sgpr_count:     44
    .sgpr_spill_count: 0
    .symbol:         _ZN12_GLOBAL__N_120softmax_warp_forwardIdddLi4ELb0ELb0ELi64EEEvPT0_PKT_iiiPKbib.kd
    .uniform_work_group_size: 1
    .uses_dynamic_stack: false
    .vgpr_count:     22
    .vgpr_spill_count: 0
    .wavefront_size: 64
  - .agpr_count:     0
    .args:
      - .address_space:  global
        .offset:         0
        .size:           8
        .value_kind:     global_buffer
      - .address_space:  global
        .offset:         8
        .size:           8
        .value_kind:     global_buffer
      - .offset:         16
        .size:           4
        .value_kind:     by_value
      - .offset:         20
        .size:           4
        .value_kind:     by_value
      - .offset:         24
        .size:           4
        .value_kind:     by_value
      - .address_space:  global
        .offset:         32
        .size:           8
        .value_kind:     global_buffer
      - .offset:         40
        .size:           4
        .value_kind:     by_value
      - .offset:         44
        .size:           1
        .value_kind:     by_value
      - .offset:         48
        .size:           4
        .value_kind:     hidden_block_count_x
      - .offset:         52
        .size:           4
        .value_kind:     hidden_block_count_y
      - .offset:         56
        .size:           4
        .value_kind:     hidden_block_count_z
      - .offset:         60
        .size:           2
        .value_kind:     hidden_group_size_x
      - .offset:         62
        .size:           2
        .value_kind:     hidden_group_size_y
      - .offset:         64
        .size:           2
        .value_kind:     hidden_group_size_z
      - .offset:         66
        .size:           2
        .value_kind:     hidden_remainder_x
      - .offset:         68
        .size:           2
        .value_kind:     hidden_remainder_y
      - .offset:         70
        .size:           2
        .value_kind:     hidden_remainder_z
      - .offset:         88
        .size:           8
        .value_kind:     hidden_global_offset_x
      - .offset:         96
        .size:           8
        .value_kind:     hidden_global_offset_y
      - .offset:         104
        .size:           8
        .value_kind:     hidden_global_offset_z
      - .offset:         112
        .size:           2
        .value_kind:     hidden_grid_dims
    .group_segment_fixed_size: 0
    .kernarg_segment_align: 8
    .kernarg_segment_size: 304
    .language:       OpenCL C
    .language_version:
      - 2
      - 0
    .max_flat_workgroup_size: 1024
    .name:           _ZN12_GLOBAL__N_120softmax_warp_forwardIdddLi4ELb0ELb0ELi32EEEvPT0_PKT_iiiPKbib
    .private_segment_fixed_size: 0
    .sgpr_count:     44
    .sgpr_spill_count: 0
    .symbol:         _ZN12_GLOBAL__N_120softmax_warp_forwardIdddLi4ELb0ELb0ELi32EEEvPT0_PKT_iiiPKbib.kd
    .uniform_work_group_size: 1
    .uses_dynamic_stack: false
    .vgpr_count:     22
    .vgpr_spill_count: 0
    .wavefront_size: 64
  - .agpr_count:     0
    .args:
      - .address_space:  global
        .offset:         0
        .size:           8
        .value_kind:     global_buffer
      - .address_space:  global
        .offset:         8
        .size:           8
        .value_kind:     global_buffer
      - .offset:         16
        .size:           4
        .value_kind:     by_value
      - .offset:         20
        .size:           4
        .value_kind:     by_value
      - .offset:         24
        .size:           4
        .value_kind:     by_value
      - .address_space:  global
        .offset:         32
        .size:           8
        .value_kind:     global_buffer
      - .offset:         40
        .size:           4
        .value_kind:     by_value
      - .offset:         44
        .size:           1
        .value_kind:     by_value
      - .offset:         48
        .size:           4
        .value_kind:     hidden_block_count_x
      - .offset:         52
        .size:           4
        .value_kind:     hidden_block_count_y
      - .offset:         56
        .size:           4
        .value_kind:     hidden_block_count_z
      - .offset:         60
        .size:           2
        .value_kind:     hidden_group_size_x
      - .offset:         62
        .size:           2
        .value_kind:     hidden_group_size_y
      - .offset:         64
        .size:           2
        .value_kind:     hidden_group_size_z
      - .offset:         66
        .size:           2
        .value_kind:     hidden_remainder_x
      - .offset:         68
        .size:           2
        .value_kind:     hidden_remainder_y
      - .offset:         70
        .size:           2
        .value_kind:     hidden_remainder_z
      - .offset:         88
        .size:           8
        .value_kind:     hidden_global_offset_x
      - .offset:         96
        .size:           8
        .value_kind:     hidden_global_offset_y
      - .offset:         104
        .size:           8
        .value_kind:     hidden_global_offset_z
      - .offset:         112
        .size:           2
        .value_kind:     hidden_grid_dims
    .group_segment_fixed_size: 0
    .kernarg_segment_align: 8
    .kernarg_segment_size: 304
    .language:       OpenCL C
    .language_version:
      - 2
      - 0
    .max_flat_workgroup_size: 1024
    .name:           _ZN12_GLOBAL__N_120softmax_warp_forwardIdddLi5ELb0ELb0ELi64EEEvPT0_PKT_iiiPKbib
    .private_segment_fixed_size: 0
    .sgpr_count:     44
    .sgpr_spill_count: 0
    .symbol:         _ZN12_GLOBAL__N_120softmax_warp_forwardIdddLi5ELb0ELb0ELi64EEEvPT0_PKT_iiiPKbib.kd
    .uniform_work_group_size: 1
    .uses_dynamic_stack: false
    .vgpr_count:     23
    .vgpr_spill_count: 0
    .wavefront_size: 64
  - .agpr_count:     0
    .args:
      - .address_space:  global
        .offset:         0
        .size:           8
        .value_kind:     global_buffer
      - .address_space:  global
        .offset:         8
        .size:           8
        .value_kind:     global_buffer
      - .offset:         16
        .size:           4
        .value_kind:     by_value
      - .offset:         20
        .size:           4
        .value_kind:     by_value
      - .offset:         24
        .size:           4
        .value_kind:     by_value
      - .address_space:  global
        .offset:         32
        .size:           8
        .value_kind:     global_buffer
      - .offset:         40
        .size:           4
        .value_kind:     by_value
      - .offset:         44
        .size:           1
        .value_kind:     by_value
      - .offset:         48
        .size:           4
        .value_kind:     hidden_block_count_x
      - .offset:         52
        .size:           4
        .value_kind:     hidden_block_count_y
      - .offset:         56
        .size:           4
        .value_kind:     hidden_block_count_z
      - .offset:         60
        .size:           2
        .value_kind:     hidden_group_size_x
      - .offset:         62
        .size:           2
        .value_kind:     hidden_group_size_y
      - .offset:         64
        .size:           2
        .value_kind:     hidden_group_size_z
      - .offset:         66
        .size:           2
        .value_kind:     hidden_remainder_x
      - .offset:         68
        .size:           2
        .value_kind:     hidden_remainder_y
      - .offset:         70
        .size:           2
        .value_kind:     hidden_remainder_z
      - .offset:         88
        .size:           8
        .value_kind:     hidden_global_offset_x
      - .offset:         96
        .size:           8
        .value_kind:     hidden_global_offset_y
      - .offset:         104
        .size:           8
        .value_kind:     hidden_global_offset_z
      - .offset:         112
        .size:           2
        .value_kind:     hidden_grid_dims
    .group_segment_fixed_size: 0
    .kernarg_segment_align: 8
    .kernarg_segment_size: 304
    .language:       OpenCL C
    .language_version:
      - 2
      - 0
    .max_flat_workgroup_size: 1024
    .name:           _ZN12_GLOBAL__N_120softmax_warp_forwardIdddLi5ELb0ELb0ELi32EEEvPT0_PKT_iiiPKbib
    .private_segment_fixed_size: 0
    .sgpr_count:     44
    .sgpr_spill_count: 0
    .symbol:         _ZN12_GLOBAL__N_120softmax_warp_forwardIdddLi5ELb0ELb0ELi32EEEvPT0_PKT_iiiPKbib.kd
    .uniform_work_group_size: 1
    .uses_dynamic_stack: false
    .vgpr_count:     23
    .vgpr_spill_count: 0
    .wavefront_size: 64
  - .agpr_count:     0
    .args:
      - .address_space:  global
        .offset:         0
        .size:           8
        .value_kind:     global_buffer
      - .address_space:  global
        .offset:         8
        .size:           8
        .value_kind:     global_buffer
      - .offset:         16
        .size:           4
        .value_kind:     by_value
      - .offset:         20
        .size:           4
        .value_kind:     by_value
      - .offset:         24
        .size:           4
        .value_kind:     by_value
      - .address_space:  global
        .offset:         32
        .size:           8
        .value_kind:     global_buffer
      - .offset:         40
        .size:           4
        .value_kind:     by_value
      - .offset:         44
        .size:           1
        .value_kind:     by_value
      - .offset:         48
        .size:           4
        .value_kind:     hidden_block_count_x
      - .offset:         52
        .size:           4
        .value_kind:     hidden_block_count_y
      - .offset:         56
        .size:           4
        .value_kind:     hidden_block_count_z
      - .offset:         60
        .size:           2
        .value_kind:     hidden_group_size_x
      - .offset:         62
        .size:           2
        .value_kind:     hidden_group_size_y
      - .offset:         64
        .size:           2
        .value_kind:     hidden_group_size_z
      - .offset:         66
        .size:           2
        .value_kind:     hidden_remainder_x
      - .offset:         68
        .size:           2
        .value_kind:     hidden_remainder_y
      - .offset:         70
        .size:           2
        .value_kind:     hidden_remainder_z
      - .offset:         88
        .size:           8
        .value_kind:     hidden_global_offset_x
      - .offset:         96
        .size:           8
        .value_kind:     hidden_global_offset_y
      - .offset:         104
        .size:           8
        .value_kind:     hidden_global_offset_z
      - .offset:         112
        .size:           2
        .value_kind:     hidden_grid_dims
    .group_segment_fixed_size: 0
    .kernarg_segment_align: 8
    .kernarg_segment_size: 304
    .language:       OpenCL C
    .language_version:
      - 2
      - 0
    .max_flat_workgroup_size: 1024
    .name:           _ZN12_GLOBAL__N_120softmax_warp_forwardIdddLi6ELb0ELb0ELi64EEEvPT0_PKT_iiiPKbib
    .private_segment_fixed_size: 0
    .sgpr_count:     44
    .sgpr_spill_count: 0
    .symbol:         _ZN12_GLOBAL__N_120softmax_warp_forwardIdddLi6ELb0ELb0ELi64EEEvPT0_PKT_iiiPKbib.kd
    .uniform_work_group_size: 1
    .uses_dynamic_stack: false
    .vgpr_count:     24
    .vgpr_spill_count: 0
    .wavefront_size: 64
  - .agpr_count:     0
    .args:
      - .address_space:  global
        .offset:         0
        .size:           8
        .value_kind:     global_buffer
      - .address_space:  global
        .offset:         8
        .size:           8
        .value_kind:     global_buffer
      - .offset:         16
        .size:           4
        .value_kind:     by_value
      - .offset:         20
        .size:           4
        .value_kind:     by_value
      - .offset:         24
        .size:           4
        .value_kind:     by_value
      - .address_space:  global
        .offset:         32
        .size:           8
        .value_kind:     global_buffer
      - .offset:         40
        .size:           4
        .value_kind:     by_value
      - .offset:         44
        .size:           1
        .value_kind:     by_value
      - .offset:         48
        .size:           4
        .value_kind:     hidden_block_count_x
      - .offset:         52
        .size:           4
        .value_kind:     hidden_block_count_y
      - .offset:         56
        .size:           4
        .value_kind:     hidden_block_count_z
      - .offset:         60
        .size:           2
        .value_kind:     hidden_group_size_x
      - .offset:         62
        .size:           2
        .value_kind:     hidden_group_size_y
      - .offset:         64
        .size:           2
        .value_kind:     hidden_group_size_z
      - .offset:         66
        .size:           2
        .value_kind:     hidden_remainder_x
      - .offset:         68
        .size:           2
        .value_kind:     hidden_remainder_y
      - .offset:         70
        .size:           2
        .value_kind:     hidden_remainder_z
      - .offset:         88
        .size:           8
        .value_kind:     hidden_global_offset_x
      - .offset:         96
        .size:           8
        .value_kind:     hidden_global_offset_y
      - .offset:         104
        .size:           8
        .value_kind:     hidden_global_offset_z
      - .offset:         112
        .size:           2
        .value_kind:     hidden_grid_dims
    .group_segment_fixed_size: 0
    .kernarg_segment_align: 8
    .kernarg_segment_size: 304
    .language:       OpenCL C
    .language_version:
      - 2
      - 0
    .max_flat_workgroup_size: 1024
    .name:           _ZN12_GLOBAL__N_120softmax_warp_forwardIdddLi6ELb0ELb0ELi32EEEvPT0_PKT_iiiPKbib
    .private_segment_fixed_size: 0
    .sgpr_count:     46
    .sgpr_spill_count: 0
    .symbol:         _ZN12_GLOBAL__N_120softmax_warp_forwardIdddLi6ELb0ELb0ELi32EEEvPT0_PKT_iiiPKbib.kd
    .uniform_work_group_size: 1
    .uses_dynamic_stack: false
    .vgpr_count:     29
    .vgpr_spill_count: 0
    .wavefront_size: 64
  - .agpr_count:     0
    .args:
      - .address_space:  global
        .offset:         0
        .size:           8
        .value_kind:     global_buffer
      - .address_space:  global
        .offset:         8
        .size:           8
        .value_kind:     global_buffer
      - .offset:         16
        .size:           4
        .value_kind:     by_value
      - .offset:         20
        .size:           4
        .value_kind:     by_value
      - .offset:         24
        .size:           4
        .value_kind:     by_value
      - .address_space:  global
        .offset:         32
        .size:           8
        .value_kind:     global_buffer
      - .offset:         40
        .size:           4
        .value_kind:     by_value
      - .offset:         44
        .size:           1
        .value_kind:     by_value
      - .offset:         48
        .size:           4
        .value_kind:     hidden_block_count_x
      - .offset:         52
        .size:           4
        .value_kind:     hidden_block_count_y
      - .offset:         56
        .size:           4
        .value_kind:     hidden_block_count_z
      - .offset:         60
        .size:           2
        .value_kind:     hidden_group_size_x
      - .offset:         62
        .size:           2
        .value_kind:     hidden_group_size_y
      - .offset:         64
        .size:           2
        .value_kind:     hidden_group_size_z
      - .offset:         66
        .size:           2
        .value_kind:     hidden_remainder_x
      - .offset:         68
        .size:           2
        .value_kind:     hidden_remainder_y
      - .offset:         70
        .size:           2
        .value_kind:     hidden_remainder_z
      - .offset:         88
        .size:           8
        .value_kind:     hidden_global_offset_x
      - .offset:         96
        .size:           8
        .value_kind:     hidden_global_offset_y
      - .offset:         104
        .size:           8
        .value_kind:     hidden_global_offset_z
      - .offset:         112
        .size:           2
        .value_kind:     hidden_grid_dims
    .group_segment_fixed_size: 0
    .kernarg_segment_align: 8
    .kernarg_segment_size: 304
    .language:       OpenCL C
    .language_version:
      - 2
      - 0
    .max_flat_workgroup_size: 1024
    .name:           _ZN12_GLOBAL__N_120softmax_warp_forwardIdddLi7ELb0ELb0ELi64EEEvPT0_PKT_iiiPKbib
    .private_segment_fixed_size: 0
    .sgpr_count:     46
    .sgpr_spill_count: 0
    .symbol:         _ZN12_GLOBAL__N_120softmax_warp_forwardIdddLi7ELb0ELb0ELi64EEEvPT0_PKT_iiiPKbib.kd
    .uniform_work_group_size: 1
    .uses_dynamic_stack: false
    .vgpr_count:     30
    .vgpr_spill_count: 0
    .wavefront_size: 64
  - .agpr_count:     0
    .args:
      - .address_space:  global
        .offset:         0
        .size:           8
        .value_kind:     global_buffer
      - .address_space:  global
        .offset:         8
        .size:           8
        .value_kind:     global_buffer
      - .offset:         16
        .size:           4
        .value_kind:     by_value
      - .offset:         20
        .size:           4
        .value_kind:     by_value
      - .offset:         24
        .size:           4
        .value_kind:     by_value
      - .address_space:  global
        .offset:         32
        .size:           8
        .value_kind:     global_buffer
      - .offset:         40
        .size:           4
        .value_kind:     by_value
      - .offset:         44
        .size:           1
        .value_kind:     by_value
      - .offset:         48
        .size:           4
        .value_kind:     hidden_block_count_x
      - .offset:         52
        .size:           4
        .value_kind:     hidden_block_count_y
      - .offset:         56
        .size:           4
        .value_kind:     hidden_block_count_z
      - .offset:         60
        .size:           2
        .value_kind:     hidden_group_size_x
      - .offset:         62
        .size:           2
        .value_kind:     hidden_group_size_y
      - .offset:         64
        .size:           2
        .value_kind:     hidden_group_size_z
      - .offset:         66
        .size:           2
        .value_kind:     hidden_remainder_x
      - .offset:         68
        .size:           2
        .value_kind:     hidden_remainder_y
      - .offset:         70
        .size:           2
        .value_kind:     hidden_remainder_z
      - .offset:         88
        .size:           8
        .value_kind:     hidden_global_offset_x
      - .offset:         96
        .size:           8
        .value_kind:     hidden_global_offset_y
      - .offset:         104
        .size:           8
        .value_kind:     hidden_global_offset_z
      - .offset:         112
        .size:           2
        .value_kind:     hidden_grid_dims
    .group_segment_fixed_size: 0
    .kernarg_segment_align: 8
    .kernarg_segment_size: 304
    .language:       OpenCL C
    .language_version:
      - 2
      - 0
    .max_flat_workgroup_size: 1024
    .name:           _ZN12_GLOBAL__N_120softmax_warp_forwardIdddLi7ELb0ELb0ELi32EEEvPT0_PKT_iiiPKbib
    .private_segment_fixed_size: 0
    .sgpr_count:     50
    .sgpr_spill_count: 0
    .symbol:         _ZN12_GLOBAL__N_120softmax_warp_forwardIdddLi7ELb0ELb0ELi32EEEvPT0_PKT_iiiPKbib.kd
    .uniform_work_group_size: 1
    .uses_dynamic_stack: false
    .vgpr_count:     39
    .vgpr_spill_count: 0
    .wavefront_size: 64
  - .agpr_count:     0
    .args:
      - .address_space:  global
        .offset:         0
        .size:           8
        .value_kind:     global_buffer
      - .address_space:  global
        .offset:         8
        .size:           8
        .value_kind:     global_buffer
      - .offset:         16
        .size:           4
        .value_kind:     by_value
      - .offset:         20
        .size:           4
        .value_kind:     by_value
      - .offset:         24
        .size:           4
        .value_kind:     by_value
      - .address_space:  global
        .offset:         32
        .size:           8
        .value_kind:     global_buffer
      - .offset:         40
        .size:           4
        .value_kind:     by_value
      - .offset:         44
        .size:           1
        .value_kind:     by_value
      - .offset:         48
        .size:           4
        .value_kind:     hidden_block_count_x
      - .offset:         52
        .size:           4
        .value_kind:     hidden_block_count_y
      - .offset:         56
        .size:           4
        .value_kind:     hidden_block_count_z
      - .offset:         60
        .size:           2
        .value_kind:     hidden_group_size_x
      - .offset:         62
        .size:           2
        .value_kind:     hidden_group_size_y
      - .offset:         64
        .size:           2
        .value_kind:     hidden_group_size_z
      - .offset:         66
        .size:           2
        .value_kind:     hidden_remainder_x
      - .offset:         68
        .size:           2
        .value_kind:     hidden_remainder_y
      - .offset:         70
        .size:           2
        .value_kind:     hidden_remainder_z
      - .offset:         88
        .size:           8
        .value_kind:     hidden_global_offset_x
      - .offset:         96
        .size:           8
        .value_kind:     hidden_global_offset_y
      - .offset:         104
        .size:           8
        .value_kind:     hidden_global_offset_z
      - .offset:         112
        .size:           2
        .value_kind:     hidden_grid_dims
    .group_segment_fixed_size: 0
    .kernarg_segment_align: 8
    .kernarg_segment_size: 304
    .language:       OpenCL C
    .language_version:
      - 2
      - 0
    .max_flat_workgroup_size: 1024
    .name:           _ZN12_GLOBAL__N_120softmax_warp_forwardIdddLi8ELb0ELb0ELi64EEEvPT0_PKT_iiiPKbib
    .private_segment_fixed_size: 0
    .sgpr_count:     46
    .sgpr_spill_count: 0
    .symbol:         _ZN12_GLOBAL__N_120softmax_warp_forwardIdddLi8ELb0ELb0ELi64EEEvPT0_PKT_iiiPKbib.kd
    .uniform_work_group_size: 1
    .uses_dynamic_stack: false
    .vgpr_count:     30
    .vgpr_spill_count: 0
    .wavefront_size: 64
  - .agpr_count:     0
    .args:
      - .address_space:  global
        .offset:         0
        .size:           8
        .value_kind:     global_buffer
      - .address_space:  global
        .offset:         8
        .size:           8
        .value_kind:     global_buffer
      - .offset:         16
        .size:           4
        .value_kind:     by_value
      - .offset:         20
        .size:           4
        .value_kind:     by_value
      - .offset:         24
        .size:           4
        .value_kind:     by_value
      - .address_space:  global
        .offset:         32
        .size:           8
        .value_kind:     global_buffer
      - .offset:         40
        .size:           4
        .value_kind:     by_value
      - .offset:         44
        .size:           1
        .value_kind:     by_value
      - .offset:         48
        .size:           4
        .value_kind:     hidden_block_count_x
      - .offset:         52
        .size:           4
        .value_kind:     hidden_block_count_y
      - .offset:         56
        .size:           4
        .value_kind:     hidden_block_count_z
      - .offset:         60
        .size:           2
        .value_kind:     hidden_group_size_x
      - .offset:         62
        .size:           2
        .value_kind:     hidden_group_size_y
      - .offset:         64
        .size:           2
        .value_kind:     hidden_group_size_z
      - .offset:         66
        .size:           2
        .value_kind:     hidden_remainder_x
      - .offset:         68
        .size:           2
        .value_kind:     hidden_remainder_y
      - .offset:         70
        .size:           2
        .value_kind:     hidden_remainder_z
      - .offset:         88
        .size:           8
        .value_kind:     hidden_global_offset_x
      - .offset:         96
        .size:           8
        .value_kind:     hidden_global_offset_y
      - .offset:         104
        .size:           8
        .value_kind:     hidden_global_offset_z
      - .offset:         112
        .size:           2
        .value_kind:     hidden_grid_dims
    .group_segment_fixed_size: 0
    .kernarg_segment_align: 8
    .kernarg_segment_size: 304
    .language:       OpenCL C
    .language_version:
      - 2
      - 0
    .max_flat_workgroup_size: 1024
    .name:           _ZN12_GLOBAL__N_120softmax_warp_forwardIdddLi8ELb0ELb0ELi32EEEvPT0_PKT_iiiPKbib
    .private_segment_fixed_size: 0
    .sgpr_count:     54
    .sgpr_spill_count: 0
    .symbol:         _ZN12_GLOBAL__N_120softmax_warp_forwardIdddLi8ELb0ELb0ELi32EEEvPT0_PKT_iiiPKbib.kd
    .uniform_work_group_size: 1
    .uses_dynamic_stack: false
    .vgpr_count:     37
    .vgpr_spill_count: 0
    .wavefront_size: 64
  - .agpr_count:     0
    .args:
      - .address_space:  global
        .offset:         0
        .size:           8
        .value_kind:     global_buffer
      - .address_space:  global
        .offset:         8
        .size:           8
        .value_kind:     global_buffer
      - .offset:         16
        .size:           4
        .value_kind:     by_value
      - .offset:         20
        .size:           4
        .value_kind:     by_value
      - .offset:         24
        .size:           4
        .value_kind:     by_value
      - .address_space:  global
        .offset:         32
        .size:           8
        .value_kind:     global_buffer
      - .offset:         40
        .size:           4
        .value_kind:     by_value
      - .offset:         44
        .size:           1
        .value_kind:     by_value
      - .offset:         48
        .size:           4
        .value_kind:     hidden_block_count_x
      - .offset:         52
        .size:           4
        .value_kind:     hidden_block_count_y
      - .offset:         56
        .size:           4
        .value_kind:     hidden_block_count_z
      - .offset:         60
        .size:           2
        .value_kind:     hidden_group_size_x
      - .offset:         62
        .size:           2
        .value_kind:     hidden_group_size_y
      - .offset:         64
        .size:           2
        .value_kind:     hidden_group_size_z
      - .offset:         66
        .size:           2
        .value_kind:     hidden_remainder_x
      - .offset:         68
        .size:           2
        .value_kind:     hidden_remainder_y
      - .offset:         70
        .size:           2
        .value_kind:     hidden_remainder_z
      - .offset:         88
        .size:           8
        .value_kind:     hidden_global_offset_x
      - .offset:         96
        .size:           8
        .value_kind:     hidden_global_offset_y
      - .offset:         104
        .size:           8
        .value_kind:     hidden_global_offset_z
      - .offset:         112
        .size:           2
        .value_kind:     hidden_grid_dims
    .group_segment_fixed_size: 0
    .kernarg_segment_align: 8
    .kernarg_segment_size: 304
    .language:       OpenCL C
    .language_version:
      - 2
      - 0
    .max_flat_workgroup_size: 1024
    .name:           _ZN12_GLOBAL__N_120softmax_warp_forwardIdddLi9ELb0ELb0ELi64EEEvPT0_PKT_iiiPKbib
    .private_segment_fixed_size: 0
    .sgpr_count:     54
    .sgpr_spill_count: 0
    .symbol:         _ZN12_GLOBAL__N_120softmax_warp_forwardIdddLi9ELb0ELb0ELi64EEEvPT0_PKT_iiiPKbib.kd
    .uniform_work_group_size: 1
    .uses_dynamic_stack: false
    .vgpr_count:     38
    .vgpr_spill_count: 0
    .wavefront_size: 64
  - .agpr_count:     0
    .args:
      - .address_space:  global
        .offset:         0
        .size:           8
        .value_kind:     global_buffer
      - .address_space:  global
        .offset:         8
        .size:           8
        .value_kind:     global_buffer
      - .offset:         16
        .size:           4
        .value_kind:     by_value
      - .offset:         20
        .size:           4
        .value_kind:     by_value
      - .offset:         24
        .size:           4
        .value_kind:     by_value
      - .address_space:  global
        .offset:         32
        .size:           8
        .value_kind:     global_buffer
      - .offset:         40
        .size:           4
        .value_kind:     by_value
      - .offset:         44
        .size:           1
        .value_kind:     by_value
      - .offset:         48
        .size:           4
        .value_kind:     hidden_block_count_x
      - .offset:         52
        .size:           4
        .value_kind:     hidden_block_count_y
      - .offset:         56
        .size:           4
        .value_kind:     hidden_block_count_z
      - .offset:         60
        .size:           2
        .value_kind:     hidden_group_size_x
      - .offset:         62
        .size:           2
        .value_kind:     hidden_group_size_y
      - .offset:         64
        .size:           2
        .value_kind:     hidden_group_size_z
      - .offset:         66
        .size:           2
        .value_kind:     hidden_remainder_x
      - .offset:         68
        .size:           2
        .value_kind:     hidden_remainder_y
      - .offset:         70
        .size:           2
        .value_kind:     hidden_remainder_z
      - .offset:         88
        .size:           8
        .value_kind:     hidden_global_offset_x
      - .offset:         96
        .size:           8
        .value_kind:     hidden_global_offset_y
      - .offset:         104
        .size:           8
        .value_kind:     hidden_global_offset_z
      - .offset:         112
        .size:           2
        .value_kind:     hidden_grid_dims
    .group_segment_fixed_size: 0
    .kernarg_segment_align: 8
    .kernarg_segment_size: 304
    .language:       OpenCL C
    .language_version:
      - 2
      - 0
    .max_flat_workgroup_size: 1024
    .name:           _ZN12_GLOBAL__N_120softmax_warp_forwardIdddLi9ELb0ELb0ELi32EEEvPT0_PKT_iiiPKbib
    .private_segment_fixed_size: 0
    .sgpr_count:     70
    .sgpr_spill_count: 0
    .symbol:         _ZN12_GLOBAL__N_120softmax_warp_forwardIdddLi9ELb0ELb0ELi32EEEvPT0_PKT_iiiPKbib.kd
    .uniform_work_group_size: 1
    .uses_dynamic_stack: false
    .vgpr_count:     54
    .vgpr_spill_count: 0
    .wavefront_size: 64
  - .agpr_count:     0
    .args:
      - .address_space:  global
        .offset:         0
        .size:           8
        .value_kind:     global_buffer
      - .address_space:  global
        .offset:         8
        .size:           8
        .value_kind:     global_buffer
      - .offset:         16
        .size:           4
        .value_kind:     by_value
      - .offset:         20
        .size:           4
        .value_kind:     by_value
      - .offset:         24
        .size:           4
        .value_kind:     by_value
      - .address_space:  global
        .offset:         32
        .size:           8
        .value_kind:     global_buffer
      - .offset:         40
        .size:           4
        .value_kind:     by_value
      - .offset:         44
        .size:           1
        .value_kind:     by_value
      - .offset:         48
        .size:           4
        .value_kind:     hidden_block_count_x
      - .offset:         52
        .size:           4
        .value_kind:     hidden_block_count_y
      - .offset:         56
        .size:           4
        .value_kind:     hidden_block_count_z
      - .offset:         60
        .size:           2
        .value_kind:     hidden_group_size_x
      - .offset:         62
        .size:           2
        .value_kind:     hidden_group_size_y
      - .offset:         64
        .size:           2
        .value_kind:     hidden_group_size_z
      - .offset:         66
        .size:           2
        .value_kind:     hidden_remainder_x
      - .offset:         68
        .size:           2
        .value_kind:     hidden_remainder_y
      - .offset:         70
        .size:           2
        .value_kind:     hidden_remainder_z
      - .offset:         88
        .size:           8
        .value_kind:     hidden_global_offset_x
      - .offset:         96
        .size:           8
        .value_kind:     hidden_global_offset_y
      - .offset:         104
        .size:           8
        .value_kind:     hidden_global_offset_z
      - .offset:         112
        .size:           2
        .value_kind:     hidden_grid_dims
    .group_segment_fixed_size: 0
    .kernarg_segment_align: 8
    .kernarg_segment_size: 304
    .language:       OpenCL C
    .language_version:
      - 2
      - 0
    .max_flat_workgroup_size: 1024
    .name:           _ZN12_GLOBAL__N_120softmax_warp_forwardIdddLi10ELb0ELb0ELi64EEEvPT0_PKT_iiiPKbib
    .private_segment_fixed_size: 0
    .sgpr_count:     70
    .sgpr_spill_count: 0
    .symbol:         _ZN12_GLOBAL__N_120softmax_warp_forwardIdddLi10ELb0ELb0ELi64EEEvPT0_PKT_iiiPKbib.kd
    .uniform_work_group_size: 1
    .uses_dynamic_stack: false
    .vgpr_count:     54
    .vgpr_spill_count: 0
    .wavefront_size: 64
  - .agpr_count:     0
    .args:
      - .address_space:  global
        .offset:         0
        .size:           8
        .value_kind:     global_buffer
      - .address_space:  global
        .offset:         8
        .size:           8
        .value_kind:     global_buffer
      - .offset:         16
        .size:           4
        .value_kind:     by_value
      - .offset:         20
        .size:           4
        .value_kind:     by_value
      - .offset:         24
        .size:           4
        .value_kind:     by_value
      - .address_space:  global
        .offset:         32
        .size:           8
        .value_kind:     global_buffer
      - .offset:         40
        .size:           4
        .value_kind:     by_value
      - .offset:         44
        .size:           1
        .value_kind:     by_value
      - .offset:         48
        .size:           4
        .value_kind:     hidden_block_count_x
      - .offset:         52
        .size:           4
        .value_kind:     hidden_block_count_y
      - .offset:         56
        .size:           4
        .value_kind:     hidden_block_count_z
      - .offset:         60
        .size:           2
        .value_kind:     hidden_group_size_x
      - .offset:         62
        .size:           2
        .value_kind:     hidden_group_size_y
      - .offset:         64
        .size:           2
        .value_kind:     hidden_group_size_z
      - .offset:         66
        .size:           2
        .value_kind:     hidden_remainder_x
      - .offset:         68
        .size:           2
        .value_kind:     hidden_remainder_y
      - .offset:         70
        .size:           2
        .value_kind:     hidden_remainder_z
      - .offset:         88
        .size:           8
        .value_kind:     hidden_global_offset_x
      - .offset:         96
        .size:           8
        .value_kind:     hidden_global_offset_y
      - .offset:         104
        .size:           8
        .value_kind:     hidden_global_offset_z
      - .offset:         112
        .size:           2
        .value_kind:     hidden_grid_dims
    .group_segment_fixed_size: 0
    .kernarg_segment_align: 8
    .kernarg_segment_size: 304
    .language:       OpenCL C
    .language_version:
      - 2
      - 0
    .max_flat_workgroup_size: 1024
    .name:           _ZN12_GLOBAL__N_120softmax_warp_forwardIdddLi10ELb0ELb0ELi32EEEvPT0_PKT_iiiPKbib
    .private_segment_fixed_size: 0
    .sgpr_count:     100
    .sgpr_spill_count: 2
    .symbol:         _ZN12_GLOBAL__N_120softmax_warp_forwardIdddLi10ELb0ELb0ELi32EEEvPT0_PKT_iiiPKbib.kd
    .uniform_work_group_size: 1
    .uses_dynamic_stack: false
    .vgpr_count:     85
    .vgpr_spill_count: 0
    .wavefront_size: 64
  - .agpr_count:     0
    .args:
      - .address_space:  global
        .offset:         0
        .size:           8
        .value_kind:     global_buffer
      - .address_space:  global
        .offset:         8
        .size:           8
        .value_kind:     global_buffer
      - .offset:         16
        .size:           4
        .value_kind:     by_value
      - .offset:         20
        .size:           4
        .value_kind:     by_value
      - .offset:         24
        .size:           4
        .value_kind:     by_value
      - .address_space:  global
        .offset:         32
        .size:           8
        .value_kind:     global_buffer
      - .offset:         40
        .size:           4
        .value_kind:     by_value
      - .offset:         44
        .size:           1
        .value_kind:     by_value
      - .offset:         48
        .size:           4
        .value_kind:     hidden_block_count_x
      - .offset:         52
        .size:           4
        .value_kind:     hidden_block_count_y
      - .offset:         56
        .size:           4
        .value_kind:     hidden_block_count_z
      - .offset:         60
        .size:           2
        .value_kind:     hidden_group_size_x
      - .offset:         62
        .size:           2
        .value_kind:     hidden_group_size_y
      - .offset:         64
        .size:           2
        .value_kind:     hidden_group_size_z
      - .offset:         66
        .size:           2
        .value_kind:     hidden_remainder_x
      - .offset:         68
        .size:           2
        .value_kind:     hidden_remainder_y
      - .offset:         70
        .size:           2
        .value_kind:     hidden_remainder_z
      - .offset:         88
        .size:           8
        .value_kind:     hidden_global_offset_x
      - .offset:         96
        .size:           8
        .value_kind:     hidden_global_offset_y
      - .offset:         104
        .size:           8
        .value_kind:     hidden_global_offset_z
      - .offset:         112
        .size:           2
        .value_kind:     hidden_grid_dims
    .group_segment_fixed_size: 0
    .kernarg_segment_align: 8
    .kernarg_segment_size: 304
    .language:       OpenCL C
    .language_version:
      - 2
      - 0
    .max_flat_workgroup_size: 1024
    .name:           _ZN12_GLOBAL__N_120softmax_warp_forwardIdddLi11ELb0ELb0ELi64EEEvPT0_PKT_iiiPKbib
    .private_segment_fixed_size: 0
    .sgpr_count:     100
    .sgpr_spill_count: 2
    .symbol:         _ZN12_GLOBAL__N_120softmax_warp_forwardIdddLi11ELb0ELb0ELi64EEEvPT0_PKT_iiiPKbib.kd
    .uniform_work_group_size: 1
    .uses_dynamic_stack: false
    .vgpr_count:     85
    .vgpr_spill_count: 0
    .wavefront_size: 64
  - .agpr_count:     0
    .args:
      - .address_space:  global
        .offset:         0
        .size:           8
        .value_kind:     global_buffer
      - .address_space:  global
        .offset:         8
        .size:           8
        .value_kind:     global_buffer
      - .offset:         16
        .size:           4
        .value_kind:     by_value
      - .offset:         20
        .size:           4
        .value_kind:     by_value
      - .offset:         24
        .size:           4
        .value_kind:     by_value
      - .address_space:  global
        .offset:         32
        .size:           8
        .value_kind:     global_buffer
      - .offset:         40
        .size:           4
        .value_kind:     by_value
      - .offset:         44
        .size:           1
        .value_kind:     by_value
      - .offset:         48
        .size:           4
        .value_kind:     hidden_block_count_x
      - .offset:         52
        .size:           4
        .value_kind:     hidden_block_count_y
      - .offset:         56
        .size:           4
        .value_kind:     hidden_block_count_z
      - .offset:         60
        .size:           2
        .value_kind:     hidden_group_size_x
      - .offset:         62
        .size:           2
        .value_kind:     hidden_group_size_y
      - .offset:         64
        .size:           2
        .value_kind:     hidden_group_size_z
      - .offset:         66
        .size:           2
        .value_kind:     hidden_remainder_x
      - .offset:         68
        .size:           2
        .value_kind:     hidden_remainder_y
      - .offset:         70
        .size:           2
        .value_kind:     hidden_remainder_z
      - .offset:         88
        .size:           8
        .value_kind:     hidden_global_offset_x
      - .offset:         96
        .size:           8
        .value_kind:     hidden_global_offset_y
      - .offset:         104
        .size:           8
        .value_kind:     hidden_global_offset_z
      - .offset:         112
        .size:           2
        .value_kind:     hidden_grid_dims
    .group_segment_fixed_size: 0
    .kernarg_segment_align: 8
    .kernarg_segment_size: 304
    .language:       OpenCL C
    .language_version:
      - 2
      - 0
    .max_flat_workgroup_size: 1024
    .name:           _ZN12_GLOBAL__N_120softmax_warp_forwardIdddLi11ELb0ELb0ELi32EEEvPT0_PKT_iiiPKbib
    .private_segment_fixed_size: 292
    .sgpr_count:     104
    .sgpr_spill_count: 66
    .symbol:         _ZN12_GLOBAL__N_120softmax_warp_forwardIdddLi11ELb0ELb0ELi32EEEvPT0_PKT_iiiPKbib.kd
    .uniform_work_group_size: 1
    .uses_dynamic_stack: false
    .vgpr_count:     128
    .vgpr_spill_count: 128
    .wavefront_size: 64
  - .agpr_count:     0
    .args:
      - .address_space:  global
        .offset:         0
        .size:           8
        .value_kind:     global_buffer
      - .address_space:  global
        .offset:         8
        .size:           8
        .value_kind:     global_buffer
      - .offset:         16
        .size:           8
        .value_kind:     by_value
      - .offset:         24
        .size:           4
        .value_kind:     hidden_block_count_x
      - .offset:         28
        .size:           4
        .value_kind:     hidden_block_count_y
      - .offset:         32
        .size:           4
        .value_kind:     hidden_block_count_z
      - .offset:         36
        .size:           2
        .value_kind:     hidden_group_size_x
      - .offset:         38
        .size:           2
        .value_kind:     hidden_group_size_y
      - .offset:         40
        .size:           2
        .value_kind:     hidden_group_size_z
      - .offset:         42
        .size:           2
        .value_kind:     hidden_remainder_x
      - .offset:         44
        .size:           2
        .value_kind:     hidden_remainder_y
      - .offset:         46
        .size:           2
        .value_kind:     hidden_remainder_z
      - .offset:         64
        .size:           8
        .value_kind:     hidden_global_offset_x
      - .offset:         72
        .size:           8
        .value_kind:     hidden_global_offset_y
      - .offset:         80
        .size:           8
        .value_kind:     hidden_global_offset_z
      - .offset:         88
        .size:           2
        .value_kind:     hidden_grid_dims
      - .offset:         144
        .size:           4
        .value_kind:     hidden_dynamic_lds_size
    .group_segment_fixed_size: 0
    .kernarg_segment_align: 8
    .kernarg_segment_size: 280
    .language:       OpenCL C
    .language_version:
      - 2
      - 0
    .max_flat_workgroup_size: 1024
    .name:           _ZN2at6native12_GLOBAL__N_123cunn_SoftMaxForwardGmemILi2EdddNS1_29SoftMaxForwardWithMulEpilogueElEEvPT2_PKT0_T4_
    .private_segment_fixed_size: 0
    .sgpr_count:     31
    .sgpr_spill_count: 0
    .symbol:         _ZN2at6native12_GLOBAL__N_123cunn_SoftMaxForwardGmemILi2EdddNS1_29SoftMaxForwardWithMulEpilogueElEEvPT2_PKT0_T4_.kd
    .uniform_work_group_size: 1
    .uses_dynamic_stack: false
    .vgpr_count:     28
    .vgpr_spill_count: 0
    .wavefront_size: 64
  - .agpr_count:     0
    .args:
      - .address_space:  global
        .offset:         0
        .size:           8
        .value_kind:     global_buffer
      - .address_space:  global
        .offset:         8
        .size:           8
        .value_kind:     global_buffer
      - .offset:         16
        .size:           4
        .value_kind:     by_value
      - .offset:         24
        .size:           4
        .value_kind:     hidden_block_count_x
      - .offset:         28
        .size:           4
        .value_kind:     hidden_block_count_y
      - .offset:         32
        .size:           4
        .value_kind:     hidden_block_count_z
      - .offset:         36
        .size:           2
        .value_kind:     hidden_group_size_x
      - .offset:         38
        .size:           2
        .value_kind:     hidden_group_size_y
      - .offset:         40
        .size:           2
        .value_kind:     hidden_group_size_z
      - .offset:         42
        .size:           2
        .value_kind:     hidden_remainder_x
      - .offset:         44
        .size:           2
        .value_kind:     hidden_remainder_y
      - .offset:         46
        .size:           2
        .value_kind:     hidden_remainder_z
      - .offset:         64
        .size:           8
        .value_kind:     hidden_global_offset_x
      - .offset:         72
        .size:           8
        .value_kind:     hidden_global_offset_y
      - .offset:         80
        .size:           8
        .value_kind:     hidden_global_offset_z
      - .offset:         88
        .size:           2
        .value_kind:     hidden_grid_dims
      - .offset:         144
        .size:           4
        .value_kind:     hidden_dynamic_lds_size
    .group_segment_fixed_size: 0
    .kernarg_segment_align: 8
    .kernarg_segment_size: 280
    .language:       OpenCL C
    .language_version:
      - 2
      - 0
    .max_flat_workgroup_size: 1024
    .name:           _ZN2at6native12_GLOBAL__N_123cunn_SoftMaxForwardFastILi2EdddNS1_29SoftMaxForwardWithMulEpilogueEEEvPT2_PKT0_i
    .private_segment_fixed_size: 0
    .sgpr_count:     30
    .sgpr_spill_count: 0
    .symbol:         _ZN2at6native12_GLOBAL__N_123cunn_SoftMaxForwardFastILi2EdddNS1_29SoftMaxForwardWithMulEpilogueEEEvPT2_PKT0_i.kd
    .uniform_work_group_size: 1
    .uses_dynamic_stack: false
    .vgpr_count:     22
    .vgpr_spill_count: 0
    .wavefront_size: 64
  - .agpr_count:     0
    .args:
      - .address_space:  global
        .offset:         0
        .size:           8
        .value_kind:     global_buffer
      - .address_space:  global
        .offset:         8
        .size:           8
        .value_kind:     global_buffer
      - .offset:         16
        .size:           4
        .value_kind:     by_value
      - .offset:         20
        .size:           4
        .value_kind:     by_value
      - .offset:         24
        .size:           4
        .value_kind:     by_value
      - .address_space:  global
        .offset:         32
        .size:           8
        .value_kind:     global_buffer
      - .offset:         40
        .size:           4
        .value_kind:     by_value
      - .offset:         44
        .size:           1
        .value_kind:     by_value
      - .offset:         48
        .size:           4
        .value_kind:     hidden_block_count_x
      - .offset:         52
        .size:           4
        .value_kind:     hidden_block_count_y
      - .offset:         56
        .size:           4
        .value_kind:     hidden_block_count_z
      - .offset:         60
        .size:           2
        .value_kind:     hidden_group_size_x
      - .offset:         62
        .size:           2
        .value_kind:     hidden_group_size_y
      - .offset:         64
        .size:           2
        .value_kind:     hidden_group_size_z
      - .offset:         66
        .size:           2
        .value_kind:     hidden_remainder_x
      - .offset:         68
        .size:           2
        .value_kind:     hidden_remainder_y
      - .offset:         70
        .size:           2
        .value_kind:     hidden_remainder_z
      - .offset:         88
        .size:           8
        .value_kind:     hidden_global_offset_x
      - .offset:         96
        .size:           8
        .value_kind:     hidden_global_offset_y
      - .offset:         104
        .size:           8
        .value_kind:     hidden_global_offset_z
      - .offset:         112
        .size:           2
        .value_kind:     hidden_grid_dims
    .group_segment_fixed_size: 0
    .kernarg_segment_align: 8
    .kernarg_segment_size: 304
    .language:       OpenCL C
    .language_version:
      - 2
      - 0
    .max_flat_workgroup_size: 1024
    .name:           _ZN12_GLOBAL__N_120softmax_warp_forwardIfffLi0ELb0ELb0ELi64EEEvPT0_PKT_iiiPKbib
    .private_segment_fixed_size: 0
    .sgpr_count:     20
    .sgpr_spill_count: 0
    .symbol:         _ZN12_GLOBAL__N_120softmax_warp_forwardIfffLi0ELb0ELb0ELi64EEEvPT0_PKT_iiiPKbib.kd
    .uniform_work_group_size: 1
    .uses_dynamic_stack: false
    .vgpr_count:     9
    .vgpr_spill_count: 0
    .wavefront_size: 64
  - .agpr_count:     0
    .args:
      - .address_space:  global
        .offset:         0
        .size:           8
        .value_kind:     global_buffer
      - .address_space:  global
        .offset:         8
        .size:           8
        .value_kind:     global_buffer
      - .offset:         16
        .size:           4
        .value_kind:     by_value
      - .offset:         20
        .size:           4
        .value_kind:     by_value
      - .offset:         24
        .size:           4
        .value_kind:     by_value
      - .address_space:  global
        .offset:         32
        .size:           8
        .value_kind:     global_buffer
      - .offset:         40
        .size:           4
        .value_kind:     by_value
      - .offset:         44
        .size:           1
        .value_kind:     by_value
      - .offset:         48
        .size:           4
        .value_kind:     hidden_block_count_x
      - .offset:         52
        .size:           4
        .value_kind:     hidden_block_count_y
      - .offset:         56
        .size:           4
        .value_kind:     hidden_block_count_z
      - .offset:         60
        .size:           2
        .value_kind:     hidden_group_size_x
      - .offset:         62
        .size:           2
        .value_kind:     hidden_group_size_y
      - .offset:         64
        .size:           2
        .value_kind:     hidden_group_size_z
      - .offset:         66
        .size:           2
        .value_kind:     hidden_remainder_x
      - .offset:         68
        .size:           2
        .value_kind:     hidden_remainder_y
      - .offset:         70
        .size:           2
        .value_kind:     hidden_remainder_z
      - .offset:         88
        .size:           8
        .value_kind:     hidden_global_offset_x
      - .offset:         96
        .size:           8
        .value_kind:     hidden_global_offset_y
      - .offset:         104
        .size:           8
        .value_kind:     hidden_global_offset_z
      - .offset:         112
        .size:           2
        .value_kind:     hidden_grid_dims
    .group_segment_fixed_size: 0
    .kernarg_segment_align: 8
    .kernarg_segment_size: 304
    .language:       OpenCL C
    .language_version:
      - 2
      - 0
    .max_flat_workgroup_size: 1024
    .name:           _ZN12_GLOBAL__N_120softmax_warp_forwardIfffLi0ELb0ELb0ELi32EEEvPT0_PKT_iiiPKbib
    .private_segment_fixed_size: 0
    .sgpr_count:     20
    .sgpr_spill_count: 0
    .symbol:         _ZN12_GLOBAL__N_120softmax_warp_forwardIfffLi0ELb0ELb0ELi32EEEvPT0_PKT_iiiPKbib.kd
    .uniform_work_group_size: 1
    .uses_dynamic_stack: false
    .vgpr_count:     9
    .vgpr_spill_count: 0
    .wavefront_size: 64
  - .agpr_count:     0
    .args:
      - .address_space:  global
        .offset:         0
        .size:           8
        .value_kind:     global_buffer
      - .address_space:  global
        .offset:         8
        .size:           8
        .value_kind:     global_buffer
      - .offset:         16
        .size:           4
        .value_kind:     by_value
      - .offset:         20
        .size:           4
        .value_kind:     by_value
      - .offset:         24
        .size:           4
        .value_kind:     by_value
      - .address_space:  global
        .offset:         32
        .size:           8
        .value_kind:     global_buffer
      - .offset:         40
        .size:           4
        .value_kind:     by_value
      - .offset:         44
        .size:           1
        .value_kind:     by_value
      - .offset:         48
        .size:           4
        .value_kind:     hidden_block_count_x
      - .offset:         52
        .size:           4
        .value_kind:     hidden_block_count_y
      - .offset:         56
        .size:           4
        .value_kind:     hidden_block_count_z
      - .offset:         60
        .size:           2
        .value_kind:     hidden_group_size_x
      - .offset:         62
        .size:           2
        .value_kind:     hidden_group_size_y
      - .offset:         64
        .size:           2
        .value_kind:     hidden_group_size_z
      - .offset:         66
        .size:           2
        .value_kind:     hidden_remainder_x
      - .offset:         68
        .size:           2
        .value_kind:     hidden_remainder_y
      - .offset:         70
        .size:           2
        .value_kind:     hidden_remainder_z
      - .offset:         88
        .size:           8
        .value_kind:     hidden_global_offset_x
      - .offset:         96
        .size:           8
        .value_kind:     hidden_global_offset_y
      - .offset:         104
        .size:           8
        .value_kind:     hidden_global_offset_z
      - .offset:         112
        .size:           2
        .value_kind:     hidden_grid_dims
    .group_segment_fixed_size: 0
    .kernarg_segment_align: 8
    .kernarg_segment_size: 304
    .language:       OpenCL C
    .language_version:
      - 2
      - 0
    .max_flat_workgroup_size: 1024
    .name:           _ZN12_GLOBAL__N_120softmax_warp_forwardIfffLi1ELb0ELb0ELi64EEEvPT0_PKT_iiiPKbib
    .private_segment_fixed_size: 0
    .sgpr_count:     20
    .sgpr_spill_count: 0
    .symbol:         _ZN12_GLOBAL__N_120softmax_warp_forwardIfffLi1ELb0ELb0ELi64EEEvPT0_PKT_iiiPKbib.kd
    .uniform_work_group_size: 1
    .uses_dynamic_stack: false
    .vgpr_count:     12
    .vgpr_spill_count: 0
    .wavefront_size: 64
  - .agpr_count:     0
    .args:
      - .address_space:  global
        .offset:         0
        .size:           8
        .value_kind:     global_buffer
      - .address_space:  global
        .offset:         8
        .size:           8
        .value_kind:     global_buffer
      - .offset:         16
        .size:           4
        .value_kind:     by_value
      - .offset:         20
        .size:           4
        .value_kind:     by_value
      - .offset:         24
        .size:           4
        .value_kind:     by_value
      - .address_space:  global
        .offset:         32
        .size:           8
        .value_kind:     global_buffer
      - .offset:         40
        .size:           4
        .value_kind:     by_value
      - .offset:         44
        .size:           1
        .value_kind:     by_value
      - .offset:         48
        .size:           4
        .value_kind:     hidden_block_count_x
      - .offset:         52
        .size:           4
        .value_kind:     hidden_block_count_y
      - .offset:         56
        .size:           4
        .value_kind:     hidden_block_count_z
      - .offset:         60
        .size:           2
        .value_kind:     hidden_group_size_x
      - .offset:         62
        .size:           2
        .value_kind:     hidden_group_size_y
      - .offset:         64
        .size:           2
        .value_kind:     hidden_group_size_z
      - .offset:         66
        .size:           2
        .value_kind:     hidden_remainder_x
      - .offset:         68
        .size:           2
        .value_kind:     hidden_remainder_y
      - .offset:         70
        .size:           2
        .value_kind:     hidden_remainder_z
      - .offset:         88
        .size:           8
        .value_kind:     hidden_global_offset_x
      - .offset:         96
        .size:           8
        .value_kind:     hidden_global_offset_y
      - .offset:         104
        .size:           8
        .value_kind:     hidden_global_offset_z
      - .offset:         112
        .size:           2
        .value_kind:     hidden_grid_dims
    .group_segment_fixed_size: 0
    .kernarg_segment_align: 8
    .kernarg_segment_size: 304
    .language:       OpenCL C
    .language_version:
      - 2
      - 0
    .max_flat_workgroup_size: 1024
    .name:           _ZN12_GLOBAL__N_120softmax_warp_forwardIfffLi1ELb0ELb0ELi32EEEvPT0_PKT_iiiPKbib
    .private_segment_fixed_size: 0
    .sgpr_count:     20
    .sgpr_spill_count: 0
    .symbol:         _ZN12_GLOBAL__N_120softmax_warp_forwardIfffLi1ELb0ELb0ELi32EEEvPT0_PKT_iiiPKbib.kd
    .uniform_work_group_size: 1
    .uses_dynamic_stack: false
    .vgpr_count:     12
    .vgpr_spill_count: 0
    .wavefront_size: 64
  - .agpr_count:     0
    .args:
      - .address_space:  global
        .offset:         0
        .size:           8
        .value_kind:     global_buffer
      - .address_space:  global
        .offset:         8
        .size:           8
        .value_kind:     global_buffer
      - .offset:         16
        .size:           4
        .value_kind:     by_value
      - .offset:         20
        .size:           4
        .value_kind:     by_value
      - .offset:         24
        .size:           4
        .value_kind:     by_value
      - .address_space:  global
        .offset:         32
        .size:           8
        .value_kind:     global_buffer
      - .offset:         40
        .size:           4
        .value_kind:     by_value
      - .offset:         44
        .size:           1
        .value_kind:     by_value
      - .offset:         48
        .size:           4
        .value_kind:     hidden_block_count_x
      - .offset:         52
        .size:           4
        .value_kind:     hidden_block_count_y
      - .offset:         56
        .size:           4
        .value_kind:     hidden_block_count_z
      - .offset:         60
        .size:           2
        .value_kind:     hidden_group_size_x
      - .offset:         62
        .size:           2
        .value_kind:     hidden_group_size_y
      - .offset:         64
        .size:           2
        .value_kind:     hidden_group_size_z
      - .offset:         66
        .size:           2
        .value_kind:     hidden_remainder_x
      - .offset:         68
        .size:           2
        .value_kind:     hidden_remainder_y
      - .offset:         70
        .size:           2
        .value_kind:     hidden_remainder_z
      - .offset:         88
        .size:           8
        .value_kind:     hidden_global_offset_x
      - .offset:         96
        .size:           8
        .value_kind:     hidden_global_offset_y
      - .offset:         104
        .size:           8
        .value_kind:     hidden_global_offset_z
      - .offset:         112
        .size:           2
        .value_kind:     hidden_grid_dims
    .group_segment_fixed_size: 0
    .kernarg_segment_align: 8
    .kernarg_segment_size: 304
    .language:       OpenCL C
    .language_version:
      - 2
      - 0
    .max_flat_workgroup_size: 1024
    .name:           _ZN12_GLOBAL__N_120softmax_warp_forwardIfffLi2ELb0ELb0ELi64EEEvPT0_PKT_iiiPKbib
    .private_segment_fixed_size: 0
    .sgpr_count:     20
    .sgpr_spill_count: 0
    .symbol:         _ZN12_GLOBAL__N_120softmax_warp_forwardIfffLi2ELb0ELb0ELi64EEEvPT0_PKT_iiiPKbib.kd
    .uniform_work_group_size: 1
    .uses_dynamic_stack: false
    .vgpr_count:     12
    .vgpr_spill_count: 0
    .wavefront_size: 64
  - .agpr_count:     0
    .args:
      - .address_space:  global
        .offset:         0
        .size:           8
        .value_kind:     global_buffer
      - .address_space:  global
        .offset:         8
        .size:           8
        .value_kind:     global_buffer
      - .offset:         16
        .size:           4
        .value_kind:     by_value
      - .offset:         20
        .size:           4
        .value_kind:     by_value
      - .offset:         24
        .size:           4
        .value_kind:     by_value
      - .address_space:  global
        .offset:         32
        .size:           8
        .value_kind:     global_buffer
      - .offset:         40
        .size:           4
        .value_kind:     by_value
      - .offset:         44
        .size:           1
        .value_kind:     by_value
      - .offset:         48
        .size:           4
        .value_kind:     hidden_block_count_x
      - .offset:         52
        .size:           4
        .value_kind:     hidden_block_count_y
      - .offset:         56
        .size:           4
        .value_kind:     hidden_block_count_z
      - .offset:         60
        .size:           2
        .value_kind:     hidden_group_size_x
      - .offset:         62
        .size:           2
        .value_kind:     hidden_group_size_y
      - .offset:         64
        .size:           2
        .value_kind:     hidden_group_size_z
      - .offset:         66
        .size:           2
        .value_kind:     hidden_remainder_x
      - .offset:         68
        .size:           2
        .value_kind:     hidden_remainder_y
      - .offset:         70
        .size:           2
        .value_kind:     hidden_remainder_z
      - .offset:         88
        .size:           8
        .value_kind:     hidden_global_offset_x
      - .offset:         96
        .size:           8
        .value_kind:     hidden_global_offset_y
      - .offset:         104
        .size:           8
        .value_kind:     hidden_global_offset_z
      - .offset:         112
        .size:           2
        .value_kind:     hidden_grid_dims
    .group_segment_fixed_size: 0
    .kernarg_segment_align: 8
    .kernarg_segment_size: 304
    .language:       OpenCL C
    .language_version:
      - 2
      - 0
    .max_flat_workgroup_size: 1024
    .name:           _ZN12_GLOBAL__N_120softmax_warp_forwardIfffLi2ELb0ELb0ELi32EEEvPT0_PKT_iiiPKbib
    .private_segment_fixed_size: 0
    .sgpr_count:     20
    .sgpr_spill_count: 0
    .symbol:         _ZN12_GLOBAL__N_120softmax_warp_forwardIfffLi2ELb0ELb0ELi32EEEvPT0_PKT_iiiPKbib.kd
    .uniform_work_group_size: 1
    .uses_dynamic_stack: false
    .vgpr_count:     12
    .vgpr_spill_count: 0
    .wavefront_size: 64
  - .agpr_count:     0
    .args:
      - .address_space:  global
        .offset:         0
        .size:           8
        .value_kind:     global_buffer
      - .address_space:  global
        .offset:         8
        .size:           8
        .value_kind:     global_buffer
      - .offset:         16
        .size:           4
        .value_kind:     by_value
      - .offset:         20
        .size:           4
        .value_kind:     by_value
      - .offset:         24
        .size:           4
        .value_kind:     by_value
      - .address_space:  global
        .offset:         32
        .size:           8
        .value_kind:     global_buffer
      - .offset:         40
        .size:           4
        .value_kind:     by_value
      - .offset:         44
        .size:           1
        .value_kind:     by_value
      - .offset:         48
        .size:           4
        .value_kind:     hidden_block_count_x
      - .offset:         52
        .size:           4
        .value_kind:     hidden_block_count_y
      - .offset:         56
        .size:           4
        .value_kind:     hidden_block_count_z
      - .offset:         60
        .size:           2
        .value_kind:     hidden_group_size_x
      - .offset:         62
        .size:           2
        .value_kind:     hidden_group_size_y
      - .offset:         64
        .size:           2
        .value_kind:     hidden_group_size_z
      - .offset:         66
        .size:           2
        .value_kind:     hidden_remainder_x
      - .offset:         68
        .size:           2
        .value_kind:     hidden_remainder_y
      - .offset:         70
        .size:           2
        .value_kind:     hidden_remainder_z
      - .offset:         88
        .size:           8
        .value_kind:     hidden_global_offset_x
      - .offset:         96
        .size:           8
        .value_kind:     hidden_global_offset_y
      - .offset:         104
        .size:           8
        .value_kind:     hidden_global_offset_z
      - .offset:         112
        .size:           2
        .value_kind:     hidden_grid_dims
    .group_segment_fixed_size: 0
    .kernarg_segment_align: 8
    .kernarg_segment_size: 304
    .language:       OpenCL C
    .language_version:
      - 2
      - 0
    .max_flat_workgroup_size: 1024
    .name:           _ZN12_GLOBAL__N_120softmax_warp_forwardIfffLi3ELb0ELb0ELi64EEEvPT0_PKT_iiiPKbib
    .private_segment_fixed_size: 0
    .sgpr_count:     20
    .sgpr_spill_count: 0
    .symbol:         _ZN12_GLOBAL__N_120softmax_warp_forwardIfffLi3ELb0ELb0ELi64EEEvPT0_PKT_iiiPKbib.kd
    .uniform_work_group_size: 1
    .uses_dynamic_stack: false
    .vgpr_count:     13
    .vgpr_spill_count: 0
    .wavefront_size: 64
  - .agpr_count:     0
    .args:
      - .address_space:  global
        .offset:         0
        .size:           8
        .value_kind:     global_buffer
      - .address_space:  global
        .offset:         8
        .size:           8
        .value_kind:     global_buffer
      - .offset:         16
        .size:           4
        .value_kind:     by_value
      - .offset:         20
        .size:           4
        .value_kind:     by_value
      - .offset:         24
        .size:           4
        .value_kind:     by_value
      - .address_space:  global
        .offset:         32
        .size:           8
        .value_kind:     global_buffer
      - .offset:         40
        .size:           4
        .value_kind:     by_value
      - .offset:         44
        .size:           1
        .value_kind:     by_value
      - .offset:         48
        .size:           4
        .value_kind:     hidden_block_count_x
      - .offset:         52
        .size:           4
        .value_kind:     hidden_block_count_y
      - .offset:         56
        .size:           4
        .value_kind:     hidden_block_count_z
      - .offset:         60
        .size:           2
        .value_kind:     hidden_group_size_x
      - .offset:         62
        .size:           2
        .value_kind:     hidden_group_size_y
      - .offset:         64
        .size:           2
        .value_kind:     hidden_group_size_z
      - .offset:         66
        .size:           2
        .value_kind:     hidden_remainder_x
      - .offset:         68
        .size:           2
        .value_kind:     hidden_remainder_y
      - .offset:         70
        .size:           2
        .value_kind:     hidden_remainder_z
      - .offset:         88
        .size:           8
        .value_kind:     hidden_global_offset_x
      - .offset:         96
        .size:           8
        .value_kind:     hidden_global_offset_y
      - .offset:         104
        .size:           8
        .value_kind:     hidden_global_offset_z
      - .offset:         112
        .size:           2
        .value_kind:     hidden_grid_dims
    .group_segment_fixed_size: 0
    .kernarg_segment_align: 8
    .kernarg_segment_size: 304
    .language:       OpenCL C
    .language_version:
      - 2
      - 0
    .max_flat_workgroup_size: 1024
    .name:           _ZN12_GLOBAL__N_120softmax_warp_forwardIfffLi3ELb0ELb0ELi32EEEvPT0_PKT_iiiPKbib
    .private_segment_fixed_size: 0
    .sgpr_count:     20
    .sgpr_spill_count: 0
    .symbol:         _ZN12_GLOBAL__N_120softmax_warp_forwardIfffLi3ELb0ELb0ELi32EEEvPT0_PKT_iiiPKbib.kd
    .uniform_work_group_size: 1
    .uses_dynamic_stack: false
    .vgpr_count:     13
    .vgpr_spill_count: 0
    .wavefront_size: 64
  - .agpr_count:     0
    .args:
      - .address_space:  global
        .offset:         0
        .size:           8
        .value_kind:     global_buffer
      - .address_space:  global
        .offset:         8
        .size:           8
        .value_kind:     global_buffer
      - .offset:         16
        .size:           4
        .value_kind:     by_value
      - .offset:         20
        .size:           4
        .value_kind:     by_value
      - .offset:         24
        .size:           4
        .value_kind:     by_value
      - .address_space:  global
        .offset:         32
        .size:           8
        .value_kind:     global_buffer
      - .offset:         40
        .size:           4
        .value_kind:     by_value
      - .offset:         44
        .size:           1
        .value_kind:     by_value
      - .offset:         48
        .size:           4
        .value_kind:     hidden_block_count_x
      - .offset:         52
        .size:           4
        .value_kind:     hidden_block_count_y
      - .offset:         56
        .size:           4
        .value_kind:     hidden_block_count_z
      - .offset:         60
        .size:           2
        .value_kind:     hidden_group_size_x
      - .offset:         62
        .size:           2
        .value_kind:     hidden_group_size_y
      - .offset:         64
        .size:           2
        .value_kind:     hidden_group_size_z
      - .offset:         66
        .size:           2
        .value_kind:     hidden_remainder_x
      - .offset:         68
        .size:           2
        .value_kind:     hidden_remainder_y
      - .offset:         70
        .size:           2
        .value_kind:     hidden_remainder_z
      - .offset:         88
        .size:           8
        .value_kind:     hidden_global_offset_x
      - .offset:         96
        .size:           8
        .value_kind:     hidden_global_offset_y
      - .offset:         104
        .size:           8
        .value_kind:     hidden_global_offset_z
      - .offset:         112
        .size:           2
        .value_kind:     hidden_grid_dims
    .group_segment_fixed_size: 0
    .kernarg_segment_align: 8
    .kernarg_segment_size: 304
    .language:       OpenCL C
    .language_version:
      - 2
      - 0
    .max_flat_workgroup_size: 1024
    .name:           _ZN12_GLOBAL__N_120softmax_warp_forwardIfffLi4ELb0ELb0ELi64EEEvPT0_PKT_iiiPKbib
    .private_segment_fixed_size: 0
    .sgpr_count:     20
    .sgpr_spill_count: 0
    .symbol:         _ZN12_GLOBAL__N_120softmax_warp_forwardIfffLi4ELb0ELb0ELi64EEEvPT0_PKT_iiiPKbib.kd
    .uniform_work_group_size: 1
    .uses_dynamic_stack: false
    .vgpr_count:     15
    .vgpr_spill_count: 0
    .wavefront_size: 64
  - .agpr_count:     0
    .args:
      - .address_space:  global
        .offset:         0
        .size:           8
        .value_kind:     global_buffer
      - .address_space:  global
        .offset:         8
        .size:           8
        .value_kind:     global_buffer
      - .offset:         16
        .size:           4
        .value_kind:     by_value
      - .offset:         20
        .size:           4
        .value_kind:     by_value
      - .offset:         24
        .size:           4
        .value_kind:     by_value
      - .address_space:  global
        .offset:         32
        .size:           8
        .value_kind:     global_buffer
      - .offset:         40
        .size:           4
        .value_kind:     by_value
      - .offset:         44
        .size:           1
        .value_kind:     by_value
      - .offset:         48
        .size:           4
        .value_kind:     hidden_block_count_x
      - .offset:         52
        .size:           4
        .value_kind:     hidden_block_count_y
      - .offset:         56
        .size:           4
        .value_kind:     hidden_block_count_z
      - .offset:         60
        .size:           2
        .value_kind:     hidden_group_size_x
      - .offset:         62
        .size:           2
        .value_kind:     hidden_group_size_y
      - .offset:         64
        .size:           2
        .value_kind:     hidden_group_size_z
      - .offset:         66
        .size:           2
        .value_kind:     hidden_remainder_x
      - .offset:         68
        .size:           2
        .value_kind:     hidden_remainder_y
      - .offset:         70
        .size:           2
        .value_kind:     hidden_remainder_z
      - .offset:         88
        .size:           8
        .value_kind:     hidden_global_offset_x
      - .offset:         96
        .size:           8
        .value_kind:     hidden_global_offset_y
      - .offset:         104
        .size:           8
        .value_kind:     hidden_global_offset_z
      - .offset:         112
        .size:           2
        .value_kind:     hidden_grid_dims
    .group_segment_fixed_size: 0
    .kernarg_segment_align: 8
    .kernarg_segment_size: 304
    .language:       OpenCL C
    .language_version:
      - 2
      - 0
    .max_flat_workgroup_size: 1024
    .name:           _ZN12_GLOBAL__N_120softmax_warp_forwardIfffLi4ELb0ELb0ELi32EEEvPT0_PKT_iiiPKbib
    .private_segment_fixed_size: 0
    .sgpr_count:     20
    .sgpr_spill_count: 0
    .symbol:         _ZN12_GLOBAL__N_120softmax_warp_forwardIfffLi4ELb0ELb0ELi32EEEvPT0_PKT_iiiPKbib.kd
    .uniform_work_group_size: 1
    .uses_dynamic_stack: false
    .vgpr_count:     15
    .vgpr_spill_count: 0
    .wavefront_size: 64
  - .agpr_count:     0
    .args:
      - .address_space:  global
        .offset:         0
        .size:           8
        .value_kind:     global_buffer
      - .address_space:  global
        .offset:         8
        .size:           8
        .value_kind:     global_buffer
      - .offset:         16
        .size:           4
        .value_kind:     by_value
      - .offset:         20
        .size:           4
        .value_kind:     by_value
      - .offset:         24
        .size:           4
        .value_kind:     by_value
      - .address_space:  global
        .offset:         32
        .size:           8
        .value_kind:     global_buffer
      - .offset:         40
        .size:           4
        .value_kind:     by_value
      - .offset:         44
        .size:           1
        .value_kind:     by_value
      - .offset:         48
        .size:           4
        .value_kind:     hidden_block_count_x
      - .offset:         52
        .size:           4
        .value_kind:     hidden_block_count_y
      - .offset:         56
        .size:           4
        .value_kind:     hidden_block_count_z
      - .offset:         60
        .size:           2
        .value_kind:     hidden_group_size_x
      - .offset:         62
        .size:           2
        .value_kind:     hidden_group_size_y
      - .offset:         64
        .size:           2
        .value_kind:     hidden_group_size_z
      - .offset:         66
        .size:           2
        .value_kind:     hidden_remainder_x
      - .offset:         68
        .size:           2
        .value_kind:     hidden_remainder_y
      - .offset:         70
        .size:           2
        .value_kind:     hidden_remainder_z
      - .offset:         88
        .size:           8
        .value_kind:     hidden_global_offset_x
      - .offset:         96
        .size:           8
        .value_kind:     hidden_global_offset_y
      - .offset:         104
        .size:           8
        .value_kind:     hidden_global_offset_z
      - .offset:         112
        .size:           2
        .value_kind:     hidden_grid_dims
    .group_segment_fixed_size: 0
    .kernarg_segment_align: 8
    .kernarg_segment_size: 304
    .language:       OpenCL C
    .language_version:
      - 2
      - 0
    .max_flat_workgroup_size: 1024
    .name:           _ZN12_GLOBAL__N_120softmax_warp_forwardIfffLi5ELb0ELb0ELi64EEEvPT0_PKT_iiiPKbib
    .private_segment_fixed_size: 0
    .sgpr_count:     20
    .sgpr_spill_count: 0
    .symbol:         _ZN12_GLOBAL__N_120softmax_warp_forwardIfffLi5ELb0ELb0ELi64EEEvPT0_PKT_iiiPKbib.kd
    .uniform_work_group_size: 1
    .uses_dynamic_stack: false
    .vgpr_count:     16
    .vgpr_spill_count: 0
    .wavefront_size: 64
  - .agpr_count:     0
    .args:
      - .address_space:  global
        .offset:         0
        .size:           8
        .value_kind:     global_buffer
      - .address_space:  global
        .offset:         8
        .size:           8
        .value_kind:     global_buffer
      - .offset:         16
        .size:           4
        .value_kind:     by_value
      - .offset:         20
        .size:           4
        .value_kind:     by_value
      - .offset:         24
        .size:           4
        .value_kind:     by_value
      - .address_space:  global
        .offset:         32
        .size:           8
        .value_kind:     global_buffer
      - .offset:         40
        .size:           4
        .value_kind:     by_value
      - .offset:         44
        .size:           1
        .value_kind:     by_value
      - .offset:         48
        .size:           4
        .value_kind:     hidden_block_count_x
      - .offset:         52
        .size:           4
        .value_kind:     hidden_block_count_y
      - .offset:         56
        .size:           4
        .value_kind:     hidden_block_count_z
      - .offset:         60
        .size:           2
        .value_kind:     hidden_group_size_x
      - .offset:         62
        .size:           2
        .value_kind:     hidden_group_size_y
      - .offset:         64
        .size:           2
        .value_kind:     hidden_group_size_z
      - .offset:         66
        .size:           2
        .value_kind:     hidden_remainder_x
      - .offset:         68
        .size:           2
        .value_kind:     hidden_remainder_y
      - .offset:         70
        .size:           2
        .value_kind:     hidden_remainder_z
      - .offset:         88
        .size:           8
        .value_kind:     hidden_global_offset_x
      - .offset:         96
        .size:           8
        .value_kind:     hidden_global_offset_y
      - .offset:         104
        .size:           8
        .value_kind:     hidden_global_offset_z
      - .offset:         112
        .size:           2
        .value_kind:     hidden_grid_dims
    .group_segment_fixed_size: 0
    .kernarg_segment_align: 8
    .kernarg_segment_size: 304
    .language:       OpenCL C
    .language_version:
      - 2
      - 0
    .max_flat_workgroup_size: 1024
    .name:           _ZN12_GLOBAL__N_120softmax_warp_forwardIfffLi5ELb0ELb0ELi32EEEvPT0_PKT_iiiPKbib
    .private_segment_fixed_size: 0
    .sgpr_count:     20
    .sgpr_spill_count: 0
    .symbol:         _ZN12_GLOBAL__N_120softmax_warp_forwardIfffLi5ELb0ELb0ELi32EEEvPT0_PKT_iiiPKbib.kd
    .uniform_work_group_size: 1
    .uses_dynamic_stack: false
    .vgpr_count:     16
    .vgpr_spill_count: 0
    .wavefront_size: 64
  - .agpr_count:     0
    .args:
      - .address_space:  global
        .offset:         0
        .size:           8
        .value_kind:     global_buffer
      - .address_space:  global
        .offset:         8
        .size:           8
        .value_kind:     global_buffer
      - .offset:         16
        .size:           4
        .value_kind:     by_value
      - .offset:         20
        .size:           4
        .value_kind:     by_value
      - .offset:         24
        .size:           4
        .value_kind:     by_value
      - .address_space:  global
        .offset:         32
        .size:           8
        .value_kind:     global_buffer
      - .offset:         40
        .size:           4
        .value_kind:     by_value
      - .offset:         44
        .size:           1
        .value_kind:     by_value
      - .offset:         48
        .size:           4
        .value_kind:     hidden_block_count_x
      - .offset:         52
        .size:           4
        .value_kind:     hidden_block_count_y
      - .offset:         56
        .size:           4
        .value_kind:     hidden_block_count_z
      - .offset:         60
        .size:           2
        .value_kind:     hidden_group_size_x
      - .offset:         62
        .size:           2
        .value_kind:     hidden_group_size_y
      - .offset:         64
        .size:           2
        .value_kind:     hidden_group_size_z
      - .offset:         66
        .size:           2
        .value_kind:     hidden_remainder_x
      - .offset:         68
        .size:           2
        .value_kind:     hidden_remainder_y
      - .offset:         70
        .size:           2
        .value_kind:     hidden_remainder_z
      - .offset:         88
        .size:           8
        .value_kind:     hidden_global_offset_x
      - .offset:         96
        .size:           8
        .value_kind:     hidden_global_offset_y
      - .offset:         104
        .size:           8
        .value_kind:     hidden_global_offset_z
      - .offset:         112
        .size:           2
        .value_kind:     hidden_grid_dims
    .group_segment_fixed_size: 0
    .kernarg_segment_align: 8
    .kernarg_segment_size: 304
    .language:       OpenCL C
    .language_version:
      - 2
      - 0
    .max_flat_workgroup_size: 1024
    .name:           _ZN12_GLOBAL__N_120softmax_warp_forwardIfffLi6ELb0ELb0ELi64EEEvPT0_PKT_iiiPKbib
    .private_segment_fixed_size: 0
    .sgpr_count:     20
    .sgpr_spill_count: 0
    .symbol:         _ZN12_GLOBAL__N_120softmax_warp_forwardIfffLi6ELb0ELb0ELi64EEEvPT0_PKT_iiiPKbib.kd
    .uniform_work_group_size: 1
    .uses_dynamic_stack: false
    .vgpr_count:     17
    .vgpr_spill_count: 0
    .wavefront_size: 64
  - .agpr_count:     0
    .args:
      - .address_space:  global
        .offset:         0
        .size:           8
        .value_kind:     global_buffer
      - .address_space:  global
        .offset:         8
        .size:           8
        .value_kind:     global_buffer
      - .offset:         16
        .size:           4
        .value_kind:     by_value
      - .offset:         20
        .size:           4
        .value_kind:     by_value
      - .offset:         24
        .size:           4
        .value_kind:     by_value
      - .address_space:  global
        .offset:         32
        .size:           8
        .value_kind:     global_buffer
      - .offset:         40
        .size:           4
        .value_kind:     by_value
      - .offset:         44
        .size:           1
        .value_kind:     by_value
      - .offset:         48
        .size:           4
        .value_kind:     hidden_block_count_x
      - .offset:         52
        .size:           4
        .value_kind:     hidden_block_count_y
      - .offset:         56
        .size:           4
        .value_kind:     hidden_block_count_z
      - .offset:         60
        .size:           2
        .value_kind:     hidden_group_size_x
      - .offset:         62
        .size:           2
        .value_kind:     hidden_group_size_y
      - .offset:         64
        .size:           2
        .value_kind:     hidden_group_size_z
      - .offset:         66
        .size:           2
        .value_kind:     hidden_remainder_x
      - .offset:         68
        .size:           2
        .value_kind:     hidden_remainder_y
      - .offset:         70
        .size:           2
        .value_kind:     hidden_remainder_z
      - .offset:         88
        .size:           8
        .value_kind:     hidden_global_offset_x
      - .offset:         96
        .size:           8
        .value_kind:     hidden_global_offset_y
      - .offset:         104
        .size:           8
        .value_kind:     hidden_global_offset_z
      - .offset:         112
        .size:           2
        .value_kind:     hidden_grid_dims
    .group_segment_fixed_size: 0
    .kernarg_segment_align: 8
    .kernarg_segment_size: 304
    .language:       OpenCL C
    .language_version:
      - 2
      - 0
    .max_flat_workgroup_size: 1024
    .name:           _ZN12_GLOBAL__N_120softmax_warp_forwardIfffLi6ELb0ELb0ELi32EEEvPT0_PKT_iiiPKbib
    .private_segment_fixed_size: 0
    .sgpr_count:     20
    .sgpr_spill_count: 0
    .symbol:         _ZN12_GLOBAL__N_120softmax_warp_forwardIfffLi6ELb0ELb0ELi32EEEvPT0_PKT_iiiPKbib.kd
    .uniform_work_group_size: 1
    .uses_dynamic_stack: false
    .vgpr_count:     17
    .vgpr_spill_count: 0
    .wavefront_size: 64
  - .agpr_count:     0
    .args:
      - .address_space:  global
        .offset:         0
        .size:           8
        .value_kind:     global_buffer
      - .address_space:  global
        .offset:         8
        .size:           8
        .value_kind:     global_buffer
      - .offset:         16
        .size:           4
        .value_kind:     by_value
      - .offset:         20
        .size:           4
        .value_kind:     by_value
      - .offset:         24
        .size:           4
        .value_kind:     by_value
      - .address_space:  global
        .offset:         32
        .size:           8
        .value_kind:     global_buffer
      - .offset:         40
        .size:           4
        .value_kind:     by_value
      - .offset:         44
        .size:           1
        .value_kind:     by_value
      - .offset:         48
        .size:           4
        .value_kind:     hidden_block_count_x
      - .offset:         52
        .size:           4
        .value_kind:     hidden_block_count_y
      - .offset:         56
        .size:           4
        .value_kind:     hidden_block_count_z
      - .offset:         60
        .size:           2
        .value_kind:     hidden_group_size_x
      - .offset:         62
        .size:           2
        .value_kind:     hidden_group_size_y
      - .offset:         64
        .size:           2
        .value_kind:     hidden_group_size_z
      - .offset:         66
        .size:           2
        .value_kind:     hidden_remainder_x
      - .offset:         68
        .size:           2
        .value_kind:     hidden_remainder_y
      - .offset:         70
        .size:           2
        .value_kind:     hidden_remainder_z
      - .offset:         88
        .size:           8
        .value_kind:     hidden_global_offset_x
      - .offset:         96
        .size:           8
        .value_kind:     hidden_global_offset_y
      - .offset:         104
        .size:           8
        .value_kind:     hidden_global_offset_z
      - .offset:         112
        .size:           2
        .value_kind:     hidden_grid_dims
    .group_segment_fixed_size: 0
    .kernarg_segment_align: 8
    .kernarg_segment_size: 304
    .language:       OpenCL C
    .language_version:
      - 2
      - 0
    .max_flat_workgroup_size: 1024
    .name:           _ZN12_GLOBAL__N_120softmax_warp_forwardIfffLi7ELb0ELb0ELi64EEEvPT0_PKT_iiiPKbib
    .private_segment_fixed_size: 0
    .sgpr_count:     20
    .sgpr_spill_count: 0
    .symbol:         _ZN12_GLOBAL__N_120softmax_warp_forwardIfffLi7ELb0ELb0ELi64EEEvPT0_PKT_iiiPKbib.kd
    .uniform_work_group_size: 1
    .uses_dynamic_stack: false
    .vgpr_count:     18
    .vgpr_spill_count: 0
    .wavefront_size: 64
  - .agpr_count:     0
    .args:
      - .address_space:  global
        .offset:         0
        .size:           8
        .value_kind:     global_buffer
      - .address_space:  global
        .offset:         8
        .size:           8
        .value_kind:     global_buffer
      - .offset:         16
        .size:           4
        .value_kind:     by_value
      - .offset:         20
        .size:           4
        .value_kind:     by_value
      - .offset:         24
        .size:           4
        .value_kind:     by_value
      - .address_space:  global
        .offset:         32
        .size:           8
        .value_kind:     global_buffer
      - .offset:         40
        .size:           4
        .value_kind:     by_value
      - .offset:         44
        .size:           1
        .value_kind:     by_value
      - .offset:         48
        .size:           4
        .value_kind:     hidden_block_count_x
      - .offset:         52
        .size:           4
        .value_kind:     hidden_block_count_y
      - .offset:         56
        .size:           4
        .value_kind:     hidden_block_count_z
      - .offset:         60
        .size:           2
        .value_kind:     hidden_group_size_x
      - .offset:         62
        .size:           2
        .value_kind:     hidden_group_size_y
      - .offset:         64
        .size:           2
        .value_kind:     hidden_group_size_z
      - .offset:         66
        .size:           2
        .value_kind:     hidden_remainder_x
      - .offset:         68
        .size:           2
        .value_kind:     hidden_remainder_y
      - .offset:         70
        .size:           2
        .value_kind:     hidden_remainder_z
      - .offset:         88
        .size:           8
        .value_kind:     hidden_global_offset_x
      - .offset:         96
        .size:           8
        .value_kind:     hidden_global_offset_y
      - .offset:         104
        .size:           8
        .value_kind:     hidden_global_offset_z
      - .offset:         112
        .size:           2
        .value_kind:     hidden_grid_dims
    .group_segment_fixed_size: 0
    .kernarg_segment_align: 8
    .kernarg_segment_size: 304
    .language:       OpenCL C
    .language_version:
      - 2
      - 0
    .max_flat_workgroup_size: 1024
    .name:           _ZN12_GLOBAL__N_120softmax_warp_forwardIfffLi7ELb0ELb0ELi32EEEvPT0_PKT_iiiPKbib
    .private_segment_fixed_size: 0
    .sgpr_count:     24
    .sgpr_spill_count: 0
    .symbol:         _ZN12_GLOBAL__N_120softmax_warp_forwardIfffLi7ELb0ELb0ELi32EEEvPT0_PKT_iiiPKbib.kd
    .uniform_work_group_size: 1
    .uses_dynamic_stack: false
    .vgpr_count:     24
    .vgpr_spill_count: 0
    .wavefront_size: 64
  - .agpr_count:     0
    .args:
      - .address_space:  global
        .offset:         0
        .size:           8
        .value_kind:     global_buffer
      - .address_space:  global
        .offset:         8
        .size:           8
        .value_kind:     global_buffer
      - .offset:         16
        .size:           4
        .value_kind:     by_value
      - .offset:         20
        .size:           4
        .value_kind:     by_value
      - .offset:         24
        .size:           4
        .value_kind:     by_value
      - .address_space:  global
        .offset:         32
        .size:           8
        .value_kind:     global_buffer
      - .offset:         40
        .size:           4
        .value_kind:     by_value
      - .offset:         44
        .size:           1
        .value_kind:     by_value
      - .offset:         48
        .size:           4
        .value_kind:     hidden_block_count_x
      - .offset:         52
        .size:           4
        .value_kind:     hidden_block_count_y
      - .offset:         56
        .size:           4
        .value_kind:     hidden_block_count_z
      - .offset:         60
        .size:           2
        .value_kind:     hidden_group_size_x
      - .offset:         62
        .size:           2
        .value_kind:     hidden_group_size_y
      - .offset:         64
        .size:           2
        .value_kind:     hidden_group_size_z
      - .offset:         66
        .size:           2
        .value_kind:     hidden_remainder_x
      - .offset:         68
        .size:           2
        .value_kind:     hidden_remainder_y
      - .offset:         70
        .size:           2
        .value_kind:     hidden_remainder_z
      - .offset:         88
        .size:           8
        .value_kind:     hidden_global_offset_x
      - .offset:         96
        .size:           8
        .value_kind:     hidden_global_offset_y
      - .offset:         104
        .size:           8
        .value_kind:     hidden_global_offset_z
      - .offset:         112
        .size:           2
        .value_kind:     hidden_grid_dims
    .group_segment_fixed_size: 0
    .kernarg_segment_align: 8
    .kernarg_segment_size: 304
    .language:       OpenCL C
    .language_version:
      - 2
      - 0
    .max_flat_workgroup_size: 1024
    .name:           _ZN12_GLOBAL__N_120softmax_warp_forwardIfffLi8ELb0ELb0ELi64EEEvPT0_PKT_iiiPKbib
    .private_segment_fixed_size: 0
    .sgpr_count:     20
    .sgpr_spill_count: 0
    .symbol:         _ZN12_GLOBAL__N_120softmax_warp_forwardIfffLi8ELb0ELb0ELi64EEEvPT0_PKT_iiiPKbib.kd
    .uniform_work_group_size: 1
    .uses_dynamic_stack: false
    .vgpr_count:     19
    .vgpr_spill_count: 0
    .wavefront_size: 64
  - .agpr_count:     0
    .args:
      - .address_space:  global
        .offset:         0
        .size:           8
        .value_kind:     global_buffer
      - .address_space:  global
        .offset:         8
        .size:           8
        .value_kind:     global_buffer
      - .offset:         16
        .size:           4
        .value_kind:     by_value
      - .offset:         20
        .size:           4
        .value_kind:     by_value
      - .offset:         24
        .size:           4
        .value_kind:     by_value
      - .address_space:  global
        .offset:         32
        .size:           8
        .value_kind:     global_buffer
      - .offset:         40
        .size:           4
        .value_kind:     by_value
      - .offset:         44
        .size:           1
        .value_kind:     by_value
      - .offset:         48
        .size:           4
        .value_kind:     hidden_block_count_x
      - .offset:         52
        .size:           4
        .value_kind:     hidden_block_count_y
      - .offset:         56
        .size:           4
        .value_kind:     hidden_block_count_z
      - .offset:         60
        .size:           2
        .value_kind:     hidden_group_size_x
      - .offset:         62
        .size:           2
        .value_kind:     hidden_group_size_y
      - .offset:         64
        .size:           2
        .value_kind:     hidden_group_size_z
      - .offset:         66
        .size:           2
        .value_kind:     hidden_remainder_x
      - .offset:         68
        .size:           2
        .value_kind:     hidden_remainder_y
      - .offset:         70
        .size:           2
        .value_kind:     hidden_remainder_z
      - .offset:         88
        .size:           8
        .value_kind:     hidden_global_offset_x
      - .offset:         96
        .size:           8
        .value_kind:     hidden_global_offset_y
      - .offset:         104
        .size:           8
        .value_kind:     hidden_global_offset_z
      - .offset:         112
        .size:           2
        .value_kind:     hidden_grid_dims
    .group_segment_fixed_size: 0
    .kernarg_segment_align: 8
    .kernarg_segment_size: 304
    .language:       OpenCL C
    .language_version:
      - 2
      - 0
    .max_flat_workgroup_size: 1024
    .name:           _ZN12_GLOBAL__N_120softmax_warp_forwardIfffLi8ELb0ELb0ELi32EEEvPT0_PKT_iiiPKbib
    .private_segment_fixed_size: 0
    .sgpr_count:     28
    .sgpr_spill_count: 0
    .symbol:         _ZN12_GLOBAL__N_120softmax_warp_forwardIfffLi8ELb0ELb0ELi32EEEvPT0_PKT_iiiPKbib.kd
    .uniform_work_group_size: 1
    .uses_dynamic_stack: false
    .vgpr_count:     23
    .vgpr_spill_count: 0
    .wavefront_size: 64
  - .agpr_count:     0
    .args:
      - .address_space:  global
        .offset:         0
        .size:           8
        .value_kind:     global_buffer
      - .address_space:  global
        .offset:         8
        .size:           8
        .value_kind:     global_buffer
      - .offset:         16
        .size:           4
        .value_kind:     by_value
      - .offset:         20
        .size:           4
        .value_kind:     by_value
      - .offset:         24
        .size:           4
        .value_kind:     by_value
      - .address_space:  global
        .offset:         32
        .size:           8
        .value_kind:     global_buffer
      - .offset:         40
        .size:           4
        .value_kind:     by_value
      - .offset:         44
        .size:           1
        .value_kind:     by_value
      - .offset:         48
        .size:           4
        .value_kind:     hidden_block_count_x
      - .offset:         52
        .size:           4
        .value_kind:     hidden_block_count_y
      - .offset:         56
        .size:           4
        .value_kind:     hidden_block_count_z
      - .offset:         60
        .size:           2
        .value_kind:     hidden_group_size_x
      - .offset:         62
        .size:           2
        .value_kind:     hidden_group_size_y
      - .offset:         64
        .size:           2
        .value_kind:     hidden_group_size_z
      - .offset:         66
        .size:           2
        .value_kind:     hidden_remainder_x
      - .offset:         68
        .size:           2
        .value_kind:     hidden_remainder_y
      - .offset:         70
        .size:           2
        .value_kind:     hidden_remainder_z
      - .offset:         88
        .size:           8
        .value_kind:     hidden_global_offset_x
      - .offset:         96
        .size:           8
        .value_kind:     hidden_global_offset_y
      - .offset:         104
        .size:           8
        .value_kind:     hidden_global_offset_z
      - .offset:         112
        .size:           2
        .value_kind:     hidden_grid_dims
    .group_segment_fixed_size: 0
    .kernarg_segment_align: 8
    .kernarg_segment_size: 304
    .language:       OpenCL C
    .language_version:
      - 2
      - 0
    .max_flat_workgroup_size: 1024
    .name:           _ZN12_GLOBAL__N_120softmax_warp_forwardIfffLi9ELb0ELb0ELi64EEEvPT0_PKT_iiiPKbib
    .private_segment_fixed_size: 0
    .sgpr_count:     28
    .sgpr_spill_count: 0
    .symbol:         _ZN12_GLOBAL__N_120softmax_warp_forwardIfffLi9ELb0ELb0ELi64EEEvPT0_PKT_iiiPKbib.kd
    .uniform_work_group_size: 1
    .uses_dynamic_stack: false
    .vgpr_count:     24
    .vgpr_spill_count: 0
    .wavefront_size: 64
  - .agpr_count:     0
    .args:
      - .address_space:  global
        .offset:         0
        .size:           8
        .value_kind:     global_buffer
      - .address_space:  global
        .offset:         8
        .size:           8
        .value_kind:     global_buffer
      - .offset:         16
        .size:           4
        .value_kind:     by_value
      - .offset:         20
        .size:           4
        .value_kind:     by_value
      - .offset:         24
        .size:           4
        .value_kind:     by_value
      - .address_space:  global
        .offset:         32
        .size:           8
        .value_kind:     global_buffer
      - .offset:         40
        .size:           4
        .value_kind:     by_value
      - .offset:         44
        .size:           1
        .value_kind:     by_value
      - .offset:         48
        .size:           4
        .value_kind:     hidden_block_count_x
      - .offset:         52
        .size:           4
        .value_kind:     hidden_block_count_y
      - .offset:         56
        .size:           4
        .value_kind:     hidden_block_count_z
      - .offset:         60
        .size:           2
        .value_kind:     hidden_group_size_x
      - .offset:         62
        .size:           2
        .value_kind:     hidden_group_size_y
      - .offset:         64
        .size:           2
        .value_kind:     hidden_group_size_z
      - .offset:         66
        .size:           2
        .value_kind:     hidden_remainder_x
      - .offset:         68
        .size:           2
        .value_kind:     hidden_remainder_y
      - .offset:         70
        .size:           2
        .value_kind:     hidden_remainder_z
      - .offset:         88
        .size:           8
        .value_kind:     hidden_global_offset_x
      - .offset:         96
        .size:           8
        .value_kind:     hidden_global_offset_y
      - .offset:         104
        .size:           8
        .value_kind:     hidden_global_offset_z
      - .offset:         112
        .size:           2
        .value_kind:     hidden_grid_dims
    .group_segment_fixed_size: 0
    .kernarg_segment_align: 8
    .kernarg_segment_size: 304
    .language:       OpenCL C
    .language_version:
      - 2
      - 0
    .max_flat_workgroup_size: 1024
    .name:           _ZN12_GLOBAL__N_120softmax_warp_forwardIfffLi9ELb0ELb0ELi32EEEvPT0_PKT_iiiPKbib
    .private_segment_fixed_size: 0
    .sgpr_count:     48
    .sgpr_spill_count: 0
    .symbol:         _ZN12_GLOBAL__N_120softmax_warp_forwardIfffLi9ELb0ELb0ELi32EEEvPT0_PKT_iiiPKbib.kd
    .uniform_work_group_size: 1
    .uses_dynamic_stack: false
    .vgpr_count:     31
    .vgpr_spill_count: 0
    .wavefront_size: 64
  - .agpr_count:     0
    .args:
      - .address_space:  global
        .offset:         0
        .size:           8
        .value_kind:     global_buffer
      - .address_space:  global
        .offset:         8
        .size:           8
        .value_kind:     global_buffer
      - .offset:         16
        .size:           4
        .value_kind:     by_value
      - .offset:         20
        .size:           4
        .value_kind:     by_value
      - .offset:         24
        .size:           4
        .value_kind:     by_value
      - .address_space:  global
        .offset:         32
        .size:           8
        .value_kind:     global_buffer
      - .offset:         40
        .size:           4
        .value_kind:     by_value
      - .offset:         44
        .size:           1
        .value_kind:     by_value
      - .offset:         48
        .size:           4
        .value_kind:     hidden_block_count_x
      - .offset:         52
        .size:           4
        .value_kind:     hidden_block_count_y
      - .offset:         56
        .size:           4
        .value_kind:     hidden_block_count_z
      - .offset:         60
        .size:           2
        .value_kind:     hidden_group_size_x
      - .offset:         62
        .size:           2
        .value_kind:     hidden_group_size_y
      - .offset:         64
        .size:           2
        .value_kind:     hidden_group_size_z
      - .offset:         66
        .size:           2
        .value_kind:     hidden_remainder_x
      - .offset:         68
        .size:           2
        .value_kind:     hidden_remainder_y
      - .offset:         70
        .size:           2
        .value_kind:     hidden_remainder_z
      - .offset:         88
        .size:           8
        .value_kind:     hidden_global_offset_x
      - .offset:         96
        .size:           8
        .value_kind:     hidden_global_offset_y
      - .offset:         104
        .size:           8
        .value_kind:     hidden_global_offset_z
      - .offset:         112
        .size:           2
        .value_kind:     hidden_grid_dims
    .group_segment_fixed_size: 0
    .kernarg_segment_align: 8
    .kernarg_segment_size: 304
    .language:       OpenCL C
    .language_version:
      - 2
      - 0
    .max_flat_workgroup_size: 1024
    .name:           _ZN12_GLOBAL__N_120softmax_warp_forwardIfffLi10ELb0ELb0ELi64EEEvPT0_PKT_iiiPKbib
    .private_segment_fixed_size: 0
    .sgpr_count:     48
    .sgpr_spill_count: 0
    .symbol:         _ZN12_GLOBAL__N_120softmax_warp_forwardIfffLi10ELb0ELb0ELi64EEEvPT0_PKT_iiiPKbib.kd
    .uniform_work_group_size: 1
    .uses_dynamic_stack: false
    .vgpr_count:     32
    .vgpr_spill_count: 0
    .wavefront_size: 64
  - .agpr_count:     0
    .args:
      - .address_space:  global
        .offset:         0
        .size:           8
        .value_kind:     global_buffer
      - .address_space:  global
        .offset:         8
        .size:           8
        .value_kind:     global_buffer
      - .offset:         16
        .size:           4
        .value_kind:     by_value
      - .offset:         20
        .size:           4
        .value_kind:     by_value
      - .offset:         24
        .size:           4
        .value_kind:     by_value
      - .address_space:  global
        .offset:         32
        .size:           8
        .value_kind:     global_buffer
      - .offset:         40
        .size:           4
        .value_kind:     by_value
      - .offset:         44
        .size:           1
        .value_kind:     by_value
      - .offset:         48
        .size:           4
        .value_kind:     hidden_block_count_x
      - .offset:         52
        .size:           4
        .value_kind:     hidden_block_count_y
      - .offset:         56
        .size:           4
        .value_kind:     hidden_block_count_z
      - .offset:         60
        .size:           2
        .value_kind:     hidden_group_size_x
      - .offset:         62
        .size:           2
        .value_kind:     hidden_group_size_y
      - .offset:         64
        .size:           2
        .value_kind:     hidden_group_size_z
      - .offset:         66
        .size:           2
        .value_kind:     hidden_remainder_x
      - .offset:         68
        .size:           2
        .value_kind:     hidden_remainder_y
      - .offset:         70
        .size:           2
        .value_kind:     hidden_remainder_z
      - .offset:         88
        .size:           8
        .value_kind:     hidden_global_offset_x
      - .offset:         96
        .size:           8
        .value_kind:     hidden_global_offset_y
      - .offset:         104
        .size:           8
        .value_kind:     hidden_global_offset_z
      - .offset:         112
        .size:           2
        .value_kind:     hidden_grid_dims
    .group_segment_fixed_size: 0
    .kernarg_segment_align: 8
    .kernarg_segment_size: 304
    .language:       OpenCL C
    .language_version:
      - 2
      - 0
    .max_flat_workgroup_size: 1024
    .name:           _ZN12_GLOBAL__N_120softmax_warp_forwardIfffLi10ELb0ELb0ELi32EEEvPT0_PKT_iiiPKbib
    .private_segment_fixed_size: 0
    .sgpr_count:     80
    .sgpr_spill_count: 0
    .symbol:         _ZN12_GLOBAL__N_120softmax_warp_forwardIfffLi10ELb0ELb0ELi32EEEvPT0_PKT_iiiPKbib.kd
    .uniform_work_group_size: 1
    .uses_dynamic_stack: false
    .vgpr_count:     47
    .vgpr_spill_count: 0
    .wavefront_size: 64
  - .agpr_count:     0
    .args:
      - .address_space:  global
        .offset:         0
        .size:           8
        .value_kind:     global_buffer
      - .address_space:  global
        .offset:         8
        .size:           8
        .value_kind:     global_buffer
      - .offset:         16
        .size:           4
        .value_kind:     by_value
      - .offset:         20
        .size:           4
        .value_kind:     by_value
      - .offset:         24
        .size:           4
        .value_kind:     by_value
      - .address_space:  global
        .offset:         32
        .size:           8
        .value_kind:     global_buffer
      - .offset:         40
        .size:           4
        .value_kind:     by_value
      - .offset:         44
        .size:           1
        .value_kind:     by_value
      - .offset:         48
        .size:           4
        .value_kind:     hidden_block_count_x
      - .offset:         52
        .size:           4
        .value_kind:     hidden_block_count_y
      - .offset:         56
        .size:           4
        .value_kind:     hidden_block_count_z
      - .offset:         60
        .size:           2
        .value_kind:     hidden_group_size_x
      - .offset:         62
        .size:           2
        .value_kind:     hidden_group_size_y
      - .offset:         64
        .size:           2
        .value_kind:     hidden_group_size_z
      - .offset:         66
        .size:           2
        .value_kind:     hidden_remainder_x
      - .offset:         68
        .size:           2
        .value_kind:     hidden_remainder_y
      - .offset:         70
        .size:           2
        .value_kind:     hidden_remainder_z
      - .offset:         88
        .size:           8
        .value_kind:     hidden_global_offset_x
      - .offset:         96
        .size:           8
        .value_kind:     hidden_global_offset_y
      - .offset:         104
        .size:           8
        .value_kind:     hidden_global_offset_z
      - .offset:         112
        .size:           2
        .value_kind:     hidden_grid_dims
    .group_segment_fixed_size: 0
    .kernarg_segment_align: 8
    .kernarg_segment_size: 304
    .language:       OpenCL C
    .language_version:
      - 2
      - 0
    .max_flat_workgroup_size: 1024
    .name:           _ZN12_GLOBAL__N_120softmax_warp_forwardIfffLi11ELb0ELb0ELi64EEEvPT0_PKT_iiiPKbib
    .private_segment_fixed_size: 0
    .sgpr_count:     80
    .sgpr_spill_count: 0
    .symbol:         _ZN12_GLOBAL__N_120softmax_warp_forwardIfffLi11ELb0ELb0ELi64EEEvPT0_PKT_iiiPKbib.kd
    .uniform_work_group_size: 1
    .uses_dynamic_stack: false
    .vgpr_count:     52
    .vgpr_spill_count: 0
    .wavefront_size: 64
  - .agpr_count:     0
    .args:
      - .address_space:  global
        .offset:         0
        .size:           8
        .value_kind:     global_buffer
      - .address_space:  global
        .offset:         8
        .size:           8
        .value_kind:     global_buffer
      - .offset:         16
        .size:           4
        .value_kind:     by_value
      - .offset:         20
        .size:           4
        .value_kind:     by_value
      - .offset:         24
        .size:           4
        .value_kind:     by_value
      - .address_space:  global
        .offset:         32
        .size:           8
        .value_kind:     global_buffer
      - .offset:         40
        .size:           4
        .value_kind:     by_value
      - .offset:         44
        .size:           1
        .value_kind:     by_value
      - .offset:         48
        .size:           4
        .value_kind:     hidden_block_count_x
      - .offset:         52
        .size:           4
        .value_kind:     hidden_block_count_y
      - .offset:         56
        .size:           4
        .value_kind:     hidden_block_count_z
      - .offset:         60
        .size:           2
        .value_kind:     hidden_group_size_x
      - .offset:         62
        .size:           2
        .value_kind:     hidden_group_size_y
      - .offset:         64
        .size:           2
        .value_kind:     hidden_group_size_z
      - .offset:         66
        .size:           2
        .value_kind:     hidden_remainder_x
      - .offset:         68
        .size:           2
        .value_kind:     hidden_remainder_y
      - .offset:         70
        .size:           2
        .value_kind:     hidden_remainder_z
      - .offset:         88
        .size:           8
        .value_kind:     hidden_global_offset_x
      - .offset:         96
        .size:           8
        .value_kind:     hidden_global_offset_y
      - .offset:         104
        .size:           8
        .value_kind:     hidden_global_offset_z
      - .offset:         112
        .size:           2
        .value_kind:     hidden_grid_dims
    .group_segment_fixed_size: 0
    .kernarg_segment_align: 8
    .kernarg_segment_size: 304
    .language:       OpenCL C
    .language_version:
      - 2
      - 0
    .max_flat_workgroup_size: 1024
    .name:           _ZN12_GLOBAL__N_120softmax_warp_forwardIfffLi11ELb0ELb0ELi32EEEvPT0_PKT_iiiPKbib
    .private_segment_fixed_size: 0
    .sgpr_count:     100
    .sgpr_spill_count: 40
    .symbol:         _ZN12_GLOBAL__N_120softmax_warp_forwardIfffLi11ELb0ELb0ELi32EEEvPT0_PKT_iiiPKbib.kd
    .uniform_work_group_size: 1
    .uses_dynamic_stack: false
    .vgpr_count:     79
    .vgpr_spill_count: 0
    .wavefront_size: 64
  - .agpr_count:     0
    .args:
      - .address_space:  global
        .offset:         0
        .size:           8
        .value_kind:     global_buffer
      - .address_space:  global
        .offset:         8
        .size:           8
        .value_kind:     global_buffer
      - .offset:         16
        .size:           8
        .value_kind:     by_value
      - .offset:         24
        .size:           4
        .value_kind:     hidden_block_count_x
      - .offset:         28
        .size:           4
        .value_kind:     hidden_block_count_y
      - .offset:         32
        .size:           4
        .value_kind:     hidden_block_count_z
      - .offset:         36
        .size:           2
        .value_kind:     hidden_group_size_x
      - .offset:         38
        .size:           2
        .value_kind:     hidden_group_size_y
      - .offset:         40
        .size:           2
        .value_kind:     hidden_group_size_z
      - .offset:         42
        .size:           2
        .value_kind:     hidden_remainder_x
      - .offset:         44
        .size:           2
        .value_kind:     hidden_remainder_y
      - .offset:         46
        .size:           2
        .value_kind:     hidden_remainder_z
      - .offset:         64
        .size:           8
        .value_kind:     hidden_global_offset_x
      - .offset:         72
        .size:           8
        .value_kind:     hidden_global_offset_y
      - .offset:         80
        .size:           8
        .value_kind:     hidden_global_offset_z
      - .offset:         88
        .size:           2
        .value_kind:     hidden_grid_dims
      - .offset:         144
        .size:           4
        .value_kind:     hidden_dynamic_lds_size
    .group_segment_fixed_size: 0
    .kernarg_segment_align: 8
    .kernarg_segment_size: 280
    .language:       OpenCL C
    .language_version:
      - 2
      - 0
    .max_flat_workgroup_size: 1024
    .name:           _ZN2at6native12_GLOBAL__N_123cunn_SoftMaxForwardGmemILi4EfffNS1_29SoftMaxForwardWithMulEpilogueElEEvPT2_PKT0_T4_
    .private_segment_fixed_size: 0
    .sgpr_count:     30
    .sgpr_spill_count: 0
    .symbol:         _ZN2at6native12_GLOBAL__N_123cunn_SoftMaxForwardGmemILi4EfffNS1_29SoftMaxForwardWithMulEpilogueElEEvPT2_PKT0_T4_.kd
    .uniform_work_group_size: 1
    .uses_dynamic_stack: false
    .vgpr_count:     26
    .vgpr_spill_count: 0
    .wavefront_size: 64
  - .agpr_count:     0
    .args:
      - .address_space:  global
        .offset:         0
        .size:           8
        .value_kind:     global_buffer
      - .address_space:  global
        .offset:         8
        .size:           8
        .value_kind:     global_buffer
      - .offset:         16
        .size:           4
        .value_kind:     by_value
      - .offset:         24
        .size:           4
        .value_kind:     hidden_block_count_x
      - .offset:         28
        .size:           4
        .value_kind:     hidden_block_count_y
      - .offset:         32
        .size:           4
        .value_kind:     hidden_block_count_z
      - .offset:         36
        .size:           2
        .value_kind:     hidden_group_size_x
      - .offset:         38
        .size:           2
        .value_kind:     hidden_group_size_y
      - .offset:         40
        .size:           2
        .value_kind:     hidden_group_size_z
      - .offset:         42
        .size:           2
        .value_kind:     hidden_remainder_x
      - .offset:         44
        .size:           2
        .value_kind:     hidden_remainder_y
      - .offset:         46
        .size:           2
        .value_kind:     hidden_remainder_z
      - .offset:         64
        .size:           8
        .value_kind:     hidden_global_offset_x
      - .offset:         72
        .size:           8
        .value_kind:     hidden_global_offset_y
      - .offset:         80
        .size:           8
        .value_kind:     hidden_global_offset_z
      - .offset:         88
        .size:           2
        .value_kind:     hidden_grid_dims
      - .offset:         144
        .size:           4
        .value_kind:     hidden_dynamic_lds_size
    .group_segment_fixed_size: 0
    .kernarg_segment_align: 8
    .kernarg_segment_size: 280
    .language:       OpenCL C
    .language_version:
      - 2
      - 0
    .max_flat_workgroup_size: 1024
    .name:           _ZN2at6native12_GLOBAL__N_123cunn_SoftMaxForwardFastILi4EfffNS1_29SoftMaxForwardWithMulEpilogueEEEvPT2_PKT0_i
    .private_segment_fixed_size: 0
    .sgpr_count:     32
    .sgpr_spill_count: 0
    .symbol:         _ZN2at6native12_GLOBAL__N_123cunn_SoftMaxForwardFastILi4EfffNS1_29SoftMaxForwardWithMulEpilogueEEEvPT2_PKT0_i.kd
    .uniform_work_group_size: 1
    .uses_dynamic_stack: false
    .vgpr_count:     20
    .vgpr_spill_count: 0
    .wavefront_size: 64
  - .agpr_count:     0
    .args:
      - .address_space:  global
        .offset:         0
        .size:           8
        .value_kind:     global_buffer
      - .address_space:  global
        .offset:         8
        .size:           8
        .value_kind:     global_buffer
      - .offset:         16
        .size:           4
        .value_kind:     by_value
      - .offset:         20
        .size:           4
        .value_kind:     by_value
      - .offset:         24
        .size:           4
        .value_kind:     by_value
      - .address_space:  global
        .offset:         32
        .size:           8
        .value_kind:     global_buffer
      - .offset:         40
        .size:           4
        .value_kind:     by_value
      - .offset:         44
        .size:           1
        .value_kind:     by_value
      - .offset:         48
        .size:           4
        .value_kind:     hidden_block_count_x
      - .offset:         52
        .size:           4
        .value_kind:     hidden_block_count_y
      - .offset:         56
        .size:           4
        .value_kind:     hidden_block_count_z
      - .offset:         60
        .size:           2
        .value_kind:     hidden_group_size_x
      - .offset:         62
        .size:           2
        .value_kind:     hidden_group_size_y
      - .offset:         64
        .size:           2
        .value_kind:     hidden_group_size_z
      - .offset:         66
        .size:           2
        .value_kind:     hidden_remainder_x
      - .offset:         68
        .size:           2
        .value_kind:     hidden_remainder_y
      - .offset:         70
        .size:           2
        .value_kind:     hidden_remainder_z
      - .offset:         88
        .size:           8
        .value_kind:     hidden_global_offset_x
      - .offset:         96
        .size:           8
        .value_kind:     hidden_global_offset_y
      - .offset:         104
        .size:           8
        .value_kind:     hidden_global_offset_z
      - .offset:         112
        .size:           2
        .value_kind:     hidden_grid_dims
    .group_segment_fixed_size: 0
    .kernarg_segment_align: 8
    .kernarg_segment_size: 304
    .language:       OpenCL C
    .language_version:
      - 2
      - 0
    .max_flat_workgroup_size: 1024
    .name:           _ZN12_GLOBAL__N_120softmax_warp_forwardIN3c104HalfES2_fLi0ELb0ELb0ELi64EEEvPT0_PKT_iiiPKbib
    .private_segment_fixed_size: 0
    .sgpr_count:     20
    .sgpr_spill_count: 0
    .symbol:         _ZN12_GLOBAL__N_120softmax_warp_forwardIN3c104HalfES2_fLi0ELb0ELb0ELi64EEEvPT0_PKT_iiiPKbib.kd
    .uniform_work_group_size: 1
    .uses_dynamic_stack: false
    .vgpr_count:     9
    .vgpr_spill_count: 0
    .wavefront_size: 64
  - .agpr_count:     0
    .args:
      - .address_space:  global
        .offset:         0
        .size:           8
        .value_kind:     global_buffer
      - .address_space:  global
        .offset:         8
        .size:           8
        .value_kind:     global_buffer
      - .offset:         16
        .size:           4
        .value_kind:     by_value
      - .offset:         20
        .size:           4
        .value_kind:     by_value
      - .offset:         24
        .size:           4
        .value_kind:     by_value
      - .address_space:  global
        .offset:         32
        .size:           8
        .value_kind:     global_buffer
      - .offset:         40
        .size:           4
        .value_kind:     by_value
      - .offset:         44
        .size:           1
        .value_kind:     by_value
      - .offset:         48
        .size:           4
        .value_kind:     hidden_block_count_x
      - .offset:         52
        .size:           4
        .value_kind:     hidden_block_count_y
      - .offset:         56
        .size:           4
        .value_kind:     hidden_block_count_z
      - .offset:         60
        .size:           2
        .value_kind:     hidden_group_size_x
      - .offset:         62
        .size:           2
        .value_kind:     hidden_group_size_y
      - .offset:         64
        .size:           2
        .value_kind:     hidden_group_size_z
      - .offset:         66
        .size:           2
        .value_kind:     hidden_remainder_x
      - .offset:         68
        .size:           2
        .value_kind:     hidden_remainder_y
      - .offset:         70
        .size:           2
        .value_kind:     hidden_remainder_z
      - .offset:         88
        .size:           8
        .value_kind:     hidden_global_offset_x
      - .offset:         96
        .size:           8
        .value_kind:     hidden_global_offset_y
      - .offset:         104
        .size:           8
        .value_kind:     hidden_global_offset_z
      - .offset:         112
        .size:           2
        .value_kind:     hidden_grid_dims
    .group_segment_fixed_size: 0
    .kernarg_segment_align: 8
    .kernarg_segment_size: 304
    .language:       OpenCL C
    .language_version:
      - 2
      - 0
    .max_flat_workgroup_size: 1024
    .name:           _ZN12_GLOBAL__N_120softmax_warp_forwardIN3c104HalfES2_fLi0ELb0ELb0ELi32EEEvPT0_PKT_iiiPKbib
    .private_segment_fixed_size: 0
    .sgpr_count:     20
    .sgpr_spill_count: 0
    .symbol:         _ZN12_GLOBAL__N_120softmax_warp_forwardIN3c104HalfES2_fLi0ELb0ELb0ELi32EEEvPT0_PKT_iiiPKbib.kd
    .uniform_work_group_size: 1
    .uses_dynamic_stack: false
    .vgpr_count:     9
    .vgpr_spill_count: 0
    .wavefront_size: 64
  - .agpr_count:     0
    .args:
      - .address_space:  global
        .offset:         0
        .size:           8
        .value_kind:     global_buffer
      - .address_space:  global
        .offset:         8
        .size:           8
        .value_kind:     global_buffer
      - .offset:         16
        .size:           4
        .value_kind:     by_value
      - .offset:         20
        .size:           4
        .value_kind:     by_value
      - .offset:         24
        .size:           4
        .value_kind:     by_value
      - .address_space:  global
        .offset:         32
        .size:           8
        .value_kind:     global_buffer
      - .offset:         40
        .size:           4
        .value_kind:     by_value
      - .offset:         44
        .size:           1
        .value_kind:     by_value
      - .offset:         48
        .size:           4
        .value_kind:     hidden_block_count_x
      - .offset:         52
        .size:           4
        .value_kind:     hidden_block_count_y
      - .offset:         56
        .size:           4
        .value_kind:     hidden_block_count_z
      - .offset:         60
        .size:           2
        .value_kind:     hidden_group_size_x
      - .offset:         62
        .size:           2
        .value_kind:     hidden_group_size_y
      - .offset:         64
        .size:           2
        .value_kind:     hidden_group_size_z
      - .offset:         66
        .size:           2
        .value_kind:     hidden_remainder_x
      - .offset:         68
        .size:           2
        .value_kind:     hidden_remainder_y
      - .offset:         70
        .size:           2
        .value_kind:     hidden_remainder_z
      - .offset:         88
        .size:           8
        .value_kind:     hidden_global_offset_x
      - .offset:         96
        .size:           8
        .value_kind:     hidden_global_offset_y
      - .offset:         104
        .size:           8
        .value_kind:     hidden_global_offset_z
      - .offset:         112
        .size:           2
        .value_kind:     hidden_grid_dims
    .group_segment_fixed_size: 0
    .kernarg_segment_align: 8
    .kernarg_segment_size: 304
    .language:       OpenCL C
    .language_version:
      - 2
      - 0
    .max_flat_workgroup_size: 1024
    .name:           _ZN12_GLOBAL__N_120softmax_warp_forwardIN3c104HalfES2_fLi1ELb0ELb0ELi64EEEvPT0_PKT_iiiPKbib
    .private_segment_fixed_size: 0
    .sgpr_count:     20
    .sgpr_spill_count: 0
    .symbol:         _ZN12_GLOBAL__N_120softmax_warp_forwardIN3c104HalfES2_fLi1ELb0ELb0ELi64EEEvPT0_PKT_iiiPKbib.kd
    .uniform_work_group_size: 1
    .uses_dynamic_stack: false
    .vgpr_count:     12
    .vgpr_spill_count: 0
    .wavefront_size: 64
  - .agpr_count:     0
    .args:
      - .address_space:  global
        .offset:         0
        .size:           8
        .value_kind:     global_buffer
      - .address_space:  global
        .offset:         8
        .size:           8
        .value_kind:     global_buffer
      - .offset:         16
        .size:           4
        .value_kind:     by_value
      - .offset:         20
        .size:           4
        .value_kind:     by_value
      - .offset:         24
        .size:           4
        .value_kind:     by_value
      - .address_space:  global
        .offset:         32
        .size:           8
        .value_kind:     global_buffer
      - .offset:         40
        .size:           4
        .value_kind:     by_value
      - .offset:         44
        .size:           1
        .value_kind:     by_value
      - .offset:         48
        .size:           4
        .value_kind:     hidden_block_count_x
      - .offset:         52
        .size:           4
        .value_kind:     hidden_block_count_y
      - .offset:         56
        .size:           4
        .value_kind:     hidden_block_count_z
      - .offset:         60
        .size:           2
        .value_kind:     hidden_group_size_x
      - .offset:         62
        .size:           2
        .value_kind:     hidden_group_size_y
      - .offset:         64
        .size:           2
        .value_kind:     hidden_group_size_z
      - .offset:         66
        .size:           2
        .value_kind:     hidden_remainder_x
      - .offset:         68
        .size:           2
        .value_kind:     hidden_remainder_y
      - .offset:         70
        .size:           2
        .value_kind:     hidden_remainder_z
      - .offset:         88
        .size:           8
        .value_kind:     hidden_global_offset_x
      - .offset:         96
        .size:           8
        .value_kind:     hidden_global_offset_y
      - .offset:         104
        .size:           8
        .value_kind:     hidden_global_offset_z
      - .offset:         112
        .size:           2
        .value_kind:     hidden_grid_dims
    .group_segment_fixed_size: 0
    .kernarg_segment_align: 8
    .kernarg_segment_size: 304
    .language:       OpenCL C
    .language_version:
      - 2
      - 0
    .max_flat_workgroup_size: 1024
    .name:           _ZN12_GLOBAL__N_120softmax_warp_forwardIN3c104HalfES2_fLi1ELb0ELb0ELi32EEEvPT0_PKT_iiiPKbib
    .private_segment_fixed_size: 0
    .sgpr_count:     20
    .sgpr_spill_count: 0
    .symbol:         _ZN12_GLOBAL__N_120softmax_warp_forwardIN3c104HalfES2_fLi1ELb0ELb0ELi32EEEvPT0_PKT_iiiPKbib.kd
    .uniform_work_group_size: 1
    .uses_dynamic_stack: false
    .vgpr_count:     12
    .vgpr_spill_count: 0
    .wavefront_size: 64
  - .agpr_count:     0
    .args:
      - .address_space:  global
        .offset:         0
        .size:           8
        .value_kind:     global_buffer
      - .address_space:  global
        .offset:         8
        .size:           8
        .value_kind:     global_buffer
      - .offset:         16
        .size:           4
        .value_kind:     by_value
      - .offset:         20
        .size:           4
        .value_kind:     by_value
      - .offset:         24
        .size:           4
        .value_kind:     by_value
      - .address_space:  global
        .offset:         32
        .size:           8
        .value_kind:     global_buffer
      - .offset:         40
        .size:           4
        .value_kind:     by_value
      - .offset:         44
        .size:           1
        .value_kind:     by_value
      - .offset:         48
        .size:           4
        .value_kind:     hidden_block_count_x
      - .offset:         52
        .size:           4
        .value_kind:     hidden_block_count_y
      - .offset:         56
        .size:           4
        .value_kind:     hidden_block_count_z
      - .offset:         60
        .size:           2
        .value_kind:     hidden_group_size_x
      - .offset:         62
        .size:           2
        .value_kind:     hidden_group_size_y
      - .offset:         64
        .size:           2
        .value_kind:     hidden_group_size_z
      - .offset:         66
        .size:           2
        .value_kind:     hidden_remainder_x
      - .offset:         68
        .size:           2
        .value_kind:     hidden_remainder_y
      - .offset:         70
        .size:           2
        .value_kind:     hidden_remainder_z
      - .offset:         88
        .size:           8
        .value_kind:     hidden_global_offset_x
      - .offset:         96
        .size:           8
        .value_kind:     hidden_global_offset_y
      - .offset:         104
        .size:           8
        .value_kind:     hidden_global_offset_z
      - .offset:         112
        .size:           2
        .value_kind:     hidden_grid_dims
    .group_segment_fixed_size: 0
    .kernarg_segment_align: 8
    .kernarg_segment_size: 304
    .language:       OpenCL C
    .language_version:
      - 2
      - 0
    .max_flat_workgroup_size: 1024
    .name:           _ZN12_GLOBAL__N_120softmax_warp_forwardIN3c104HalfES2_fLi2ELb0ELb0ELi64EEEvPT0_PKT_iiiPKbib
    .private_segment_fixed_size: 0
    .sgpr_count:     20
    .sgpr_spill_count: 0
    .symbol:         _ZN12_GLOBAL__N_120softmax_warp_forwardIN3c104HalfES2_fLi2ELb0ELb0ELi64EEEvPT0_PKT_iiiPKbib.kd
    .uniform_work_group_size: 1
    .uses_dynamic_stack: false
    .vgpr_count:     12
    .vgpr_spill_count: 0
    .wavefront_size: 64
  - .agpr_count:     0
    .args:
      - .address_space:  global
        .offset:         0
        .size:           8
        .value_kind:     global_buffer
      - .address_space:  global
        .offset:         8
        .size:           8
        .value_kind:     global_buffer
      - .offset:         16
        .size:           4
        .value_kind:     by_value
      - .offset:         20
        .size:           4
        .value_kind:     by_value
      - .offset:         24
        .size:           4
        .value_kind:     by_value
      - .address_space:  global
        .offset:         32
        .size:           8
        .value_kind:     global_buffer
      - .offset:         40
        .size:           4
        .value_kind:     by_value
      - .offset:         44
        .size:           1
        .value_kind:     by_value
      - .offset:         48
        .size:           4
        .value_kind:     hidden_block_count_x
      - .offset:         52
        .size:           4
        .value_kind:     hidden_block_count_y
      - .offset:         56
        .size:           4
        .value_kind:     hidden_block_count_z
      - .offset:         60
        .size:           2
        .value_kind:     hidden_group_size_x
      - .offset:         62
        .size:           2
        .value_kind:     hidden_group_size_y
      - .offset:         64
        .size:           2
        .value_kind:     hidden_group_size_z
      - .offset:         66
        .size:           2
        .value_kind:     hidden_remainder_x
      - .offset:         68
        .size:           2
        .value_kind:     hidden_remainder_y
      - .offset:         70
        .size:           2
        .value_kind:     hidden_remainder_z
      - .offset:         88
        .size:           8
        .value_kind:     hidden_global_offset_x
      - .offset:         96
        .size:           8
        .value_kind:     hidden_global_offset_y
      - .offset:         104
        .size:           8
        .value_kind:     hidden_global_offset_z
      - .offset:         112
        .size:           2
        .value_kind:     hidden_grid_dims
    .group_segment_fixed_size: 0
    .kernarg_segment_align: 8
    .kernarg_segment_size: 304
    .language:       OpenCL C
    .language_version:
      - 2
      - 0
    .max_flat_workgroup_size: 1024
    .name:           _ZN12_GLOBAL__N_120softmax_warp_forwardIN3c104HalfES2_fLi2ELb0ELb0ELi32EEEvPT0_PKT_iiiPKbib
    .private_segment_fixed_size: 0
    .sgpr_count:     20
    .sgpr_spill_count: 0
    .symbol:         _ZN12_GLOBAL__N_120softmax_warp_forwardIN3c104HalfES2_fLi2ELb0ELb0ELi32EEEvPT0_PKT_iiiPKbib.kd
    .uniform_work_group_size: 1
    .uses_dynamic_stack: false
    .vgpr_count:     12
    .vgpr_spill_count: 0
    .wavefront_size: 64
  - .agpr_count:     0
    .args:
      - .address_space:  global
        .offset:         0
        .size:           8
        .value_kind:     global_buffer
      - .address_space:  global
        .offset:         8
        .size:           8
        .value_kind:     global_buffer
      - .offset:         16
        .size:           4
        .value_kind:     by_value
      - .offset:         20
        .size:           4
        .value_kind:     by_value
      - .offset:         24
        .size:           4
        .value_kind:     by_value
      - .address_space:  global
        .offset:         32
        .size:           8
        .value_kind:     global_buffer
      - .offset:         40
        .size:           4
        .value_kind:     by_value
      - .offset:         44
        .size:           1
        .value_kind:     by_value
      - .offset:         48
        .size:           4
        .value_kind:     hidden_block_count_x
      - .offset:         52
        .size:           4
        .value_kind:     hidden_block_count_y
      - .offset:         56
        .size:           4
        .value_kind:     hidden_block_count_z
      - .offset:         60
        .size:           2
        .value_kind:     hidden_group_size_x
      - .offset:         62
        .size:           2
        .value_kind:     hidden_group_size_y
      - .offset:         64
        .size:           2
        .value_kind:     hidden_group_size_z
      - .offset:         66
        .size:           2
        .value_kind:     hidden_remainder_x
      - .offset:         68
        .size:           2
        .value_kind:     hidden_remainder_y
      - .offset:         70
        .size:           2
        .value_kind:     hidden_remainder_z
      - .offset:         88
        .size:           8
        .value_kind:     hidden_global_offset_x
      - .offset:         96
        .size:           8
        .value_kind:     hidden_global_offset_y
      - .offset:         104
        .size:           8
        .value_kind:     hidden_global_offset_z
      - .offset:         112
        .size:           2
        .value_kind:     hidden_grid_dims
    .group_segment_fixed_size: 0
    .kernarg_segment_align: 8
    .kernarg_segment_size: 304
    .language:       OpenCL C
    .language_version:
      - 2
      - 0
    .max_flat_workgroup_size: 1024
    .name:           _ZN12_GLOBAL__N_120softmax_warp_forwardIN3c104HalfES2_fLi3ELb0ELb0ELi64EEEvPT0_PKT_iiiPKbib
    .private_segment_fixed_size: 0
    .sgpr_count:     20
    .sgpr_spill_count: 0
    .symbol:         _ZN12_GLOBAL__N_120softmax_warp_forwardIN3c104HalfES2_fLi3ELb0ELb0ELi64EEEvPT0_PKT_iiiPKbib.kd
    .uniform_work_group_size: 1
    .uses_dynamic_stack: false
    .vgpr_count:     13
    .vgpr_spill_count: 0
    .wavefront_size: 64
  - .agpr_count:     0
    .args:
      - .address_space:  global
        .offset:         0
        .size:           8
        .value_kind:     global_buffer
      - .address_space:  global
        .offset:         8
        .size:           8
        .value_kind:     global_buffer
      - .offset:         16
        .size:           4
        .value_kind:     by_value
      - .offset:         20
        .size:           4
        .value_kind:     by_value
      - .offset:         24
        .size:           4
        .value_kind:     by_value
      - .address_space:  global
        .offset:         32
        .size:           8
        .value_kind:     global_buffer
      - .offset:         40
        .size:           4
        .value_kind:     by_value
      - .offset:         44
        .size:           1
        .value_kind:     by_value
      - .offset:         48
        .size:           4
        .value_kind:     hidden_block_count_x
      - .offset:         52
        .size:           4
        .value_kind:     hidden_block_count_y
      - .offset:         56
        .size:           4
        .value_kind:     hidden_block_count_z
      - .offset:         60
        .size:           2
        .value_kind:     hidden_group_size_x
      - .offset:         62
        .size:           2
        .value_kind:     hidden_group_size_y
      - .offset:         64
        .size:           2
        .value_kind:     hidden_group_size_z
      - .offset:         66
        .size:           2
        .value_kind:     hidden_remainder_x
      - .offset:         68
        .size:           2
        .value_kind:     hidden_remainder_y
      - .offset:         70
        .size:           2
        .value_kind:     hidden_remainder_z
      - .offset:         88
        .size:           8
        .value_kind:     hidden_global_offset_x
      - .offset:         96
        .size:           8
        .value_kind:     hidden_global_offset_y
      - .offset:         104
        .size:           8
        .value_kind:     hidden_global_offset_z
      - .offset:         112
        .size:           2
        .value_kind:     hidden_grid_dims
    .group_segment_fixed_size: 0
    .kernarg_segment_align: 8
    .kernarg_segment_size: 304
    .language:       OpenCL C
    .language_version:
      - 2
      - 0
    .max_flat_workgroup_size: 1024
    .name:           _ZN12_GLOBAL__N_120softmax_warp_forwardIN3c104HalfES2_fLi3ELb0ELb0ELi32EEEvPT0_PKT_iiiPKbib
    .private_segment_fixed_size: 0
    .sgpr_count:     20
    .sgpr_spill_count: 0
    .symbol:         _ZN12_GLOBAL__N_120softmax_warp_forwardIN3c104HalfES2_fLi3ELb0ELb0ELi32EEEvPT0_PKT_iiiPKbib.kd
    .uniform_work_group_size: 1
    .uses_dynamic_stack: false
    .vgpr_count:     13
    .vgpr_spill_count: 0
    .wavefront_size: 64
  - .agpr_count:     0
    .args:
      - .address_space:  global
        .offset:         0
        .size:           8
        .value_kind:     global_buffer
      - .address_space:  global
        .offset:         8
        .size:           8
        .value_kind:     global_buffer
      - .offset:         16
        .size:           4
        .value_kind:     by_value
      - .offset:         20
        .size:           4
        .value_kind:     by_value
      - .offset:         24
        .size:           4
        .value_kind:     by_value
      - .address_space:  global
        .offset:         32
        .size:           8
        .value_kind:     global_buffer
      - .offset:         40
        .size:           4
        .value_kind:     by_value
      - .offset:         44
        .size:           1
        .value_kind:     by_value
      - .offset:         48
        .size:           4
        .value_kind:     hidden_block_count_x
      - .offset:         52
        .size:           4
        .value_kind:     hidden_block_count_y
      - .offset:         56
        .size:           4
        .value_kind:     hidden_block_count_z
      - .offset:         60
        .size:           2
        .value_kind:     hidden_group_size_x
      - .offset:         62
        .size:           2
        .value_kind:     hidden_group_size_y
      - .offset:         64
        .size:           2
        .value_kind:     hidden_group_size_z
      - .offset:         66
        .size:           2
        .value_kind:     hidden_remainder_x
      - .offset:         68
        .size:           2
        .value_kind:     hidden_remainder_y
      - .offset:         70
        .size:           2
        .value_kind:     hidden_remainder_z
      - .offset:         88
        .size:           8
        .value_kind:     hidden_global_offset_x
      - .offset:         96
        .size:           8
        .value_kind:     hidden_global_offset_y
      - .offset:         104
        .size:           8
        .value_kind:     hidden_global_offset_z
      - .offset:         112
        .size:           2
        .value_kind:     hidden_grid_dims
    .group_segment_fixed_size: 0
    .kernarg_segment_align: 8
    .kernarg_segment_size: 304
    .language:       OpenCL C
    .language_version:
      - 2
      - 0
    .max_flat_workgroup_size: 1024
    .name:           _ZN12_GLOBAL__N_120softmax_warp_forwardIN3c104HalfES2_fLi4ELb0ELb0ELi64EEEvPT0_PKT_iiiPKbib
    .private_segment_fixed_size: 0
    .sgpr_count:     20
    .sgpr_spill_count: 0
    .symbol:         _ZN12_GLOBAL__N_120softmax_warp_forwardIN3c104HalfES2_fLi4ELb0ELb0ELi64EEEvPT0_PKT_iiiPKbib.kd
    .uniform_work_group_size: 1
    .uses_dynamic_stack: false
    .vgpr_count:     15
    .vgpr_spill_count: 0
    .wavefront_size: 64
  - .agpr_count:     0
    .args:
      - .address_space:  global
        .offset:         0
        .size:           8
        .value_kind:     global_buffer
      - .address_space:  global
        .offset:         8
        .size:           8
        .value_kind:     global_buffer
      - .offset:         16
        .size:           4
        .value_kind:     by_value
      - .offset:         20
        .size:           4
        .value_kind:     by_value
      - .offset:         24
        .size:           4
        .value_kind:     by_value
      - .address_space:  global
        .offset:         32
        .size:           8
        .value_kind:     global_buffer
      - .offset:         40
        .size:           4
        .value_kind:     by_value
      - .offset:         44
        .size:           1
        .value_kind:     by_value
      - .offset:         48
        .size:           4
        .value_kind:     hidden_block_count_x
      - .offset:         52
        .size:           4
        .value_kind:     hidden_block_count_y
      - .offset:         56
        .size:           4
        .value_kind:     hidden_block_count_z
      - .offset:         60
        .size:           2
        .value_kind:     hidden_group_size_x
      - .offset:         62
        .size:           2
        .value_kind:     hidden_group_size_y
      - .offset:         64
        .size:           2
        .value_kind:     hidden_group_size_z
      - .offset:         66
        .size:           2
        .value_kind:     hidden_remainder_x
      - .offset:         68
        .size:           2
        .value_kind:     hidden_remainder_y
      - .offset:         70
        .size:           2
        .value_kind:     hidden_remainder_z
      - .offset:         88
        .size:           8
        .value_kind:     hidden_global_offset_x
      - .offset:         96
        .size:           8
        .value_kind:     hidden_global_offset_y
      - .offset:         104
        .size:           8
        .value_kind:     hidden_global_offset_z
      - .offset:         112
        .size:           2
        .value_kind:     hidden_grid_dims
    .group_segment_fixed_size: 0
    .kernarg_segment_align: 8
    .kernarg_segment_size: 304
    .language:       OpenCL C
    .language_version:
      - 2
      - 0
    .max_flat_workgroup_size: 1024
    .name:           _ZN12_GLOBAL__N_120softmax_warp_forwardIN3c104HalfES2_fLi4ELb0ELb0ELi32EEEvPT0_PKT_iiiPKbib
    .private_segment_fixed_size: 0
    .sgpr_count:     20
    .sgpr_spill_count: 0
    .symbol:         _ZN12_GLOBAL__N_120softmax_warp_forwardIN3c104HalfES2_fLi4ELb0ELb0ELi32EEEvPT0_PKT_iiiPKbib.kd
    .uniform_work_group_size: 1
    .uses_dynamic_stack: false
    .vgpr_count:     15
    .vgpr_spill_count: 0
    .wavefront_size: 64
  - .agpr_count:     0
    .args:
      - .address_space:  global
        .offset:         0
        .size:           8
        .value_kind:     global_buffer
      - .address_space:  global
        .offset:         8
        .size:           8
        .value_kind:     global_buffer
      - .offset:         16
        .size:           4
        .value_kind:     by_value
      - .offset:         20
        .size:           4
        .value_kind:     by_value
      - .offset:         24
        .size:           4
        .value_kind:     by_value
      - .address_space:  global
        .offset:         32
        .size:           8
        .value_kind:     global_buffer
      - .offset:         40
        .size:           4
        .value_kind:     by_value
      - .offset:         44
        .size:           1
        .value_kind:     by_value
      - .offset:         48
        .size:           4
        .value_kind:     hidden_block_count_x
      - .offset:         52
        .size:           4
        .value_kind:     hidden_block_count_y
      - .offset:         56
        .size:           4
        .value_kind:     hidden_block_count_z
      - .offset:         60
        .size:           2
        .value_kind:     hidden_group_size_x
      - .offset:         62
        .size:           2
        .value_kind:     hidden_group_size_y
      - .offset:         64
        .size:           2
        .value_kind:     hidden_group_size_z
      - .offset:         66
        .size:           2
        .value_kind:     hidden_remainder_x
      - .offset:         68
        .size:           2
        .value_kind:     hidden_remainder_y
      - .offset:         70
        .size:           2
        .value_kind:     hidden_remainder_z
      - .offset:         88
        .size:           8
        .value_kind:     hidden_global_offset_x
      - .offset:         96
        .size:           8
        .value_kind:     hidden_global_offset_y
      - .offset:         104
        .size:           8
        .value_kind:     hidden_global_offset_z
      - .offset:         112
        .size:           2
        .value_kind:     hidden_grid_dims
    .group_segment_fixed_size: 0
    .kernarg_segment_align: 8
    .kernarg_segment_size: 304
    .language:       OpenCL C
    .language_version:
      - 2
      - 0
    .max_flat_workgroup_size: 1024
    .name:           _ZN12_GLOBAL__N_120softmax_warp_forwardIN3c104HalfES2_fLi5ELb0ELb0ELi64EEEvPT0_PKT_iiiPKbib
    .private_segment_fixed_size: 0
    .sgpr_count:     20
    .sgpr_spill_count: 0
    .symbol:         _ZN12_GLOBAL__N_120softmax_warp_forwardIN3c104HalfES2_fLi5ELb0ELb0ELi64EEEvPT0_PKT_iiiPKbib.kd
    .uniform_work_group_size: 1
    .uses_dynamic_stack: false
    .vgpr_count:     16
    .vgpr_spill_count: 0
    .wavefront_size: 64
  - .agpr_count:     0
    .args:
      - .address_space:  global
        .offset:         0
        .size:           8
        .value_kind:     global_buffer
      - .address_space:  global
        .offset:         8
        .size:           8
        .value_kind:     global_buffer
      - .offset:         16
        .size:           4
        .value_kind:     by_value
      - .offset:         20
        .size:           4
        .value_kind:     by_value
      - .offset:         24
        .size:           4
        .value_kind:     by_value
      - .address_space:  global
        .offset:         32
        .size:           8
        .value_kind:     global_buffer
      - .offset:         40
        .size:           4
        .value_kind:     by_value
      - .offset:         44
        .size:           1
        .value_kind:     by_value
      - .offset:         48
        .size:           4
        .value_kind:     hidden_block_count_x
      - .offset:         52
        .size:           4
        .value_kind:     hidden_block_count_y
      - .offset:         56
        .size:           4
        .value_kind:     hidden_block_count_z
      - .offset:         60
        .size:           2
        .value_kind:     hidden_group_size_x
      - .offset:         62
        .size:           2
        .value_kind:     hidden_group_size_y
      - .offset:         64
        .size:           2
        .value_kind:     hidden_group_size_z
      - .offset:         66
        .size:           2
        .value_kind:     hidden_remainder_x
      - .offset:         68
        .size:           2
        .value_kind:     hidden_remainder_y
      - .offset:         70
        .size:           2
        .value_kind:     hidden_remainder_z
      - .offset:         88
        .size:           8
        .value_kind:     hidden_global_offset_x
      - .offset:         96
        .size:           8
        .value_kind:     hidden_global_offset_y
      - .offset:         104
        .size:           8
        .value_kind:     hidden_global_offset_z
      - .offset:         112
        .size:           2
        .value_kind:     hidden_grid_dims
    .group_segment_fixed_size: 0
    .kernarg_segment_align: 8
    .kernarg_segment_size: 304
    .language:       OpenCL C
    .language_version:
      - 2
      - 0
    .max_flat_workgroup_size: 1024
    .name:           _ZN12_GLOBAL__N_120softmax_warp_forwardIN3c104HalfES2_fLi5ELb0ELb0ELi32EEEvPT0_PKT_iiiPKbib
    .private_segment_fixed_size: 0
    .sgpr_count:     20
    .sgpr_spill_count: 0
    .symbol:         _ZN12_GLOBAL__N_120softmax_warp_forwardIN3c104HalfES2_fLi5ELb0ELb0ELi32EEEvPT0_PKT_iiiPKbib.kd
    .uniform_work_group_size: 1
    .uses_dynamic_stack: false
    .vgpr_count:     16
    .vgpr_spill_count: 0
    .wavefront_size: 64
  - .agpr_count:     0
    .args:
      - .address_space:  global
        .offset:         0
        .size:           8
        .value_kind:     global_buffer
      - .address_space:  global
        .offset:         8
        .size:           8
        .value_kind:     global_buffer
      - .offset:         16
        .size:           4
        .value_kind:     by_value
      - .offset:         20
        .size:           4
        .value_kind:     by_value
      - .offset:         24
        .size:           4
        .value_kind:     by_value
      - .address_space:  global
        .offset:         32
        .size:           8
        .value_kind:     global_buffer
      - .offset:         40
        .size:           4
        .value_kind:     by_value
      - .offset:         44
        .size:           1
        .value_kind:     by_value
      - .offset:         48
        .size:           4
        .value_kind:     hidden_block_count_x
      - .offset:         52
        .size:           4
        .value_kind:     hidden_block_count_y
      - .offset:         56
        .size:           4
        .value_kind:     hidden_block_count_z
      - .offset:         60
        .size:           2
        .value_kind:     hidden_group_size_x
      - .offset:         62
        .size:           2
        .value_kind:     hidden_group_size_y
      - .offset:         64
        .size:           2
        .value_kind:     hidden_group_size_z
      - .offset:         66
        .size:           2
        .value_kind:     hidden_remainder_x
      - .offset:         68
        .size:           2
        .value_kind:     hidden_remainder_y
      - .offset:         70
        .size:           2
        .value_kind:     hidden_remainder_z
      - .offset:         88
        .size:           8
        .value_kind:     hidden_global_offset_x
      - .offset:         96
        .size:           8
        .value_kind:     hidden_global_offset_y
      - .offset:         104
        .size:           8
        .value_kind:     hidden_global_offset_z
      - .offset:         112
        .size:           2
        .value_kind:     hidden_grid_dims
    .group_segment_fixed_size: 0
    .kernarg_segment_align: 8
    .kernarg_segment_size: 304
    .language:       OpenCL C
    .language_version:
      - 2
      - 0
    .max_flat_workgroup_size: 1024
    .name:           _ZN12_GLOBAL__N_120softmax_warp_forwardIN3c104HalfES2_fLi6ELb0ELb0ELi64EEEvPT0_PKT_iiiPKbib
    .private_segment_fixed_size: 0
    .sgpr_count:     20
    .sgpr_spill_count: 0
    .symbol:         _ZN12_GLOBAL__N_120softmax_warp_forwardIN3c104HalfES2_fLi6ELb0ELb0ELi64EEEvPT0_PKT_iiiPKbib.kd
    .uniform_work_group_size: 1
    .uses_dynamic_stack: false
    .vgpr_count:     17
    .vgpr_spill_count: 0
    .wavefront_size: 64
  - .agpr_count:     0
    .args:
      - .address_space:  global
        .offset:         0
        .size:           8
        .value_kind:     global_buffer
      - .address_space:  global
        .offset:         8
        .size:           8
        .value_kind:     global_buffer
      - .offset:         16
        .size:           4
        .value_kind:     by_value
      - .offset:         20
        .size:           4
        .value_kind:     by_value
      - .offset:         24
        .size:           4
        .value_kind:     by_value
      - .address_space:  global
        .offset:         32
        .size:           8
        .value_kind:     global_buffer
      - .offset:         40
        .size:           4
        .value_kind:     by_value
      - .offset:         44
        .size:           1
        .value_kind:     by_value
      - .offset:         48
        .size:           4
        .value_kind:     hidden_block_count_x
      - .offset:         52
        .size:           4
        .value_kind:     hidden_block_count_y
      - .offset:         56
        .size:           4
        .value_kind:     hidden_block_count_z
      - .offset:         60
        .size:           2
        .value_kind:     hidden_group_size_x
      - .offset:         62
        .size:           2
        .value_kind:     hidden_group_size_y
      - .offset:         64
        .size:           2
        .value_kind:     hidden_group_size_z
      - .offset:         66
        .size:           2
        .value_kind:     hidden_remainder_x
      - .offset:         68
        .size:           2
        .value_kind:     hidden_remainder_y
      - .offset:         70
        .size:           2
        .value_kind:     hidden_remainder_z
      - .offset:         88
        .size:           8
        .value_kind:     hidden_global_offset_x
      - .offset:         96
        .size:           8
        .value_kind:     hidden_global_offset_y
      - .offset:         104
        .size:           8
        .value_kind:     hidden_global_offset_z
      - .offset:         112
        .size:           2
        .value_kind:     hidden_grid_dims
    .group_segment_fixed_size: 0
    .kernarg_segment_align: 8
    .kernarg_segment_size: 304
    .language:       OpenCL C
    .language_version:
      - 2
      - 0
    .max_flat_workgroup_size: 1024
    .name:           _ZN12_GLOBAL__N_120softmax_warp_forwardIN3c104HalfES2_fLi6ELb0ELb0ELi32EEEvPT0_PKT_iiiPKbib
    .private_segment_fixed_size: 0
    .sgpr_count:     20
    .sgpr_spill_count: 0
    .symbol:         _ZN12_GLOBAL__N_120softmax_warp_forwardIN3c104HalfES2_fLi6ELb0ELb0ELi32EEEvPT0_PKT_iiiPKbib.kd
    .uniform_work_group_size: 1
    .uses_dynamic_stack: false
    .vgpr_count:     17
    .vgpr_spill_count: 0
    .wavefront_size: 64
  - .agpr_count:     0
    .args:
      - .address_space:  global
        .offset:         0
        .size:           8
        .value_kind:     global_buffer
      - .address_space:  global
        .offset:         8
        .size:           8
        .value_kind:     global_buffer
      - .offset:         16
        .size:           4
        .value_kind:     by_value
      - .offset:         20
        .size:           4
        .value_kind:     by_value
      - .offset:         24
        .size:           4
        .value_kind:     by_value
      - .address_space:  global
        .offset:         32
        .size:           8
        .value_kind:     global_buffer
      - .offset:         40
        .size:           4
        .value_kind:     by_value
      - .offset:         44
        .size:           1
        .value_kind:     by_value
      - .offset:         48
        .size:           4
        .value_kind:     hidden_block_count_x
      - .offset:         52
        .size:           4
        .value_kind:     hidden_block_count_y
      - .offset:         56
        .size:           4
        .value_kind:     hidden_block_count_z
      - .offset:         60
        .size:           2
        .value_kind:     hidden_group_size_x
      - .offset:         62
        .size:           2
        .value_kind:     hidden_group_size_y
      - .offset:         64
        .size:           2
        .value_kind:     hidden_group_size_z
      - .offset:         66
        .size:           2
        .value_kind:     hidden_remainder_x
      - .offset:         68
        .size:           2
        .value_kind:     hidden_remainder_y
      - .offset:         70
        .size:           2
        .value_kind:     hidden_remainder_z
      - .offset:         88
        .size:           8
        .value_kind:     hidden_global_offset_x
      - .offset:         96
        .size:           8
        .value_kind:     hidden_global_offset_y
      - .offset:         104
        .size:           8
        .value_kind:     hidden_global_offset_z
      - .offset:         112
        .size:           2
        .value_kind:     hidden_grid_dims
    .group_segment_fixed_size: 0
    .kernarg_segment_align: 8
    .kernarg_segment_size: 304
    .language:       OpenCL C
    .language_version:
      - 2
      - 0
    .max_flat_workgroup_size: 1024
    .name:           _ZN12_GLOBAL__N_120softmax_warp_forwardIN3c104HalfES2_fLi7ELb0ELb0ELi64EEEvPT0_PKT_iiiPKbib
    .private_segment_fixed_size: 0
    .sgpr_count:     20
    .sgpr_spill_count: 0
    .symbol:         _ZN12_GLOBAL__N_120softmax_warp_forwardIN3c104HalfES2_fLi7ELb0ELb0ELi64EEEvPT0_PKT_iiiPKbib.kd
    .uniform_work_group_size: 1
    .uses_dynamic_stack: false
    .vgpr_count:     18
    .vgpr_spill_count: 0
    .wavefront_size: 64
  - .agpr_count:     0
    .args:
      - .address_space:  global
        .offset:         0
        .size:           8
        .value_kind:     global_buffer
      - .address_space:  global
        .offset:         8
        .size:           8
        .value_kind:     global_buffer
      - .offset:         16
        .size:           4
        .value_kind:     by_value
      - .offset:         20
        .size:           4
        .value_kind:     by_value
      - .offset:         24
        .size:           4
        .value_kind:     by_value
      - .address_space:  global
        .offset:         32
        .size:           8
        .value_kind:     global_buffer
      - .offset:         40
        .size:           4
        .value_kind:     by_value
      - .offset:         44
        .size:           1
        .value_kind:     by_value
      - .offset:         48
        .size:           4
        .value_kind:     hidden_block_count_x
      - .offset:         52
        .size:           4
        .value_kind:     hidden_block_count_y
      - .offset:         56
        .size:           4
        .value_kind:     hidden_block_count_z
      - .offset:         60
        .size:           2
        .value_kind:     hidden_group_size_x
      - .offset:         62
        .size:           2
        .value_kind:     hidden_group_size_y
      - .offset:         64
        .size:           2
        .value_kind:     hidden_group_size_z
      - .offset:         66
        .size:           2
        .value_kind:     hidden_remainder_x
      - .offset:         68
        .size:           2
        .value_kind:     hidden_remainder_y
      - .offset:         70
        .size:           2
        .value_kind:     hidden_remainder_z
      - .offset:         88
        .size:           8
        .value_kind:     hidden_global_offset_x
      - .offset:         96
        .size:           8
        .value_kind:     hidden_global_offset_y
      - .offset:         104
        .size:           8
        .value_kind:     hidden_global_offset_z
      - .offset:         112
        .size:           2
        .value_kind:     hidden_grid_dims
    .group_segment_fixed_size: 0
    .kernarg_segment_align: 8
    .kernarg_segment_size: 304
    .language:       OpenCL C
    .language_version:
      - 2
      - 0
    .max_flat_workgroup_size: 1024
    .name:           _ZN12_GLOBAL__N_120softmax_warp_forwardIN3c104HalfES2_fLi7ELb0ELb0ELi32EEEvPT0_PKT_iiiPKbib
    .private_segment_fixed_size: 0
    .sgpr_count:     24
    .sgpr_spill_count: 0
    .symbol:         _ZN12_GLOBAL__N_120softmax_warp_forwardIN3c104HalfES2_fLi7ELb0ELb0ELi32EEEvPT0_PKT_iiiPKbib.kd
    .uniform_work_group_size: 1
    .uses_dynamic_stack: false
    .vgpr_count:     24
    .vgpr_spill_count: 0
    .wavefront_size: 64
  - .agpr_count:     0
    .args:
      - .address_space:  global
        .offset:         0
        .size:           8
        .value_kind:     global_buffer
      - .address_space:  global
        .offset:         8
        .size:           8
        .value_kind:     global_buffer
      - .offset:         16
        .size:           4
        .value_kind:     by_value
      - .offset:         20
        .size:           4
        .value_kind:     by_value
      - .offset:         24
        .size:           4
        .value_kind:     by_value
      - .address_space:  global
        .offset:         32
        .size:           8
        .value_kind:     global_buffer
      - .offset:         40
        .size:           4
        .value_kind:     by_value
      - .offset:         44
        .size:           1
        .value_kind:     by_value
      - .offset:         48
        .size:           4
        .value_kind:     hidden_block_count_x
      - .offset:         52
        .size:           4
        .value_kind:     hidden_block_count_y
      - .offset:         56
        .size:           4
        .value_kind:     hidden_block_count_z
      - .offset:         60
        .size:           2
        .value_kind:     hidden_group_size_x
      - .offset:         62
        .size:           2
        .value_kind:     hidden_group_size_y
      - .offset:         64
        .size:           2
        .value_kind:     hidden_group_size_z
      - .offset:         66
        .size:           2
        .value_kind:     hidden_remainder_x
      - .offset:         68
        .size:           2
        .value_kind:     hidden_remainder_y
      - .offset:         70
        .size:           2
        .value_kind:     hidden_remainder_z
      - .offset:         88
        .size:           8
        .value_kind:     hidden_global_offset_x
      - .offset:         96
        .size:           8
        .value_kind:     hidden_global_offset_y
      - .offset:         104
        .size:           8
        .value_kind:     hidden_global_offset_z
      - .offset:         112
        .size:           2
        .value_kind:     hidden_grid_dims
    .group_segment_fixed_size: 0
    .kernarg_segment_align: 8
    .kernarg_segment_size: 304
    .language:       OpenCL C
    .language_version:
      - 2
      - 0
    .max_flat_workgroup_size: 1024
    .name:           _ZN12_GLOBAL__N_120softmax_warp_forwardIN3c104HalfES2_fLi8ELb0ELb0ELi64EEEvPT0_PKT_iiiPKbib
    .private_segment_fixed_size: 0
    .sgpr_count:     20
    .sgpr_spill_count: 0
    .symbol:         _ZN12_GLOBAL__N_120softmax_warp_forwardIN3c104HalfES2_fLi8ELb0ELb0ELi64EEEvPT0_PKT_iiiPKbib.kd
    .uniform_work_group_size: 1
    .uses_dynamic_stack: false
    .vgpr_count:     19
    .vgpr_spill_count: 0
    .wavefront_size: 64
  - .agpr_count:     0
    .args:
      - .address_space:  global
        .offset:         0
        .size:           8
        .value_kind:     global_buffer
      - .address_space:  global
        .offset:         8
        .size:           8
        .value_kind:     global_buffer
      - .offset:         16
        .size:           4
        .value_kind:     by_value
      - .offset:         20
        .size:           4
        .value_kind:     by_value
      - .offset:         24
        .size:           4
        .value_kind:     by_value
      - .address_space:  global
        .offset:         32
        .size:           8
        .value_kind:     global_buffer
      - .offset:         40
        .size:           4
        .value_kind:     by_value
      - .offset:         44
        .size:           1
        .value_kind:     by_value
      - .offset:         48
        .size:           4
        .value_kind:     hidden_block_count_x
      - .offset:         52
        .size:           4
        .value_kind:     hidden_block_count_y
      - .offset:         56
        .size:           4
        .value_kind:     hidden_block_count_z
      - .offset:         60
        .size:           2
        .value_kind:     hidden_group_size_x
      - .offset:         62
        .size:           2
        .value_kind:     hidden_group_size_y
      - .offset:         64
        .size:           2
        .value_kind:     hidden_group_size_z
      - .offset:         66
        .size:           2
        .value_kind:     hidden_remainder_x
      - .offset:         68
        .size:           2
        .value_kind:     hidden_remainder_y
      - .offset:         70
        .size:           2
        .value_kind:     hidden_remainder_z
      - .offset:         88
        .size:           8
        .value_kind:     hidden_global_offset_x
      - .offset:         96
        .size:           8
        .value_kind:     hidden_global_offset_y
      - .offset:         104
        .size:           8
        .value_kind:     hidden_global_offset_z
      - .offset:         112
        .size:           2
        .value_kind:     hidden_grid_dims
    .group_segment_fixed_size: 0
    .kernarg_segment_align: 8
    .kernarg_segment_size: 304
    .language:       OpenCL C
    .language_version:
      - 2
      - 0
    .max_flat_workgroup_size: 1024
    .name:           _ZN12_GLOBAL__N_120softmax_warp_forwardIN3c104HalfES2_fLi8ELb0ELb0ELi32EEEvPT0_PKT_iiiPKbib
    .private_segment_fixed_size: 0
    .sgpr_count:     28
    .sgpr_spill_count: 0
    .symbol:         _ZN12_GLOBAL__N_120softmax_warp_forwardIN3c104HalfES2_fLi8ELb0ELb0ELi32EEEvPT0_PKT_iiiPKbib.kd
    .uniform_work_group_size: 1
    .uses_dynamic_stack: false
    .vgpr_count:     23
    .vgpr_spill_count: 0
    .wavefront_size: 64
  - .agpr_count:     0
    .args:
      - .address_space:  global
        .offset:         0
        .size:           8
        .value_kind:     global_buffer
      - .address_space:  global
        .offset:         8
        .size:           8
        .value_kind:     global_buffer
      - .offset:         16
        .size:           4
        .value_kind:     by_value
      - .offset:         20
        .size:           4
        .value_kind:     by_value
      - .offset:         24
        .size:           4
        .value_kind:     by_value
      - .address_space:  global
        .offset:         32
        .size:           8
        .value_kind:     global_buffer
      - .offset:         40
        .size:           4
        .value_kind:     by_value
      - .offset:         44
        .size:           1
        .value_kind:     by_value
      - .offset:         48
        .size:           4
        .value_kind:     hidden_block_count_x
      - .offset:         52
        .size:           4
        .value_kind:     hidden_block_count_y
      - .offset:         56
        .size:           4
        .value_kind:     hidden_block_count_z
      - .offset:         60
        .size:           2
        .value_kind:     hidden_group_size_x
      - .offset:         62
        .size:           2
        .value_kind:     hidden_group_size_y
      - .offset:         64
        .size:           2
        .value_kind:     hidden_group_size_z
      - .offset:         66
        .size:           2
        .value_kind:     hidden_remainder_x
      - .offset:         68
        .size:           2
        .value_kind:     hidden_remainder_y
      - .offset:         70
        .size:           2
        .value_kind:     hidden_remainder_z
      - .offset:         88
        .size:           8
        .value_kind:     hidden_global_offset_x
      - .offset:         96
        .size:           8
        .value_kind:     hidden_global_offset_y
      - .offset:         104
        .size:           8
        .value_kind:     hidden_global_offset_z
      - .offset:         112
        .size:           2
        .value_kind:     hidden_grid_dims
    .group_segment_fixed_size: 0
    .kernarg_segment_align: 8
    .kernarg_segment_size: 304
    .language:       OpenCL C
    .language_version:
      - 2
      - 0
    .max_flat_workgroup_size: 1024
    .name:           _ZN12_GLOBAL__N_120softmax_warp_forwardIN3c104HalfES2_fLi9ELb0ELb0ELi64EEEvPT0_PKT_iiiPKbib
    .private_segment_fixed_size: 0
    .sgpr_count:     28
    .sgpr_spill_count: 0
    .symbol:         _ZN12_GLOBAL__N_120softmax_warp_forwardIN3c104HalfES2_fLi9ELb0ELb0ELi64EEEvPT0_PKT_iiiPKbib.kd
    .uniform_work_group_size: 1
    .uses_dynamic_stack: false
    .vgpr_count:     24
    .vgpr_spill_count: 0
    .wavefront_size: 64
  - .agpr_count:     0
    .args:
      - .address_space:  global
        .offset:         0
        .size:           8
        .value_kind:     global_buffer
      - .address_space:  global
        .offset:         8
        .size:           8
        .value_kind:     global_buffer
      - .offset:         16
        .size:           4
        .value_kind:     by_value
      - .offset:         20
        .size:           4
        .value_kind:     by_value
      - .offset:         24
        .size:           4
        .value_kind:     by_value
      - .address_space:  global
        .offset:         32
        .size:           8
        .value_kind:     global_buffer
      - .offset:         40
        .size:           4
        .value_kind:     by_value
      - .offset:         44
        .size:           1
        .value_kind:     by_value
      - .offset:         48
        .size:           4
        .value_kind:     hidden_block_count_x
      - .offset:         52
        .size:           4
        .value_kind:     hidden_block_count_y
      - .offset:         56
        .size:           4
        .value_kind:     hidden_block_count_z
      - .offset:         60
        .size:           2
        .value_kind:     hidden_group_size_x
      - .offset:         62
        .size:           2
        .value_kind:     hidden_group_size_y
      - .offset:         64
        .size:           2
        .value_kind:     hidden_group_size_z
      - .offset:         66
        .size:           2
        .value_kind:     hidden_remainder_x
      - .offset:         68
        .size:           2
        .value_kind:     hidden_remainder_y
      - .offset:         70
        .size:           2
        .value_kind:     hidden_remainder_z
      - .offset:         88
        .size:           8
        .value_kind:     hidden_global_offset_x
      - .offset:         96
        .size:           8
        .value_kind:     hidden_global_offset_y
      - .offset:         104
        .size:           8
        .value_kind:     hidden_global_offset_z
      - .offset:         112
        .size:           2
        .value_kind:     hidden_grid_dims
    .group_segment_fixed_size: 0
    .kernarg_segment_align: 8
    .kernarg_segment_size: 304
    .language:       OpenCL C
    .language_version:
      - 2
      - 0
    .max_flat_workgroup_size: 1024
    .name:           _ZN12_GLOBAL__N_120softmax_warp_forwardIN3c104HalfES2_fLi9ELb0ELb0ELi32EEEvPT0_PKT_iiiPKbib
    .private_segment_fixed_size: 0
    .sgpr_count:     48
    .sgpr_spill_count: 0
    .symbol:         _ZN12_GLOBAL__N_120softmax_warp_forwardIN3c104HalfES2_fLi9ELb0ELb0ELi32EEEvPT0_PKT_iiiPKbib.kd
    .uniform_work_group_size: 1
    .uses_dynamic_stack: false
    .vgpr_count:     31
    .vgpr_spill_count: 0
    .wavefront_size: 64
  - .agpr_count:     0
    .args:
      - .address_space:  global
        .offset:         0
        .size:           8
        .value_kind:     global_buffer
      - .address_space:  global
        .offset:         8
        .size:           8
        .value_kind:     global_buffer
      - .offset:         16
        .size:           4
        .value_kind:     by_value
      - .offset:         20
        .size:           4
        .value_kind:     by_value
      - .offset:         24
        .size:           4
        .value_kind:     by_value
      - .address_space:  global
        .offset:         32
        .size:           8
        .value_kind:     global_buffer
      - .offset:         40
        .size:           4
        .value_kind:     by_value
      - .offset:         44
        .size:           1
        .value_kind:     by_value
      - .offset:         48
        .size:           4
        .value_kind:     hidden_block_count_x
      - .offset:         52
        .size:           4
        .value_kind:     hidden_block_count_y
      - .offset:         56
        .size:           4
        .value_kind:     hidden_block_count_z
      - .offset:         60
        .size:           2
        .value_kind:     hidden_group_size_x
      - .offset:         62
        .size:           2
        .value_kind:     hidden_group_size_y
      - .offset:         64
        .size:           2
        .value_kind:     hidden_group_size_z
      - .offset:         66
        .size:           2
        .value_kind:     hidden_remainder_x
      - .offset:         68
        .size:           2
        .value_kind:     hidden_remainder_y
      - .offset:         70
        .size:           2
        .value_kind:     hidden_remainder_z
      - .offset:         88
        .size:           8
        .value_kind:     hidden_global_offset_x
      - .offset:         96
        .size:           8
        .value_kind:     hidden_global_offset_y
      - .offset:         104
        .size:           8
        .value_kind:     hidden_global_offset_z
      - .offset:         112
        .size:           2
        .value_kind:     hidden_grid_dims
    .group_segment_fixed_size: 0
    .kernarg_segment_align: 8
    .kernarg_segment_size: 304
    .language:       OpenCL C
    .language_version:
      - 2
      - 0
    .max_flat_workgroup_size: 1024
    .name:           _ZN12_GLOBAL__N_120softmax_warp_forwardIN3c104HalfES2_fLi10ELb0ELb0ELi64EEEvPT0_PKT_iiiPKbib
    .private_segment_fixed_size: 0
    .sgpr_count:     48
    .sgpr_spill_count: 0
    .symbol:         _ZN12_GLOBAL__N_120softmax_warp_forwardIN3c104HalfES2_fLi10ELb0ELb0ELi64EEEvPT0_PKT_iiiPKbib.kd
    .uniform_work_group_size: 1
    .uses_dynamic_stack: false
    .vgpr_count:     32
    .vgpr_spill_count: 0
    .wavefront_size: 64
  - .agpr_count:     0
    .args:
      - .address_space:  global
        .offset:         0
        .size:           8
        .value_kind:     global_buffer
      - .address_space:  global
        .offset:         8
        .size:           8
        .value_kind:     global_buffer
      - .offset:         16
        .size:           4
        .value_kind:     by_value
      - .offset:         20
        .size:           4
        .value_kind:     by_value
      - .offset:         24
        .size:           4
        .value_kind:     by_value
      - .address_space:  global
        .offset:         32
        .size:           8
        .value_kind:     global_buffer
      - .offset:         40
        .size:           4
        .value_kind:     by_value
      - .offset:         44
        .size:           1
        .value_kind:     by_value
      - .offset:         48
        .size:           4
        .value_kind:     hidden_block_count_x
      - .offset:         52
        .size:           4
        .value_kind:     hidden_block_count_y
      - .offset:         56
        .size:           4
        .value_kind:     hidden_block_count_z
      - .offset:         60
        .size:           2
        .value_kind:     hidden_group_size_x
      - .offset:         62
        .size:           2
        .value_kind:     hidden_group_size_y
      - .offset:         64
        .size:           2
        .value_kind:     hidden_group_size_z
      - .offset:         66
        .size:           2
        .value_kind:     hidden_remainder_x
      - .offset:         68
        .size:           2
        .value_kind:     hidden_remainder_y
      - .offset:         70
        .size:           2
        .value_kind:     hidden_remainder_z
      - .offset:         88
        .size:           8
        .value_kind:     hidden_global_offset_x
      - .offset:         96
        .size:           8
        .value_kind:     hidden_global_offset_y
      - .offset:         104
        .size:           8
        .value_kind:     hidden_global_offset_z
      - .offset:         112
        .size:           2
        .value_kind:     hidden_grid_dims
    .group_segment_fixed_size: 0
    .kernarg_segment_align: 8
    .kernarg_segment_size: 304
    .language:       OpenCL C
    .language_version:
      - 2
      - 0
    .max_flat_workgroup_size: 1024
    .name:           _ZN12_GLOBAL__N_120softmax_warp_forwardIN3c104HalfES2_fLi10ELb0ELb0ELi32EEEvPT0_PKT_iiiPKbib
    .private_segment_fixed_size: 0
    .sgpr_count:     80
    .sgpr_spill_count: 0
    .symbol:         _ZN12_GLOBAL__N_120softmax_warp_forwardIN3c104HalfES2_fLi10ELb0ELb0ELi32EEEvPT0_PKT_iiiPKbib.kd
    .uniform_work_group_size: 1
    .uses_dynamic_stack: false
    .vgpr_count:     47
    .vgpr_spill_count: 0
    .wavefront_size: 64
  - .agpr_count:     0
    .args:
      - .address_space:  global
        .offset:         0
        .size:           8
        .value_kind:     global_buffer
      - .address_space:  global
        .offset:         8
        .size:           8
        .value_kind:     global_buffer
      - .offset:         16
        .size:           4
        .value_kind:     by_value
      - .offset:         20
        .size:           4
        .value_kind:     by_value
      - .offset:         24
        .size:           4
        .value_kind:     by_value
      - .address_space:  global
        .offset:         32
        .size:           8
        .value_kind:     global_buffer
      - .offset:         40
        .size:           4
        .value_kind:     by_value
      - .offset:         44
        .size:           1
        .value_kind:     by_value
      - .offset:         48
        .size:           4
        .value_kind:     hidden_block_count_x
      - .offset:         52
        .size:           4
        .value_kind:     hidden_block_count_y
      - .offset:         56
        .size:           4
        .value_kind:     hidden_block_count_z
      - .offset:         60
        .size:           2
        .value_kind:     hidden_group_size_x
      - .offset:         62
        .size:           2
        .value_kind:     hidden_group_size_y
      - .offset:         64
        .size:           2
        .value_kind:     hidden_group_size_z
      - .offset:         66
        .size:           2
        .value_kind:     hidden_remainder_x
      - .offset:         68
        .size:           2
        .value_kind:     hidden_remainder_y
      - .offset:         70
        .size:           2
        .value_kind:     hidden_remainder_z
      - .offset:         88
        .size:           8
        .value_kind:     hidden_global_offset_x
      - .offset:         96
        .size:           8
        .value_kind:     hidden_global_offset_y
      - .offset:         104
        .size:           8
        .value_kind:     hidden_global_offset_z
      - .offset:         112
        .size:           2
        .value_kind:     hidden_grid_dims
    .group_segment_fixed_size: 0
    .kernarg_segment_align: 8
    .kernarg_segment_size: 304
    .language:       OpenCL C
    .language_version:
      - 2
      - 0
    .max_flat_workgroup_size: 1024
    .name:           _ZN12_GLOBAL__N_120softmax_warp_forwardIN3c104HalfES2_fLi11ELb0ELb0ELi64EEEvPT0_PKT_iiiPKbib
    .private_segment_fixed_size: 0
    .sgpr_count:     80
    .sgpr_spill_count: 0
    .symbol:         _ZN12_GLOBAL__N_120softmax_warp_forwardIN3c104HalfES2_fLi11ELb0ELb0ELi64EEEvPT0_PKT_iiiPKbib.kd
    .uniform_work_group_size: 1
    .uses_dynamic_stack: false
    .vgpr_count:     48
    .vgpr_spill_count: 0
    .wavefront_size: 64
  - .agpr_count:     0
    .args:
      - .address_space:  global
        .offset:         0
        .size:           8
        .value_kind:     global_buffer
      - .address_space:  global
        .offset:         8
        .size:           8
        .value_kind:     global_buffer
      - .offset:         16
        .size:           4
        .value_kind:     by_value
      - .offset:         20
        .size:           4
        .value_kind:     by_value
      - .offset:         24
        .size:           4
        .value_kind:     by_value
      - .address_space:  global
        .offset:         32
        .size:           8
        .value_kind:     global_buffer
      - .offset:         40
        .size:           4
        .value_kind:     by_value
      - .offset:         44
        .size:           1
        .value_kind:     by_value
      - .offset:         48
        .size:           4
        .value_kind:     hidden_block_count_x
      - .offset:         52
        .size:           4
        .value_kind:     hidden_block_count_y
      - .offset:         56
        .size:           4
        .value_kind:     hidden_block_count_z
      - .offset:         60
        .size:           2
        .value_kind:     hidden_group_size_x
      - .offset:         62
        .size:           2
        .value_kind:     hidden_group_size_y
      - .offset:         64
        .size:           2
        .value_kind:     hidden_group_size_z
      - .offset:         66
        .size:           2
        .value_kind:     hidden_remainder_x
      - .offset:         68
        .size:           2
        .value_kind:     hidden_remainder_y
      - .offset:         70
        .size:           2
        .value_kind:     hidden_remainder_z
      - .offset:         88
        .size:           8
        .value_kind:     hidden_global_offset_x
      - .offset:         96
        .size:           8
        .value_kind:     hidden_global_offset_y
      - .offset:         104
        .size:           8
        .value_kind:     hidden_global_offset_z
      - .offset:         112
        .size:           2
        .value_kind:     hidden_grid_dims
    .group_segment_fixed_size: 0
    .kernarg_segment_align: 8
    .kernarg_segment_size: 304
    .language:       OpenCL C
    .language_version:
      - 2
      - 0
    .max_flat_workgroup_size: 1024
    .name:           _ZN12_GLOBAL__N_120softmax_warp_forwardIN3c104HalfES2_fLi11ELb0ELb0ELi32EEEvPT0_PKT_iiiPKbib
    .private_segment_fixed_size: 0
    .sgpr_count:     100
    .sgpr_spill_count: 40
    .symbol:         _ZN12_GLOBAL__N_120softmax_warp_forwardIN3c104HalfES2_fLi11ELb0ELb0ELi32EEEvPT0_PKT_iiiPKbib.kd
    .uniform_work_group_size: 1
    .uses_dynamic_stack: false
    .vgpr_count:     79
    .vgpr_spill_count: 0
    .wavefront_size: 64
  - .agpr_count:     0
    .args:
      - .address_space:  global
        .offset:         0
        .size:           8
        .value_kind:     global_buffer
      - .address_space:  global
        .offset:         8
        .size:           8
        .value_kind:     global_buffer
      - .offset:         16
        .size:           8
        .value_kind:     by_value
      - .offset:         24
        .size:           4
        .value_kind:     hidden_block_count_x
      - .offset:         28
        .size:           4
        .value_kind:     hidden_block_count_y
      - .offset:         32
        .size:           4
        .value_kind:     hidden_block_count_z
      - .offset:         36
        .size:           2
        .value_kind:     hidden_group_size_x
      - .offset:         38
        .size:           2
        .value_kind:     hidden_group_size_y
      - .offset:         40
        .size:           2
        .value_kind:     hidden_group_size_z
      - .offset:         42
        .size:           2
        .value_kind:     hidden_remainder_x
      - .offset:         44
        .size:           2
        .value_kind:     hidden_remainder_y
      - .offset:         46
        .size:           2
        .value_kind:     hidden_remainder_z
      - .offset:         64
        .size:           8
        .value_kind:     hidden_global_offset_x
      - .offset:         72
        .size:           8
        .value_kind:     hidden_global_offset_y
      - .offset:         80
        .size:           8
        .value_kind:     hidden_global_offset_z
      - .offset:         88
        .size:           2
        .value_kind:     hidden_grid_dims
      - .offset:         144
        .size:           4
        .value_kind:     hidden_dynamic_lds_size
    .group_segment_fixed_size: 0
    .kernarg_segment_align: 8
    .kernarg_segment_size: 280
    .language:       OpenCL C
    .language_version:
      - 2
      - 0
    .max_flat_workgroup_size: 1024
    .name:           _ZN2at6native12_GLOBAL__N_123cunn_SoftMaxForwardGmemILi8EN3c104HalfEfS4_NS1_29SoftMaxForwardWithMulEpilogueElEEvPT2_PKT0_T4_
    .private_segment_fixed_size: 0
    .sgpr_count:     30
    .sgpr_spill_count: 0
    .symbol:         _ZN2at6native12_GLOBAL__N_123cunn_SoftMaxForwardGmemILi8EN3c104HalfEfS4_NS1_29SoftMaxForwardWithMulEpilogueElEEvPT2_PKT0_T4_.kd
    .uniform_work_group_size: 1
    .uses_dynamic_stack: false
    .vgpr_count:     27
    .vgpr_spill_count: 0
    .wavefront_size: 64
  - .agpr_count:     0
    .args:
      - .address_space:  global
        .offset:         0
        .size:           8
        .value_kind:     global_buffer
      - .address_space:  global
        .offset:         8
        .size:           8
        .value_kind:     global_buffer
      - .offset:         16
        .size:           4
        .value_kind:     by_value
      - .offset:         24
        .size:           4
        .value_kind:     hidden_block_count_x
      - .offset:         28
        .size:           4
        .value_kind:     hidden_block_count_y
      - .offset:         32
        .size:           4
        .value_kind:     hidden_block_count_z
      - .offset:         36
        .size:           2
        .value_kind:     hidden_group_size_x
      - .offset:         38
        .size:           2
        .value_kind:     hidden_group_size_y
      - .offset:         40
        .size:           2
        .value_kind:     hidden_group_size_z
      - .offset:         42
        .size:           2
        .value_kind:     hidden_remainder_x
      - .offset:         44
        .size:           2
        .value_kind:     hidden_remainder_y
      - .offset:         46
        .size:           2
        .value_kind:     hidden_remainder_z
      - .offset:         64
        .size:           8
        .value_kind:     hidden_global_offset_x
      - .offset:         72
        .size:           8
        .value_kind:     hidden_global_offset_y
      - .offset:         80
        .size:           8
        .value_kind:     hidden_global_offset_z
      - .offset:         88
        .size:           2
        .value_kind:     hidden_grid_dims
      - .offset:         144
        .size:           4
        .value_kind:     hidden_dynamic_lds_size
    .group_segment_fixed_size: 0
    .kernarg_segment_align: 8
    .kernarg_segment_size: 280
    .language:       OpenCL C
    .language_version:
      - 2
      - 0
    .max_flat_workgroup_size: 1024
    .name:           _ZN2at6native12_GLOBAL__N_123cunn_SoftMaxForwardFastILi8EN3c104HalfEfS4_NS1_29SoftMaxForwardWithMulEpilogueEEEvPT2_PKT0_i
    .private_segment_fixed_size: 0
    .sgpr_count:     32
    .sgpr_spill_count: 0
    .symbol:         _ZN2at6native12_GLOBAL__N_123cunn_SoftMaxForwardFastILi8EN3c104HalfEfS4_NS1_29SoftMaxForwardWithMulEpilogueEEEvPT2_PKT0_i.kd
    .uniform_work_group_size: 1
    .uses_dynamic_stack: false
    .vgpr_count:     22
    .vgpr_spill_count: 0
    .wavefront_size: 64
  - .agpr_count:     0
    .args:
      - .address_space:  global
        .offset:         0
        .size:           8
        .value_kind:     global_buffer
      - .address_space:  global
        .offset:         8
        .size:           8
        .value_kind:     global_buffer
      - .offset:         16
        .size:           4
        .value_kind:     by_value
      - .offset:         20
        .size:           4
        .value_kind:     by_value
      - .offset:         24
        .size:           4
        .value_kind:     by_value
      - .address_space:  global
        .offset:         32
        .size:           8
        .value_kind:     global_buffer
      - .offset:         40
        .size:           4
        .value_kind:     by_value
      - .offset:         44
        .size:           1
        .value_kind:     by_value
      - .offset:         48
        .size:           4
        .value_kind:     hidden_block_count_x
      - .offset:         52
        .size:           4
        .value_kind:     hidden_block_count_y
      - .offset:         56
        .size:           4
        .value_kind:     hidden_block_count_z
      - .offset:         60
        .size:           2
        .value_kind:     hidden_group_size_x
      - .offset:         62
        .size:           2
        .value_kind:     hidden_group_size_y
      - .offset:         64
        .size:           2
        .value_kind:     hidden_group_size_z
      - .offset:         66
        .size:           2
        .value_kind:     hidden_remainder_x
      - .offset:         68
        .size:           2
        .value_kind:     hidden_remainder_y
      - .offset:         70
        .size:           2
        .value_kind:     hidden_remainder_z
      - .offset:         88
        .size:           8
        .value_kind:     hidden_global_offset_x
      - .offset:         96
        .size:           8
        .value_kind:     hidden_global_offset_y
      - .offset:         104
        .size:           8
        .value_kind:     hidden_global_offset_z
      - .offset:         112
        .size:           2
        .value_kind:     hidden_grid_dims
    .group_segment_fixed_size: 0
    .kernarg_segment_align: 8
    .kernarg_segment_size: 304
    .language:       OpenCL C
    .language_version:
      - 2
      - 0
    .max_flat_workgroup_size: 1024
    .name:           _ZN12_GLOBAL__N_120softmax_warp_forwardIN3c104HalfEffLi0ELb0ELb0ELi64EEEvPT0_PKT_iiiPKbib
    .private_segment_fixed_size: 0
    .sgpr_count:     20
    .sgpr_spill_count: 0
    .symbol:         _ZN12_GLOBAL__N_120softmax_warp_forwardIN3c104HalfEffLi0ELb0ELb0ELi64EEEvPT0_PKT_iiiPKbib.kd
    .uniform_work_group_size: 1
    .uses_dynamic_stack: false
    .vgpr_count:     9
    .vgpr_spill_count: 0
    .wavefront_size: 64
  - .agpr_count:     0
    .args:
      - .address_space:  global
        .offset:         0
        .size:           8
        .value_kind:     global_buffer
      - .address_space:  global
        .offset:         8
        .size:           8
        .value_kind:     global_buffer
      - .offset:         16
        .size:           4
        .value_kind:     by_value
      - .offset:         20
        .size:           4
        .value_kind:     by_value
      - .offset:         24
        .size:           4
        .value_kind:     by_value
      - .address_space:  global
        .offset:         32
        .size:           8
        .value_kind:     global_buffer
      - .offset:         40
        .size:           4
        .value_kind:     by_value
      - .offset:         44
        .size:           1
        .value_kind:     by_value
      - .offset:         48
        .size:           4
        .value_kind:     hidden_block_count_x
      - .offset:         52
        .size:           4
        .value_kind:     hidden_block_count_y
      - .offset:         56
        .size:           4
        .value_kind:     hidden_block_count_z
      - .offset:         60
        .size:           2
        .value_kind:     hidden_group_size_x
      - .offset:         62
        .size:           2
        .value_kind:     hidden_group_size_y
      - .offset:         64
        .size:           2
        .value_kind:     hidden_group_size_z
      - .offset:         66
        .size:           2
        .value_kind:     hidden_remainder_x
      - .offset:         68
        .size:           2
        .value_kind:     hidden_remainder_y
      - .offset:         70
        .size:           2
        .value_kind:     hidden_remainder_z
      - .offset:         88
        .size:           8
        .value_kind:     hidden_global_offset_x
      - .offset:         96
        .size:           8
        .value_kind:     hidden_global_offset_y
      - .offset:         104
        .size:           8
        .value_kind:     hidden_global_offset_z
      - .offset:         112
        .size:           2
        .value_kind:     hidden_grid_dims
    .group_segment_fixed_size: 0
    .kernarg_segment_align: 8
    .kernarg_segment_size: 304
    .language:       OpenCL C
    .language_version:
      - 2
      - 0
    .max_flat_workgroup_size: 1024
    .name:           _ZN12_GLOBAL__N_120softmax_warp_forwardIN3c104HalfEffLi0ELb0ELb0ELi32EEEvPT0_PKT_iiiPKbib
    .private_segment_fixed_size: 0
    .sgpr_count:     20
    .sgpr_spill_count: 0
    .symbol:         _ZN12_GLOBAL__N_120softmax_warp_forwardIN3c104HalfEffLi0ELb0ELb0ELi32EEEvPT0_PKT_iiiPKbib.kd
    .uniform_work_group_size: 1
    .uses_dynamic_stack: false
    .vgpr_count:     9
    .vgpr_spill_count: 0
    .wavefront_size: 64
  - .agpr_count:     0
    .args:
      - .address_space:  global
        .offset:         0
        .size:           8
        .value_kind:     global_buffer
      - .address_space:  global
        .offset:         8
        .size:           8
        .value_kind:     global_buffer
      - .offset:         16
        .size:           4
        .value_kind:     by_value
      - .offset:         20
        .size:           4
        .value_kind:     by_value
      - .offset:         24
        .size:           4
        .value_kind:     by_value
      - .address_space:  global
        .offset:         32
        .size:           8
        .value_kind:     global_buffer
      - .offset:         40
        .size:           4
        .value_kind:     by_value
      - .offset:         44
        .size:           1
        .value_kind:     by_value
      - .offset:         48
        .size:           4
        .value_kind:     hidden_block_count_x
      - .offset:         52
        .size:           4
        .value_kind:     hidden_block_count_y
      - .offset:         56
        .size:           4
        .value_kind:     hidden_block_count_z
      - .offset:         60
        .size:           2
        .value_kind:     hidden_group_size_x
      - .offset:         62
        .size:           2
        .value_kind:     hidden_group_size_y
      - .offset:         64
        .size:           2
        .value_kind:     hidden_group_size_z
      - .offset:         66
        .size:           2
        .value_kind:     hidden_remainder_x
      - .offset:         68
        .size:           2
        .value_kind:     hidden_remainder_y
      - .offset:         70
        .size:           2
        .value_kind:     hidden_remainder_z
      - .offset:         88
        .size:           8
        .value_kind:     hidden_global_offset_x
      - .offset:         96
        .size:           8
        .value_kind:     hidden_global_offset_y
      - .offset:         104
        .size:           8
        .value_kind:     hidden_global_offset_z
      - .offset:         112
        .size:           2
        .value_kind:     hidden_grid_dims
    .group_segment_fixed_size: 0
    .kernarg_segment_align: 8
    .kernarg_segment_size: 304
    .language:       OpenCL C
    .language_version:
      - 2
      - 0
    .max_flat_workgroup_size: 1024
    .name:           _ZN12_GLOBAL__N_120softmax_warp_forwardIN3c104HalfEffLi1ELb0ELb0ELi64EEEvPT0_PKT_iiiPKbib
    .private_segment_fixed_size: 0
    .sgpr_count:     20
    .sgpr_spill_count: 0
    .symbol:         _ZN12_GLOBAL__N_120softmax_warp_forwardIN3c104HalfEffLi1ELb0ELb0ELi64EEEvPT0_PKT_iiiPKbib.kd
    .uniform_work_group_size: 1
    .uses_dynamic_stack: false
    .vgpr_count:     12
    .vgpr_spill_count: 0
    .wavefront_size: 64
  - .agpr_count:     0
    .args:
      - .address_space:  global
        .offset:         0
        .size:           8
        .value_kind:     global_buffer
      - .address_space:  global
        .offset:         8
        .size:           8
        .value_kind:     global_buffer
      - .offset:         16
        .size:           4
        .value_kind:     by_value
      - .offset:         20
        .size:           4
        .value_kind:     by_value
      - .offset:         24
        .size:           4
        .value_kind:     by_value
      - .address_space:  global
        .offset:         32
        .size:           8
        .value_kind:     global_buffer
      - .offset:         40
        .size:           4
        .value_kind:     by_value
      - .offset:         44
        .size:           1
        .value_kind:     by_value
      - .offset:         48
        .size:           4
        .value_kind:     hidden_block_count_x
      - .offset:         52
        .size:           4
        .value_kind:     hidden_block_count_y
      - .offset:         56
        .size:           4
        .value_kind:     hidden_block_count_z
      - .offset:         60
        .size:           2
        .value_kind:     hidden_group_size_x
      - .offset:         62
        .size:           2
        .value_kind:     hidden_group_size_y
      - .offset:         64
        .size:           2
        .value_kind:     hidden_group_size_z
      - .offset:         66
        .size:           2
        .value_kind:     hidden_remainder_x
      - .offset:         68
        .size:           2
        .value_kind:     hidden_remainder_y
      - .offset:         70
        .size:           2
        .value_kind:     hidden_remainder_z
      - .offset:         88
        .size:           8
        .value_kind:     hidden_global_offset_x
      - .offset:         96
        .size:           8
        .value_kind:     hidden_global_offset_y
      - .offset:         104
        .size:           8
        .value_kind:     hidden_global_offset_z
      - .offset:         112
        .size:           2
        .value_kind:     hidden_grid_dims
    .group_segment_fixed_size: 0
    .kernarg_segment_align: 8
    .kernarg_segment_size: 304
    .language:       OpenCL C
    .language_version:
      - 2
      - 0
    .max_flat_workgroup_size: 1024
    .name:           _ZN12_GLOBAL__N_120softmax_warp_forwardIN3c104HalfEffLi1ELb0ELb0ELi32EEEvPT0_PKT_iiiPKbib
    .private_segment_fixed_size: 0
    .sgpr_count:     20
    .sgpr_spill_count: 0
    .symbol:         _ZN12_GLOBAL__N_120softmax_warp_forwardIN3c104HalfEffLi1ELb0ELb0ELi32EEEvPT0_PKT_iiiPKbib.kd
    .uniform_work_group_size: 1
    .uses_dynamic_stack: false
    .vgpr_count:     12
    .vgpr_spill_count: 0
    .wavefront_size: 64
  - .agpr_count:     0
    .args:
      - .address_space:  global
        .offset:         0
        .size:           8
        .value_kind:     global_buffer
      - .address_space:  global
        .offset:         8
        .size:           8
        .value_kind:     global_buffer
      - .offset:         16
        .size:           4
        .value_kind:     by_value
      - .offset:         20
        .size:           4
        .value_kind:     by_value
      - .offset:         24
        .size:           4
        .value_kind:     by_value
      - .address_space:  global
        .offset:         32
        .size:           8
        .value_kind:     global_buffer
      - .offset:         40
        .size:           4
        .value_kind:     by_value
      - .offset:         44
        .size:           1
        .value_kind:     by_value
      - .offset:         48
        .size:           4
        .value_kind:     hidden_block_count_x
      - .offset:         52
        .size:           4
        .value_kind:     hidden_block_count_y
      - .offset:         56
        .size:           4
        .value_kind:     hidden_block_count_z
      - .offset:         60
        .size:           2
        .value_kind:     hidden_group_size_x
      - .offset:         62
        .size:           2
        .value_kind:     hidden_group_size_y
      - .offset:         64
        .size:           2
        .value_kind:     hidden_group_size_z
      - .offset:         66
        .size:           2
        .value_kind:     hidden_remainder_x
      - .offset:         68
        .size:           2
        .value_kind:     hidden_remainder_y
      - .offset:         70
        .size:           2
        .value_kind:     hidden_remainder_z
      - .offset:         88
        .size:           8
        .value_kind:     hidden_global_offset_x
      - .offset:         96
        .size:           8
        .value_kind:     hidden_global_offset_y
      - .offset:         104
        .size:           8
        .value_kind:     hidden_global_offset_z
      - .offset:         112
        .size:           2
        .value_kind:     hidden_grid_dims
    .group_segment_fixed_size: 0
    .kernarg_segment_align: 8
    .kernarg_segment_size: 304
    .language:       OpenCL C
    .language_version:
      - 2
      - 0
    .max_flat_workgroup_size: 1024
    .name:           _ZN12_GLOBAL__N_120softmax_warp_forwardIN3c104HalfEffLi2ELb0ELb0ELi64EEEvPT0_PKT_iiiPKbib
    .private_segment_fixed_size: 0
    .sgpr_count:     20
    .sgpr_spill_count: 0
    .symbol:         _ZN12_GLOBAL__N_120softmax_warp_forwardIN3c104HalfEffLi2ELb0ELb0ELi64EEEvPT0_PKT_iiiPKbib.kd
    .uniform_work_group_size: 1
    .uses_dynamic_stack: false
    .vgpr_count:     12
    .vgpr_spill_count: 0
    .wavefront_size: 64
  - .agpr_count:     0
    .args:
      - .address_space:  global
        .offset:         0
        .size:           8
        .value_kind:     global_buffer
      - .address_space:  global
        .offset:         8
        .size:           8
        .value_kind:     global_buffer
      - .offset:         16
        .size:           4
        .value_kind:     by_value
      - .offset:         20
        .size:           4
        .value_kind:     by_value
      - .offset:         24
        .size:           4
        .value_kind:     by_value
      - .address_space:  global
        .offset:         32
        .size:           8
        .value_kind:     global_buffer
      - .offset:         40
        .size:           4
        .value_kind:     by_value
      - .offset:         44
        .size:           1
        .value_kind:     by_value
      - .offset:         48
        .size:           4
        .value_kind:     hidden_block_count_x
      - .offset:         52
        .size:           4
        .value_kind:     hidden_block_count_y
      - .offset:         56
        .size:           4
        .value_kind:     hidden_block_count_z
      - .offset:         60
        .size:           2
        .value_kind:     hidden_group_size_x
      - .offset:         62
        .size:           2
        .value_kind:     hidden_group_size_y
      - .offset:         64
        .size:           2
        .value_kind:     hidden_group_size_z
      - .offset:         66
        .size:           2
        .value_kind:     hidden_remainder_x
      - .offset:         68
        .size:           2
        .value_kind:     hidden_remainder_y
      - .offset:         70
        .size:           2
        .value_kind:     hidden_remainder_z
      - .offset:         88
        .size:           8
        .value_kind:     hidden_global_offset_x
      - .offset:         96
        .size:           8
        .value_kind:     hidden_global_offset_y
      - .offset:         104
        .size:           8
        .value_kind:     hidden_global_offset_z
      - .offset:         112
        .size:           2
        .value_kind:     hidden_grid_dims
    .group_segment_fixed_size: 0
    .kernarg_segment_align: 8
    .kernarg_segment_size: 304
    .language:       OpenCL C
    .language_version:
      - 2
      - 0
    .max_flat_workgroup_size: 1024
    .name:           _ZN12_GLOBAL__N_120softmax_warp_forwardIN3c104HalfEffLi2ELb0ELb0ELi32EEEvPT0_PKT_iiiPKbib
    .private_segment_fixed_size: 0
    .sgpr_count:     20
    .sgpr_spill_count: 0
    .symbol:         _ZN12_GLOBAL__N_120softmax_warp_forwardIN3c104HalfEffLi2ELb0ELb0ELi32EEEvPT0_PKT_iiiPKbib.kd
    .uniform_work_group_size: 1
    .uses_dynamic_stack: false
    .vgpr_count:     12
    .vgpr_spill_count: 0
    .wavefront_size: 64
  - .agpr_count:     0
    .args:
      - .address_space:  global
        .offset:         0
        .size:           8
        .value_kind:     global_buffer
      - .address_space:  global
        .offset:         8
        .size:           8
        .value_kind:     global_buffer
      - .offset:         16
        .size:           4
        .value_kind:     by_value
      - .offset:         20
        .size:           4
        .value_kind:     by_value
      - .offset:         24
        .size:           4
        .value_kind:     by_value
      - .address_space:  global
        .offset:         32
        .size:           8
        .value_kind:     global_buffer
      - .offset:         40
        .size:           4
        .value_kind:     by_value
      - .offset:         44
        .size:           1
        .value_kind:     by_value
      - .offset:         48
        .size:           4
        .value_kind:     hidden_block_count_x
      - .offset:         52
        .size:           4
        .value_kind:     hidden_block_count_y
      - .offset:         56
        .size:           4
        .value_kind:     hidden_block_count_z
      - .offset:         60
        .size:           2
        .value_kind:     hidden_group_size_x
      - .offset:         62
        .size:           2
        .value_kind:     hidden_group_size_y
      - .offset:         64
        .size:           2
        .value_kind:     hidden_group_size_z
      - .offset:         66
        .size:           2
        .value_kind:     hidden_remainder_x
      - .offset:         68
        .size:           2
        .value_kind:     hidden_remainder_y
      - .offset:         70
        .size:           2
        .value_kind:     hidden_remainder_z
      - .offset:         88
        .size:           8
        .value_kind:     hidden_global_offset_x
      - .offset:         96
        .size:           8
        .value_kind:     hidden_global_offset_y
      - .offset:         104
        .size:           8
        .value_kind:     hidden_global_offset_z
      - .offset:         112
        .size:           2
        .value_kind:     hidden_grid_dims
    .group_segment_fixed_size: 0
    .kernarg_segment_align: 8
    .kernarg_segment_size: 304
    .language:       OpenCL C
    .language_version:
      - 2
      - 0
    .max_flat_workgroup_size: 1024
    .name:           _ZN12_GLOBAL__N_120softmax_warp_forwardIN3c104HalfEffLi3ELb0ELb0ELi64EEEvPT0_PKT_iiiPKbib
    .private_segment_fixed_size: 0
    .sgpr_count:     20
    .sgpr_spill_count: 0
    .symbol:         _ZN12_GLOBAL__N_120softmax_warp_forwardIN3c104HalfEffLi3ELb0ELb0ELi64EEEvPT0_PKT_iiiPKbib.kd
    .uniform_work_group_size: 1
    .uses_dynamic_stack: false
    .vgpr_count:     13
    .vgpr_spill_count: 0
    .wavefront_size: 64
  - .agpr_count:     0
    .args:
      - .address_space:  global
        .offset:         0
        .size:           8
        .value_kind:     global_buffer
      - .address_space:  global
        .offset:         8
        .size:           8
        .value_kind:     global_buffer
      - .offset:         16
        .size:           4
        .value_kind:     by_value
      - .offset:         20
        .size:           4
        .value_kind:     by_value
      - .offset:         24
        .size:           4
        .value_kind:     by_value
      - .address_space:  global
        .offset:         32
        .size:           8
        .value_kind:     global_buffer
      - .offset:         40
        .size:           4
        .value_kind:     by_value
      - .offset:         44
        .size:           1
        .value_kind:     by_value
      - .offset:         48
        .size:           4
        .value_kind:     hidden_block_count_x
      - .offset:         52
        .size:           4
        .value_kind:     hidden_block_count_y
      - .offset:         56
        .size:           4
        .value_kind:     hidden_block_count_z
      - .offset:         60
        .size:           2
        .value_kind:     hidden_group_size_x
      - .offset:         62
        .size:           2
        .value_kind:     hidden_group_size_y
      - .offset:         64
        .size:           2
        .value_kind:     hidden_group_size_z
      - .offset:         66
        .size:           2
        .value_kind:     hidden_remainder_x
      - .offset:         68
        .size:           2
        .value_kind:     hidden_remainder_y
      - .offset:         70
        .size:           2
        .value_kind:     hidden_remainder_z
      - .offset:         88
        .size:           8
        .value_kind:     hidden_global_offset_x
      - .offset:         96
        .size:           8
        .value_kind:     hidden_global_offset_y
      - .offset:         104
        .size:           8
        .value_kind:     hidden_global_offset_z
      - .offset:         112
        .size:           2
        .value_kind:     hidden_grid_dims
    .group_segment_fixed_size: 0
    .kernarg_segment_align: 8
    .kernarg_segment_size: 304
    .language:       OpenCL C
    .language_version:
      - 2
      - 0
    .max_flat_workgroup_size: 1024
    .name:           _ZN12_GLOBAL__N_120softmax_warp_forwardIN3c104HalfEffLi3ELb0ELb0ELi32EEEvPT0_PKT_iiiPKbib
    .private_segment_fixed_size: 0
    .sgpr_count:     20
    .sgpr_spill_count: 0
    .symbol:         _ZN12_GLOBAL__N_120softmax_warp_forwardIN3c104HalfEffLi3ELb0ELb0ELi32EEEvPT0_PKT_iiiPKbib.kd
    .uniform_work_group_size: 1
    .uses_dynamic_stack: false
    .vgpr_count:     13
    .vgpr_spill_count: 0
    .wavefront_size: 64
  - .agpr_count:     0
    .args:
      - .address_space:  global
        .offset:         0
        .size:           8
        .value_kind:     global_buffer
      - .address_space:  global
        .offset:         8
        .size:           8
        .value_kind:     global_buffer
      - .offset:         16
        .size:           4
        .value_kind:     by_value
      - .offset:         20
        .size:           4
        .value_kind:     by_value
      - .offset:         24
        .size:           4
        .value_kind:     by_value
      - .address_space:  global
        .offset:         32
        .size:           8
        .value_kind:     global_buffer
      - .offset:         40
        .size:           4
        .value_kind:     by_value
      - .offset:         44
        .size:           1
        .value_kind:     by_value
      - .offset:         48
        .size:           4
        .value_kind:     hidden_block_count_x
      - .offset:         52
        .size:           4
        .value_kind:     hidden_block_count_y
      - .offset:         56
        .size:           4
        .value_kind:     hidden_block_count_z
      - .offset:         60
        .size:           2
        .value_kind:     hidden_group_size_x
      - .offset:         62
        .size:           2
        .value_kind:     hidden_group_size_y
      - .offset:         64
        .size:           2
        .value_kind:     hidden_group_size_z
      - .offset:         66
        .size:           2
        .value_kind:     hidden_remainder_x
      - .offset:         68
        .size:           2
        .value_kind:     hidden_remainder_y
      - .offset:         70
        .size:           2
        .value_kind:     hidden_remainder_z
      - .offset:         88
        .size:           8
        .value_kind:     hidden_global_offset_x
      - .offset:         96
        .size:           8
        .value_kind:     hidden_global_offset_y
      - .offset:         104
        .size:           8
        .value_kind:     hidden_global_offset_z
      - .offset:         112
        .size:           2
        .value_kind:     hidden_grid_dims
    .group_segment_fixed_size: 0
    .kernarg_segment_align: 8
    .kernarg_segment_size: 304
    .language:       OpenCL C
    .language_version:
      - 2
      - 0
    .max_flat_workgroup_size: 1024
    .name:           _ZN12_GLOBAL__N_120softmax_warp_forwardIN3c104HalfEffLi4ELb0ELb0ELi64EEEvPT0_PKT_iiiPKbib
    .private_segment_fixed_size: 0
    .sgpr_count:     20
    .sgpr_spill_count: 0
    .symbol:         _ZN12_GLOBAL__N_120softmax_warp_forwardIN3c104HalfEffLi4ELb0ELb0ELi64EEEvPT0_PKT_iiiPKbib.kd
    .uniform_work_group_size: 1
    .uses_dynamic_stack: false
    .vgpr_count:     15
    .vgpr_spill_count: 0
    .wavefront_size: 64
  - .agpr_count:     0
    .args:
      - .address_space:  global
        .offset:         0
        .size:           8
        .value_kind:     global_buffer
      - .address_space:  global
        .offset:         8
        .size:           8
        .value_kind:     global_buffer
      - .offset:         16
        .size:           4
        .value_kind:     by_value
      - .offset:         20
        .size:           4
        .value_kind:     by_value
      - .offset:         24
        .size:           4
        .value_kind:     by_value
      - .address_space:  global
        .offset:         32
        .size:           8
        .value_kind:     global_buffer
      - .offset:         40
        .size:           4
        .value_kind:     by_value
      - .offset:         44
        .size:           1
        .value_kind:     by_value
      - .offset:         48
        .size:           4
        .value_kind:     hidden_block_count_x
      - .offset:         52
        .size:           4
        .value_kind:     hidden_block_count_y
      - .offset:         56
        .size:           4
        .value_kind:     hidden_block_count_z
      - .offset:         60
        .size:           2
        .value_kind:     hidden_group_size_x
      - .offset:         62
        .size:           2
        .value_kind:     hidden_group_size_y
      - .offset:         64
        .size:           2
        .value_kind:     hidden_group_size_z
      - .offset:         66
        .size:           2
        .value_kind:     hidden_remainder_x
      - .offset:         68
        .size:           2
        .value_kind:     hidden_remainder_y
      - .offset:         70
        .size:           2
        .value_kind:     hidden_remainder_z
      - .offset:         88
        .size:           8
        .value_kind:     hidden_global_offset_x
      - .offset:         96
        .size:           8
        .value_kind:     hidden_global_offset_y
      - .offset:         104
        .size:           8
        .value_kind:     hidden_global_offset_z
      - .offset:         112
        .size:           2
        .value_kind:     hidden_grid_dims
    .group_segment_fixed_size: 0
    .kernarg_segment_align: 8
    .kernarg_segment_size: 304
    .language:       OpenCL C
    .language_version:
      - 2
      - 0
    .max_flat_workgroup_size: 1024
    .name:           _ZN12_GLOBAL__N_120softmax_warp_forwardIN3c104HalfEffLi4ELb0ELb0ELi32EEEvPT0_PKT_iiiPKbib
    .private_segment_fixed_size: 0
    .sgpr_count:     20
    .sgpr_spill_count: 0
    .symbol:         _ZN12_GLOBAL__N_120softmax_warp_forwardIN3c104HalfEffLi4ELb0ELb0ELi32EEEvPT0_PKT_iiiPKbib.kd
    .uniform_work_group_size: 1
    .uses_dynamic_stack: false
    .vgpr_count:     15
    .vgpr_spill_count: 0
    .wavefront_size: 64
  - .agpr_count:     0
    .args:
      - .address_space:  global
        .offset:         0
        .size:           8
        .value_kind:     global_buffer
      - .address_space:  global
        .offset:         8
        .size:           8
        .value_kind:     global_buffer
      - .offset:         16
        .size:           4
        .value_kind:     by_value
      - .offset:         20
        .size:           4
        .value_kind:     by_value
      - .offset:         24
        .size:           4
        .value_kind:     by_value
      - .address_space:  global
        .offset:         32
        .size:           8
        .value_kind:     global_buffer
      - .offset:         40
        .size:           4
        .value_kind:     by_value
      - .offset:         44
        .size:           1
        .value_kind:     by_value
      - .offset:         48
        .size:           4
        .value_kind:     hidden_block_count_x
      - .offset:         52
        .size:           4
        .value_kind:     hidden_block_count_y
      - .offset:         56
        .size:           4
        .value_kind:     hidden_block_count_z
      - .offset:         60
        .size:           2
        .value_kind:     hidden_group_size_x
      - .offset:         62
        .size:           2
        .value_kind:     hidden_group_size_y
      - .offset:         64
        .size:           2
        .value_kind:     hidden_group_size_z
      - .offset:         66
        .size:           2
        .value_kind:     hidden_remainder_x
      - .offset:         68
        .size:           2
        .value_kind:     hidden_remainder_y
      - .offset:         70
        .size:           2
        .value_kind:     hidden_remainder_z
      - .offset:         88
        .size:           8
        .value_kind:     hidden_global_offset_x
      - .offset:         96
        .size:           8
        .value_kind:     hidden_global_offset_y
      - .offset:         104
        .size:           8
        .value_kind:     hidden_global_offset_z
      - .offset:         112
        .size:           2
        .value_kind:     hidden_grid_dims
    .group_segment_fixed_size: 0
    .kernarg_segment_align: 8
    .kernarg_segment_size: 304
    .language:       OpenCL C
    .language_version:
      - 2
      - 0
    .max_flat_workgroup_size: 1024
    .name:           _ZN12_GLOBAL__N_120softmax_warp_forwardIN3c104HalfEffLi5ELb0ELb0ELi64EEEvPT0_PKT_iiiPKbib
    .private_segment_fixed_size: 0
    .sgpr_count:     20
    .sgpr_spill_count: 0
    .symbol:         _ZN12_GLOBAL__N_120softmax_warp_forwardIN3c104HalfEffLi5ELb0ELb0ELi64EEEvPT0_PKT_iiiPKbib.kd
    .uniform_work_group_size: 1
    .uses_dynamic_stack: false
    .vgpr_count:     16
    .vgpr_spill_count: 0
    .wavefront_size: 64
  - .agpr_count:     0
    .args:
      - .address_space:  global
        .offset:         0
        .size:           8
        .value_kind:     global_buffer
      - .address_space:  global
        .offset:         8
        .size:           8
        .value_kind:     global_buffer
      - .offset:         16
        .size:           4
        .value_kind:     by_value
      - .offset:         20
        .size:           4
        .value_kind:     by_value
      - .offset:         24
        .size:           4
        .value_kind:     by_value
      - .address_space:  global
        .offset:         32
        .size:           8
        .value_kind:     global_buffer
      - .offset:         40
        .size:           4
        .value_kind:     by_value
      - .offset:         44
        .size:           1
        .value_kind:     by_value
      - .offset:         48
        .size:           4
        .value_kind:     hidden_block_count_x
      - .offset:         52
        .size:           4
        .value_kind:     hidden_block_count_y
      - .offset:         56
        .size:           4
        .value_kind:     hidden_block_count_z
      - .offset:         60
        .size:           2
        .value_kind:     hidden_group_size_x
      - .offset:         62
        .size:           2
        .value_kind:     hidden_group_size_y
      - .offset:         64
        .size:           2
        .value_kind:     hidden_group_size_z
      - .offset:         66
        .size:           2
        .value_kind:     hidden_remainder_x
      - .offset:         68
        .size:           2
        .value_kind:     hidden_remainder_y
      - .offset:         70
        .size:           2
        .value_kind:     hidden_remainder_z
      - .offset:         88
        .size:           8
        .value_kind:     hidden_global_offset_x
      - .offset:         96
        .size:           8
        .value_kind:     hidden_global_offset_y
      - .offset:         104
        .size:           8
        .value_kind:     hidden_global_offset_z
      - .offset:         112
        .size:           2
        .value_kind:     hidden_grid_dims
    .group_segment_fixed_size: 0
    .kernarg_segment_align: 8
    .kernarg_segment_size: 304
    .language:       OpenCL C
    .language_version:
      - 2
      - 0
    .max_flat_workgroup_size: 1024
    .name:           _ZN12_GLOBAL__N_120softmax_warp_forwardIN3c104HalfEffLi5ELb0ELb0ELi32EEEvPT0_PKT_iiiPKbib
    .private_segment_fixed_size: 0
    .sgpr_count:     20
    .sgpr_spill_count: 0
    .symbol:         _ZN12_GLOBAL__N_120softmax_warp_forwardIN3c104HalfEffLi5ELb0ELb0ELi32EEEvPT0_PKT_iiiPKbib.kd
    .uniform_work_group_size: 1
    .uses_dynamic_stack: false
    .vgpr_count:     16
    .vgpr_spill_count: 0
    .wavefront_size: 64
  - .agpr_count:     0
    .args:
      - .address_space:  global
        .offset:         0
        .size:           8
        .value_kind:     global_buffer
      - .address_space:  global
        .offset:         8
        .size:           8
        .value_kind:     global_buffer
      - .offset:         16
        .size:           4
        .value_kind:     by_value
      - .offset:         20
        .size:           4
        .value_kind:     by_value
      - .offset:         24
        .size:           4
        .value_kind:     by_value
      - .address_space:  global
        .offset:         32
        .size:           8
        .value_kind:     global_buffer
      - .offset:         40
        .size:           4
        .value_kind:     by_value
      - .offset:         44
        .size:           1
        .value_kind:     by_value
      - .offset:         48
        .size:           4
        .value_kind:     hidden_block_count_x
      - .offset:         52
        .size:           4
        .value_kind:     hidden_block_count_y
      - .offset:         56
        .size:           4
        .value_kind:     hidden_block_count_z
      - .offset:         60
        .size:           2
        .value_kind:     hidden_group_size_x
      - .offset:         62
        .size:           2
        .value_kind:     hidden_group_size_y
      - .offset:         64
        .size:           2
        .value_kind:     hidden_group_size_z
      - .offset:         66
        .size:           2
        .value_kind:     hidden_remainder_x
      - .offset:         68
        .size:           2
        .value_kind:     hidden_remainder_y
      - .offset:         70
        .size:           2
        .value_kind:     hidden_remainder_z
      - .offset:         88
        .size:           8
        .value_kind:     hidden_global_offset_x
      - .offset:         96
        .size:           8
        .value_kind:     hidden_global_offset_y
      - .offset:         104
        .size:           8
        .value_kind:     hidden_global_offset_z
      - .offset:         112
        .size:           2
        .value_kind:     hidden_grid_dims
    .group_segment_fixed_size: 0
    .kernarg_segment_align: 8
    .kernarg_segment_size: 304
    .language:       OpenCL C
    .language_version:
      - 2
      - 0
    .max_flat_workgroup_size: 1024
    .name:           _ZN12_GLOBAL__N_120softmax_warp_forwardIN3c104HalfEffLi6ELb0ELb0ELi64EEEvPT0_PKT_iiiPKbib
    .private_segment_fixed_size: 0
    .sgpr_count:     20
    .sgpr_spill_count: 0
    .symbol:         _ZN12_GLOBAL__N_120softmax_warp_forwardIN3c104HalfEffLi6ELb0ELb0ELi64EEEvPT0_PKT_iiiPKbib.kd
    .uniform_work_group_size: 1
    .uses_dynamic_stack: false
    .vgpr_count:     17
    .vgpr_spill_count: 0
    .wavefront_size: 64
  - .agpr_count:     0
    .args:
      - .address_space:  global
        .offset:         0
        .size:           8
        .value_kind:     global_buffer
      - .address_space:  global
        .offset:         8
        .size:           8
        .value_kind:     global_buffer
      - .offset:         16
        .size:           4
        .value_kind:     by_value
      - .offset:         20
        .size:           4
        .value_kind:     by_value
      - .offset:         24
        .size:           4
        .value_kind:     by_value
      - .address_space:  global
        .offset:         32
        .size:           8
        .value_kind:     global_buffer
      - .offset:         40
        .size:           4
        .value_kind:     by_value
      - .offset:         44
        .size:           1
        .value_kind:     by_value
      - .offset:         48
        .size:           4
        .value_kind:     hidden_block_count_x
      - .offset:         52
        .size:           4
        .value_kind:     hidden_block_count_y
      - .offset:         56
        .size:           4
        .value_kind:     hidden_block_count_z
      - .offset:         60
        .size:           2
        .value_kind:     hidden_group_size_x
      - .offset:         62
        .size:           2
        .value_kind:     hidden_group_size_y
      - .offset:         64
        .size:           2
        .value_kind:     hidden_group_size_z
      - .offset:         66
        .size:           2
        .value_kind:     hidden_remainder_x
      - .offset:         68
        .size:           2
        .value_kind:     hidden_remainder_y
      - .offset:         70
        .size:           2
        .value_kind:     hidden_remainder_z
      - .offset:         88
        .size:           8
        .value_kind:     hidden_global_offset_x
      - .offset:         96
        .size:           8
        .value_kind:     hidden_global_offset_y
      - .offset:         104
        .size:           8
        .value_kind:     hidden_global_offset_z
      - .offset:         112
        .size:           2
        .value_kind:     hidden_grid_dims
    .group_segment_fixed_size: 0
    .kernarg_segment_align: 8
    .kernarg_segment_size: 304
    .language:       OpenCL C
    .language_version:
      - 2
      - 0
    .max_flat_workgroup_size: 1024
    .name:           _ZN12_GLOBAL__N_120softmax_warp_forwardIN3c104HalfEffLi6ELb0ELb0ELi32EEEvPT0_PKT_iiiPKbib
    .private_segment_fixed_size: 0
    .sgpr_count:     20
    .sgpr_spill_count: 0
    .symbol:         _ZN12_GLOBAL__N_120softmax_warp_forwardIN3c104HalfEffLi6ELb0ELb0ELi32EEEvPT0_PKT_iiiPKbib.kd
    .uniform_work_group_size: 1
    .uses_dynamic_stack: false
    .vgpr_count:     17
    .vgpr_spill_count: 0
    .wavefront_size: 64
  - .agpr_count:     0
    .args:
      - .address_space:  global
        .offset:         0
        .size:           8
        .value_kind:     global_buffer
      - .address_space:  global
        .offset:         8
        .size:           8
        .value_kind:     global_buffer
      - .offset:         16
        .size:           4
        .value_kind:     by_value
      - .offset:         20
        .size:           4
        .value_kind:     by_value
      - .offset:         24
        .size:           4
        .value_kind:     by_value
      - .address_space:  global
        .offset:         32
        .size:           8
        .value_kind:     global_buffer
      - .offset:         40
        .size:           4
        .value_kind:     by_value
      - .offset:         44
        .size:           1
        .value_kind:     by_value
      - .offset:         48
        .size:           4
        .value_kind:     hidden_block_count_x
      - .offset:         52
        .size:           4
        .value_kind:     hidden_block_count_y
      - .offset:         56
        .size:           4
        .value_kind:     hidden_block_count_z
      - .offset:         60
        .size:           2
        .value_kind:     hidden_group_size_x
      - .offset:         62
        .size:           2
        .value_kind:     hidden_group_size_y
      - .offset:         64
        .size:           2
        .value_kind:     hidden_group_size_z
      - .offset:         66
        .size:           2
        .value_kind:     hidden_remainder_x
      - .offset:         68
        .size:           2
        .value_kind:     hidden_remainder_y
      - .offset:         70
        .size:           2
        .value_kind:     hidden_remainder_z
      - .offset:         88
        .size:           8
        .value_kind:     hidden_global_offset_x
      - .offset:         96
        .size:           8
        .value_kind:     hidden_global_offset_y
      - .offset:         104
        .size:           8
        .value_kind:     hidden_global_offset_z
      - .offset:         112
        .size:           2
        .value_kind:     hidden_grid_dims
    .group_segment_fixed_size: 0
    .kernarg_segment_align: 8
    .kernarg_segment_size: 304
    .language:       OpenCL C
    .language_version:
      - 2
      - 0
    .max_flat_workgroup_size: 1024
    .name:           _ZN12_GLOBAL__N_120softmax_warp_forwardIN3c104HalfEffLi7ELb0ELb0ELi64EEEvPT0_PKT_iiiPKbib
    .private_segment_fixed_size: 0
    .sgpr_count:     20
    .sgpr_spill_count: 0
    .symbol:         _ZN12_GLOBAL__N_120softmax_warp_forwardIN3c104HalfEffLi7ELb0ELb0ELi64EEEvPT0_PKT_iiiPKbib.kd
    .uniform_work_group_size: 1
    .uses_dynamic_stack: false
    .vgpr_count:     18
    .vgpr_spill_count: 0
    .wavefront_size: 64
  - .agpr_count:     0
    .args:
      - .address_space:  global
        .offset:         0
        .size:           8
        .value_kind:     global_buffer
      - .address_space:  global
        .offset:         8
        .size:           8
        .value_kind:     global_buffer
      - .offset:         16
        .size:           4
        .value_kind:     by_value
      - .offset:         20
        .size:           4
        .value_kind:     by_value
      - .offset:         24
        .size:           4
        .value_kind:     by_value
      - .address_space:  global
        .offset:         32
        .size:           8
        .value_kind:     global_buffer
      - .offset:         40
        .size:           4
        .value_kind:     by_value
      - .offset:         44
        .size:           1
        .value_kind:     by_value
      - .offset:         48
        .size:           4
        .value_kind:     hidden_block_count_x
      - .offset:         52
        .size:           4
        .value_kind:     hidden_block_count_y
      - .offset:         56
        .size:           4
        .value_kind:     hidden_block_count_z
      - .offset:         60
        .size:           2
        .value_kind:     hidden_group_size_x
      - .offset:         62
        .size:           2
        .value_kind:     hidden_group_size_y
      - .offset:         64
        .size:           2
        .value_kind:     hidden_group_size_z
      - .offset:         66
        .size:           2
        .value_kind:     hidden_remainder_x
      - .offset:         68
        .size:           2
        .value_kind:     hidden_remainder_y
      - .offset:         70
        .size:           2
        .value_kind:     hidden_remainder_z
      - .offset:         88
        .size:           8
        .value_kind:     hidden_global_offset_x
      - .offset:         96
        .size:           8
        .value_kind:     hidden_global_offset_y
      - .offset:         104
        .size:           8
        .value_kind:     hidden_global_offset_z
      - .offset:         112
        .size:           2
        .value_kind:     hidden_grid_dims
    .group_segment_fixed_size: 0
    .kernarg_segment_align: 8
    .kernarg_segment_size: 304
    .language:       OpenCL C
    .language_version:
      - 2
      - 0
    .max_flat_workgroup_size: 1024
    .name:           _ZN12_GLOBAL__N_120softmax_warp_forwardIN3c104HalfEffLi7ELb0ELb0ELi32EEEvPT0_PKT_iiiPKbib
    .private_segment_fixed_size: 0
    .sgpr_count:     24
    .sgpr_spill_count: 0
    .symbol:         _ZN12_GLOBAL__N_120softmax_warp_forwardIN3c104HalfEffLi7ELb0ELb0ELi32EEEvPT0_PKT_iiiPKbib.kd
    .uniform_work_group_size: 1
    .uses_dynamic_stack: false
    .vgpr_count:     24
    .vgpr_spill_count: 0
    .wavefront_size: 64
  - .agpr_count:     0
    .args:
      - .address_space:  global
        .offset:         0
        .size:           8
        .value_kind:     global_buffer
      - .address_space:  global
        .offset:         8
        .size:           8
        .value_kind:     global_buffer
      - .offset:         16
        .size:           4
        .value_kind:     by_value
      - .offset:         20
        .size:           4
        .value_kind:     by_value
      - .offset:         24
        .size:           4
        .value_kind:     by_value
      - .address_space:  global
        .offset:         32
        .size:           8
        .value_kind:     global_buffer
      - .offset:         40
        .size:           4
        .value_kind:     by_value
      - .offset:         44
        .size:           1
        .value_kind:     by_value
      - .offset:         48
        .size:           4
        .value_kind:     hidden_block_count_x
      - .offset:         52
        .size:           4
        .value_kind:     hidden_block_count_y
      - .offset:         56
        .size:           4
        .value_kind:     hidden_block_count_z
      - .offset:         60
        .size:           2
        .value_kind:     hidden_group_size_x
      - .offset:         62
        .size:           2
        .value_kind:     hidden_group_size_y
      - .offset:         64
        .size:           2
        .value_kind:     hidden_group_size_z
      - .offset:         66
        .size:           2
        .value_kind:     hidden_remainder_x
      - .offset:         68
        .size:           2
        .value_kind:     hidden_remainder_y
      - .offset:         70
        .size:           2
        .value_kind:     hidden_remainder_z
      - .offset:         88
        .size:           8
        .value_kind:     hidden_global_offset_x
      - .offset:         96
        .size:           8
        .value_kind:     hidden_global_offset_y
      - .offset:         104
        .size:           8
        .value_kind:     hidden_global_offset_z
      - .offset:         112
        .size:           2
        .value_kind:     hidden_grid_dims
    .group_segment_fixed_size: 0
    .kernarg_segment_align: 8
    .kernarg_segment_size: 304
    .language:       OpenCL C
    .language_version:
      - 2
      - 0
    .max_flat_workgroup_size: 1024
    .name:           _ZN12_GLOBAL__N_120softmax_warp_forwardIN3c104HalfEffLi8ELb0ELb0ELi64EEEvPT0_PKT_iiiPKbib
    .private_segment_fixed_size: 0
    .sgpr_count:     20
    .sgpr_spill_count: 0
    .symbol:         _ZN12_GLOBAL__N_120softmax_warp_forwardIN3c104HalfEffLi8ELb0ELb0ELi64EEEvPT0_PKT_iiiPKbib.kd
    .uniform_work_group_size: 1
    .uses_dynamic_stack: false
    .vgpr_count:     19
    .vgpr_spill_count: 0
    .wavefront_size: 64
  - .agpr_count:     0
    .args:
      - .address_space:  global
        .offset:         0
        .size:           8
        .value_kind:     global_buffer
      - .address_space:  global
        .offset:         8
        .size:           8
        .value_kind:     global_buffer
      - .offset:         16
        .size:           4
        .value_kind:     by_value
      - .offset:         20
        .size:           4
        .value_kind:     by_value
      - .offset:         24
        .size:           4
        .value_kind:     by_value
      - .address_space:  global
        .offset:         32
        .size:           8
        .value_kind:     global_buffer
      - .offset:         40
        .size:           4
        .value_kind:     by_value
      - .offset:         44
        .size:           1
        .value_kind:     by_value
      - .offset:         48
        .size:           4
        .value_kind:     hidden_block_count_x
      - .offset:         52
        .size:           4
        .value_kind:     hidden_block_count_y
      - .offset:         56
        .size:           4
        .value_kind:     hidden_block_count_z
      - .offset:         60
        .size:           2
        .value_kind:     hidden_group_size_x
      - .offset:         62
        .size:           2
        .value_kind:     hidden_group_size_y
      - .offset:         64
        .size:           2
        .value_kind:     hidden_group_size_z
      - .offset:         66
        .size:           2
        .value_kind:     hidden_remainder_x
      - .offset:         68
        .size:           2
        .value_kind:     hidden_remainder_y
      - .offset:         70
        .size:           2
        .value_kind:     hidden_remainder_z
      - .offset:         88
        .size:           8
        .value_kind:     hidden_global_offset_x
      - .offset:         96
        .size:           8
        .value_kind:     hidden_global_offset_y
      - .offset:         104
        .size:           8
        .value_kind:     hidden_global_offset_z
      - .offset:         112
        .size:           2
        .value_kind:     hidden_grid_dims
    .group_segment_fixed_size: 0
    .kernarg_segment_align: 8
    .kernarg_segment_size: 304
    .language:       OpenCL C
    .language_version:
      - 2
      - 0
    .max_flat_workgroup_size: 1024
    .name:           _ZN12_GLOBAL__N_120softmax_warp_forwardIN3c104HalfEffLi8ELb0ELb0ELi32EEEvPT0_PKT_iiiPKbib
    .private_segment_fixed_size: 0
    .sgpr_count:     28
    .sgpr_spill_count: 0
    .symbol:         _ZN12_GLOBAL__N_120softmax_warp_forwardIN3c104HalfEffLi8ELb0ELb0ELi32EEEvPT0_PKT_iiiPKbib.kd
    .uniform_work_group_size: 1
    .uses_dynamic_stack: false
    .vgpr_count:     23
    .vgpr_spill_count: 0
    .wavefront_size: 64
  - .agpr_count:     0
    .args:
      - .address_space:  global
        .offset:         0
        .size:           8
        .value_kind:     global_buffer
      - .address_space:  global
        .offset:         8
        .size:           8
        .value_kind:     global_buffer
      - .offset:         16
        .size:           4
        .value_kind:     by_value
      - .offset:         20
        .size:           4
        .value_kind:     by_value
      - .offset:         24
        .size:           4
        .value_kind:     by_value
      - .address_space:  global
        .offset:         32
        .size:           8
        .value_kind:     global_buffer
      - .offset:         40
        .size:           4
        .value_kind:     by_value
      - .offset:         44
        .size:           1
        .value_kind:     by_value
      - .offset:         48
        .size:           4
        .value_kind:     hidden_block_count_x
      - .offset:         52
        .size:           4
        .value_kind:     hidden_block_count_y
      - .offset:         56
        .size:           4
        .value_kind:     hidden_block_count_z
      - .offset:         60
        .size:           2
        .value_kind:     hidden_group_size_x
      - .offset:         62
        .size:           2
        .value_kind:     hidden_group_size_y
      - .offset:         64
        .size:           2
        .value_kind:     hidden_group_size_z
      - .offset:         66
        .size:           2
        .value_kind:     hidden_remainder_x
      - .offset:         68
        .size:           2
        .value_kind:     hidden_remainder_y
      - .offset:         70
        .size:           2
        .value_kind:     hidden_remainder_z
      - .offset:         88
        .size:           8
        .value_kind:     hidden_global_offset_x
      - .offset:         96
        .size:           8
        .value_kind:     hidden_global_offset_y
      - .offset:         104
        .size:           8
        .value_kind:     hidden_global_offset_z
      - .offset:         112
        .size:           2
        .value_kind:     hidden_grid_dims
    .group_segment_fixed_size: 0
    .kernarg_segment_align: 8
    .kernarg_segment_size: 304
    .language:       OpenCL C
    .language_version:
      - 2
      - 0
    .max_flat_workgroup_size: 1024
    .name:           _ZN12_GLOBAL__N_120softmax_warp_forwardIN3c104HalfEffLi9ELb0ELb0ELi64EEEvPT0_PKT_iiiPKbib
    .private_segment_fixed_size: 0
    .sgpr_count:     28
    .sgpr_spill_count: 0
    .symbol:         _ZN12_GLOBAL__N_120softmax_warp_forwardIN3c104HalfEffLi9ELb0ELb0ELi64EEEvPT0_PKT_iiiPKbib.kd
    .uniform_work_group_size: 1
    .uses_dynamic_stack: false
    .vgpr_count:     24
    .vgpr_spill_count: 0
    .wavefront_size: 64
  - .agpr_count:     0
    .args:
      - .address_space:  global
        .offset:         0
        .size:           8
        .value_kind:     global_buffer
      - .address_space:  global
        .offset:         8
        .size:           8
        .value_kind:     global_buffer
      - .offset:         16
        .size:           4
        .value_kind:     by_value
      - .offset:         20
        .size:           4
        .value_kind:     by_value
      - .offset:         24
        .size:           4
        .value_kind:     by_value
      - .address_space:  global
        .offset:         32
        .size:           8
        .value_kind:     global_buffer
      - .offset:         40
        .size:           4
        .value_kind:     by_value
      - .offset:         44
        .size:           1
        .value_kind:     by_value
      - .offset:         48
        .size:           4
        .value_kind:     hidden_block_count_x
      - .offset:         52
        .size:           4
        .value_kind:     hidden_block_count_y
      - .offset:         56
        .size:           4
        .value_kind:     hidden_block_count_z
      - .offset:         60
        .size:           2
        .value_kind:     hidden_group_size_x
      - .offset:         62
        .size:           2
        .value_kind:     hidden_group_size_y
      - .offset:         64
        .size:           2
        .value_kind:     hidden_group_size_z
      - .offset:         66
        .size:           2
        .value_kind:     hidden_remainder_x
      - .offset:         68
        .size:           2
        .value_kind:     hidden_remainder_y
      - .offset:         70
        .size:           2
        .value_kind:     hidden_remainder_z
      - .offset:         88
        .size:           8
        .value_kind:     hidden_global_offset_x
      - .offset:         96
        .size:           8
        .value_kind:     hidden_global_offset_y
      - .offset:         104
        .size:           8
        .value_kind:     hidden_global_offset_z
      - .offset:         112
        .size:           2
        .value_kind:     hidden_grid_dims
    .group_segment_fixed_size: 0
    .kernarg_segment_align: 8
    .kernarg_segment_size: 304
    .language:       OpenCL C
    .language_version:
      - 2
      - 0
    .max_flat_workgroup_size: 1024
    .name:           _ZN12_GLOBAL__N_120softmax_warp_forwardIN3c104HalfEffLi9ELb0ELb0ELi32EEEvPT0_PKT_iiiPKbib
    .private_segment_fixed_size: 0
    .sgpr_count:     48
    .sgpr_spill_count: 0
    .symbol:         _ZN12_GLOBAL__N_120softmax_warp_forwardIN3c104HalfEffLi9ELb0ELb0ELi32EEEvPT0_PKT_iiiPKbib.kd
    .uniform_work_group_size: 1
    .uses_dynamic_stack: false
    .vgpr_count:     31
    .vgpr_spill_count: 0
    .wavefront_size: 64
  - .agpr_count:     0
    .args:
      - .address_space:  global
        .offset:         0
        .size:           8
        .value_kind:     global_buffer
      - .address_space:  global
        .offset:         8
        .size:           8
        .value_kind:     global_buffer
      - .offset:         16
        .size:           4
        .value_kind:     by_value
      - .offset:         20
        .size:           4
        .value_kind:     by_value
      - .offset:         24
        .size:           4
        .value_kind:     by_value
      - .address_space:  global
        .offset:         32
        .size:           8
        .value_kind:     global_buffer
      - .offset:         40
        .size:           4
        .value_kind:     by_value
      - .offset:         44
        .size:           1
        .value_kind:     by_value
      - .offset:         48
        .size:           4
        .value_kind:     hidden_block_count_x
      - .offset:         52
        .size:           4
        .value_kind:     hidden_block_count_y
      - .offset:         56
        .size:           4
        .value_kind:     hidden_block_count_z
      - .offset:         60
        .size:           2
        .value_kind:     hidden_group_size_x
      - .offset:         62
        .size:           2
        .value_kind:     hidden_group_size_y
      - .offset:         64
        .size:           2
        .value_kind:     hidden_group_size_z
      - .offset:         66
        .size:           2
        .value_kind:     hidden_remainder_x
      - .offset:         68
        .size:           2
        .value_kind:     hidden_remainder_y
      - .offset:         70
        .size:           2
        .value_kind:     hidden_remainder_z
      - .offset:         88
        .size:           8
        .value_kind:     hidden_global_offset_x
      - .offset:         96
        .size:           8
        .value_kind:     hidden_global_offset_y
      - .offset:         104
        .size:           8
        .value_kind:     hidden_global_offset_z
      - .offset:         112
        .size:           2
        .value_kind:     hidden_grid_dims
    .group_segment_fixed_size: 0
    .kernarg_segment_align: 8
    .kernarg_segment_size: 304
    .language:       OpenCL C
    .language_version:
      - 2
      - 0
    .max_flat_workgroup_size: 1024
    .name:           _ZN12_GLOBAL__N_120softmax_warp_forwardIN3c104HalfEffLi10ELb0ELb0ELi64EEEvPT0_PKT_iiiPKbib
    .private_segment_fixed_size: 0
    .sgpr_count:     48
    .sgpr_spill_count: 0
    .symbol:         _ZN12_GLOBAL__N_120softmax_warp_forwardIN3c104HalfEffLi10ELb0ELb0ELi64EEEvPT0_PKT_iiiPKbib.kd
    .uniform_work_group_size: 1
    .uses_dynamic_stack: false
    .vgpr_count:     32
    .vgpr_spill_count: 0
    .wavefront_size: 64
  - .agpr_count:     0
    .args:
      - .address_space:  global
        .offset:         0
        .size:           8
        .value_kind:     global_buffer
      - .address_space:  global
        .offset:         8
        .size:           8
        .value_kind:     global_buffer
      - .offset:         16
        .size:           4
        .value_kind:     by_value
      - .offset:         20
        .size:           4
        .value_kind:     by_value
      - .offset:         24
        .size:           4
        .value_kind:     by_value
      - .address_space:  global
        .offset:         32
        .size:           8
        .value_kind:     global_buffer
      - .offset:         40
        .size:           4
        .value_kind:     by_value
      - .offset:         44
        .size:           1
        .value_kind:     by_value
      - .offset:         48
        .size:           4
        .value_kind:     hidden_block_count_x
      - .offset:         52
        .size:           4
        .value_kind:     hidden_block_count_y
      - .offset:         56
        .size:           4
        .value_kind:     hidden_block_count_z
      - .offset:         60
        .size:           2
        .value_kind:     hidden_group_size_x
      - .offset:         62
        .size:           2
        .value_kind:     hidden_group_size_y
      - .offset:         64
        .size:           2
        .value_kind:     hidden_group_size_z
      - .offset:         66
        .size:           2
        .value_kind:     hidden_remainder_x
      - .offset:         68
        .size:           2
        .value_kind:     hidden_remainder_y
      - .offset:         70
        .size:           2
        .value_kind:     hidden_remainder_z
      - .offset:         88
        .size:           8
        .value_kind:     hidden_global_offset_x
      - .offset:         96
        .size:           8
        .value_kind:     hidden_global_offset_y
      - .offset:         104
        .size:           8
        .value_kind:     hidden_global_offset_z
      - .offset:         112
        .size:           2
        .value_kind:     hidden_grid_dims
    .group_segment_fixed_size: 0
    .kernarg_segment_align: 8
    .kernarg_segment_size: 304
    .language:       OpenCL C
    .language_version:
      - 2
      - 0
    .max_flat_workgroup_size: 1024
    .name:           _ZN12_GLOBAL__N_120softmax_warp_forwardIN3c104HalfEffLi10ELb0ELb0ELi32EEEvPT0_PKT_iiiPKbib
    .private_segment_fixed_size: 0
    .sgpr_count:     80
    .sgpr_spill_count: 0
    .symbol:         _ZN12_GLOBAL__N_120softmax_warp_forwardIN3c104HalfEffLi10ELb0ELb0ELi32EEEvPT0_PKT_iiiPKbib.kd
    .uniform_work_group_size: 1
    .uses_dynamic_stack: false
    .vgpr_count:     47
    .vgpr_spill_count: 0
    .wavefront_size: 64
  - .agpr_count:     0
    .args:
      - .address_space:  global
        .offset:         0
        .size:           8
        .value_kind:     global_buffer
      - .address_space:  global
        .offset:         8
        .size:           8
        .value_kind:     global_buffer
      - .offset:         16
        .size:           4
        .value_kind:     by_value
      - .offset:         20
        .size:           4
        .value_kind:     by_value
      - .offset:         24
        .size:           4
        .value_kind:     by_value
      - .address_space:  global
        .offset:         32
        .size:           8
        .value_kind:     global_buffer
      - .offset:         40
        .size:           4
        .value_kind:     by_value
      - .offset:         44
        .size:           1
        .value_kind:     by_value
      - .offset:         48
        .size:           4
        .value_kind:     hidden_block_count_x
      - .offset:         52
        .size:           4
        .value_kind:     hidden_block_count_y
      - .offset:         56
        .size:           4
        .value_kind:     hidden_block_count_z
      - .offset:         60
        .size:           2
        .value_kind:     hidden_group_size_x
      - .offset:         62
        .size:           2
        .value_kind:     hidden_group_size_y
      - .offset:         64
        .size:           2
        .value_kind:     hidden_group_size_z
      - .offset:         66
        .size:           2
        .value_kind:     hidden_remainder_x
      - .offset:         68
        .size:           2
        .value_kind:     hidden_remainder_y
      - .offset:         70
        .size:           2
        .value_kind:     hidden_remainder_z
      - .offset:         88
        .size:           8
        .value_kind:     hidden_global_offset_x
      - .offset:         96
        .size:           8
        .value_kind:     hidden_global_offset_y
      - .offset:         104
        .size:           8
        .value_kind:     hidden_global_offset_z
      - .offset:         112
        .size:           2
        .value_kind:     hidden_grid_dims
    .group_segment_fixed_size: 0
    .kernarg_segment_align: 8
    .kernarg_segment_size: 304
    .language:       OpenCL C
    .language_version:
      - 2
      - 0
    .max_flat_workgroup_size: 1024
    .name:           _ZN12_GLOBAL__N_120softmax_warp_forwardIN3c104HalfEffLi11ELb0ELb0ELi64EEEvPT0_PKT_iiiPKbib
    .private_segment_fixed_size: 0
    .sgpr_count:     80
    .sgpr_spill_count: 0
    .symbol:         _ZN12_GLOBAL__N_120softmax_warp_forwardIN3c104HalfEffLi11ELb0ELb0ELi64EEEvPT0_PKT_iiiPKbib.kd
    .uniform_work_group_size: 1
    .uses_dynamic_stack: false
    .vgpr_count:     48
    .vgpr_spill_count: 0
    .wavefront_size: 64
  - .agpr_count:     0
    .args:
      - .address_space:  global
        .offset:         0
        .size:           8
        .value_kind:     global_buffer
      - .address_space:  global
        .offset:         8
        .size:           8
        .value_kind:     global_buffer
      - .offset:         16
        .size:           4
        .value_kind:     by_value
      - .offset:         20
        .size:           4
        .value_kind:     by_value
      - .offset:         24
        .size:           4
        .value_kind:     by_value
      - .address_space:  global
        .offset:         32
        .size:           8
        .value_kind:     global_buffer
      - .offset:         40
        .size:           4
        .value_kind:     by_value
      - .offset:         44
        .size:           1
        .value_kind:     by_value
      - .offset:         48
        .size:           4
        .value_kind:     hidden_block_count_x
      - .offset:         52
        .size:           4
        .value_kind:     hidden_block_count_y
      - .offset:         56
        .size:           4
        .value_kind:     hidden_block_count_z
      - .offset:         60
        .size:           2
        .value_kind:     hidden_group_size_x
      - .offset:         62
        .size:           2
        .value_kind:     hidden_group_size_y
      - .offset:         64
        .size:           2
        .value_kind:     hidden_group_size_z
      - .offset:         66
        .size:           2
        .value_kind:     hidden_remainder_x
      - .offset:         68
        .size:           2
        .value_kind:     hidden_remainder_y
      - .offset:         70
        .size:           2
        .value_kind:     hidden_remainder_z
      - .offset:         88
        .size:           8
        .value_kind:     hidden_global_offset_x
      - .offset:         96
        .size:           8
        .value_kind:     hidden_global_offset_y
      - .offset:         104
        .size:           8
        .value_kind:     hidden_global_offset_z
      - .offset:         112
        .size:           2
        .value_kind:     hidden_grid_dims
    .group_segment_fixed_size: 0
    .kernarg_segment_align: 8
    .kernarg_segment_size: 304
    .language:       OpenCL C
    .language_version:
      - 2
      - 0
    .max_flat_workgroup_size: 1024
    .name:           _ZN12_GLOBAL__N_120softmax_warp_forwardIN3c104HalfEffLi11ELb0ELb0ELi32EEEvPT0_PKT_iiiPKbib
    .private_segment_fixed_size: 0
    .sgpr_count:     100
    .sgpr_spill_count: 40
    .symbol:         _ZN12_GLOBAL__N_120softmax_warp_forwardIN3c104HalfEffLi11ELb0ELb0ELi32EEEvPT0_PKT_iiiPKbib.kd
    .uniform_work_group_size: 1
    .uses_dynamic_stack: false
    .vgpr_count:     79
    .vgpr_spill_count: 0
    .wavefront_size: 64
  - .agpr_count:     0
    .args:
      - .address_space:  global
        .offset:         0
        .size:           8
        .value_kind:     global_buffer
      - .address_space:  global
        .offset:         8
        .size:           8
        .value_kind:     global_buffer
      - .offset:         16
        .size:           8
        .value_kind:     by_value
      - .offset:         24
        .size:           4
        .value_kind:     hidden_block_count_x
      - .offset:         28
        .size:           4
        .value_kind:     hidden_block_count_y
      - .offset:         32
        .size:           4
        .value_kind:     hidden_block_count_z
      - .offset:         36
        .size:           2
        .value_kind:     hidden_group_size_x
      - .offset:         38
        .size:           2
        .value_kind:     hidden_group_size_y
      - .offset:         40
        .size:           2
        .value_kind:     hidden_group_size_z
      - .offset:         42
        .size:           2
        .value_kind:     hidden_remainder_x
      - .offset:         44
        .size:           2
        .value_kind:     hidden_remainder_y
      - .offset:         46
        .size:           2
        .value_kind:     hidden_remainder_z
      - .offset:         64
        .size:           8
        .value_kind:     hidden_global_offset_x
      - .offset:         72
        .size:           8
        .value_kind:     hidden_global_offset_y
      - .offset:         80
        .size:           8
        .value_kind:     hidden_global_offset_z
      - .offset:         88
        .size:           2
        .value_kind:     hidden_grid_dims
      - .offset:         144
        .size:           4
        .value_kind:     hidden_dynamic_lds_size
    .group_segment_fixed_size: 0
    .kernarg_segment_align: 8
    .kernarg_segment_size: 280
    .language:       OpenCL C
    .language_version:
      - 2
      - 0
    .max_flat_workgroup_size: 1024
    .name:           _ZN2at6native12_GLOBAL__N_123cunn_SoftMaxForwardGmemILi8EN3c104HalfEffNS1_29SoftMaxForwardWithMulEpilogueElEEvPT2_PKT0_T4_
    .private_segment_fixed_size: 0
    .sgpr_count:     31
    .sgpr_spill_count: 0
    .symbol:         _ZN2at6native12_GLOBAL__N_123cunn_SoftMaxForwardGmemILi8EN3c104HalfEffNS1_29SoftMaxForwardWithMulEpilogueElEEvPT2_PKT0_T4_.kd
    .uniform_work_group_size: 1
    .uses_dynamic_stack: false
    .vgpr_count:     27
    .vgpr_spill_count: 0
    .wavefront_size: 64
  - .agpr_count:     0
    .args:
      - .address_space:  global
        .offset:         0
        .size:           8
        .value_kind:     global_buffer
      - .address_space:  global
        .offset:         8
        .size:           8
        .value_kind:     global_buffer
      - .offset:         16
        .size:           4
        .value_kind:     by_value
      - .offset:         24
        .size:           4
        .value_kind:     hidden_block_count_x
      - .offset:         28
        .size:           4
        .value_kind:     hidden_block_count_y
      - .offset:         32
        .size:           4
        .value_kind:     hidden_block_count_z
      - .offset:         36
        .size:           2
        .value_kind:     hidden_group_size_x
      - .offset:         38
        .size:           2
        .value_kind:     hidden_group_size_y
      - .offset:         40
        .size:           2
        .value_kind:     hidden_group_size_z
      - .offset:         42
        .size:           2
        .value_kind:     hidden_remainder_x
      - .offset:         44
        .size:           2
        .value_kind:     hidden_remainder_y
      - .offset:         46
        .size:           2
        .value_kind:     hidden_remainder_z
      - .offset:         64
        .size:           8
        .value_kind:     hidden_global_offset_x
      - .offset:         72
        .size:           8
        .value_kind:     hidden_global_offset_y
      - .offset:         80
        .size:           8
        .value_kind:     hidden_global_offset_z
      - .offset:         88
        .size:           2
        .value_kind:     hidden_grid_dims
      - .offset:         144
        .size:           4
        .value_kind:     hidden_dynamic_lds_size
    .group_segment_fixed_size: 0
    .kernarg_segment_align: 8
    .kernarg_segment_size: 280
    .language:       OpenCL C
    .language_version:
      - 2
      - 0
    .max_flat_workgroup_size: 1024
    .name:           _ZN2at6native12_GLOBAL__N_123cunn_SoftMaxForwardFastILi8EN3c104HalfEffNS1_29SoftMaxForwardWithMulEpilogueEEEvPT2_PKT0_i
    .private_segment_fixed_size: 0
    .sgpr_count:     32
    .sgpr_spill_count: 0
    .symbol:         _ZN2at6native12_GLOBAL__N_123cunn_SoftMaxForwardFastILi8EN3c104HalfEffNS1_29SoftMaxForwardWithMulEpilogueEEEvPT2_PKT0_i.kd
    .uniform_work_group_size: 1
    .uses_dynamic_stack: false
    .vgpr_count:     22
    .vgpr_spill_count: 0
    .wavefront_size: 64
  - .agpr_count:     0
    .args:
      - .address_space:  global
        .offset:         0
        .size:           8
        .value_kind:     global_buffer
      - .address_space:  global
        .offset:         8
        .size:           8
        .value_kind:     global_buffer
      - .offset:         16
        .size:           4
        .value_kind:     by_value
      - .offset:         20
        .size:           4
        .value_kind:     by_value
      - .offset:         24
        .size:           4
        .value_kind:     by_value
      - .address_space:  global
        .offset:         32
        .size:           8
        .value_kind:     global_buffer
      - .offset:         40
        .size:           4
        .value_kind:     by_value
      - .offset:         44
        .size:           1
        .value_kind:     by_value
      - .offset:         48
        .size:           4
        .value_kind:     hidden_block_count_x
      - .offset:         52
        .size:           4
        .value_kind:     hidden_block_count_y
      - .offset:         56
        .size:           4
        .value_kind:     hidden_block_count_z
      - .offset:         60
        .size:           2
        .value_kind:     hidden_group_size_x
      - .offset:         62
        .size:           2
        .value_kind:     hidden_group_size_y
      - .offset:         64
        .size:           2
        .value_kind:     hidden_group_size_z
      - .offset:         66
        .size:           2
        .value_kind:     hidden_remainder_x
      - .offset:         68
        .size:           2
        .value_kind:     hidden_remainder_y
      - .offset:         70
        .size:           2
        .value_kind:     hidden_remainder_z
      - .offset:         88
        .size:           8
        .value_kind:     hidden_global_offset_x
      - .offset:         96
        .size:           8
        .value_kind:     hidden_global_offset_y
      - .offset:         104
        .size:           8
        .value_kind:     hidden_global_offset_z
      - .offset:         112
        .size:           2
        .value_kind:     hidden_grid_dims
    .group_segment_fixed_size: 0
    .kernarg_segment_align: 8
    .kernarg_segment_size: 304
    .language:       OpenCL C
    .language_version:
      - 2
      - 0
    .max_flat_workgroup_size: 1024
    .name:           _ZN12_GLOBAL__N_120softmax_warp_forwardIN3c108BFloat16ES2_fLi0ELb0ELb0ELi64EEEvPT0_PKT_iiiPKbib
    .private_segment_fixed_size: 0
    .sgpr_count:     20
    .sgpr_spill_count: 0
    .symbol:         _ZN12_GLOBAL__N_120softmax_warp_forwardIN3c108BFloat16ES2_fLi0ELb0ELb0ELi64EEEvPT0_PKT_iiiPKbib.kd
    .uniform_work_group_size: 1
    .uses_dynamic_stack: false
    .vgpr_count:     9
    .vgpr_spill_count: 0
    .wavefront_size: 64
  - .agpr_count:     0
    .args:
      - .address_space:  global
        .offset:         0
        .size:           8
        .value_kind:     global_buffer
      - .address_space:  global
        .offset:         8
        .size:           8
        .value_kind:     global_buffer
      - .offset:         16
        .size:           4
        .value_kind:     by_value
      - .offset:         20
        .size:           4
        .value_kind:     by_value
      - .offset:         24
        .size:           4
        .value_kind:     by_value
      - .address_space:  global
        .offset:         32
        .size:           8
        .value_kind:     global_buffer
      - .offset:         40
        .size:           4
        .value_kind:     by_value
      - .offset:         44
        .size:           1
        .value_kind:     by_value
      - .offset:         48
        .size:           4
        .value_kind:     hidden_block_count_x
      - .offset:         52
        .size:           4
        .value_kind:     hidden_block_count_y
      - .offset:         56
        .size:           4
        .value_kind:     hidden_block_count_z
      - .offset:         60
        .size:           2
        .value_kind:     hidden_group_size_x
      - .offset:         62
        .size:           2
        .value_kind:     hidden_group_size_y
      - .offset:         64
        .size:           2
        .value_kind:     hidden_group_size_z
      - .offset:         66
        .size:           2
        .value_kind:     hidden_remainder_x
      - .offset:         68
        .size:           2
        .value_kind:     hidden_remainder_y
      - .offset:         70
        .size:           2
        .value_kind:     hidden_remainder_z
      - .offset:         88
        .size:           8
        .value_kind:     hidden_global_offset_x
      - .offset:         96
        .size:           8
        .value_kind:     hidden_global_offset_y
      - .offset:         104
        .size:           8
        .value_kind:     hidden_global_offset_z
      - .offset:         112
        .size:           2
        .value_kind:     hidden_grid_dims
    .group_segment_fixed_size: 0
    .kernarg_segment_align: 8
    .kernarg_segment_size: 304
    .language:       OpenCL C
    .language_version:
      - 2
      - 0
    .max_flat_workgroup_size: 1024
    .name:           _ZN12_GLOBAL__N_120softmax_warp_forwardIN3c108BFloat16ES2_fLi0ELb0ELb0ELi32EEEvPT0_PKT_iiiPKbib
    .private_segment_fixed_size: 0
    .sgpr_count:     20
    .sgpr_spill_count: 0
    .symbol:         _ZN12_GLOBAL__N_120softmax_warp_forwardIN3c108BFloat16ES2_fLi0ELb0ELb0ELi32EEEvPT0_PKT_iiiPKbib.kd
    .uniform_work_group_size: 1
    .uses_dynamic_stack: false
    .vgpr_count:     9
    .vgpr_spill_count: 0
    .wavefront_size: 64
  - .agpr_count:     0
    .args:
      - .address_space:  global
        .offset:         0
        .size:           8
        .value_kind:     global_buffer
      - .address_space:  global
        .offset:         8
        .size:           8
        .value_kind:     global_buffer
      - .offset:         16
        .size:           4
        .value_kind:     by_value
      - .offset:         20
        .size:           4
        .value_kind:     by_value
      - .offset:         24
        .size:           4
        .value_kind:     by_value
      - .address_space:  global
        .offset:         32
        .size:           8
        .value_kind:     global_buffer
      - .offset:         40
        .size:           4
        .value_kind:     by_value
      - .offset:         44
        .size:           1
        .value_kind:     by_value
      - .offset:         48
        .size:           4
        .value_kind:     hidden_block_count_x
      - .offset:         52
        .size:           4
        .value_kind:     hidden_block_count_y
      - .offset:         56
        .size:           4
        .value_kind:     hidden_block_count_z
      - .offset:         60
        .size:           2
        .value_kind:     hidden_group_size_x
      - .offset:         62
        .size:           2
        .value_kind:     hidden_group_size_y
      - .offset:         64
        .size:           2
        .value_kind:     hidden_group_size_z
      - .offset:         66
        .size:           2
        .value_kind:     hidden_remainder_x
      - .offset:         68
        .size:           2
        .value_kind:     hidden_remainder_y
      - .offset:         70
        .size:           2
        .value_kind:     hidden_remainder_z
      - .offset:         88
        .size:           8
        .value_kind:     hidden_global_offset_x
      - .offset:         96
        .size:           8
        .value_kind:     hidden_global_offset_y
      - .offset:         104
        .size:           8
        .value_kind:     hidden_global_offset_z
      - .offset:         112
        .size:           2
        .value_kind:     hidden_grid_dims
    .group_segment_fixed_size: 0
    .kernarg_segment_align: 8
    .kernarg_segment_size: 304
    .language:       OpenCL C
    .language_version:
      - 2
      - 0
    .max_flat_workgroup_size: 1024
    .name:           _ZN12_GLOBAL__N_120softmax_warp_forwardIN3c108BFloat16ES2_fLi1ELb0ELb0ELi64EEEvPT0_PKT_iiiPKbib
    .private_segment_fixed_size: 0
    .sgpr_count:     20
    .sgpr_spill_count: 0
    .symbol:         _ZN12_GLOBAL__N_120softmax_warp_forwardIN3c108BFloat16ES2_fLi1ELb0ELb0ELi64EEEvPT0_PKT_iiiPKbib.kd
    .uniform_work_group_size: 1
    .uses_dynamic_stack: false
    .vgpr_count:     12
    .vgpr_spill_count: 0
    .wavefront_size: 64
  - .agpr_count:     0
    .args:
      - .address_space:  global
        .offset:         0
        .size:           8
        .value_kind:     global_buffer
      - .address_space:  global
        .offset:         8
        .size:           8
        .value_kind:     global_buffer
      - .offset:         16
        .size:           4
        .value_kind:     by_value
      - .offset:         20
        .size:           4
        .value_kind:     by_value
      - .offset:         24
        .size:           4
        .value_kind:     by_value
      - .address_space:  global
        .offset:         32
        .size:           8
        .value_kind:     global_buffer
      - .offset:         40
        .size:           4
        .value_kind:     by_value
      - .offset:         44
        .size:           1
        .value_kind:     by_value
      - .offset:         48
        .size:           4
        .value_kind:     hidden_block_count_x
      - .offset:         52
        .size:           4
        .value_kind:     hidden_block_count_y
      - .offset:         56
        .size:           4
        .value_kind:     hidden_block_count_z
      - .offset:         60
        .size:           2
        .value_kind:     hidden_group_size_x
      - .offset:         62
        .size:           2
        .value_kind:     hidden_group_size_y
      - .offset:         64
        .size:           2
        .value_kind:     hidden_group_size_z
      - .offset:         66
        .size:           2
        .value_kind:     hidden_remainder_x
      - .offset:         68
        .size:           2
        .value_kind:     hidden_remainder_y
      - .offset:         70
        .size:           2
        .value_kind:     hidden_remainder_z
      - .offset:         88
        .size:           8
        .value_kind:     hidden_global_offset_x
      - .offset:         96
        .size:           8
        .value_kind:     hidden_global_offset_y
      - .offset:         104
        .size:           8
        .value_kind:     hidden_global_offset_z
      - .offset:         112
        .size:           2
        .value_kind:     hidden_grid_dims
    .group_segment_fixed_size: 0
    .kernarg_segment_align: 8
    .kernarg_segment_size: 304
    .language:       OpenCL C
    .language_version:
      - 2
      - 0
    .max_flat_workgroup_size: 1024
    .name:           _ZN12_GLOBAL__N_120softmax_warp_forwardIN3c108BFloat16ES2_fLi1ELb0ELb0ELi32EEEvPT0_PKT_iiiPKbib
    .private_segment_fixed_size: 0
    .sgpr_count:     20
    .sgpr_spill_count: 0
    .symbol:         _ZN12_GLOBAL__N_120softmax_warp_forwardIN3c108BFloat16ES2_fLi1ELb0ELb0ELi32EEEvPT0_PKT_iiiPKbib.kd
    .uniform_work_group_size: 1
    .uses_dynamic_stack: false
    .vgpr_count:     12
    .vgpr_spill_count: 0
    .wavefront_size: 64
  - .agpr_count:     0
    .args:
      - .address_space:  global
        .offset:         0
        .size:           8
        .value_kind:     global_buffer
      - .address_space:  global
        .offset:         8
        .size:           8
        .value_kind:     global_buffer
      - .offset:         16
        .size:           4
        .value_kind:     by_value
      - .offset:         20
        .size:           4
        .value_kind:     by_value
      - .offset:         24
        .size:           4
        .value_kind:     by_value
      - .address_space:  global
        .offset:         32
        .size:           8
        .value_kind:     global_buffer
      - .offset:         40
        .size:           4
        .value_kind:     by_value
      - .offset:         44
        .size:           1
        .value_kind:     by_value
      - .offset:         48
        .size:           4
        .value_kind:     hidden_block_count_x
      - .offset:         52
        .size:           4
        .value_kind:     hidden_block_count_y
      - .offset:         56
        .size:           4
        .value_kind:     hidden_block_count_z
      - .offset:         60
        .size:           2
        .value_kind:     hidden_group_size_x
      - .offset:         62
        .size:           2
        .value_kind:     hidden_group_size_y
      - .offset:         64
        .size:           2
        .value_kind:     hidden_group_size_z
      - .offset:         66
        .size:           2
        .value_kind:     hidden_remainder_x
      - .offset:         68
        .size:           2
        .value_kind:     hidden_remainder_y
      - .offset:         70
        .size:           2
        .value_kind:     hidden_remainder_z
      - .offset:         88
        .size:           8
        .value_kind:     hidden_global_offset_x
      - .offset:         96
        .size:           8
        .value_kind:     hidden_global_offset_y
      - .offset:         104
        .size:           8
        .value_kind:     hidden_global_offset_z
      - .offset:         112
        .size:           2
        .value_kind:     hidden_grid_dims
    .group_segment_fixed_size: 0
    .kernarg_segment_align: 8
    .kernarg_segment_size: 304
    .language:       OpenCL C
    .language_version:
      - 2
      - 0
    .max_flat_workgroup_size: 1024
    .name:           _ZN12_GLOBAL__N_120softmax_warp_forwardIN3c108BFloat16ES2_fLi2ELb0ELb0ELi64EEEvPT0_PKT_iiiPKbib
    .private_segment_fixed_size: 0
    .sgpr_count:     20
    .sgpr_spill_count: 0
    .symbol:         _ZN12_GLOBAL__N_120softmax_warp_forwardIN3c108BFloat16ES2_fLi2ELb0ELb0ELi64EEEvPT0_PKT_iiiPKbib.kd
    .uniform_work_group_size: 1
    .uses_dynamic_stack: false
    .vgpr_count:     12
    .vgpr_spill_count: 0
    .wavefront_size: 64
  - .agpr_count:     0
    .args:
      - .address_space:  global
        .offset:         0
        .size:           8
        .value_kind:     global_buffer
      - .address_space:  global
        .offset:         8
        .size:           8
        .value_kind:     global_buffer
      - .offset:         16
        .size:           4
        .value_kind:     by_value
      - .offset:         20
        .size:           4
        .value_kind:     by_value
      - .offset:         24
        .size:           4
        .value_kind:     by_value
      - .address_space:  global
        .offset:         32
        .size:           8
        .value_kind:     global_buffer
      - .offset:         40
        .size:           4
        .value_kind:     by_value
      - .offset:         44
        .size:           1
        .value_kind:     by_value
      - .offset:         48
        .size:           4
        .value_kind:     hidden_block_count_x
      - .offset:         52
        .size:           4
        .value_kind:     hidden_block_count_y
      - .offset:         56
        .size:           4
        .value_kind:     hidden_block_count_z
      - .offset:         60
        .size:           2
        .value_kind:     hidden_group_size_x
      - .offset:         62
        .size:           2
        .value_kind:     hidden_group_size_y
      - .offset:         64
        .size:           2
        .value_kind:     hidden_group_size_z
      - .offset:         66
        .size:           2
        .value_kind:     hidden_remainder_x
      - .offset:         68
        .size:           2
        .value_kind:     hidden_remainder_y
      - .offset:         70
        .size:           2
        .value_kind:     hidden_remainder_z
      - .offset:         88
        .size:           8
        .value_kind:     hidden_global_offset_x
      - .offset:         96
        .size:           8
        .value_kind:     hidden_global_offset_y
      - .offset:         104
        .size:           8
        .value_kind:     hidden_global_offset_z
      - .offset:         112
        .size:           2
        .value_kind:     hidden_grid_dims
    .group_segment_fixed_size: 0
    .kernarg_segment_align: 8
    .kernarg_segment_size: 304
    .language:       OpenCL C
    .language_version:
      - 2
      - 0
    .max_flat_workgroup_size: 1024
    .name:           _ZN12_GLOBAL__N_120softmax_warp_forwardIN3c108BFloat16ES2_fLi2ELb0ELb0ELi32EEEvPT0_PKT_iiiPKbib
    .private_segment_fixed_size: 0
    .sgpr_count:     20
    .sgpr_spill_count: 0
    .symbol:         _ZN12_GLOBAL__N_120softmax_warp_forwardIN3c108BFloat16ES2_fLi2ELb0ELb0ELi32EEEvPT0_PKT_iiiPKbib.kd
    .uniform_work_group_size: 1
    .uses_dynamic_stack: false
    .vgpr_count:     12
    .vgpr_spill_count: 0
    .wavefront_size: 64
  - .agpr_count:     0
    .args:
      - .address_space:  global
        .offset:         0
        .size:           8
        .value_kind:     global_buffer
      - .address_space:  global
        .offset:         8
        .size:           8
        .value_kind:     global_buffer
      - .offset:         16
        .size:           4
        .value_kind:     by_value
      - .offset:         20
        .size:           4
        .value_kind:     by_value
      - .offset:         24
        .size:           4
        .value_kind:     by_value
      - .address_space:  global
        .offset:         32
        .size:           8
        .value_kind:     global_buffer
      - .offset:         40
        .size:           4
        .value_kind:     by_value
      - .offset:         44
        .size:           1
        .value_kind:     by_value
      - .offset:         48
        .size:           4
        .value_kind:     hidden_block_count_x
      - .offset:         52
        .size:           4
        .value_kind:     hidden_block_count_y
      - .offset:         56
        .size:           4
        .value_kind:     hidden_block_count_z
      - .offset:         60
        .size:           2
        .value_kind:     hidden_group_size_x
      - .offset:         62
        .size:           2
        .value_kind:     hidden_group_size_y
      - .offset:         64
        .size:           2
        .value_kind:     hidden_group_size_z
      - .offset:         66
        .size:           2
        .value_kind:     hidden_remainder_x
      - .offset:         68
        .size:           2
        .value_kind:     hidden_remainder_y
      - .offset:         70
        .size:           2
        .value_kind:     hidden_remainder_z
      - .offset:         88
        .size:           8
        .value_kind:     hidden_global_offset_x
      - .offset:         96
        .size:           8
        .value_kind:     hidden_global_offset_y
      - .offset:         104
        .size:           8
        .value_kind:     hidden_global_offset_z
      - .offset:         112
        .size:           2
        .value_kind:     hidden_grid_dims
    .group_segment_fixed_size: 0
    .kernarg_segment_align: 8
    .kernarg_segment_size: 304
    .language:       OpenCL C
    .language_version:
      - 2
      - 0
    .max_flat_workgroup_size: 1024
    .name:           _ZN12_GLOBAL__N_120softmax_warp_forwardIN3c108BFloat16ES2_fLi3ELb0ELb0ELi64EEEvPT0_PKT_iiiPKbib
    .private_segment_fixed_size: 0
    .sgpr_count:     20
    .sgpr_spill_count: 0
    .symbol:         _ZN12_GLOBAL__N_120softmax_warp_forwardIN3c108BFloat16ES2_fLi3ELb0ELb0ELi64EEEvPT0_PKT_iiiPKbib.kd
    .uniform_work_group_size: 1
    .uses_dynamic_stack: false
    .vgpr_count:     13
    .vgpr_spill_count: 0
    .wavefront_size: 64
  - .agpr_count:     0
    .args:
      - .address_space:  global
        .offset:         0
        .size:           8
        .value_kind:     global_buffer
      - .address_space:  global
        .offset:         8
        .size:           8
        .value_kind:     global_buffer
      - .offset:         16
        .size:           4
        .value_kind:     by_value
      - .offset:         20
        .size:           4
        .value_kind:     by_value
      - .offset:         24
        .size:           4
        .value_kind:     by_value
      - .address_space:  global
        .offset:         32
        .size:           8
        .value_kind:     global_buffer
      - .offset:         40
        .size:           4
        .value_kind:     by_value
      - .offset:         44
        .size:           1
        .value_kind:     by_value
      - .offset:         48
        .size:           4
        .value_kind:     hidden_block_count_x
      - .offset:         52
        .size:           4
        .value_kind:     hidden_block_count_y
      - .offset:         56
        .size:           4
        .value_kind:     hidden_block_count_z
      - .offset:         60
        .size:           2
        .value_kind:     hidden_group_size_x
      - .offset:         62
        .size:           2
        .value_kind:     hidden_group_size_y
      - .offset:         64
        .size:           2
        .value_kind:     hidden_group_size_z
      - .offset:         66
        .size:           2
        .value_kind:     hidden_remainder_x
      - .offset:         68
        .size:           2
        .value_kind:     hidden_remainder_y
      - .offset:         70
        .size:           2
        .value_kind:     hidden_remainder_z
      - .offset:         88
        .size:           8
        .value_kind:     hidden_global_offset_x
      - .offset:         96
        .size:           8
        .value_kind:     hidden_global_offset_y
      - .offset:         104
        .size:           8
        .value_kind:     hidden_global_offset_z
      - .offset:         112
        .size:           2
        .value_kind:     hidden_grid_dims
    .group_segment_fixed_size: 0
    .kernarg_segment_align: 8
    .kernarg_segment_size: 304
    .language:       OpenCL C
    .language_version:
      - 2
      - 0
    .max_flat_workgroup_size: 1024
    .name:           _ZN12_GLOBAL__N_120softmax_warp_forwardIN3c108BFloat16ES2_fLi3ELb0ELb0ELi32EEEvPT0_PKT_iiiPKbib
    .private_segment_fixed_size: 0
    .sgpr_count:     20
    .sgpr_spill_count: 0
    .symbol:         _ZN12_GLOBAL__N_120softmax_warp_forwardIN3c108BFloat16ES2_fLi3ELb0ELb0ELi32EEEvPT0_PKT_iiiPKbib.kd
    .uniform_work_group_size: 1
    .uses_dynamic_stack: false
    .vgpr_count:     13
    .vgpr_spill_count: 0
    .wavefront_size: 64
  - .agpr_count:     0
    .args:
      - .address_space:  global
        .offset:         0
        .size:           8
        .value_kind:     global_buffer
      - .address_space:  global
        .offset:         8
        .size:           8
        .value_kind:     global_buffer
      - .offset:         16
        .size:           4
        .value_kind:     by_value
      - .offset:         20
        .size:           4
        .value_kind:     by_value
      - .offset:         24
        .size:           4
        .value_kind:     by_value
      - .address_space:  global
        .offset:         32
        .size:           8
        .value_kind:     global_buffer
      - .offset:         40
        .size:           4
        .value_kind:     by_value
      - .offset:         44
        .size:           1
        .value_kind:     by_value
      - .offset:         48
        .size:           4
        .value_kind:     hidden_block_count_x
      - .offset:         52
        .size:           4
        .value_kind:     hidden_block_count_y
      - .offset:         56
        .size:           4
        .value_kind:     hidden_block_count_z
      - .offset:         60
        .size:           2
        .value_kind:     hidden_group_size_x
      - .offset:         62
        .size:           2
        .value_kind:     hidden_group_size_y
      - .offset:         64
        .size:           2
        .value_kind:     hidden_group_size_z
      - .offset:         66
        .size:           2
        .value_kind:     hidden_remainder_x
      - .offset:         68
        .size:           2
        .value_kind:     hidden_remainder_y
      - .offset:         70
        .size:           2
        .value_kind:     hidden_remainder_z
      - .offset:         88
        .size:           8
        .value_kind:     hidden_global_offset_x
      - .offset:         96
        .size:           8
        .value_kind:     hidden_global_offset_y
      - .offset:         104
        .size:           8
        .value_kind:     hidden_global_offset_z
      - .offset:         112
        .size:           2
        .value_kind:     hidden_grid_dims
    .group_segment_fixed_size: 0
    .kernarg_segment_align: 8
    .kernarg_segment_size: 304
    .language:       OpenCL C
    .language_version:
      - 2
      - 0
    .max_flat_workgroup_size: 1024
    .name:           _ZN12_GLOBAL__N_120softmax_warp_forwardIN3c108BFloat16ES2_fLi4ELb0ELb0ELi64EEEvPT0_PKT_iiiPKbib
    .private_segment_fixed_size: 0
    .sgpr_count:     20
    .sgpr_spill_count: 0
    .symbol:         _ZN12_GLOBAL__N_120softmax_warp_forwardIN3c108BFloat16ES2_fLi4ELb0ELb0ELi64EEEvPT0_PKT_iiiPKbib.kd
    .uniform_work_group_size: 1
    .uses_dynamic_stack: false
    .vgpr_count:     15
    .vgpr_spill_count: 0
    .wavefront_size: 64
  - .agpr_count:     0
    .args:
      - .address_space:  global
        .offset:         0
        .size:           8
        .value_kind:     global_buffer
      - .address_space:  global
        .offset:         8
        .size:           8
        .value_kind:     global_buffer
      - .offset:         16
        .size:           4
        .value_kind:     by_value
      - .offset:         20
        .size:           4
        .value_kind:     by_value
      - .offset:         24
        .size:           4
        .value_kind:     by_value
      - .address_space:  global
        .offset:         32
        .size:           8
        .value_kind:     global_buffer
      - .offset:         40
        .size:           4
        .value_kind:     by_value
      - .offset:         44
        .size:           1
        .value_kind:     by_value
      - .offset:         48
        .size:           4
        .value_kind:     hidden_block_count_x
      - .offset:         52
        .size:           4
        .value_kind:     hidden_block_count_y
      - .offset:         56
        .size:           4
        .value_kind:     hidden_block_count_z
      - .offset:         60
        .size:           2
        .value_kind:     hidden_group_size_x
      - .offset:         62
        .size:           2
        .value_kind:     hidden_group_size_y
      - .offset:         64
        .size:           2
        .value_kind:     hidden_group_size_z
      - .offset:         66
        .size:           2
        .value_kind:     hidden_remainder_x
      - .offset:         68
        .size:           2
        .value_kind:     hidden_remainder_y
      - .offset:         70
        .size:           2
        .value_kind:     hidden_remainder_z
      - .offset:         88
        .size:           8
        .value_kind:     hidden_global_offset_x
      - .offset:         96
        .size:           8
        .value_kind:     hidden_global_offset_y
      - .offset:         104
        .size:           8
        .value_kind:     hidden_global_offset_z
      - .offset:         112
        .size:           2
        .value_kind:     hidden_grid_dims
    .group_segment_fixed_size: 0
    .kernarg_segment_align: 8
    .kernarg_segment_size: 304
    .language:       OpenCL C
    .language_version:
      - 2
      - 0
    .max_flat_workgroup_size: 1024
    .name:           _ZN12_GLOBAL__N_120softmax_warp_forwardIN3c108BFloat16ES2_fLi4ELb0ELb0ELi32EEEvPT0_PKT_iiiPKbib
    .private_segment_fixed_size: 0
    .sgpr_count:     20
    .sgpr_spill_count: 0
    .symbol:         _ZN12_GLOBAL__N_120softmax_warp_forwardIN3c108BFloat16ES2_fLi4ELb0ELb0ELi32EEEvPT0_PKT_iiiPKbib.kd
    .uniform_work_group_size: 1
    .uses_dynamic_stack: false
    .vgpr_count:     15
    .vgpr_spill_count: 0
    .wavefront_size: 64
  - .agpr_count:     0
    .args:
      - .address_space:  global
        .offset:         0
        .size:           8
        .value_kind:     global_buffer
      - .address_space:  global
        .offset:         8
        .size:           8
        .value_kind:     global_buffer
      - .offset:         16
        .size:           4
        .value_kind:     by_value
      - .offset:         20
        .size:           4
        .value_kind:     by_value
      - .offset:         24
        .size:           4
        .value_kind:     by_value
      - .address_space:  global
        .offset:         32
        .size:           8
        .value_kind:     global_buffer
      - .offset:         40
        .size:           4
        .value_kind:     by_value
      - .offset:         44
        .size:           1
        .value_kind:     by_value
      - .offset:         48
        .size:           4
        .value_kind:     hidden_block_count_x
      - .offset:         52
        .size:           4
        .value_kind:     hidden_block_count_y
      - .offset:         56
        .size:           4
        .value_kind:     hidden_block_count_z
      - .offset:         60
        .size:           2
        .value_kind:     hidden_group_size_x
      - .offset:         62
        .size:           2
        .value_kind:     hidden_group_size_y
      - .offset:         64
        .size:           2
        .value_kind:     hidden_group_size_z
      - .offset:         66
        .size:           2
        .value_kind:     hidden_remainder_x
      - .offset:         68
        .size:           2
        .value_kind:     hidden_remainder_y
      - .offset:         70
        .size:           2
        .value_kind:     hidden_remainder_z
      - .offset:         88
        .size:           8
        .value_kind:     hidden_global_offset_x
      - .offset:         96
        .size:           8
        .value_kind:     hidden_global_offset_y
      - .offset:         104
        .size:           8
        .value_kind:     hidden_global_offset_z
      - .offset:         112
        .size:           2
        .value_kind:     hidden_grid_dims
    .group_segment_fixed_size: 0
    .kernarg_segment_align: 8
    .kernarg_segment_size: 304
    .language:       OpenCL C
    .language_version:
      - 2
      - 0
    .max_flat_workgroup_size: 1024
    .name:           _ZN12_GLOBAL__N_120softmax_warp_forwardIN3c108BFloat16ES2_fLi5ELb0ELb0ELi64EEEvPT0_PKT_iiiPKbib
    .private_segment_fixed_size: 0
    .sgpr_count:     20
    .sgpr_spill_count: 0
    .symbol:         _ZN12_GLOBAL__N_120softmax_warp_forwardIN3c108BFloat16ES2_fLi5ELb0ELb0ELi64EEEvPT0_PKT_iiiPKbib.kd
    .uniform_work_group_size: 1
    .uses_dynamic_stack: false
    .vgpr_count:     16
    .vgpr_spill_count: 0
    .wavefront_size: 64
  - .agpr_count:     0
    .args:
      - .address_space:  global
        .offset:         0
        .size:           8
        .value_kind:     global_buffer
      - .address_space:  global
        .offset:         8
        .size:           8
        .value_kind:     global_buffer
      - .offset:         16
        .size:           4
        .value_kind:     by_value
      - .offset:         20
        .size:           4
        .value_kind:     by_value
      - .offset:         24
        .size:           4
        .value_kind:     by_value
      - .address_space:  global
        .offset:         32
        .size:           8
        .value_kind:     global_buffer
      - .offset:         40
        .size:           4
        .value_kind:     by_value
      - .offset:         44
        .size:           1
        .value_kind:     by_value
      - .offset:         48
        .size:           4
        .value_kind:     hidden_block_count_x
      - .offset:         52
        .size:           4
        .value_kind:     hidden_block_count_y
      - .offset:         56
        .size:           4
        .value_kind:     hidden_block_count_z
      - .offset:         60
        .size:           2
        .value_kind:     hidden_group_size_x
      - .offset:         62
        .size:           2
        .value_kind:     hidden_group_size_y
      - .offset:         64
        .size:           2
        .value_kind:     hidden_group_size_z
      - .offset:         66
        .size:           2
        .value_kind:     hidden_remainder_x
      - .offset:         68
        .size:           2
        .value_kind:     hidden_remainder_y
      - .offset:         70
        .size:           2
        .value_kind:     hidden_remainder_z
      - .offset:         88
        .size:           8
        .value_kind:     hidden_global_offset_x
      - .offset:         96
        .size:           8
        .value_kind:     hidden_global_offset_y
      - .offset:         104
        .size:           8
        .value_kind:     hidden_global_offset_z
      - .offset:         112
        .size:           2
        .value_kind:     hidden_grid_dims
    .group_segment_fixed_size: 0
    .kernarg_segment_align: 8
    .kernarg_segment_size: 304
    .language:       OpenCL C
    .language_version:
      - 2
      - 0
    .max_flat_workgroup_size: 1024
    .name:           _ZN12_GLOBAL__N_120softmax_warp_forwardIN3c108BFloat16ES2_fLi5ELb0ELb0ELi32EEEvPT0_PKT_iiiPKbib
    .private_segment_fixed_size: 0
    .sgpr_count:     20
    .sgpr_spill_count: 0
    .symbol:         _ZN12_GLOBAL__N_120softmax_warp_forwardIN3c108BFloat16ES2_fLi5ELb0ELb0ELi32EEEvPT0_PKT_iiiPKbib.kd
    .uniform_work_group_size: 1
    .uses_dynamic_stack: false
    .vgpr_count:     16
    .vgpr_spill_count: 0
    .wavefront_size: 64
  - .agpr_count:     0
    .args:
      - .address_space:  global
        .offset:         0
        .size:           8
        .value_kind:     global_buffer
      - .address_space:  global
        .offset:         8
        .size:           8
        .value_kind:     global_buffer
      - .offset:         16
        .size:           4
        .value_kind:     by_value
      - .offset:         20
        .size:           4
        .value_kind:     by_value
      - .offset:         24
        .size:           4
        .value_kind:     by_value
      - .address_space:  global
        .offset:         32
        .size:           8
        .value_kind:     global_buffer
      - .offset:         40
        .size:           4
        .value_kind:     by_value
      - .offset:         44
        .size:           1
        .value_kind:     by_value
      - .offset:         48
        .size:           4
        .value_kind:     hidden_block_count_x
      - .offset:         52
        .size:           4
        .value_kind:     hidden_block_count_y
      - .offset:         56
        .size:           4
        .value_kind:     hidden_block_count_z
      - .offset:         60
        .size:           2
        .value_kind:     hidden_group_size_x
      - .offset:         62
        .size:           2
        .value_kind:     hidden_group_size_y
      - .offset:         64
        .size:           2
        .value_kind:     hidden_group_size_z
      - .offset:         66
        .size:           2
        .value_kind:     hidden_remainder_x
      - .offset:         68
        .size:           2
        .value_kind:     hidden_remainder_y
      - .offset:         70
        .size:           2
        .value_kind:     hidden_remainder_z
      - .offset:         88
        .size:           8
        .value_kind:     hidden_global_offset_x
      - .offset:         96
        .size:           8
        .value_kind:     hidden_global_offset_y
      - .offset:         104
        .size:           8
        .value_kind:     hidden_global_offset_z
      - .offset:         112
        .size:           2
        .value_kind:     hidden_grid_dims
    .group_segment_fixed_size: 0
    .kernarg_segment_align: 8
    .kernarg_segment_size: 304
    .language:       OpenCL C
    .language_version:
      - 2
      - 0
    .max_flat_workgroup_size: 1024
    .name:           _ZN12_GLOBAL__N_120softmax_warp_forwardIN3c108BFloat16ES2_fLi6ELb0ELb0ELi64EEEvPT0_PKT_iiiPKbib
    .private_segment_fixed_size: 0
    .sgpr_count:     20
    .sgpr_spill_count: 0
    .symbol:         _ZN12_GLOBAL__N_120softmax_warp_forwardIN3c108BFloat16ES2_fLi6ELb0ELb0ELi64EEEvPT0_PKT_iiiPKbib.kd
    .uniform_work_group_size: 1
    .uses_dynamic_stack: false
    .vgpr_count:     17
    .vgpr_spill_count: 0
    .wavefront_size: 64
  - .agpr_count:     0
    .args:
      - .address_space:  global
        .offset:         0
        .size:           8
        .value_kind:     global_buffer
      - .address_space:  global
        .offset:         8
        .size:           8
        .value_kind:     global_buffer
      - .offset:         16
        .size:           4
        .value_kind:     by_value
      - .offset:         20
        .size:           4
        .value_kind:     by_value
      - .offset:         24
        .size:           4
        .value_kind:     by_value
      - .address_space:  global
        .offset:         32
        .size:           8
        .value_kind:     global_buffer
      - .offset:         40
        .size:           4
        .value_kind:     by_value
      - .offset:         44
        .size:           1
        .value_kind:     by_value
      - .offset:         48
        .size:           4
        .value_kind:     hidden_block_count_x
      - .offset:         52
        .size:           4
        .value_kind:     hidden_block_count_y
      - .offset:         56
        .size:           4
        .value_kind:     hidden_block_count_z
      - .offset:         60
        .size:           2
        .value_kind:     hidden_group_size_x
      - .offset:         62
        .size:           2
        .value_kind:     hidden_group_size_y
      - .offset:         64
        .size:           2
        .value_kind:     hidden_group_size_z
      - .offset:         66
        .size:           2
        .value_kind:     hidden_remainder_x
      - .offset:         68
        .size:           2
        .value_kind:     hidden_remainder_y
      - .offset:         70
        .size:           2
        .value_kind:     hidden_remainder_z
      - .offset:         88
        .size:           8
        .value_kind:     hidden_global_offset_x
      - .offset:         96
        .size:           8
        .value_kind:     hidden_global_offset_y
      - .offset:         104
        .size:           8
        .value_kind:     hidden_global_offset_z
      - .offset:         112
        .size:           2
        .value_kind:     hidden_grid_dims
    .group_segment_fixed_size: 0
    .kernarg_segment_align: 8
    .kernarg_segment_size: 304
    .language:       OpenCL C
    .language_version:
      - 2
      - 0
    .max_flat_workgroup_size: 1024
    .name:           _ZN12_GLOBAL__N_120softmax_warp_forwardIN3c108BFloat16ES2_fLi6ELb0ELb0ELi32EEEvPT0_PKT_iiiPKbib
    .private_segment_fixed_size: 0
    .sgpr_count:     20
    .sgpr_spill_count: 0
    .symbol:         _ZN12_GLOBAL__N_120softmax_warp_forwardIN3c108BFloat16ES2_fLi6ELb0ELb0ELi32EEEvPT0_PKT_iiiPKbib.kd
    .uniform_work_group_size: 1
    .uses_dynamic_stack: false
    .vgpr_count:     17
    .vgpr_spill_count: 0
    .wavefront_size: 64
  - .agpr_count:     0
    .args:
      - .address_space:  global
        .offset:         0
        .size:           8
        .value_kind:     global_buffer
      - .address_space:  global
        .offset:         8
        .size:           8
        .value_kind:     global_buffer
      - .offset:         16
        .size:           4
        .value_kind:     by_value
      - .offset:         20
        .size:           4
        .value_kind:     by_value
      - .offset:         24
        .size:           4
        .value_kind:     by_value
      - .address_space:  global
        .offset:         32
        .size:           8
        .value_kind:     global_buffer
      - .offset:         40
        .size:           4
        .value_kind:     by_value
      - .offset:         44
        .size:           1
        .value_kind:     by_value
      - .offset:         48
        .size:           4
        .value_kind:     hidden_block_count_x
      - .offset:         52
        .size:           4
        .value_kind:     hidden_block_count_y
      - .offset:         56
        .size:           4
        .value_kind:     hidden_block_count_z
      - .offset:         60
        .size:           2
        .value_kind:     hidden_group_size_x
      - .offset:         62
        .size:           2
        .value_kind:     hidden_group_size_y
      - .offset:         64
        .size:           2
        .value_kind:     hidden_group_size_z
      - .offset:         66
        .size:           2
        .value_kind:     hidden_remainder_x
      - .offset:         68
        .size:           2
        .value_kind:     hidden_remainder_y
      - .offset:         70
        .size:           2
        .value_kind:     hidden_remainder_z
      - .offset:         88
        .size:           8
        .value_kind:     hidden_global_offset_x
      - .offset:         96
        .size:           8
        .value_kind:     hidden_global_offset_y
      - .offset:         104
        .size:           8
        .value_kind:     hidden_global_offset_z
      - .offset:         112
        .size:           2
        .value_kind:     hidden_grid_dims
    .group_segment_fixed_size: 0
    .kernarg_segment_align: 8
    .kernarg_segment_size: 304
    .language:       OpenCL C
    .language_version:
      - 2
      - 0
    .max_flat_workgroup_size: 1024
    .name:           _ZN12_GLOBAL__N_120softmax_warp_forwardIN3c108BFloat16ES2_fLi7ELb0ELb0ELi64EEEvPT0_PKT_iiiPKbib
    .private_segment_fixed_size: 0
    .sgpr_count:     20
    .sgpr_spill_count: 0
    .symbol:         _ZN12_GLOBAL__N_120softmax_warp_forwardIN3c108BFloat16ES2_fLi7ELb0ELb0ELi64EEEvPT0_PKT_iiiPKbib.kd
    .uniform_work_group_size: 1
    .uses_dynamic_stack: false
    .vgpr_count:     18
    .vgpr_spill_count: 0
    .wavefront_size: 64
  - .agpr_count:     0
    .args:
      - .address_space:  global
        .offset:         0
        .size:           8
        .value_kind:     global_buffer
      - .address_space:  global
        .offset:         8
        .size:           8
        .value_kind:     global_buffer
      - .offset:         16
        .size:           4
        .value_kind:     by_value
      - .offset:         20
        .size:           4
        .value_kind:     by_value
      - .offset:         24
        .size:           4
        .value_kind:     by_value
      - .address_space:  global
        .offset:         32
        .size:           8
        .value_kind:     global_buffer
      - .offset:         40
        .size:           4
        .value_kind:     by_value
      - .offset:         44
        .size:           1
        .value_kind:     by_value
      - .offset:         48
        .size:           4
        .value_kind:     hidden_block_count_x
      - .offset:         52
        .size:           4
        .value_kind:     hidden_block_count_y
      - .offset:         56
        .size:           4
        .value_kind:     hidden_block_count_z
      - .offset:         60
        .size:           2
        .value_kind:     hidden_group_size_x
      - .offset:         62
        .size:           2
        .value_kind:     hidden_group_size_y
      - .offset:         64
        .size:           2
        .value_kind:     hidden_group_size_z
      - .offset:         66
        .size:           2
        .value_kind:     hidden_remainder_x
      - .offset:         68
        .size:           2
        .value_kind:     hidden_remainder_y
      - .offset:         70
        .size:           2
        .value_kind:     hidden_remainder_z
      - .offset:         88
        .size:           8
        .value_kind:     hidden_global_offset_x
      - .offset:         96
        .size:           8
        .value_kind:     hidden_global_offset_y
      - .offset:         104
        .size:           8
        .value_kind:     hidden_global_offset_z
      - .offset:         112
        .size:           2
        .value_kind:     hidden_grid_dims
    .group_segment_fixed_size: 0
    .kernarg_segment_align: 8
    .kernarg_segment_size: 304
    .language:       OpenCL C
    .language_version:
      - 2
      - 0
    .max_flat_workgroup_size: 1024
    .name:           _ZN12_GLOBAL__N_120softmax_warp_forwardIN3c108BFloat16ES2_fLi7ELb0ELb0ELi32EEEvPT0_PKT_iiiPKbib
    .private_segment_fixed_size: 0
    .sgpr_count:     24
    .sgpr_spill_count: 0
    .symbol:         _ZN12_GLOBAL__N_120softmax_warp_forwardIN3c108BFloat16ES2_fLi7ELb0ELb0ELi32EEEvPT0_PKT_iiiPKbib.kd
    .uniform_work_group_size: 1
    .uses_dynamic_stack: false
    .vgpr_count:     24
    .vgpr_spill_count: 0
    .wavefront_size: 64
  - .agpr_count:     0
    .args:
      - .address_space:  global
        .offset:         0
        .size:           8
        .value_kind:     global_buffer
      - .address_space:  global
        .offset:         8
        .size:           8
        .value_kind:     global_buffer
      - .offset:         16
        .size:           4
        .value_kind:     by_value
      - .offset:         20
        .size:           4
        .value_kind:     by_value
      - .offset:         24
        .size:           4
        .value_kind:     by_value
      - .address_space:  global
        .offset:         32
        .size:           8
        .value_kind:     global_buffer
      - .offset:         40
        .size:           4
        .value_kind:     by_value
      - .offset:         44
        .size:           1
        .value_kind:     by_value
      - .offset:         48
        .size:           4
        .value_kind:     hidden_block_count_x
      - .offset:         52
        .size:           4
        .value_kind:     hidden_block_count_y
      - .offset:         56
        .size:           4
        .value_kind:     hidden_block_count_z
      - .offset:         60
        .size:           2
        .value_kind:     hidden_group_size_x
      - .offset:         62
        .size:           2
        .value_kind:     hidden_group_size_y
      - .offset:         64
        .size:           2
        .value_kind:     hidden_group_size_z
      - .offset:         66
        .size:           2
        .value_kind:     hidden_remainder_x
      - .offset:         68
        .size:           2
        .value_kind:     hidden_remainder_y
      - .offset:         70
        .size:           2
        .value_kind:     hidden_remainder_z
      - .offset:         88
        .size:           8
        .value_kind:     hidden_global_offset_x
      - .offset:         96
        .size:           8
        .value_kind:     hidden_global_offset_y
      - .offset:         104
        .size:           8
        .value_kind:     hidden_global_offset_z
      - .offset:         112
        .size:           2
        .value_kind:     hidden_grid_dims
    .group_segment_fixed_size: 0
    .kernarg_segment_align: 8
    .kernarg_segment_size: 304
    .language:       OpenCL C
    .language_version:
      - 2
      - 0
    .max_flat_workgroup_size: 1024
    .name:           _ZN12_GLOBAL__N_120softmax_warp_forwardIN3c108BFloat16ES2_fLi8ELb0ELb0ELi64EEEvPT0_PKT_iiiPKbib
    .private_segment_fixed_size: 0
    .sgpr_count:     20
    .sgpr_spill_count: 0
    .symbol:         _ZN12_GLOBAL__N_120softmax_warp_forwardIN3c108BFloat16ES2_fLi8ELb0ELb0ELi64EEEvPT0_PKT_iiiPKbib.kd
    .uniform_work_group_size: 1
    .uses_dynamic_stack: false
    .vgpr_count:     19
    .vgpr_spill_count: 0
    .wavefront_size: 64
  - .agpr_count:     0
    .args:
      - .address_space:  global
        .offset:         0
        .size:           8
        .value_kind:     global_buffer
      - .address_space:  global
        .offset:         8
        .size:           8
        .value_kind:     global_buffer
      - .offset:         16
        .size:           4
        .value_kind:     by_value
      - .offset:         20
        .size:           4
        .value_kind:     by_value
      - .offset:         24
        .size:           4
        .value_kind:     by_value
      - .address_space:  global
        .offset:         32
        .size:           8
        .value_kind:     global_buffer
      - .offset:         40
        .size:           4
        .value_kind:     by_value
      - .offset:         44
        .size:           1
        .value_kind:     by_value
      - .offset:         48
        .size:           4
        .value_kind:     hidden_block_count_x
      - .offset:         52
        .size:           4
        .value_kind:     hidden_block_count_y
      - .offset:         56
        .size:           4
        .value_kind:     hidden_block_count_z
      - .offset:         60
        .size:           2
        .value_kind:     hidden_group_size_x
      - .offset:         62
        .size:           2
        .value_kind:     hidden_group_size_y
      - .offset:         64
        .size:           2
        .value_kind:     hidden_group_size_z
      - .offset:         66
        .size:           2
        .value_kind:     hidden_remainder_x
      - .offset:         68
        .size:           2
        .value_kind:     hidden_remainder_y
      - .offset:         70
        .size:           2
        .value_kind:     hidden_remainder_z
      - .offset:         88
        .size:           8
        .value_kind:     hidden_global_offset_x
      - .offset:         96
        .size:           8
        .value_kind:     hidden_global_offset_y
      - .offset:         104
        .size:           8
        .value_kind:     hidden_global_offset_z
      - .offset:         112
        .size:           2
        .value_kind:     hidden_grid_dims
    .group_segment_fixed_size: 0
    .kernarg_segment_align: 8
    .kernarg_segment_size: 304
    .language:       OpenCL C
    .language_version:
      - 2
      - 0
    .max_flat_workgroup_size: 1024
    .name:           _ZN12_GLOBAL__N_120softmax_warp_forwardIN3c108BFloat16ES2_fLi8ELb0ELb0ELi32EEEvPT0_PKT_iiiPKbib
    .private_segment_fixed_size: 0
    .sgpr_count:     28
    .sgpr_spill_count: 0
    .symbol:         _ZN12_GLOBAL__N_120softmax_warp_forwardIN3c108BFloat16ES2_fLi8ELb0ELb0ELi32EEEvPT0_PKT_iiiPKbib.kd
    .uniform_work_group_size: 1
    .uses_dynamic_stack: false
    .vgpr_count:     23
    .vgpr_spill_count: 0
    .wavefront_size: 64
  - .agpr_count:     0
    .args:
      - .address_space:  global
        .offset:         0
        .size:           8
        .value_kind:     global_buffer
      - .address_space:  global
        .offset:         8
        .size:           8
        .value_kind:     global_buffer
      - .offset:         16
        .size:           4
        .value_kind:     by_value
      - .offset:         20
        .size:           4
        .value_kind:     by_value
      - .offset:         24
        .size:           4
        .value_kind:     by_value
      - .address_space:  global
        .offset:         32
        .size:           8
        .value_kind:     global_buffer
      - .offset:         40
        .size:           4
        .value_kind:     by_value
      - .offset:         44
        .size:           1
        .value_kind:     by_value
      - .offset:         48
        .size:           4
        .value_kind:     hidden_block_count_x
      - .offset:         52
        .size:           4
        .value_kind:     hidden_block_count_y
      - .offset:         56
        .size:           4
        .value_kind:     hidden_block_count_z
      - .offset:         60
        .size:           2
        .value_kind:     hidden_group_size_x
      - .offset:         62
        .size:           2
        .value_kind:     hidden_group_size_y
      - .offset:         64
        .size:           2
        .value_kind:     hidden_group_size_z
      - .offset:         66
        .size:           2
        .value_kind:     hidden_remainder_x
      - .offset:         68
        .size:           2
        .value_kind:     hidden_remainder_y
      - .offset:         70
        .size:           2
        .value_kind:     hidden_remainder_z
      - .offset:         88
        .size:           8
        .value_kind:     hidden_global_offset_x
      - .offset:         96
        .size:           8
        .value_kind:     hidden_global_offset_y
      - .offset:         104
        .size:           8
        .value_kind:     hidden_global_offset_z
      - .offset:         112
        .size:           2
        .value_kind:     hidden_grid_dims
    .group_segment_fixed_size: 0
    .kernarg_segment_align: 8
    .kernarg_segment_size: 304
    .language:       OpenCL C
    .language_version:
      - 2
      - 0
    .max_flat_workgroup_size: 1024
    .name:           _ZN12_GLOBAL__N_120softmax_warp_forwardIN3c108BFloat16ES2_fLi9ELb0ELb0ELi64EEEvPT0_PKT_iiiPKbib
    .private_segment_fixed_size: 0
    .sgpr_count:     28
    .sgpr_spill_count: 0
    .symbol:         _ZN12_GLOBAL__N_120softmax_warp_forwardIN3c108BFloat16ES2_fLi9ELb0ELb0ELi64EEEvPT0_PKT_iiiPKbib.kd
    .uniform_work_group_size: 1
    .uses_dynamic_stack: false
    .vgpr_count:     24
    .vgpr_spill_count: 0
    .wavefront_size: 64
  - .agpr_count:     0
    .args:
      - .address_space:  global
        .offset:         0
        .size:           8
        .value_kind:     global_buffer
      - .address_space:  global
        .offset:         8
        .size:           8
        .value_kind:     global_buffer
      - .offset:         16
        .size:           4
        .value_kind:     by_value
      - .offset:         20
        .size:           4
        .value_kind:     by_value
      - .offset:         24
        .size:           4
        .value_kind:     by_value
      - .address_space:  global
        .offset:         32
        .size:           8
        .value_kind:     global_buffer
      - .offset:         40
        .size:           4
        .value_kind:     by_value
      - .offset:         44
        .size:           1
        .value_kind:     by_value
      - .offset:         48
        .size:           4
        .value_kind:     hidden_block_count_x
      - .offset:         52
        .size:           4
        .value_kind:     hidden_block_count_y
      - .offset:         56
        .size:           4
        .value_kind:     hidden_block_count_z
      - .offset:         60
        .size:           2
        .value_kind:     hidden_group_size_x
      - .offset:         62
        .size:           2
        .value_kind:     hidden_group_size_y
      - .offset:         64
        .size:           2
        .value_kind:     hidden_group_size_z
      - .offset:         66
        .size:           2
        .value_kind:     hidden_remainder_x
      - .offset:         68
        .size:           2
        .value_kind:     hidden_remainder_y
      - .offset:         70
        .size:           2
        .value_kind:     hidden_remainder_z
      - .offset:         88
        .size:           8
        .value_kind:     hidden_global_offset_x
      - .offset:         96
        .size:           8
        .value_kind:     hidden_global_offset_y
      - .offset:         104
        .size:           8
        .value_kind:     hidden_global_offset_z
      - .offset:         112
        .size:           2
        .value_kind:     hidden_grid_dims
    .group_segment_fixed_size: 0
    .kernarg_segment_align: 8
    .kernarg_segment_size: 304
    .language:       OpenCL C
    .language_version:
      - 2
      - 0
    .max_flat_workgroup_size: 1024
    .name:           _ZN12_GLOBAL__N_120softmax_warp_forwardIN3c108BFloat16ES2_fLi9ELb0ELb0ELi32EEEvPT0_PKT_iiiPKbib
    .private_segment_fixed_size: 0
    .sgpr_count:     48
    .sgpr_spill_count: 0
    .symbol:         _ZN12_GLOBAL__N_120softmax_warp_forwardIN3c108BFloat16ES2_fLi9ELb0ELb0ELi32EEEvPT0_PKT_iiiPKbib.kd
    .uniform_work_group_size: 1
    .uses_dynamic_stack: false
    .vgpr_count:     31
    .vgpr_spill_count: 0
    .wavefront_size: 64
  - .agpr_count:     0
    .args:
      - .address_space:  global
        .offset:         0
        .size:           8
        .value_kind:     global_buffer
      - .address_space:  global
        .offset:         8
        .size:           8
        .value_kind:     global_buffer
      - .offset:         16
        .size:           4
        .value_kind:     by_value
      - .offset:         20
        .size:           4
        .value_kind:     by_value
      - .offset:         24
        .size:           4
        .value_kind:     by_value
      - .address_space:  global
        .offset:         32
        .size:           8
        .value_kind:     global_buffer
      - .offset:         40
        .size:           4
        .value_kind:     by_value
      - .offset:         44
        .size:           1
        .value_kind:     by_value
      - .offset:         48
        .size:           4
        .value_kind:     hidden_block_count_x
      - .offset:         52
        .size:           4
        .value_kind:     hidden_block_count_y
      - .offset:         56
        .size:           4
        .value_kind:     hidden_block_count_z
      - .offset:         60
        .size:           2
        .value_kind:     hidden_group_size_x
      - .offset:         62
        .size:           2
        .value_kind:     hidden_group_size_y
      - .offset:         64
        .size:           2
        .value_kind:     hidden_group_size_z
      - .offset:         66
        .size:           2
        .value_kind:     hidden_remainder_x
      - .offset:         68
        .size:           2
        .value_kind:     hidden_remainder_y
      - .offset:         70
        .size:           2
        .value_kind:     hidden_remainder_z
      - .offset:         88
        .size:           8
        .value_kind:     hidden_global_offset_x
      - .offset:         96
        .size:           8
        .value_kind:     hidden_global_offset_y
      - .offset:         104
        .size:           8
        .value_kind:     hidden_global_offset_z
      - .offset:         112
        .size:           2
        .value_kind:     hidden_grid_dims
    .group_segment_fixed_size: 0
    .kernarg_segment_align: 8
    .kernarg_segment_size: 304
    .language:       OpenCL C
    .language_version:
      - 2
      - 0
    .max_flat_workgroup_size: 1024
    .name:           _ZN12_GLOBAL__N_120softmax_warp_forwardIN3c108BFloat16ES2_fLi10ELb0ELb0ELi64EEEvPT0_PKT_iiiPKbib
    .private_segment_fixed_size: 0
    .sgpr_count:     48
    .sgpr_spill_count: 0
    .symbol:         _ZN12_GLOBAL__N_120softmax_warp_forwardIN3c108BFloat16ES2_fLi10ELb0ELb0ELi64EEEvPT0_PKT_iiiPKbib.kd
    .uniform_work_group_size: 1
    .uses_dynamic_stack: false
    .vgpr_count:     32
    .vgpr_spill_count: 0
    .wavefront_size: 64
  - .agpr_count:     0
    .args:
      - .address_space:  global
        .offset:         0
        .size:           8
        .value_kind:     global_buffer
      - .address_space:  global
        .offset:         8
        .size:           8
        .value_kind:     global_buffer
      - .offset:         16
        .size:           4
        .value_kind:     by_value
      - .offset:         20
        .size:           4
        .value_kind:     by_value
      - .offset:         24
        .size:           4
        .value_kind:     by_value
      - .address_space:  global
        .offset:         32
        .size:           8
        .value_kind:     global_buffer
      - .offset:         40
        .size:           4
        .value_kind:     by_value
      - .offset:         44
        .size:           1
        .value_kind:     by_value
      - .offset:         48
        .size:           4
        .value_kind:     hidden_block_count_x
      - .offset:         52
        .size:           4
        .value_kind:     hidden_block_count_y
      - .offset:         56
        .size:           4
        .value_kind:     hidden_block_count_z
      - .offset:         60
        .size:           2
        .value_kind:     hidden_group_size_x
      - .offset:         62
        .size:           2
        .value_kind:     hidden_group_size_y
      - .offset:         64
        .size:           2
        .value_kind:     hidden_group_size_z
      - .offset:         66
        .size:           2
        .value_kind:     hidden_remainder_x
      - .offset:         68
        .size:           2
        .value_kind:     hidden_remainder_y
      - .offset:         70
        .size:           2
        .value_kind:     hidden_remainder_z
      - .offset:         88
        .size:           8
        .value_kind:     hidden_global_offset_x
      - .offset:         96
        .size:           8
        .value_kind:     hidden_global_offset_y
      - .offset:         104
        .size:           8
        .value_kind:     hidden_global_offset_z
      - .offset:         112
        .size:           2
        .value_kind:     hidden_grid_dims
    .group_segment_fixed_size: 0
    .kernarg_segment_align: 8
    .kernarg_segment_size: 304
    .language:       OpenCL C
    .language_version:
      - 2
      - 0
    .max_flat_workgroup_size: 1024
    .name:           _ZN12_GLOBAL__N_120softmax_warp_forwardIN3c108BFloat16ES2_fLi10ELb0ELb0ELi32EEEvPT0_PKT_iiiPKbib
    .private_segment_fixed_size: 0
    .sgpr_count:     80
    .sgpr_spill_count: 0
    .symbol:         _ZN12_GLOBAL__N_120softmax_warp_forwardIN3c108BFloat16ES2_fLi10ELb0ELb0ELi32EEEvPT0_PKT_iiiPKbib.kd
    .uniform_work_group_size: 1
    .uses_dynamic_stack: false
    .vgpr_count:     47
    .vgpr_spill_count: 0
    .wavefront_size: 64
  - .agpr_count:     0
    .args:
      - .address_space:  global
        .offset:         0
        .size:           8
        .value_kind:     global_buffer
      - .address_space:  global
        .offset:         8
        .size:           8
        .value_kind:     global_buffer
      - .offset:         16
        .size:           4
        .value_kind:     by_value
      - .offset:         20
        .size:           4
        .value_kind:     by_value
      - .offset:         24
        .size:           4
        .value_kind:     by_value
      - .address_space:  global
        .offset:         32
        .size:           8
        .value_kind:     global_buffer
      - .offset:         40
        .size:           4
        .value_kind:     by_value
      - .offset:         44
        .size:           1
        .value_kind:     by_value
      - .offset:         48
        .size:           4
        .value_kind:     hidden_block_count_x
      - .offset:         52
        .size:           4
        .value_kind:     hidden_block_count_y
      - .offset:         56
        .size:           4
        .value_kind:     hidden_block_count_z
      - .offset:         60
        .size:           2
        .value_kind:     hidden_group_size_x
      - .offset:         62
        .size:           2
        .value_kind:     hidden_group_size_y
      - .offset:         64
        .size:           2
        .value_kind:     hidden_group_size_z
      - .offset:         66
        .size:           2
        .value_kind:     hidden_remainder_x
      - .offset:         68
        .size:           2
        .value_kind:     hidden_remainder_y
      - .offset:         70
        .size:           2
        .value_kind:     hidden_remainder_z
      - .offset:         88
        .size:           8
        .value_kind:     hidden_global_offset_x
      - .offset:         96
        .size:           8
        .value_kind:     hidden_global_offset_y
      - .offset:         104
        .size:           8
        .value_kind:     hidden_global_offset_z
      - .offset:         112
        .size:           2
        .value_kind:     hidden_grid_dims
    .group_segment_fixed_size: 0
    .kernarg_segment_align: 8
    .kernarg_segment_size: 304
    .language:       OpenCL C
    .language_version:
      - 2
      - 0
    .max_flat_workgroup_size: 1024
    .name:           _ZN12_GLOBAL__N_120softmax_warp_forwardIN3c108BFloat16ES2_fLi11ELb0ELb0ELi64EEEvPT0_PKT_iiiPKbib
    .private_segment_fixed_size: 0
    .sgpr_count:     80
    .sgpr_spill_count: 0
    .symbol:         _ZN12_GLOBAL__N_120softmax_warp_forwardIN3c108BFloat16ES2_fLi11ELb0ELb0ELi64EEEvPT0_PKT_iiiPKbib.kd
    .uniform_work_group_size: 1
    .uses_dynamic_stack: false
    .vgpr_count:     48
    .vgpr_spill_count: 0
    .wavefront_size: 64
  - .agpr_count:     0
    .args:
      - .address_space:  global
        .offset:         0
        .size:           8
        .value_kind:     global_buffer
      - .address_space:  global
        .offset:         8
        .size:           8
        .value_kind:     global_buffer
      - .offset:         16
        .size:           4
        .value_kind:     by_value
      - .offset:         20
        .size:           4
        .value_kind:     by_value
      - .offset:         24
        .size:           4
        .value_kind:     by_value
      - .address_space:  global
        .offset:         32
        .size:           8
        .value_kind:     global_buffer
      - .offset:         40
        .size:           4
        .value_kind:     by_value
      - .offset:         44
        .size:           1
        .value_kind:     by_value
      - .offset:         48
        .size:           4
        .value_kind:     hidden_block_count_x
      - .offset:         52
        .size:           4
        .value_kind:     hidden_block_count_y
      - .offset:         56
        .size:           4
        .value_kind:     hidden_block_count_z
      - .offset:         60
        .size:           2
        .value_kind:     hidden_group_size_x
      - .offset:         62
        .size:           2
        .value_kind:     hidden_group_size_y
      - .offset:         64
        .size:           2
        .value_kind:     hidden_group_size_z
      - .offset:         66
        .size:           2
        .value_kind:     hidden_remainder_x
      - .offset:         68
        .size:           2
        .value_kind:     hidden_remainder_y
      - .offset:         70
        .size:           2
        .value_kind:     hidden_remainder_z
      - .offset:         88
        .size:           8
        .value_kind:     hidden_global_offset_x
      - .offset:         96
        .size:           8
        .value_kind:     hidden_global_offset_y
      - .offset:         104
        .size:           8
        .value_kind:     hidden_global_offset_z
      - .offset:         112
        .size:           2
        .value_kind:     hidden_grid_dims
    .group_segment_fixed_size: 0
    .kernarg_segment_align: 8
    .kernarg_segment_size: 304
    .language:       OpenCL C
    .language_version:
      - 2
      - 0
    .max_flat_workgroup_size: 1024
    .name:           _ZN12_GLOBAL__N_120softmax_warp_forwardIN3c108BFloat16ES2_fLi11ELb0ELb0ELi32EEEvPT0_PKT_iiiPKbib
    .private_segment_fixed_size: 0
    .sgpr_count:     100
    .sgpr_spill_count: 40
    .symbol:         _ZN12_GLOBAL__N_120softmax_warp_forwardIN3c108BFloat16ES2_fLi11ELb0ELb0ELi32EEEvPT0_PKT_iiiPKbib.kd
    .uniform_work_group_size: 1
    .uses_dynamic_stack: false
    .vgpr_count:     79
    .vgpr_spill_count: 0
    .wavefront_size: 64
  - .agpr_count:     0
    .args:
      - .address_space:  global
        .offset:         0
        .size:           8
        .value_kind:     global_buffer
      - .address_space:  global
        .offset:         8
        .size:           8
        .value_kind:     global_buffer
      - .offset:         16
        .size:           8
        .value_kind:     by_value
      - .offset:         24
        .size:           4
        .value_kind:     hidden_block_count_x
      - .offset:         28
        .size:           4
        .value_kind:     hidden_block_count_y
      - .offset:         32
        .size:           4
        .value_kind:     hidden_block_count_z
      - .offset:         36
        .size:           2
        .value_kind:     hidden_group_size_x
      - .offset:         38
        .size:           2
        .value_kind:     hidden_group_size_y
      - .offset:         40
        .size:           2
        .value_kind:     hidden_group_size_z
      - .offset:         42
        .size:           2
        .value_kind:     hidden_remainder_x
      - .offset:         44
        .size:           2
        .value_kind:     hidden_remainder_y
      - .offset:         46
        .size:           2
        .value_kind:     hidden_remainder_z
      - .offset:         64
        .size:           8
        .value_kind:     hidden_global_offset_x
      - .offset:         72
        .size:           8
        .value_kind:     hidden_global_offset_y
      - .offset:         80
        .size:           8
        .value_kind:     hidden_global_offset_z
      - .offset:         88
        .size:           2
        .value_kind:     hidden_grid_dims
      - .offset:         144
        .size:           4
        .value_kind:     hidden_dynamic_lds_size
    .group_segment_fixed_size: 0
    .kernarg_segment_align: 8
    .kernarg_segment_size: 280
    .language:       OpenCL C
    .language_version:
      - 2
      - 0
    .max_flat_workgroup_size: 1024
    .name:           _ZN2at6native12_GLOBAL__N_123cunn_SoftMaxForwardGmemILi8EN3c108BFloat16EfS4_NS1_29SoftMaxForwardWithMulEpilogueElEEvPT2_PKT0_T4_
    .private_segment_fixed_size: 0
    .sgpr_count:     30
    .sgpr_spill_count: 0
    .symbol:         _ZN2at6native12_GLOBAL__N_123cunn_SoftMaxForwardGmemILi8EN3c108BFloat16EfS4_NS1_29SoftMaxForwardWithMulEpilogueElEEvPT2_PKT0_T4_.kd
    .uniform_work_group_size: 1
    .uses_dynamic_stack: false
    .vgpr_count:     28
    .vgpr_spill_count: 0
    .wavefront_size: 64
  - .agpr_count:     0
    .args:
      - .address_space:  global
        .offset:         0
        .size:           8
        .value_kind:     global_buffer
      - .address_space:  global
        .offset:         8
        .size:           8
        .value_kind:     global_buffer
      - .offset:         16
        .size:           4
        .value_kind:     by_value
      - .offset:         24
        .size:           4
        .value_kind:     hidden_block_count_x
      - .offset:         28
        .size:           4
        .value_kind:     hidden_block_count_y
      - .offset:         32
        .size:           4
        .value_kind:     hidden_block_count_z
      - .offset:         36
        .size:           2
        .value_kind:     hidden_group_size_x
      - .offset:         38
        .size:           2
        .value_kind:     hidden_group_size_y
      - .offset:         40
        .size:           2
        .value_kind:     hidden_group_size_z
      - .offset:         42
        .size:           2
        .value_kind:     hidden_remainder_x
      - .offset:         44
        .size:           2
        .value_kind:     hidden_remainder_y
      - .offset:         46
        .size:           2
        .value_kind:     hidden_remainder_z
      - .offset:         64
        .size:           8
        .value_kind:     hidden_global_offset_x
      - .offset:         72
        .size:           8
        .value_kind:     hidden_global_offset_y
      - .offset:         80
        .size:           8
        .value_kind:     hidden_global_offset_z
      - .offset:         88
        .size:           2
        .value_kind:     hidden_grid_dims
      - .offset:         144
        .size:           4
        .value_kind:     hidden_dynamic_lds_size
    .group_segment_fixed_size: 0
    .kernarg_segment_align: 8
    .kernarg_segment_size: 280
    .language:       OpenCL C
    .language_version:
      - 2
      - 0
    .max_flat_workgroup_size: 1024
    .name:           _ZN2at6native12_GLOBAL__N_123cunn_SoftMaxForwardFastILi8EN3c108BFloat16EfS4_NS1_29SoftMaxForwardWithMulEpilogueEEEvPT2_PKT0_i
    .private_segment_fixed_size: 0
    .sgpr_count:     32
    .sgpr_spill_count: 0
    .symbol:         _ZN2at6native12_GLOBAL__N_123cunn_SoftMaxForwardFastILi8EN3c108BFloat16EfS4_NS1_29SoftMaxForwardWithMulEpilogueEEEvPT2_PKT0_i.kd
    .uniform_work_group_size: 1
    .uses_dynamic_stack: false
    .vgpr_count:     22
    .vgpr_spill_count: 0
    .wavefront_size: 64
  - .agpr_count:     0
    .args:
      - .address_space:  global
        .offset:         0
        .size:           8
        .value_kind:     global_buffer
      - .address_space:  global
        .offset:         8
        .size:           8
        .value_kind:     global_buffer
      - .offset:         16
        .size:           4
        .value_kind:     by_value
      - .offset:         20
        .size:           4
        .value_kind:     by_value
      - .offset:         24
        .size:           4
        .value_kind:     by_value
      - .address_space:  global
        .offset:         32
        .size:           8
        .value_kind:     global_buffer
      - .offset:         40
        .size:           4
        .value_kind:     by_value
      - .offset:         44
        .size:           1
        .value_kind:     by_value
      - .offset:         48
        .size:           4
        .value_kind:     hidden_block_count_x
      - .offset:         52
        .size:           4
        .value_kind:     hidden_block_count_y
      - .offset:         56
        .size:           4
        .value_kind:     hidden_block_count_z
      - .offset:         60
        .size:           2
        .value_kind:     hidden_group_size_x
      - .offset:         62
        .size:           2
        .value_kind:     hidden_group_size_y
      - .offset:         64
        .size:           2
        .value_kind:     hidden_group_size_z
      - .offset:         66
        .size:           2
        .value_kind:     hidden_remainder_x
      - .offset:         68
        .size:           2
        .value_kind:     hidden_remainder_y
      - .offset:         70
        .size:           2
        .value_kind:     hidden_remainder_z
      - .offset:         88
        .size:           8
        .value_kind:     hidden_global_offset_x
      - .offset:         96
        .size:           8
        .value_kind:     hidden_global_offset_y
      - .offset:         104
        .size:           8
        .value_kind:     hidden_global_offset_z
      - .offset:         112
        .size:           2
        .value_kind:     hidden_grid_dims
    .group_segment_fixed_size: 0
    .kernarg_segment_align: 8
    .kernarg_segment_size: 304
    .language:       OpenCL C
    .language_version:
      - 2
      - 0
    .max_flat_workgroup_size: 1024
    .name:           _ZN12_GLOBAL__N_120softmax_warp_forwardIN3c108BFloat16EffLi0ELb0ELb0ELi64EEEvPT0_PKT_iiiPKbib
    .private_segment_fixed_size: 0
    .sgpr_count:     20
    .sgpr_spill_count: 0
    .symbol:         _ZN12_GLOBAL__N_120softmax_warp_forwardIN3c108BFloat16EffLi0ELb0ELb0ELi64EEEvPT0_PKT_iiiPKbib.kd
    .uniform_work_group_size: 1
    .uses_dynamic_stack: false
    .vgpr_count:     9
    .vgpr_spill_count: 0
    .wavefront_size: 64
  - .agpr_count:     0
    .args:
      - .address_space:  global
        .offset:         0
        .size:           8
        .value_kind:     global_buffer
      - .address_space:  global
        .offset:         8
        .size:           8
        .value_kind:     global_buffer
      - .offset:         16
        .size:           4
        .value_kind:     by_value
      - .offset:         20
        .size:           4
        .value_kind:     by_value
      - .offset:         24
        .size:           4
        .value_kind:     by_value
      - .address_space:  global
        .offset:         32
        .size:           8
        .value_kind:     global_buffer
      - .offset:         40
        .size:           4
        .value_kind:     by_value
      - .offset:         44
        .size:           1
        .value_kind:     by_value
      - .offset:         48
        .size:           4
        .value_kind:     hidden_block_count_x
      - .offset:         52
        .size:           4
        .value_kind:     hidden_block_count_y
      - .offset:         56
        .size:           4
        .value_kind:     hidden_block_count_z
      - .offset:         60
        .size:           2
        .value_kind:     hidden_group_size_x
      - .offset:         62
        .size:           2
        .value_kind:     hidden_group_size_y
      - .offset:         64
        .size:           2
        .value_kind:     hidden_group_size_z
      - .offset:         66
        .size:           2
        .value_kind:     hidden_remainder_x
      - .offset:         68
        .size:           2
        .value_kind:     hidden_remainder_y
      - .offset:         70
        .size:           2
        .value_kind:     hidden_remainder_z
      - .offset:         88
        .size:           8
        .value_kind:     hidden_global_offset_x
      - .offset:         96
        .size:           8
        .value_kind:     hidden_global_offset_y
      - .offset:         104
        .size:           8
        .value_kind:     hidden_global_offset_z
      - .offset:         112
        .size:           2
        .value_kind:     hidden_grid_dims
    .group_segment_fixed_size: 0
    .kernarg_segment_align: 8
    .kernarg_segment_size: 304
    .language:       OpenCL C
    .language_version:
      - 2
      - 0
    .max_flat_workgroup_size: 1024
    .name:           _ZN12_GLOBAL__N_120softmax_warp_forwardIN3c108BFloat16EffLi0ELb0ELb0ELi32EEEvPT0_PKT_iiiPKbib
    .private_segment_fixed_size: 0
    .sgpr_count:     20
    .sgpr_spill_count: 0
    .symbol:         _ZN12_GLOBAL__N_120softmax_warp_forwardIN3c108BFloat16EffLi0ELb0ELb0ELi32EEEvPT0_PKT_iiiPKbib.kd
    .uniform_work_group_size: 1
    .uses_dynamic_stack: false
    .vgpr_count:     9
    .vgpr_spill_count: 0
    .wavefront_size: 64
  - .agpr_count:     0
    .args:
      - .address_space:  global
        .offset:         0
        .size:           8
        .value_kind:     global_buffer
      - .address_space:  global
        .offset:         8
        .size:           8
        .value_kind:     global_buffer
      - .offset:         16
        .size:           4
        .value_kind:     by_value
      - .offset:         20
        .size:           4
        .value_kind:     by_value
      - .offset:         24
        .size:           4
        .value_kind:     by_value
      - .address_space:  global
        .offset:         32
        .size:           8
        .value_kind:     global_buffer
      - .offset:         40
        .size:           4
        .value_kind:     by_value
      - .offset:         44
        .size:           1
        .value_kind:     by_value
      - .offset:         48
        .size:           4
        .value_kind:     hidden_block_count_x
      - .offset:         52
        .size:           4
        .value_kind:     hidden_block_count_y
      - .offset:         56
        .size:           4
        .value_kind:     hidden_block_count_z
      - .offset:         60
        .size:           2
        .value_kind:     hidden_group_size_x
      - .offset:         62
        .size:           2
        .value_kind:     hidden_group_size_y
      - .offset:         64
        .size:           2
        .value_kind:     hidden_group_size_z
      - .offset:         66
        .size:           2
        .value_kind:     hidden_remainder_x
      - .offset:         68
        .size:           2
        .value_kind:     hidden_remainder_y
      - .offset:         70
        .size:           2
        .value_kind:     hidden_remainder_z
      - .offset:         88
        .size:           8
        .value_kind:     hidden_global_offset_x
      - .offset:         96
        .size:           8
        .value_kind:     hidden_global_offset_y
      - .offset:         104
        .size:           8
        .value_kind:     hidden_global_offset_z
      - .offset:         112
        .size:           2
        .value_kind:     hidden_grid_dims
    .group_segment_fixed_size: 0
    .kernarg_segment_align: 8
    .kernarg_segment_size: 304
    .language:       OpenCL C
    .language_version:
      - 2
      - 0
    .max_flat_workgroup_size: 1024
    .name:           _ZN12_GLOBAL__N_120softmax_warp_forwardIN3c108BFloat16EffLi1ELb0ELb0ELi64EEEvPT0_PKT_iiiPKbib
    .private_segment_fixed_size: 0
    .sgpr_count:     20
    .sgpr_spill_count: 0
    .symbol:         _ZN12_GLOBAL__N_120softmax_warp_forwardIN3c108BFloat16EffLi1ELb0ELb0ELi64EEEvPT0_PKT_iiiPKbib.kd
    .uniform_work_group_size: 1
    .uses_dynamic_stack: false
    .vgpr_count:     12
    .vgpr_spill_count: 0
    .wavefront_size: 64
  - .agpr_count:     0
    .args:
      - .address_space:  global
        .offset:         0
        .size:           8
        .value_kind:     global_buffer
      - .address_space:  global
        .offset:         8
        .size:           8
        .value_kind:     global_buffer
      - .offset:         16
        .size:           4
        .value_kind:     by_value
      - .offset:         20
        .size:           4
        .value_kind:     by_value
      - .offset:         24
        .size:           4
        .value_kind:     by_value
      - .address_space:  global
        .offset:         32
        .size:           8
        .value_kind:     global_buffer
      - .offset:         40
        .size:           4
        .value_kind:     by_value
      - .offset:         44
        .size:           1
        .value_kind:     by_value
      - .offset:         48
        .size:           4
        .value_kind:     hidden_block_count_x
      - .offset:         52
        .size:           4
        .value_kind:     hidden_block_count_y
      - .offset:         56
        .size:           4
        .value_kind:     hidden_block_count_z
      - .offset:         60
        .size:           2
        .value_kind:     hidden_group_size_x
      - .offset:         62
        .size:           2
        .value_kind:     hidden_group_size_y
      - .offset:         64
        .size:           2
        .value_kind:     hidden_group_size_z
      - .offset:         66
        .size:           2
        .value_kind:     hidden_remainder_x
      - .offset:         68
        .size:           2
        .value_kind:     hidden_remainder_y
      - .offset:         70
        .size:           2
        .value_kind:     hidden_remainder_z
      - .offset:         88
        .size:           8
        .value_kind:     hidden_global_offset_x
      - .offset:         96
        .size:           8
        .value_kind:     hidden_global_offset_y
      - .offset:         104
        .size:           8
        .value_kind:     hidden_global_offset_z
      - .offset:         112
        .size:           2
        .value_kind:     hidden_grid_dims
    .group_segment_fixed_size: 0
    .kernarg_segment_align: 8
    .kernarg_segment_size: 304
    .language:       OpenCL C
    .language_version:
      - 2
      - 0
    .max_flat_workgroup_size: 1024
    .name:           _ZN12_GLOBAL__N_120softmax_warp_forwardIN3c108BFloat16EffLi1ELb0ELb0ELi32EEEvPT0_PKT_iiiPKbib
    .private_segment_fixed_size: 0
    .sgpr_count:     20
    .sgpr_spill_count: 0
    .symbol:         _ZN12_GLOBAL__N_120softmax_warp_forwardIN3c108BFloat16EffLi1ELb0ELb0ELi32EEEvPT0_PKT_iiiPKbib.kd
    .uniform_work_group_size: 1
    .uses_dynamic_stack: false
    .vgpr_count:     12
    .vgpr_spill_count: 0
    .wavefront_size: 64
  - .agpr_count:     0
    .args:
      - .address_space:  global
        .offset:         0
        .size:           8
        .value_kind:     global_buffer
      - .address_space:  global
        .offset:         8
        .size:           8
        .value_kind:     global_buffer
      - .offset:         16
        .size:           4
        .value_kind:     by_value
      - .offset:         20
        .size:           4
        .value_kind:     by_value
      - .offset:         24
        .size:           4
        .value_kind:     by_value
      - .address_space:  global
        .offset:         32
        .size:           8
        .value_kind:     global_buffer
      - .offset:         40
        .size:           4
        .value_kind:     by_value
      - .offset:         44
        .size:           1
        .value_kind:     by_value
      - .offset:         48
        .size:           4
        .value_kind:     hidden_block_count_x
      - .offset:         52
        .size:           4
        .value_kind:     hidden_block_count_y
      - .offset:         56
        .size:           4
        .value_kind:     hidden_block_count_z
      - .offset:         60
        .size:           2
        .value_kind:     hidden_group_size_x
      - .offset:         62
        .size:           2
        .value_kind:     hidden_group_size_y
      - .offset:         64
        .size:           2
        .value_kind:     hidden_group_size_z
      - .offset:         66
        .size:           2
        .value_kind:     hidden_remainder_x
      - .offset:         68
        .size:           2
        .value_kind:     hidden_remainder_y
      - .offset:         70
        .size:           2
        .value_kind:     hidden_remainder_z
      - .offset:         88
        .size:           8
        .value_kind:     hidden_global_offset_x
      - .offset:         96
        .size:           8
        .value_kind:     hidden_global_offset_y
      - .offset:         104
        .size:           8
        .value_kind:     hidden_global_offset_z
      - .offset:         112
        .size:           2
        .value_kind:     hidden_grid_dims
    .group_segment_fixed_size: 0
    .kernarg_segment_align: 8
    .kernarg_segment_size: 304
    .language:       OpenCL C
    .language_version:
      - 2
      - 0
    .max_flat_workgroup_size: 1024
    .name:           _ZN12_GLOBAL__N_120softmax_warp_forwardIN3c108BFloat16EffLi2ELb0ELb0ELi64EEEvPT0_PKT_iiiPKbib
    .private_segment_fixed_size: 0
    .sgpr_count:     20
    .sgpr_spill_count: 0
    .symbol:         _ZN12_GLOBAL__N_120softmax_warp_forwardIN3c108BFloat16EffLi2ELb0ELb0ELi64EEEvPT0_PKT_iiiPKbib.kd
    .uniform_work_group_size: 1
    .uses_dynamic_stack: false
    .vgpr_count:     12
    .vgpr_spill_count: 0
    .wavefront_size: 64
  - .agpr_count:     0
    .args:
      - .address_space:  global
        .offset:         0
        .size:           8
        .value_kind:     global_buffer
      - .address_space:  global
        .offset:         8
        .size:           8
        .value_kind:     global_buffer
      - .offset:         16
        .size:           4
        .value_kind:     by_value
      - .offset:         20
        .size:           4
        .value_kind:     by_value
      - .offset:         24
        .size:           4
        .value_kind:     by_value
      - .address_space:  global
        .offset:         32
        .size:           8
        .value_kind:     global_buffer
      - .offset:         40
        .size:           4
        .value_kind:     by_value
      - .offset:         44
        .size:           1
        .value_kind:     by_value
      - .offset:         48
        .size:           4
        .value_kind:     hidden_block_count_x
      - .offset:         52
        .size:           4
        .value_kind:     hidden_block_count_y
      - .offset:         56
        .size:           4
        .value_kind:     hidden_block_count_z
      - .offset:         60
        .size:           2
        .value_kind:     hidden_group_size_x
      - .offset:         62
        .size:           2
        .value_kind:     hidden_group_size_y
      - .offset:         64
        .size:           2
        .value_kind:     hidden_group_size_z
      - .offset:         66
        .size:           2
        .value_kind:     hidden_remainder_x
      - .offset:         68
        .size:           2
        .value_kind:     hidden_remainder_y
      - .offset:         70
        .size:           2
        .value_kind:     hidden_remainder_z
      - .offset:         88
        .size:           8
        .value_kind:     hidden_global_offset_x
      - .offset:         96
        .size:           8
        .value_kind:     hidden_global_offset_y
      - .offset:         104
        .size:           8
        .value_kind:     hidden_global_offset_z
      - .offset:         112
        .size:           2
        .value_kind:     hidden_grid_dims
    .group_segment_fixed_size: 0
    .kernarg_segment_align: 8
    .kernarg_segment_size: 304
    .language:       OpenCL C
    .language_version:
      - 2
      - 0
    .max_flat_workgroup_size: 1024
    .name:           _ZN12_GLOBAL__N_120softmax_warp_forwardIN3c108BFloat16EffLi2ELb0ELb0ELi32EEEvPT0_PKT_iiiPKbib
    .private_segment_fixed_size: 0
    .sgpr_count:     20
    .sgpr_spill_count: 0
    .symbol:         _ZN12_GLOBAL__N_120softmax_warp_forwardIN3c108BFloat16EffLi2ELb0ELb0ELi32EEEvPT0_PKT_iiiPKbib.kd
    .uniform_work_group_size: 1
    .uses_dynamic_stack: false
    .vgpr_count:     12
    .vgpr_spill_count: 0
    .wavefront_size: 64
  - .agpr_count:     0
    .args:
      - .address_space:  global
        .offset:         0
        .size:           8
        .value_kind:     global_buffer
      - .address_space:  global
        .offset:         8
        .size:           8
        .value_kind:     global_buffer
      - .offset:         16
        .size:           4
        .value_kind:     by_value
      - .offset:         20
        .size:           4
        .value_kind:     by_value
      - .offset:         24
        .size:           4
        .value_kind:     by_value
      - .address_space:  global
        .offset:         32
        .size:           8
        .value_kind:     global_buffer
      - .offset:         40
        .size:           4
        .value_kind:     by_value
      - .offset:         44
        .size:           1
        .value_kind:     by_value
      - .offset:         48
        .size:           4
        .value_kind:     hidden_block_count_x
      - .offset:         52
        .size:           4
        .value_kind:     hidden_block_count_y
      - .offset:         56
        .size:           4
        .value_kind:     hidden_block_count_z
      - .offset:         60
        .size:           2
        .value_kind:     hidden_group_size_x
      - .offset:         62
        .size:           2
        .value_kind:     hidden_group_size_y
      - .offset:         64
        .size:           2
        .value_kind:     hidden_group_size_z
      - .offset:         66
        .size:           2
        .value_kind:     hidden_remainder_x
      - .offset:         68
        .size:           2
        .value_kind:     hidden_remainder_y
      - .offset:         70
        .size:           2
        .value_kind:     hidden_remainder_z
      - .offset:         88
        .size:           8
        .value_kind:     hidden_global_offset_x
      - .offset:         96
        .size:           8
        .value_kind:     hidden_global_offset_y
      - .offset:         104
        .size:           8
        .value_kind:     hidden_global_offset_z
      - .offset:         112
        .size:           2
        .value_kind:     hidden_grid_dims
    .group_segment_fixed_size: 0
    .kernarg_segment_align: 8
    .kernarg_segment_size: 304
    .language:       OpenCL C
    .language_version:
      - 2
      - 0
    .max_flat_workgroup_size: 1024
    .name:           _ZN12_GLOBAL__N_120softmax_warp_forwardIN3c108BFloat16EffLi3ELb0ELb0ELi64EEEvPT0_PKT_iiiPKbib
    .private_segment_fixed_size: 0
    .sgpr_count:     20
    .sgpr_spill_count: 0
    .symbol:         _ZN12_GLOBAL__N_120softmax_warp_forwardIN3c108BFloat16EffLi3ELb0ELb0ELi64EEEvPT0_PKT_iiiPKbib.kd
    .uniform_work_group_size: 1
    .uses_dynamic_stack: false
    .vgpr_count:     13
    .vgpr_spill_count: 0
    .wavefront_size: 64
  - .agpr_count:     0
    .args:
      - .address_space:  global
        .offset:         0
        .size:           8
        .value_kind:     global_buffer
      - .address_space:  global
        .offset:         8
        .size:           8
        .value_kind:     global_buffer
      - .offset:         16
        .size:           4
        .value_kind:     by_value
      - .offset:         20
        .size:           4
        .value_kind:     by_value
      - .offset:         24
        .size:           4
        .value_kind:     by_value
      - .address_space:  global
        .offset:         32
        .size:           8
        .value_kind:     global_buffer
      - .offset:         40
        .size:           4
        .value_kind:     by_value
      - .offset:         44
        .size:           1
        .value_kind:     by_value
      - .offset:         48
        .size:           4
        .value_kind:     hidden_block_count_x
      - .offset:         52
        .size:           4
        .value_kind:     hidden_block_count_y
      - .offset:         56
        .size:           4
        .value_kind:     hidden_block_count_z
      - .offset:         60
        .size:           2
        .value_kind:     hidden_group_size_x
      - .offset:         62
        .size:           2
        .value_kind:     hidden_group_size_y
      - .offset:         64
        .size:           2
        .value_kind:     hidden_group_size_z
      - .offset:         66
        .size:           2
        .value_kind:     hidden_remainder_x
      - .offset:         68
        .size:           2
        .value_kind:     hidden_remainder_y
      - .offset:         70
        .size:           2
        .value_kind:     hidden_remainder_z
      - .offset:         88
        .size:           8
        .value_kind:     hidden_global_offset_x
      - .offset:         96
        .size:           8
        .value_kind:     hidden_global_offset_y
      - .offset:         104
        .size:           8
        .value_kind:     hidden_global_offset_z
      - .offset:         112
        .size:           2
        .value_kind:     hidden_grid_dims
    .group_segment_fixed_size: 0
    .kernarg_segment_align: 8
    .kernarg_segment_size: 304
    .language:       OpenCL C
    .language_version:
      - 2
      - 0
    .max_flat_workgroup_size: 1024
    .name:           _ZN12_GLOBAL__N_120softmax_warp_forwardIN3c108BFloat16EffLi3ELb0ELb0ELi32EEEvPT0_PKT_iiiPKbib
    .private_segment_fixed_size: 0
    .sgpr_count:     20
    .sgpr_spill_count: 0
    .symbol:         _ZN12_GLOBAL__N_120softmax_warp_forwardIN3c108BFloat16EffLi3ELb0ELb0ELi32EEEvPT0_PKT_iiiPKbib.kd
    .uniform_work_group_size: 1
    .uses_dynamic_stack: false
    .vgpr_count:     13
    .vgpr_spill_count: 0
    .wavefront_size: 64
  - .agpr_count:     0
    .args:
      - .address_space:  global
        .offset:         0
        .size:           8
        .value_kind:     global_buffer
      - .address_space:  global
        .offset:         8
        .size:           8
        .value_kind:     global_buffer
      - .offset:         16
        .size:           4
        .value_kind:     by_value
      - .offset:         20
        .size:           4
        .value_kind:     by_value
      - .offset:         24
        .size:           4
        .value_kind:     by_value
      - .address_space:  global
        .offset:         32
        .size:           8
        .value_kind:     global_buffer
      - .offset:         40
        .size:           4
        .value_kind:     by_value
      - .offset:         44
        .size:           1
        .value_kind:     by_value
      - .offset:         48
        .size:           4
        .value_kind:     hidden_block_count_x
      - .offset:         52
        .size:           4
        .value_kind:     hidden_block_count_y
      - .offset:         56
        .size:           4
        .value_kind:     hidden_block_count_z
      - .offset:         60
        .size:           2
        .value_kind:     hidden_group_size_x
      - .offset:         62
        .size:           2
        .value_kind:     hidden_group_size_y
      - .offset:         64
        .size:           2
        .value_kind:     hidden_group_size_z
      - .offset:         66
        .size:           2
        .value_kind:     hidden_remainder_x
      - .offset:         68
        .size:           2
        .value_kind:     hidden_remainder_y
      - .offset:         70
        .size:           2
        .value_kind:     hidden_remainder_z
      - .offset:         88
        .size:           8
        .value_kind:     hidden_global_offset_x
      - .offset:         96
        .size:           8
        .value_kind:     hidden_global_offset_y
      - .offset:         104
        .size:           8
        .value_kind:     hidden_global_offset_z
      - .offset:         112
        .size:           2
        .value_kind:     hidden_grid_dims
    .group_segment_fixed_size: 0
    .kernarg_segment_align: 8
    .kernarg_segment_size: 304
    .language:       OpenCL C
    .language_version:
      - 2
      - 0
    .max_flat_workgroup_size: 1024
    .name:           _ZN12_GLOBAL__N_120softmax_warp_forwardIN3c108BFloat16EffLi4ELb0ELb0ELi64EEEvPT0_PKT_iiiPKbib
    .private_segment_fixed_size: 0
    .sgpr_count:     20
    .sgpr_spill_count: 0
    .symbol:         _ZN12_GLOBAL__N_120softmax_warp_forwardIN3c108BFloat16EffLi4ELb0ELb0ELi64EEEvPT0_PKT_iiiPKbib.kd
    .uniform_work_group_size: 1
    .uses_dynamic_stack: false
    .vgpr_count:     15
    .vgpr_spill_count: 0
    .wavefront_size: 64
  - .agpr_count:     0
    .args:
      - .address_space:  global
        .offset:         0
        .size:           8
        .value_kind:     global_buffer
      - .address_space:  global
        .offset:         8
        .size:           8
        .value_kind:     global_buffer
      - .offset:         16
        .size:           4
        .value_kind:     by_value
      - .offset:         20
        .size:           4
        .value_kind:     by_value
      - .offset:         24
        .size:           4
        .value_kind:     by_value
      - .address_space:  global
        .offset:         32
        .size:           8
        .value_kind:     global_buffer
      - .offset:         40
        .size:           4
        .value_kind:     by_value
      - .offset:         44
        .size:           1
        .value_kind:     by_value
      - .offset:         48
        .size:           4
        .value_kind:     hidden_block_count_x
      - .offset:         52
        .size:           4
        .value_kind:     hidden_block_count_y
      - .offset:         56
        .size:           4
        .value_kind:     hidden_block_count_z
      - .offset:         60
        .size:           2
        .value_kind:     hidden_group_size_x
      - .offset:         62
        .size:           2
        .value_kind:     hidden_group_size_y
      - .offset:         64
        .size:           2
        .value_kind:     hidden_group_size_z
      - .offset:         66
        .size:           2
        .value_kind:     hidden_remainder_x
      - .offset:         68
        .size:           2
        .value_kind:     hidden_remainder_y
      - .offset:         70
        .size:           2
        .value_kind:     hidden_remainder_z
      - .offset:         88
        .size:           8
        .value_kind:     hidden_global_offset_x
      - .offset:         96
        .size:           8
        .value_kind:     hidden_global_offset_y
      - .offset:         104
        .size:           8
        .value_kind:     hidden_global_offset_z
      - .offset:         112
        .size:           2
        .value_kind:     hidden_grid_dims
    .group_segment_fixed_size: 0
    .kernarg_segment_align: 8
    .kernarg_segment_size: 304
    .language:       OpenCL C
    .language_version:
      - 2
      - 0
    .max_flat_workgroup_size: 1024
    .name:           _ZN12_GLOBAL__N_120softmax_warp_forwardIN3c108BFloat16EffLi4ELb0ELb0ELi32EEEvPT0_PKT_iiiPKbib
    .private_segment_fixed_size: 0
    .sgpr_count:     20
    .sgpr_spill_count: 0
    .symbol:         _ZN12_GLOBAL__N_120softmax_warp_forwardIN3c108BFloat16EffLi4ELb0ELb0ELi32EEEvPT0_PKT_iiiPKbib.kd
    .uniform_work_group_size: 1
    .uses_dynamic_stack: false
    .vgpr_count:     15
    .vgpr_spill_count: 0
    .wavefront_size: 64
  - .agpr_count:     0
    .args:
      - .address_space:  global
        .offset:         0
        .size:           8
        .value_kind:     global_buffer
      - .address_space:  global
        .offset:         8
        .size:           8
        .value_kind:     global_buffer
      - .offset:         16
        .size:           4
        .value_kind:     by_value
      - .offset:         20
        .size:           4
        .value_kind:     by_value
      - .offset:         24
        .size:           4
        .value_kind:     by_value
      - .address_space:  global
        .offset:         32
        .size:           8
        .value_kind:     global_buffer
      - .offset:         40
        .size:           4
        .value_kind:     by_value
      - .offset:         44
        .size:           1
        .value_kind:     by_value
      - .offset:         48
        .size:           4
        .value_kind:     hidden_block_count_x
      - .offset:         52
        .size:           4
        .value_kind:     hidden_block_count_y
      - .offset:         56
        .size:           4
        .value_kind:     hidden_block_count_z
      - .offset:         60
        .size:           2
        .value_kind:     hidden_group_size_x
      - .offset:         62
        .size:           2
        .value_kind:     hidden_group_size_y
      - .offset:         64
        .size:           2
        .value_kind:     hidden_group_size_z
      - .offset:         66
        .size:           2
        .value_kind:     hidden_remainder_x
      - .offset:         68
        .size:           2
        .value_kind:     hidden_remainder_y
      - .offset:         70
        .size:           2
        .value_kind:     hidden_remainder_z
      - .offset:         88
        .size:           8
        .value_kind:     hidden_global_offset_x
      - .offset:         96
        .size:           8
        .value_kind:     hidden_global_offset_y
      - .offset:         104
        .size:           8
        .value_kind:     hidden_global_offset_z
      - .offset:         112
        .size:           2
        .value_kind:     hidden_grid_dims
    .group_segment_fixed_size: 0
    .kernarg_segment_align: 8
    .kernarg_segment_size: 304
    .language:       OpenCL C
    .language_version:
      - 2
      - 0
    .max_flat_workgroup_size: 1024
    .name:           _ZN12_GLOBAL__N_120softmax_warp_forwardIN3c108BFloat16EffLi5ELb0ELb0ELi64EEEvPT0_PKT_iiiPKbib
    .private_segment_fixed_size: 0
    .sgpr_count:     20
    .sgpr_spill_count: 0
    .symbol:         _ZN12_GLOBAL__N_120softmax_warp_forwardIN3c108BFloat16EffLi5ELb0ELb0ELi64EEEvPT0_PKT_iiiPKbib.kd
    .uniform_work_group_size: 1
    .uses_dynamic_stack: false
    .vgpr_count:     16
    .vgpr_spill_count: 0
    .wavefront_size: 64
  - .agpr_count:     0
    .args:
      - .address_space:  global
        .offset:         0
        .size:           8
        .value_kind:     global_buffer
      - .address_space:  global
        .offset:         8
        .size:           8
        .value_kind:     global_buffer
      - .offset:         16
        .size:           4
        .value_kind:     by_value
      - .offset:         20
        .size:           4
        .value_kind:     by_value
      - .offset:         24
        .size:           4
        .value_kind:     by_value
      - .address_space:  global
        .offset:         32
        .size:           8
        .value_kind:     global_buffer
      - .offset:         40
        .size:           4
        .value_kind:     by_value
      - .offset:         44
        .size:           1
        .value_kind:     by_value
      - .offset:         48
        .size:           4
        .value_kind:     hidden_block_count_x
      - .offset:         52
        .size:           4
        .value_kind:     hidden_block_count_y
      - .offset:         56
        .size:           4
        .value_kind:     hidden_block_count_z
      - .offset:         60
        .size:           2
        .value_kind:     hidden_group_size_x
      - .offset:         62
        .size:           2
        .value_kind:     hidden_group_size_y
      - .offset:         64
        .size:           2
        .value_kind:     hidden_group_size_z
      - .offset:         66
        .size:           2
        .value_kind:     hidden_remainder_x
      - .offset:         68
        .size:           2
        .value_kind:     hidden_remainder_y
      - .offset:         70
        .size:           2
        .value_kind:     hidden_remainder_z
      - .offset:         88
        .size:           8
        .value_kind:     hidden_global_offset_x
      - .offset:         96
        .size:           8
        .value_kind:     hidden_global_offset_y
      - .offset:         104
        .size:           8
        .value_kind:     hidden_global_offset_z
      - .offset:         112
        .size:           2
        .value_kind:     hidden_grid_dims
    .group_segment_fixed_size: 0
    .kernarg_segment_align: 8
    .kernarg_segment_size: 304
    .language:       OpenCL C
    .language_version:
      - 2
      - 0
    .max_flat_workgroup_size: 1024
    .name:           _ZN12_GLOBAL__N_120softmax_warp_forwardIN3c108BFloat16EffLi5ELb0ELb0ELi32EEEvPT0_PKT_iiiPKbib
    .private_segment_fixed_size: 0
    .sgpr_count:     20
    .sgpr_spill_count: 0
    .symbol:         _ZN12_GLOBAL__N_120softmax_warp_forwardIN3c108BFloat16EffLi5ELb0ELb0ELi32EEEvPT0_PKT_iiiPKbib.kd
    .uniform_work_group_size: 1
    .uses_dynamic_stack: false
    .vgpr_count:     16
    .vgpr_spill_count: 0
    .wavefront_size: 64
  - .agpr_count:     0
    .args:
      - .address_space:  global
        .offset:         0
        .size:           8
        .value_kind:     global_buffer
      - .address_space:  global
        .offset:         8
        .size:           8
        .value_kind:     global_buffer
      - .offset:         16
        .size:           4
        .value_kind:     by_value
      - .offset:         20
        .size:           4
        .value_kind:     by_value
      - .offset:         24
        .size:           4
        .value_kind:     by_value
      - .address_space:  global
        .offset:         32
        .size:           8
        .value_kind:     global_buffer
      - .offset:         40
        .size:           4
        .value_kind:     by_value
      - .offset:         44
        .size:           1
        .value_kind:     by_value
      - .offset:         48
        .size:           4
        .value_kind:     hidden_block_count_x
      - .offset:         52
        .size:           4
        .value_kind:     hidden_block_count_y
      - .offset:         56
        .size:           4
        .value_kind:     hidden_block_count_z
      - .offset:         60
        .size:           2
        .value_kind:     hidden_group_size_x
      - .offset:         62
        .size:           2
        .value_kind:     hidden_group_size_y
      - .offset:         64
        .size:           2
        .value_kind:     hidden_group_size_z
      - .offset:         66
        .size:           2
        .value_kind:     hidden_remainder_x
      - .offset:         68
        .size:           2
        .value_kind:     hidden_remainder_y
      - .offset:         70
        .size:           2
        .value_kind:     hidden_remainder_z
      - .offset:         88
        .size:           8
        .value_kind:     hidden_global_offset_x
      - .offset:         96
        .size:           8
        .value_kind:     hidden_global_offset_y
      - .offset:         104
        .size:           8
        .value_kind:     hidden_global_offset_z
      - .offset:         112
        .size:           2
        .value_kind:     hidden_grid_dims
    .group_segment_fixed_size: 0
    .kernarg_segment_align: 8
    .kernarg_segment_size: 304
    .language:       OpenCL C
    .language_version:
      - 2
      - 0
    .max_flat_workgroup_size: 1024
    .name:           _ZN12_GLOBAL__N_120softmax_warp_forwardIN3c108BFloat16EffLi6ELb0ELb0ELi64EEEvPT0_PKT_iiiPKbib
    .private_segment_fixed_size: 0
    .sgpr_count:     20
    .sgpr_spill_count: 0
    .symbol:         _ZN12_GLOBAL__N_120softmax_warp_forwardIN3c108BFloat16EffLi6ELb0ELb0ELi64EEEvPT0_PKT_iiiPKbib.kd
    .uniform_work_group_size: 1
    .uses_dynamic_stack: false
    .vgpr_count:     17
    .vgpr_spill_count: 0
    .wavefront_size: 64
  - .agpr_count:     0
    .args:
      - .address_space:  global
        .offset:         0
        .size:           8
        .value_kind:     global_buffer
      - .address_space:  global
        .offset:         8
        .size:           8
        .value_kind:     global_buffer
      - .offset:         16
        .size:           4
        .value_kind:     by_value
      - .offset:         20
        .size:           4
        .value_kind:     by_value
      - .offset:         24
        .size:           4
        .value_kind:     by_value
      - .address_space:  global
        .offset:         32
        .size:           8
        .value_kind:     global_buffer
      - .offset:         40
        .size:           4
        .value_kind:     by_value
      - .offset:         44
        .size:           1
        .value_kind:     by_value
      - .offset:         48
        .size:           4
        .value_kind:     hidden_block_count_x
      - .offset:         52
        .size:           4
        .value_kind:     hidden_block_count_y
      - .offset:         56
        .size:           4
        .value_kind:     hidden_block_count_z
      - .offset:         60
        .size:           2
        .value_kind:     hidden_group_size_x
      - .offset:         62
        .size:           2
        .value_kind:     hidden_group_size_y
      - .offset:         64
        .size:           2
        .value_kind:     hidden_group_size_z
      - .offset:         66
        .size:           2
        .value_kind:     hidden_remainder_x
      - .offset:         68
        .size:           2
        .value_kind:     hidden_remainder_y
      - .offset:         70
        .size:           2
        .value_kind:     hidden_remainder_z
      - .offset:         88
        .size:           8
        .value_kind:     hidden_global_offset_x
      - .offset:         96
        .size:           8
        .value_kind:     hidden_global_offset_y
      - .offset:         104
        .size:           8
        .value_kind:     hidden_global_offset_z
      - .offset:         112
        .size:           2
        .value_kind:     hidden_grid_dims
    .group_segment_fixed_size: 0
    .kernarg_segment_align: 8
    .kernarg_segment_size: 304
    .language:       OpenCL C
    .language_version:
      - 2
      - 0
    .max_flat_workgroup_size: 1024
    .name:           _ZN12_GLOBAL__N_120softmax_warp_forwardIN3c108BFloat16EffLi6ELb0ELb0ELi32EEEvPT0_PKT_iiiPKbib
    .private_segment_fixed_size: 0
    .sgpr_count:     20
    .sgpr_spill_count: 0
    .symbol:         _ZN12_GLOBAL__N_120softmax_warp_forwardIN3c108BFloat16EffLi6ELb0ELb0ELi32EEEvPT0_PKT_iiiPKbib.kd
    .uniform_work_group_size: 1
    .uses_dynamic_stack: false
    .vgpr_count:     17
    .vgpr_spill_count: 0
    .wavefront_size: 64
  - .agpr_count:     0
    .args:
      - .address_space:  global
        .offset:         0
        .size:           8
        .value_kind:     global_buffer
      - .address_space:  global
        .offset:         8
        .size:           8
        .value_kind:     global_buffer
      - .offset:         16
        .size:           4
        .value_kind:     by_value
      - .offset:         20
        .size:           4
        .value_kind:     by_value
      - .offset:         24
        .size:           4
        .value_kind:     by_value
      - .address_space:  global
        .offset:         32
        .size:           8
        .value_kind:     global_buffer
      - .offset:         40
        .size:           4
        .value_kind:     by_value
      - .offset:         44
        .size:           1
        .value_kind:     by_value
      - .offset:         48
        .size:           4
        .value_kind:     hidden_block_count_x
      - .offset:         52
        .size:           4
        .value_kind:     hidden_block_count_y
      - .offset:         56
        .size:           4
        .value_kind:     hidden_block_count_z
      - .offset:         60
        .size:           2
        .value_kind:     hidden_group_size_x
      - .offset:         62
        .size:           2
        .value_kind:     hidden_group_size_y
      - .offset:         64
        .size:           2
        .value_kind:     hidden_group_size_z
      - .offset:         66
        .size:           2
        .value_kind:     hidden_remainder_x
      - .offset:         68
        .size:           2
        .value_kind:     hidden_remainder_y
      - .offset:         70
        .size:           2
        .value_kind:     hidden_remainder_z
      - .offset:         88
        .size:           8
        .value_kind:     hidden_global_offset_x
      - .offset:         96
        .size:           8
        .value_kind:     hidden_global_offset_y
      - .offset:         104
        .size:           8
        .value_kind:     hidden_global_offset_z
      - .offset:         112
        .size:           2
        .value_kind:     hidden_grid_dims
    .group_segment_fixed_size: 0
    .kernarg_segment_align: 8
    .kernarg_segment_size: 304
    .language:       OpenCL C
    .language_version:
      - 2
      - 0
    .max_flat_workgroup_size: 1024
    .name:           _ZN12_GLOBAL__N_120softmax_warp_forwardIN3c108BFloat16EffLi7ELb0ELb0ELi64EEEvPT0_PKT_iiiPKbib
    .private_segment_fixed_size: 0
    .sgpr_count:     20
    .sgpr_spill_count: 0
    .symbol:         _ZN12_GLOBAL__N_120softmax_warp_forwardIN3c108BFloat16EffLi7ELb0ELb0ELi64EEEvPT0_PKT_iiiPKbib.kd
    .uniform_work_group_size: 1
    .uses_dynamic_stack: false
    .vgpr_count:     18
    .vgpr_spill_count: 0
    .wavefront_size: 64
  - .agpr_count:     0
    .args:
      - .address_space:  global
        .offset:         0
        .size:           8
        .value_kind:     global_buffer
      - .address_space:  global
        .offset:         8
        .size:           8
        .value_kind:     global_buffer
      - .offset:         16
        .size:           4
        .value_kind:     by_value
      - .offset:         20
        .size:           4
        .value_kind:     by_value
      - .offset:         24
        .size:           4
        .value_kind:     by_value
      - .address_space:  global
        .offset:         32
        .size:           8
        .value_kind:     global_buffer
      - .offset:         40
        .size:           4
        .value_kind:     by_value
      - .offset:         44
        .size:           1
        .value_kind:     by_value
      - .offset:         48
        .size:           4
        .value_kind:     hidden_block_count_x
      - .offset:         52
        .size:           4
        .value_kind:     hidden_block_count_y
      - .offset:         56
        .size:           4
        .value_kind:     hidden_block_count_z
      - .offset:         60
        .size:           2
        .value_kind:     hidden_group_size_x
      - .offset:         62
        .size:           2
        .value_kind:     hidden_group_size_y
      - .offset:         64
        .size:           2
        .value_kind:     hidden_group_size_z
      - .offset:         66
        .size:           2
        .value_kind:     hidden_remainder_x
      - .offset:         68
        .size:           2
        .value_kind:     hidden_remainder_y
      - .offset:         70
        .size:           2
        .value_kind:     hidden_remainder_z
      - .offset:         88
        .size:           8
        .value_kind:     hidden_global_offset_x
      - .offset:         96
        .size:           8
        .value_kind:     hidden_global_offset_y
      - .offset:         104
        .size:           8
        .value_kind:     hidden_global_offset_z
      - .offset:         112
        .size:           2
        .value_kind:     hidden_grid_dims
    .group_segment_fixed_size: 0
    .kernarg_segment_align: 8
    .kernarg_segment_size: 304
    .language:       OpenCL C
    .language_version:
      - 2
      - 0
    .max_flat_workgroup_size: 1024
    .name:           _ZN12_GLOBAL__N_120softmax_warp_forwardIN3c108BFloat16EffLi7ELb0ELb0ELi32EEEvPT0_PKT_iiiPKbib
    .private_segment_fixed_size: 0
    .sgpr_count:     24
    .sgpr_spill_count: 0
    .symbol:         _ZN12_GLOBAL__N_120softmax_warp_forwardIN3c108BFloat16EffLi7ELb0ELb0ELi32EEEvPT0_PKT_iiiPKbib.kd
    .uniform_work_group_size: 1
    .uses_dynamic_stack: false
    .vgpr_count:     24
    .vgpr_spill_count: 0
    .wavefront_size: 64
  - .agpr_count:     0
    .args:
      - .address_space:  global
        .offset:         0
        .size:           8
        .value_kind:     global_buffer
      - .address_space:  global
        .offset:         8
        .size:           8
        .value_kind:     global_buffer
      - .offset:         16
        .size:           4
        .value_kind:     by_value
      - .offset:         20
        .size:           4
        .value_kind:     by_value
      - .offset:         24
        .size:           4
        .value_kind:     by_value
      - .address_space:  global
        .offset:         32
        .size:           8
        .value_kind:     global_buffer
      - .offset:         40
        .size:           4
        .value_kind:     by_value
      - .offset:         44
        .size:           1
        .value_kind:     by_value
      - .offset:         48
        .size:           4
        .value_kind:     hidden_block_count_x
      - .offset:         52
        .size:           4
        .value_kind:     hidden_block_count_y
      - .offset:         56
        .size:           4
        .value_kind:     hidden_block_count_z
      - .offset:         60
        .size:           2
        .value_kind:     hidden_group_size_x
      - .offset:         62
        .size:           2
        .value_kind:     hidden_group_size_y
      - .offset:         64
        .size:           2
        .value_kind:     hidden_group_size_z
      - .offset:         66
        .size:           2
        .value_kind:     hidden_remainder_x
      - .offset:         68
        .size:           2
        .value_kind:     hidden_remainder_y
      - .offset:         70
        .size:           2
        .value_kind:     hidden_remainder_z
      - .offset:         88
        .size:           8
        .value_kind:     hidden_global_offset_x
      - .offset:         96
        .size:           8
        .value_kind:     hidden_global_offset_y
      - .offset:         104
        .size:           8
        .value_kind:     hidden_global_offset_z
      - .offset:         112
        .size:           2
        .value_kind:     hidden_grid_dims
    .group_segment_fixed_size: 0
    .kernarg_segment_align: 8
    .kernarg_segment_size: 304
    .language:       OpenCL C
    .language_version:
      - 2
      - 0
    .max_flat_workgroup_size: 1024
    .name:           _ZN12_GLOBAL__N_120softmax_warp_forwardIN3c108BFloat16EffLi8ELb0ELb0ELi64EEEvPT0_PKT_iiiPKbib
    .private_segment_fixed_size: 0
    .sgpr_count:     20
    .sgpr_spill_count: 0
    .symbol:         _ZN12_GLOBAL__N_120softmax_warp_forwardIN3c108BFloat16EffLi8ELb0ELb0ELi64EEEvPT0_PKT_iiiPKbib.kd
    .uniform_work_group_size: 1
    .uses_dynamic_stack: false
    .vgpr_count:     19
    .vgpr_spill_count: 0
    .wavefront_size: 64
  - .agpr_count:     0
    .args:
      - .address_space:  global
        .offset:         0
        .size:           8
        .value_kind:     global_buffer
      - .address_space:  global
        .offset:         8
        .size:           8
        .value_kind:     global_buffer
      - .offset:         16
        .size:           4
        .value_kind:     by_value
      - .offset:         20
        .size:           4
        .value_kind:     by_value
      - .offset:         24
        .size:           4
        .value_kind:     by_value
      - .address_space:  global
        .offset:         32
        .size:           8
        .value_kind:     global_buffer
      - .offset:         40
        .size:           4
        .value_kind:     by_value
      - .offset:         44
        .size:           1
        .value_kind:     by_value
      - .offset:         48
        .size:           4
        .value_kind:     hidden_block_count_x
      - .offset:         52
        .size:           4
        .value_kind:     hidden_block_count_y
      - .offset:         56
        .size:           4
        .value_kind:     hidden_block_count_z
      - .offset:         60
        .size:           2
        .value_kind:     hidden_group_size_x
      - .offset:         62
        .size:           2
        .value_kind:     hidden_group_size_y
      - .offset:         64
        .size:           2
        .value_kind:     hidden_group_size_z
      - .offset:         66
        .size:           2
        .value_kind:     hidden_remainder_x
      - .offset:         68
        .size:           2
        .value_kind:     hidden_remainder_y
      - .offset:         70
        .size:           2
        .value_kind:     hidden_remainder_z
      - .offset:         88
        .size:           8
        .value_kind:     hidden_global_offset_x
      - .offset:         96
        .size:           8
        .value_kind:     hidden_global_offset_y
      - .offset:         104
        .size:           8
        .value_kind:     hidden_global_offset_z
      - .offset:         112
        .size:           2
        .value_kind:     hidden_grid_dims
    .group_segment_fixed_size: 0
    .kernarg_segment_align: 8
    .kernarg_segment_size: 304
    .language:       OpenCL C
    .language_version:
      - 2
      - 0
    .max_flat_workgroup_size: 1024
    .name:           _ZN12_GLOBAL__N_120softmax_warp_forwardIN3c108BFloat16EffLi8ELb0ELb0ELi32EEEvPT0_PKT_iiiPKbib
    .private_segment_fixed_size: 0
    .sgpr_count:     28
    .sgpr_spill_count: 0
    .symbol:         _ZN12_GLOBAL__N_120softmax_warp_forwardIN3c108BFloat16EffLi8ELb0ELb0ELi32EEEvPT0_PKT_iiiPKbib.kd
    .uniform_work_group_size: 1
    .uses_dynamic_stack: false
    .vgpr_count:     23
    .vgpr_spill_count: 0
    .wavefront_size: 64
  - .agpr_count:     0
    .args:
      - .address_space:  global
        .offset:         0
        .size:           8
        .value_kind:     global_buffer
      - .address_space:  global
        .offset:         8
        .size:           8
        .value_kind:     global_buffer
      - .offset:         16
        .size:           4
        .value_kind:     by_value
      - .offset:         20
        .size:           4
        .value_kind:     by_value
      - .offset:         24
        .size:           4
        .value_kind:     by_value
      - .address_space:  global
        .offset:         32
        .size:           8
        .value_kind:     global_buffer
      - .offset:         40
        .size:           4
        .value_kind:     by_value
      - .offset:         44
        .size:           1
        .value_kind:     by_value
      - .offset:         48
        .size:           4
        .value_kind:     hidden_block_count_x
      - .offset:         52
        .size:           4
        .value_kind:     hidden_block_count_y
      - .offset:         56
        .size:           4
        .value_kind:     hidden_block_count_z
      - .offset:         60
        .size:           2
        .value_kind:     hidden_group_size_x
      - .offset:         62
        .size:           2
        .value_kind:     hidden_group_size_y
      - .offset:         64
        .size:           2
        .value_kind:     hidden_group_size_z
      - .offset:         66
        .size:           2
        .value_kind:     hidden_remainder_x
      - .offset:         68
        .size:           2
        .value_kind:     hidden_remainder_y
      - .offset:         70
        .size:           2
        .value_kind:     hidden_remainder_z
      - .offset:         88
        .size:           8
        .value_kind:     hidden_global_offset_x
      - .offset:         96
        .size:           8
        .value_kind:     hidden_global_offset_y
      - .offset:         104
        .size:           8
        .value_kind:     hidden_global_offset_z
      - .offset:         112
        .size:           2
        .value_kind:     hidden_grid_dims
    .group_segment_fixed_size: 0
    .kernarg_segment_align: 8
    .kernarg_segment_size: 304
    .language:       OpenCL C
    .language_version:
      - 2
      - 0
    .max_flat_workgroup_size: 1024
    .name:           _ZN12_GLOBAL__N_120softmax_warp_forwardIN3c108BFloat16EffLi9ELb0ELb0ELi64EEEvPT0_PKT_iiiPKbib
    .private_segment_fixed_size: 0
    .sgpr_count:     28
    .sgpr_spill_count: 0
    .symbol:         _ZN12_GLOBAL__N_120softmax_warp_forwardIN3c108BFloat16EffLi9ELb0ELb0ELi64EEEvPT0_PKT_iiiPKbib.kd
    .uniform_work_group_size: 1
    .uses_dynamic_stack: false
    .vgpr_count:     24
    .vgpr_spill_count: 0
    .wavefront_size: 64
  - .agpr_count:     0
    .args:
      - .address_space:  global
        .offset:         0
        .size:           8
        .value_kind:     global_buffer
      - .address_space:  global
        .offset:         8
        .size:           8
        .value_kind:     global_buffer
      - .offset:         16
        .size:           4
        .value_kind:     by_value
      - .offset:         20
        .size:           4
        .value_kind:     by_value
      - .offset:         24
        .size:           4
        .value_kind:     by_value
      - .address_space:  global
        .offset:         32
        .size:           8
        .value_kind:     global_buffer
      - .offset:         40
        .size:           4
        .value_kind:     by_value
      - .offset:         44
        .size:           1
        .value_kind:     by_value
      - .offset:         48
        .size:           4
        .value_kind:     hidden_block_count_x
      - .offset:         52
        .size:           4
        .value_kind:     hidden_block_count_y
      - .offset:         56
        .size:           4
        .value_kind:     hidden_block_count_z
      - .offset:         60
        .size:           2
        .value_kind:     hidden_group_size_x
      - .offset:         62
        .size:           2
        .value_kind:     hidden_group_size_y
      - .offset:         64
        .size:           2
        .value_kind:     hidden_group_size_z
      - .offset:         66
        .size:           2
        .value_kind:     hidden_remainder_x
      - .offset:         68
        .size:           2
        .value_kind:     hidden_remainder_y
      - .offset:         70
        .size:           2
        .value_kind:     hidden_remainder_z
      - .offset:         88
        .size:           8
        .value_kind:     hidden_global_offset_x
      - .offset:         96
        .size:           8
        .value_kind:     hidden_global_offset_y
      - .offset:         104
        .size:           8
        .value_kind:     hidden_global_offset_z
      - .offset:         112
        .size:           2
        .value_kind:     hidden_grid_dims
    .group_segment_fixed_size: 0
    .kernarg_segment_align: 8
    .kernarg_segment_size: 304
    .language:       OpenCL C
    .language_version:
      - 2
      - 0
    .max_flat_workgroup_size: 1024
    .name:           _ZN12_GLOBAL__N_120softmax_warp_forwardIN3c108BFloat16EffLi9ELb0ELb0ELi32EEEvPT0_PKT_iiiPKbib
    .private_segment_fixed_size: 0
    .sgpr_count:     48
    .sgpr_spill_count: 0
    .symbol:         _ZN12_GLOBAL__N_120softmax_warp_forwardIN3c108BFloat16EffLi9ELb0ELb0ELi32EEEvPT0_PKT_iiiPKbib.kd
    .uniform_work_group_size: 1
    .uses_dynamic_stack: false
    .vgpr_count:     31
    .vgpr_spill_count: 0
    .wavefront_size: 64
  - .agpr_count:     0
    .args:
      - .address_space:  global
        .offset:         0
        .size:           8
        .value_kind:     global_buffer
      - .address_space:  global
        .offset:         8
        .size:           8
        .value_kind:     global_buffer
      - .offset:         16
        .size:           4
        .value_kind:     by_value
      - .offset:         20
        .size:           4
        .value_kind:     by_value
      - .offset:         24
        .size:           4
        .value_kind:     by_value
      - .address_space:  global
        .offset:         32
        .size:           8
        .value_kind:     global_buffer
      - .offset:         40
        .size:           4
        .value_kind:     by_value
      - .offset:         44
        .size:           1
        .value_kind:     by_value
      - .offset:         48
        .size:           4
        .value_kind:     hidden_block_count_x
      - .offset:         52
        .size:           4
        .value_kind:     hidden_block_count_y
      - .offset:         56
        .size:           4
        .value_kind:     hidden_block_count_z
      - .offset:         60
        .size:           2
        .value_kind:     hidden_group_size_x
      - .offset:         62
        .size:           2
        .value_kind:     hidden_group_size_y
      - .offset:         64
        .size:           2
        .value_kind:     hidden_group_size_z
      - .offset:         66
        .size:           2
        .value_kind:     hidden_remainder_x
      - .offset:         68
        .size:           2
        .value_kind:     hidden_remainder_y
      - .offset:         70
        .size:           2
        .value_kind:     hidden_remainder_z
      - .offset:         88
        .size:           8
        .value_kind:     hidden_global_offset_x
      - .offset:         96
        .size:           8
        .value_kind:     hidden_global_offset_y
      - .offset:         104
        .size:           8
        .value_kind:     hidden_global_offset_z
      - .offset:         112
        .size:           2
        .value_kind:     hidden_grid_dims
    .group_segment_fixed_size: 0
    .kernarg_segment_align: 8
    .kernarg_segment_size: 304
    .language:       OpenCL C
    .language_version:
      - 2
      - 0
    .max_flat_workgroup_size: 1024
    .name:           _ZN12_GLOBAL__N_120softmax_warp_forwardIN3c108BFloat16EffLi10ELb0ELb0ELi64EEEvPT0_PKT_iiiPKbib
    .private_segment_fixed_size: 0
    .sgpr_count:     48
    .sgpr_spill_count: 0
    .symbol:         _ZN12_GLOBAL__N_120softmax_warp_forwardIN3c108BFloat16EffLi10ELb0ELb0ELi64EEEvPT0_PKT_iiiPKbib.kd
    .uniform_work_group_size: 1
    .uses_dynamic_stack: false
    .vgpr_count:     32
    .vgpr_spill_count: 0
    .wavefront_size: 64
  - .agpr_count:     0
    .args:
      - .address_space:  global
        .offset:         0
        .size:           8
        .value_kind:     global_buffer
      - .address_space:  global
        .offset:         8
        .size:           8
        .value_kind:     global_buffer
      - .offset:         16
        .size:           4
        .value_kind:     by_value
      - .offset:         20
        .size:           4
        .value_kind:     by_value
      - .offset:         24
        .size:           4
        .value_kind:     by_value
      - .address_space:  global
        .offset:         32
        .size:           8
        .value_kind:     global_buffer
      - .offset:         40
        .size:           4
        .value_kind:     by_value
      - .offset:         44
        .size:           1
        .value_kind:     by_value
      - .offset:         48
        .size:           4
        .value_kind:     hidden_block_count_x
      - .offset:         52
        .size:           4
        .value_kind:     hidden_block_count_y
      - .offset:         56
        .size:           4
        .value_kind:     hidden_block_count_z
      - .offset:         60
        .size:           2
        .value_kind:     hidden_group_size_x
      - .offset:         62
        .size:           2
        .value_kind:     hidden_group_size_y
      - .offset:         64
        .size:           2
        .value_kind:     hidden_group_size_z
      - .offset:         66
        .size:           2
        .value_kind:     hidden_remainder_x
      - .offset:         68
        .size:           2
        .value_kind:     hidden_remainder_y
      - .offset:         70
        .size:           2
        .value_kind:     hidden_remainder_z
      - .offset:         88
        .size:           8
        .value_kind:     hidden_global_offset_x
      - .offset:         96
        .size:           8
        .value_kind:     hidden_global_offset_y
      - .offset:         104
        .size:           8
        .value_kind:     hidden_global_offset_z
      - .offset:         112
        .size:           2
        .value_kind:     hidden_grid_dims
    .group_segment_fixed_size: 0
    .kernarg_segment_align: 8
    .kernarg_segment_size: 304
    .language:       OpenCL C
    .language_version:
      - 2
      - 0
    .max_flat_workgroup_size: 1024
    .name:           _ZN12_GLOBAL__N_120softmax_warp_forwardIN3c108BFloat16EffLi10ELb0ELb0ELi32EEEvPT0_PKT_iiiPKbib
    .private_segment_fixed_size: 0
    .sgpr_count:     80
    .sgpr_spill_count: 0
    .symbol:         _ZN12_GLOBAL__N_120softmax_warp_forwardIN3c108BFloat16EffLi10ELb0ELb0ELi32EEEvPT0_PKT_iiiPKbib.kd
    .uniform_work_group_size: 1
    .uses_dynamic_stack: false
    .vgpr_count:     47
    .vgpr_spill_count: 0
    .wavefront_size: 64
  - .agpr_count:     0
    .args:
      - .address_space:  global
        .offset:         0
        .size:           8
        .value_kind:     global_buffer
      - .address_space:  global
        .offset:         8
        .size:           8
        .value_kind:     global_buffer
      - .offset:         16
        .size:           4
        .value_kind:     by_value
      - .offset:         20
        .size:           4
        .value_kind:     by_value
      - .offset:         24
        .size:           4
        .value_kind:     by_value
      - .address_space:  global
        .offset:         32
        .size:           8
        .value_kind:     global_buffer
      - .offset:         40
        .size:           4
        .value_kind:     by_value
      - .offset:         44
        .size:           1
        .value_kind:     by_value
      - .offset:         48
        .size:           4
        .value_kind:     hidden_block_count_x
      - .offset:         52
        .size:           4
        .value_kind:     hidden_block_count_y
      - .offset:         56
        .size:           4
        .value_kind:     hidden_block_count_z
      - .offset:         60
        .size:           2
        .value_kind:     hidden_group_size_x
      - .offset:         62
        .size:           2
        .value_kind:     hidden_group_size_y
      - .offset:         64
        .size:           2
        .value_kind:     hidden_group_size_z
      - .offset:         66
        .size:           2
        .value_kind:     hidden_remainder_x
      - .offset:         68
        .size:           2
        .value_kind:     hidden_remainder_y
      - .offset:         70
        .size:           2
        .value_kind:     hidden_remainder_z
      - .offset:         88
        .size:           8
        .value_kind:     hidden_global_offset_x
      - .offset:         96
        .size:           8
        .value_kind:     hidden_global_offset_y
      - .offset:         104
        .size:           8
        .value_kind:     hidden_global_offset_z
      - .offset:         112
        .size:           2
        .value_kind:     hidden_grid_dims
    .group_segment_fixed_size: 0
    .kernarg_segment_align: 8
    .kernarg_segment_size: 304
    .language:       OpenCL C
    .language_version:
      - 2
      - 0
    .max_flat_workgroup_size: 1024
    .name:           _ZN12_GLOBAL__N_120softmax_warp_forwardIN3c108BFloat16EffLi11ELb0ELb0ELi64EEEvPT0_PKT_iiiPKbib
    .private_segment_fixed_size: 0
    .sgpr_count:     80
    .sgpr_spill_count: 0
    .symbol:         _ZN12_GLOBAL__N_120softmax_warp_forwardIN3c108BFloat16EffLi11ELb0ELb0ELi64EEEvPT0_PKT_iiiPKbib.kd
    .uniform_work_group_size: 1
    .uses_dynamic_stack: false
    .vgpr_count:     48
    .vgpr_spill_count: 0
    .wavefront_size: 64
  - .agpr_count:     0
    .args:
      - .address_space:  global
        .offset:         0
        .size:           8
        .value_kind:     global_buffer
      - .address_space:  global
        .offset:         8
        .size:           8
        .value_kind:     global_buffer
      - .offset:         16
        .size:           4
        .value_kind:     by_value
      - .offset:         20
        .size:           4
        .value_kind:     by_value
      - .offset:         24
        .size:           4
        .value_kind:     by_value
      - .address_space:  global
        .offset:         32
        .size:           8
        .value_kind:     global_buffer
      - .offset:         40
        .size:           4
        .value_kind:     by_value
      - .offset:         44
        .size:           1
        .value_kind:     by_value
      - .offset:         48
        .size:           4
        .value_kind:     hidden_block_count_x
      - .offset:         52
        .size:           4
        .value_kind:     hidden_block_count_y
      - .offset:         56
        .size:           4
        .value_kind:     hidden_block_count_z
      - .offset:         60
        .size:           2
        .value_kind:     hidden_group_size_x
      - .offset:         62
        .size:           2
        .value_kind:     hidden_group_size_y
      - .offset:         64
        .size:           2
        .value_kind:     hidden_group_size_z
      - .offset:         66
        .size:           2
        .value_kind:     hidden_remainder_x
      - .offset:         68
        .size:           2
        .value_kind:     hidden_remainder_y
      - .offset:         70
        .size:           2
        .value_kind:     hidden_remainder_z
      - .offset:         88
        .size:           8
        .value_kind:     hidden_global_offset_x
      - .offset:         96
        .size:           8
        .value_kind:     hidden_global_offset_y
      - .offset:         104
        .size:           8
        .value_kind:     hidden_global_offset_z
      - .offset:         112
        .size:           2
        .value_kind:     hidden_grid_dims
    .group_segment_fixed_size: 0
    .kernarg_segment_align: 8
    .kernarg_segment_size: 304
    .language:       OpenCL C
    .language_version:
      - 2
      - 0
    .max_flat_workgroup_size: 1024
    .name:           _ZN12_GLOBAL__N_120softmax_warp_forwardIN3c108BFloat16EffLi11ELb0ELb0ELi32EEEvPT0_PKT_iiiPKbib
    .private_segment_fixed_size: 0
    .sgpr_count:     100
    .sgpr_spill_count: 40
    .symbol:         _ZN12_GLOBAL__N_120softmax_warp_forwardIN3c108BFloat16EffLi11ELb0ELb0ELi32EEEvPT0_PKT_iiiPKbib.kd
    .uniform_work_group_size: 1
    .uses_dynamic_stack: false
    .vgpr_count:     79
    .vgpr_spill_count: 0
    .wavefront_size: 64
  - .agpr_count:     0
    .args:
      - .address_space:  global
        .offset:         0
        .size:           8
        .value_kind:     global_buffer
      - .address_space:  global
        .offset:         8
        .size:           8
        .value_kind:     global_buffer
      - .offset:         16
        .size:           8
        .value_kind:     by_value
      - .offset:         24
        .size:           4
        .value_kind:     hidden_block_count_x
      - .offset:         28
        .size:           4
        .value_kind:     hidden_block_count_y
      - .offset:         32
        .size:           4
        .value_kind:     hidden_block_count_z
      - .offset:         36
        .size:           2
        .value_kind:     hidden_group_size_x
      - .offset:         38
        .size:           2
        .value_kind:     hidden_group_size_y
      - .offset:         40
        .size:           2
        .value_kind:     hidden_group_size_z
      - .offset:         42
        .size:           2
        .value_kind:     hidden_remainder_x
      - .offset:         44
        .size:           2
        .value_kind:     hidden_remainder_y
      - .offset:         46
        .size:           2
        .value_kind:     hidden_remainder_z
      - .offset:         64
        .size:           8
        .value_kind:     hidden_global_offset_x
      - .offset:         72
        .size:           8
        .value_kind:     hidden_global_offset_y
      - .offset:         80
        .size:           8
        .value_kind:     hidden_global_offset_z
      - .offset:         88
        .size:           2
        .value_kind:     hidden_grid_dims
      - .offset:         144
        .size:           4
        .value_kind:     hidden_dynamic_lds_size
    .group_segment_fixed_size: 0
    .kernarg_segment_align: 8
    .kernarg_segment_size: 280
    .language:       OpenCL C
    .language_version:
      - 2
      - 0
    .max_flat_workgroup_size: 1024
    .name:           _ZN2at6native12_GLOBAL__N_123cunn_SoftMaxForwardGmemILi8EN3c108BFloat16EffNS1_29SoftMaxForwardWithMulEpilogueElEEvPT2_PKT0_T4_
    .private_segment_fixed_size: 0
    .sgpr_count:     31
    .sgpr_spill_count: 0
    .symbol:         _ZN2at6native12_GLOBAL__N_123cunn_SoftMaxForwardGmemILi8EN3c108BFloat16EffNS1_29SoftMaxForwardWithMulEpilogueElEEvPT2_PKT0_T4_.kd
    .uniform_work_group_size: 1
    .uses_dynamic_stack: false
    .vgpr_count:     27
    .vgpr_spill_count: 0
    .wavefront_size: 64
  - .agpr_count:     0
    .args:
      - .address_space:  global
        .offset:         0
        .size:           8
        .value_kind:     global_buffer
      - .address_space:  global
        .offset:         8
        .size:           8
        .value_kind:     global_buffer
      - .offset:         16
        .size:           4
        .value_kind:     by_value
      - .offset:         24
        .size:           4
        .value_kind:     hidden_block_count_x
      - .offset:         28
        .size:           4
        .value_kind:     hidden_block_count_y
      - .offset:         32
        .size:           4
        .value_kind:     hidden_block_count_z
      - .offset:         36
        .size:           2
        .value_kind:     hidden_group_size_x
      - .offset:         38
        .size:           2
        .value_kind:     hidden_group_size_y
      - .offset:         40
        .size:           2
        .value_kind:     hidden_group_size_z
      - .offset:         42
        .size:           2
        .value_kind:     hidden_remainder_x
      - .offset:         44
        .size:           2
        .value_kind:     hidden_remainder_y
      - .offset:         46
        .size:           2
        .value_kind:     hidden_remainder_z
      - .offset:         64
        .size:           8
        .value_kind:     hidden_global_offset_x
      - .offset:         72
        .size:           8
        .value_kind:     hidden_global_offset_y
      - .offset:         80
        .size:           8
        .value_kind:     hidden_global_offset_z
      - .offset:         88
        .size:           2
        .value_kind:     hidden_grid_dims
      - .offset:         144
        .size:           4
        .value_kind:     hidden_dynamic_lds_size
    .group_segment_fixed_size: 0
    .kernarg_segment_align: 8
    .kernarg_segment_size: 280
    .language:       OpenCL C
    .language_version:
      - 2
      - 0
    .max_flat_workgroup_size: 1024
    .name:           _ZN2at6native12_GLOBAL__N_123cunn_SoftMaxForwardFastILi8EN3c108BFloat16EffNS1_29SoftMaxForwardWithMulEpilogueEEEvPT2_PKT0_i
    .private_segment_fixed_size: 0
    .sgpr_count:     32
    .sgpr_spill_count: 0
    .symbol:         _ZN2at6native12_GLOBAL__N_123cunn_SoftMaxForwardFastILi8EN3c108BFloat16EffNS1_29SoftMaxForwardWithMulEpilogueEEEvPT2_PKT0_i.kd
    .uniform_work_group_size: 1
    .uses_dynamic_stack: false
    .vgpr_count:     22
    .vgpr_spill_count: 0
    .wavefront_size: 64
  - .agpr_count:     0
    .args:
      - .address_space:  global
        .offset:         0
        .size:           8
        .value_kind:     global_buffer
      - .address_space:  global
        .offset:         8
        .size:           8
        .value_kind:     global_buffer
      - .offset:         16
        .size:           4
        .value_kind:     by_value
      - .offset:         20
        .size:           4
        .value_kind:     by_value
      - .offset:         24
        .size:           4
        .value_kind:     by_value
      - .offset:         32
        .size:           4
        .value_kind:     hidden_block_count_x
      - .offset:         36
        .size:           4
        .value_kind:     hidden_block_count_y
      - .offset:         40
        .size:           4
        .value_kind:     hidden_block_count_z
      - .offset:         44
        .size:           2
        .value_kind:     hidden_group_size_x
      - .offset:         46
        .size:           2
        .value_kind:     hidden_group_size_y
      - .offset:         48
        .size:           2
        .value_kind:     hidden_group_size_z
      - .offset:         50
        .size:           2
        .value_kind:     hidden_remainder_x
      - .offset:         52
        .size:           2
        .value_kind:     hidden_remainder_y
      - .offset:         54
        .size:           2
        .value_kind:     hidden_remainder_z
      - .offset:         72
        .size:           8
        .value_kind:     hidden_global_offset_x
      - .offset:         80
        .size:           8
        .value_kind:     hidden_global_offset_y
      - .offset:         88
        .size:           8
        .value_kind:     hidden_global_offset_z
      - .offset:         96
        .size:           2
        .value_kind:     hidden_grid_dims
      - .offset:         152
        .size:           4
        .value_kind:     hidden_dynamic_lds_size
    .group_segment_fixed_size: 0
    .kernarg_segment_align: 8
    .kernarg_segment_size: 288
    .language:       OpenCL C
    .language_version:
      - 2
      - 0
    .max_flat_workgroup_size: 1024
    .name:           _ZN2at6native12_GLOBAL__N_126cunn_SpatialSoftMaxForwardIdddiNS1_22SoftMaxForwardEpilogueEEEvPT1_PKT_T2_S9_S9_
    .private_segment_fixed_size: 0
    .sgpr_count:     52
    .sgpr_spill_count: 0
    .symbol:         _ZN2at6native12_GLOBAL__N_126cunn_SpatialSoftMaxForwardIdddiNS1_22SoftMaxForwardEpilogueEEEvPT1_PKT_T2_S9_S9_.kd
    .uniform_work_group_size: 1
    .uses_dynamic_stack: false
    .vgpr_count:     60
    .vgpr_spill_count: 0
    .wavefront_size: 64
  - .agpr_count:     0
    .args:
      - .address_space:  global
        .offset:         0
        .size:           8
        .value_kind:     global_buffer
      - .address_space:  global
        .offset:         8
        .size:           8
        .value_kind:     global_buffer
      - .offset:         16
        .size:           8
        .value_kind:     by_value
      - .offset:         24
        .size:           8
        .value_kind:     by_value
      - .offset:         32
        .size:           8
        .value_kind:     by_value
      - .offset:         40
        .size:           4
        .value_kind:     hidden_block_count_x
      - .offset:         44
        .size:           4
        .value_kind:     hidden_block_count_y
      - .offset:         48
        .size:           4
        .value_kind:     hidden_block_count_z
      - .offset:         52
        .size:           2
        .value_kind:     hidden_group_size_x
      - .offset:         54
        .size:           2
        .value_kind:     hidden_group_size_y
      - .offset:         56
        .size:           2
        .value_kind:     hidden_group_size_z
      - .offset:         58
        .size:           2
        .value_kind:     hidden_remainder_x
      - .offset:         60
        .size:           2
        .value_kind:     hidden_remainder_y
      - .offset:         62
        .size:           2
        .value_kind:     hidden_remainder_z
      - .offset:         80
        .size:           8
        .value_kind:     hidden_global_offset_x
      - .offset:         88
        .size:           8
        .value_kind:     hidden_global_offset_y
      - .offset:         96
        .size:           8
        .value_kind:     hidden_global_offset_z
      - .offset:         104
        .size:           2
        .value_kind:     hidden_grid_dims
      - .offset:         160
        .size:           4
        .value_kind:     hidden_dynamic_lds_size
    .group_segment_fixed_size: 0
    .kernarg_segment_align: 8
    .kernarg_segment_size: 296
    .language:       OpenCL C
    .language_version:
      - 2
      - 0
    .max_flat_workgroup_size: 1024
    .name:           _ZN2at6native12_GLOBAL__N_126cunn_SpatialSoftMaxForwardIdddlNS1_22SoftMaxForwardEpilogueEEEvPT1_PKT_T2_S9_S9_
    .private_segment_fixed_size: 0
    .sgpr_count:     60
    .sgpr_spill_count: 0
    .symbol:         _ZN2at6native12_GLOBAL__N_126cunn_SpatialSoftMaxForwardIdddlNS1_22SoftMaxForwardEpilogueEEEvPT1_PKT_T2_S9_S9_.kd
    .uniform_work_group_size: 1
    .uses_dynamic_stack: false
    .vgpr_count:     60
    .vgpr_spill_count: 0
    .wavefront_size: 64
  - .agpr_count:     0
    .args:
      - .address_space:  global
        .offset:         0
        .size:           8
        .value_kind:     global_buffer
      - .address_space:  global
        .offset:         8
        .size:           8
        .value_kind:     global_buffer
      - .offset:         16
        .size:           4
        .value_kind:     by_value
      - .offset:         20
        .size:           4
        .value_kind:     by_value
      - .offset:         24
        .size:           4
        .value_kind:     by_value
      - .offset:         32
        .size:           4
        .value_kind:     hidden_block_count_x
      - .offset:         36
        .size:           4
        .value_kind:     hidden_block_count_y
      - .offset:         40
        .size:           4
        .value_kind:     hidden_block_count_z
      - .offset:         44
        .size:           2
        .value_kind:     hidden_group_size_x
      - .offset:         46
        .size:           2
        .value_kind:     hidden_group_size_y
      - .offset:         48
        .size:           2
        .value_kind:     hidden_group_size_z
      - .offset:         50
        .size:           2
        .value_kind:     hidden_remainder_x
      - .offset:         52
        .size:           2
        .value_kind:     hidden_remainder_y
      - .offset:         54
        .size:           2
        .value_kind:     hidden_remainder_z
      - .offset:         72
        .size:           8
        .value_kind:     hidden_global_offset_x
      - .offset:         80
        .size:           8
        .value_kind:     hidden_global_offset_y
      - .offset:         88
        .size:           8
        .value_kind:     hidden_global_offset_z
      - .offset:         96
        .size:           2
        .value_kind:     hidden_grid_dims
      - .offset:         152
        .size:           4
        .value_kind:     hidden_dynamic_lds_size
    .group_segment_fixed_size: 0
    .kernarg_segment_align: 8
    .kernarg_segment_size: 288
    .language:       OpenCL C
    .language_version:
      - 2
      - 0
    .max_flat_workgroup_size: 1024
    .name:           _ZN2at6native12_GLOBAL__N_126cunn_SpatialSoftMaxForwardIfffiNS1_22SoftMaxForwardEpilogueEEEvPT1_PKT_T2_S9_S9_
    .private_segment_fixed_size: 0
    .sgpr_count:     39
    .sgpr_spill_count: 0
    .symbol:         _ZN2at6native12_GLOBAL__N_126cunn_SpatialSoftMaxForwardIfffiNS1_22SoftMaxForwardEpilogueEEEvPT1_PKT_T2_S9_S9_.kd
    .uniform_work_group_size: 1
    .uses_dynamic_stack: false
    .vgpr_count:     21
    .vgpr_spill_count: 0
    .wavefront_size: 64
  - .agpr_count:     0
    .args:
      - .address_space:  global
        .offset:         0
        .size:           8
        .value_kind:     global_buffer
      - .address_space:  global
        .offset:         8
        .size:           8
        .value_kind:     global_buffer
      - .offset:         16
        .size:           8
        .value_kind:     by_value
      - .offset:         24
        .size:           8
        .value_kind:     by_value
      - .offset:         32
        .size:           8
        .value_kind:     by_value
      - .offset:         40
        .size:           4
        .value_kind:     hidden_block_count_x
      - .offset:         44
        .size:           4
        .value_kind:     hidden_block_count_y
      - .offset:         48
        .size:           4
        .value_kind:     hidden_block_count_z
      - .offset:         52
        .size:           2
        .value_kind:     hidden_group_size_x
      - .offset:         54
        .size:           2
        .value_kind:     hidden_group_size_y
      - .offset:         56
        .size:           2
        .value_kind:     hidden_group_size_z
      - .offset:         58
        .size:           2
        .value_kind:     hidden_remainder_x
      - .offset:         60
        .size:           2
        .value_kind:     hidden_remainder_y
      - .offset:         62
        .size:           2
        .value_kind:     hidden_remainder_z
      - .offset:         80
        .size:           8
        .value_kind:     hidden_global_offset_x
      - .offset:         88
        .size:           8
        .value_kind:     hidden_global_offset_y
      - .offset:         96
        .size:           8
        .value_kind:     hidden_global_offset_z
      - .offset:         104
        .size:           2
        .value_kind:     hidden_grid_dims
      - .offset:         160
        .size:           4
        .value_kind:     hidden_dynamic_lds_size
    .group_segment_fixed_size: 0
    .kernarg_segment_align: 8
    .kernarg_segment_size: 296
    .language:       OpenCL C
    .language_version:
      - 2
      - 0
    .max_flat_workgroup_size: 1024
    .name:           _ZN2at6native12_GLOBAL__N_126cunn_SpatialSoftMaxForwardIffflNS1_22SoftMaxForwardEpilogueEEEvPT1_PKT_T2_S9_S9_
    .private_segment_fixed_size: 0
    .sgpr_count:     49
    .sgpr_spill_count: 0
    .symbol:         _ZN2at6native12_GLOBAL__N_126cunn_SpatialSoftMaxForwardIffflNS1_22SoftMaxForwardEpilogueEEEvPT1_PKT_T2_S9_S9_.kd
    .uniform_work_group_size: 1
    .uses_dynamic_stack: false
    .vgpr_count:     36
    .vgpr_spill_count: 0
    .wavefront_size: 64
  - .agpr_count:     0
    .args:
      - .address_space:  global
        .offset:         0
        .size:           8
        .value_kind:     global_buffer
      - .address_space:  global
        .offset:         8
        .size:           8
        .value_kind:     global_buffer
      - .offset:         16
        .size:           4
        .value_kind:     by_value
      - .offset:         20
        .size:           4
        .value_kind:     by_value
      - .offset:         24
        .size:           4
        .value_kind:     by_value
      - .offset:         32
        .size:           4
        .value_kind:     hidden_block_count_x
      - .offset:         36
        .size:           4
        .value_kind:     hidden_block_count_y
      - .offset:         40
        .size:           4
        .value_kind:     hidden_block_count_z
      - .offset:         44
        .size:           2
        .value_kind:     hidden_group_size_x
      - .offset:         46
        .size:           2
        .value_kind:     hidden_group_size_y
      - .offset:         48
        .size:           2
        .value_kind:     hidden_group_size_z
      - .offset:         50
        .size:           2
        .value_kind:     hidden_remainder_x
      - .offset:         52
        .size:           2
        .value_kind:     hidden_remainder_y
      - .offset:         54
        .size:           2
        .value_kind:     hidden_remainder_z
      - .offset:         72
        .size:           8
        .value_kind:     hidden_global_offset_x
      - .offset:         80
        .size:           8
        .value_kind:     hidden_global_offset_y
      - .offset:         88
        .size:           8
        .value_kind:     hidden_global_offset_z
      - .offset:         96
        .size:           2
        .value_kind:     hidden_grid_dims
      - .offset:         152
        .size:           4
        .value_kind:     hidden_dynamic_lds_size
    .group_segment_fixed_size: 0
    .kernarg_segment_align: 8
    .kernarg_segment_size: 288
    .language:       OpenCL C
    .language_version:
      - 2
      - 0
    .max_flat_workgroup_size: 1024
    .name:           _ZN2at6native12_GLOBAL__N_126cunn_SpatialSoftMaxForwardIN3c104HalfEfS4_iNS1_22SoftMaxForwardEpilogueEEEvPT1_PKT_T2_SB_SB_
    .private_segment_fixed_size: 0
    .sgpr_count:     39
    .sgpr_spill_count: 0
    .symbol:         _ZN2at6native12_GLOBAL__N_126cunn_SpatialSoftMaxForwardIN3c104HalfEfS4_iNS1_22SoftMaxForwardEpilogueEEEvPT1_PKT_T2_SB_SB_.kd
    .uniform_work_group_size: 1
    .uses_dynamic_stack: false
    .vgpr_count:     22
    .vgpr_spill_count: 0
    .wavefront_size: 64
  - .agpr_count:     0
    .args:
      - .address_space:  global
        .offset:         0
        .size:           8
        .value_kind:     global_buffer
      - .address_space:  global
        .offset:         8
        .size:           8
        .value_kind:     global_buffer
      - .offset:         16
        .size:           4
        .value_kind:     by_value
      - .offset:         20
        .size:           4
        .value_kind:     by_value
      - .offset:         24
        .size:           4
        .value_kind:     by_value
      - .offset:         32
        .size:           4
        .value_kind:     hidden_block_count_x
      - .offset:         36
        .size:           4
        .value_kind:     hidden_block_count_y
      - .offset:         40
        .size:           4
        .value_kind:     hidden_block_count_z
      - .offset:         44
        .size:           2
        .value_kind:     hidden_group_size_x
      - .offset:         46
        .size:           2
        .value_kind:     hidden_group_size_y
      - .offset:         48
        .size:           2
        .value_kind:     hidden_group_size_z
      - .offset:         50
        .size:           2
        .value_kind:     hidden_remainder_x
      - .offset:         52
        .size:           2
        .value_kind:     hidden_remainder_y
      - .offset:         54
        .size:           2
        .value_kind:     hidden_remainder_z
      - .offset:         72
        .size:           8
        .value_kind:     hidden_global_offset_x
      - .offset:         80
        .size:           8
        .value_kind:     hidden_global_offset_y
      - .offset:         88
        .size:           8
        .value_kind:     hidden_global_offset_z
      - .offset:         96
        .size:           2
        .value_kind:     hidden_grid_dims
      - .offset:         152
        .size:           4
        .value_kind:     hidden_dynamic_lds_size
    .group_segment_fixed_size: 0
    .kernarg_segment_align: 8
    .kernarg_segment_size: 288
    .language:       OpenCL C
    .language_version:
      - 2
      - 0
    .max_flat_workgroup_size: 1024
    .name:           _ZN2at6native12_GLOBAL__N_126cunn_SpatialSoftMaxForwardIN3c104HalfEffiNS1_22SoftMaxForwardEpilogueEEEvPT1_PKT_T2_SB_SB_
    .private_segment_fixed_size: 0
    .sgpr_count:     39
    .sgpr_spill_count: 0
    .symbol:         _ZN2at6native12_GLOBAL__N_126cunn_SpatialSoftMaxForwardIN3c104HalfEffiNS1_22SoftMaxForwardEpilogueEEEvPT1_PKT_T2_SB_SB_.kd
    .uniform_work_group_size: 1
    .uses_dynamic_stack: false
    .vgpr_count:     21
    .vgpr_spill_count: 0
    .wavefront_size: 64
  - .agpr_count:     0
    .args:
      - .address_space:  global
        .offset:         0
        .size:           8
        .value_kind:     global_buffer
      - .address_space:  global
        .offset:         8
        .size:           8
        .value_kind:     global_buffer
      - .offset:         16
        .size:           8
        .value_kind:     by_value
      - .offset:         24
        .size:           8
        .value_kind:     by_value
      - .offset:         32
        .size:           8
        .value_kind:     by_value
      - .offset:         40
        .size:           4
        .value_kind:     hidden_block_count_x
      - .offset:         44
        .size:           4
        .value_kind:     hidden_block_count_y
      - .offset:         48
        .size:           4
        .value_kind:     hidden_block_count_z
      - .offset:         52
        .size:           2
        .value_kind:     hidden_group_size_x
      - .offset:         54
        .size:           2
        .value_kind:     hidden_group_size_y
      - .offset:         56
        .size:           2
        .value_kind:     hidden_group_size_z
      - .offset:         58
        .size:           2
        .value_kind:     hidden_remainder_x
      - .offset:         60
        .size:           2
        .value_kind:     hidden_remainder_y
      - .offset:         62
        .size:           2
        .value_kind:     hidden_remainder_z
      - .offset:         80
        .size:           8
        .value_kind:     hidden_global_offset_x
      - .offset:         88
        .size:           8
        .value_kind:     hidden_global_offset_y
      - .offset:         96
        .size:           8
        .value_kind:     hidden_global_offset_z
      - .offset:         104
        .size:           2
        .value_kind:     hidden_grid_dims
      - .offset:         160
        .size:           4
        .value_kind:     hidden_dynamic_lds_size
    .group_segment_fixed_size: 0
    .kernarg_segment_align: 8
    .kernarg_segment_size: 296
    .language:       OpenCL C
    .language_version:
      - 2
      - 0
    .max_flat_workgroup_size: 1024
    .name:           _ZN2at6native12_GLOBAL__N_126cunn_SpatialSoftMaxForwardIN3c104HalfEfS4_lNS1_22SoftMaxForwardEpilogueEEEvPT1_PKT_T2_SB_SB_
    .private_segment_fixed_size: 0
    .sgpr_count:     49
    .sgpr_spill_count: 0
    .symbol:         _ZN2at6native12_GLOBAL__N_126cunn_SpatialSoftMaxForwardIN3c104HalfEfS4_lNS1_22SoftMaxForwardEpilogueEEEvPT1_PKT_T2_SB_SB_.kd
    .uniform_work_group_size: 1
    .uses_dynamic_stack: false
    .vgpr_count:     36
    .vgpr_spill_count: 0
    .wavefront_size: 64
  - .agpr_count:     0
    .args:
      - .address_space:  global
        .offset:         0
        .size:           8
        .value_kind:     global_buffer
      - .address_space:  global
        .offset:         8
        .size:           8
        .value_kind:     global_buffer
      - .offset:         16
        .size:           8
        .value_kind:     by_value
      - .offset:         24
        .size:           8
        .value_kind:     by_value
      - .offset:         32
        .size:           8
        .value_kind:     by_value
      - .offset:         40
        .size:           4
        .value_kind:     hidden_block_count_x
      - .offset:         44
        .size:           4
        .value_kind:     hidden_block_count_y
      - .offset:         48
        .size:           4
        .value_kind:     hidden_block_count_z
      - .offset:         52
        .size:           2
        .value_kind:     hidden_group_size_x
      - .offset:         54
        .size:           2
        .value_kind:     hidden_group_size_y
      - .offset:         56
        .size:           2
        .value_kind:     hidden_group_size_z
      - .offset:         58
        .size:           2
        .value_kind:     hidden_remainder_x
      - .offset:         60
        .size:           2
        .value_kind:     hidden_remainder_y
      - .offset:         62
        .size:           2
        .value_kind:     hidden_remainder_z
      - .offset:         80
        .size:           8
        .value_kind:     hidden_global_offset_x
      - .offset:         88
        .size:           8
        .value_kind:     hidden_global_offset_y
      - .offset:         96
        .size:           8
        .value_kind:     hidden_global_offset_z
      - .offset:         104
        .size:           2
        .value_kind:     hidden_grid_dims
      - .offset:         160
        .size:           4
        .value_kind:     hidden_dynamic_lds_size
    .group_segment_fixed_size: 0
    .kernarg_segment_align: 8
    .kernarg_segment_size: 296
    .language:       OpenCL C
    .language_version:
      - 2
      - 0
    .max_flat_workgroup_size: 1024
    .name:           _ZN2at6native12_GLOBAL__N_126cunn_SpatialSoftMaxForwardIN3c104HalfEfflNS1_22SoftMaxForwardEpilogueEEEvPT1_PKT_T2_SB_SB_
    .private_segment_fixed_size: 0
    .sgpr_count:     78
    .sgpr_spill_count: 0
    .symbol:         _ZN2at6native12_GLOBAL__N_126cunn_SpatialSoftMaxForwardIN3c104HalfEfflNS1_22SoftMaxForwardEpilogueEEEvPT1_PKT_T2_SB_SB_.kd
    .uniform_work_group_size: 1
    .uses_dynamic_stack: false
    .vgpr_count:     64
    .vgpr_spill_count: 0
    .wavefront_size: 64
  - .agpr_count:     0
    .args:
      - .address_space:  global
        .offset:         0
        .size:           8
        .value_kind:     global_buffer
      - .address_space:  global
        .offset:         8
        .size:           8
        .value_kind:     global_buffer
      - .offset:         16
        .size:           4
        .value_kind:     by_value
      - .offset:         20
        .size:           4
        .value_kind:     by_value
      - .offset:         24
        .size:           4
        .value_kind:     by_value
      - .offset:         32
        .size:           4
        .value_kind:     hidden_block_count_x
      - .offset:         36
        .size:           4
        .value_kind:     hidden_block_count_y
      - .offset:         40
        .size:           4
        .value_kind:     hidden_block_count_z
      - .offset:         44
        .size:           2
        .value_kind:     hidden_group_size_x
      - .offset:         46
        .size:           2
        .value_kind:     hidden_group_size_y
      - .offset:         48
        .size:           2
        .value_kind:     hidden_group_size_z
      - .offset:         50
        .size:           2
        .value_kind:     hidden_remainder_x
      - .offset:         52
        .size:           2
        .value_kind:     hidden_remainder_y
      - .offset:         54
        .size:           2
        .value_kind:     hidden_remainder_z
      - .offset:         72
        .size:           8
        .value_kind:     hidden_global_offset_x
      - .offset:         80
        .size:           8
        .value_kind:     hidden_global_offset_y
      - .offset:         88
        .size:           8
        .value_kind:     hidden_global_offset_z
      - .offset:         96
        .size:           2
        .value_kind:     hidden_grid_dims
      - .offset:         152
        .size:           4
        .value_kind:     hidden_dynamic_lds_size
    .group_segment_fixed_size: 0
    .kernarg_segment_align: 8
    .kernarg_segment_size: 288
    .language:       OpenCL C
    .language_version:
      - 2
      - 0
    .max_flat_workgroup_size: 1024
    .name:           _ZN2at6native12_GLOBAL__N_126cunn_SpatialSoftMaxForwardIN3c108BFloat16EfS4_iNS1_22SoftMaxForwardEpilogueEEEvPT1_PKT_T2_SB_SB_
    .private_segment_fixed_size: 0
    .sgpr_count:     40
    .sgpr_spill_count: 0
    .symbol:         _ZN2at6native12_GLOBAL__N_126cunn_SpatialSoftMaxForwardIN3c108BFloat16EfS4_iNS1_22SoftMaxForwardEpilogueEEEvPT1_PKT_T2_SB_SB_.kd
    .uniform_work_group_size: 1
    .uses_dynamic_stack: false
    .vgpr_count:     22
    .vgpr_spill_count: 0
    .wavefront_size: 64
  - .agpr_count:     0
    .args:
      - .address_space:  global
        .offset:         0
        .size:           8
        .value_kind:     global_buffer
      - .address_space:  global
        .offset:         8
        .size:           8
        .value_kind:     global_buffer
      - .offset:         16
        .size:           4
        .value_kind:     by_value
      - .offset:         20
        .size:           4
        .value_kind:     by_value
      - .offset:         24
        .size:           4
        .value_kind:     by_value
      - .offset:         32
        .size:           4
        .value_kind:     hidden_block_count_x
      - .offset:         36
        .size:           4
        .value_kind:     hidden_block_count_y
      - .offset:         40
        .size:           4
        .value_kind:     hidden_block_count_z
      - .offset:         44
        .size:           2
        .value_kind:     hidden_group_size_x
      - .offset:         46
        .size:           2
        .value_kind:     hidden_group_size_y
      - .offset:         48
        .size:           2
        .value_kind:     hidden_group_size_z
      - .offset:         50
        .size:           2
        .value_kind:     hidden_remainder_x
      - .offset:         52
        .size:           2
        .value_kind:     hidden_remainder_y
      - .offset:         54
        .size:           2
        .value_kind:     hidden_remainder_z
      - .offset:         72
        .size:           8
        .value_kind:     hidden_global_offset_x
      - .offset:         80
        .size:           8
        .value_kind:     hidden_global_offset_y
      - .offset:         88
        .size:           8
        .value_kind:     hidden_global_offset_z
      - .offset:         96
        .size:           2
        .value_kind:     hidden_grid_dims
      - .offset:         152
        .size:           4
        .value_kind:     hidden_dynamic_lds_size
    .group_segment_fixed_size: 0
    .kernarg_segment_align: 8
    .kernarg_segment_size: 288
    .language:       OpenCL C
    .language_version:
      - 2
      - 0
    .max_flat_workgroup_size: 1024
    .name:           _ZN2at6native12_GLOBAL__N_126cunn_SpatialSoftMaxForwardIN3c108BFloat16EffiNS1_22SoftMaxForwardEpilogueEEEvPT1_PKT_T2_SB_SB_
    .private_segment_fixed_size: 0
    .sgpr_count:     39
    .sgpr_spill_count: 0
    .symbol:         _ZN2at6native12_GLOBAL__N_126cunn_SpatialSoftMaxForwardIN3c108BFloat16EffiNS1_22SoftMaxForwardEpilogueEEEvPT1_PKT_T2_SB_SB_.kd
    .uniform_work_group_size: 1
    .uses_dynamic_stack: false
    .vgpr_count:     21
    .vgpr_spill_count: 0
    .wavefront_size: 64
  - .agpr_count:     0
    .args:
      - .address_space:  global
        .offset:         0
        .size:           8
        .value_kind:     global_buffer
      - .address_space:  global
        .offset:         8
        .size:           8
        .value_kind:     global_buffer
      - .offset:         16
        .size:           8
        .value_kind:     by_value
      - .offset:         24
        .size:           8
        .value_kind:     by_value
      - .offset:         32
        .size:           8
        .value_kind:     by_value
      - .offset:         40
        .size:           4
        .value_kind:     hidden_block_count_x
      - .offset:         44
        .size:           4
        .value_kind:     hidden_block_count_y
      - .offset:         48
        .size:           4
        .value_kind:     hidden_block_count_z
      - .offset:         52
        .size:           2
        .value_kind:     hidden_group_size_x
      - .offset:         54
        .size:           2
        .value_kind:     hidden_group_size_y
      - .offset:         56
        .size:           2
        .value_kind:     hidden_group_size_z
      - .offset:         58
        .size:           2
        .value_kind:     hidden_remainder_x
      - .offset:         60
        .size:           2
        .value_kind:     hidden_remainder_y
      - .offset:         62
        .size:           2
        .value_kind:     hidden_remainder_z
      - .offset:         80
        .size:           8
        .value_kind:     hidden_global_offset_x
      - .offset:         88
        .size:           8
        .value_kind:     hidden_global_offset_y
      - .offset:         96
        .size:           8
        .value_kind:     hidden_global_offset_z
      - .offset:         104
        .size:           2
        .value_kind:     hidden_grid_dims
      - .offset:         160
        .size:           4
        .value_kind:     hidden_dynamic_lds_size
    .group_segment_fixed_size: 0
    .kernarg_segment_align: 8
    .kernarg_segment_size: 296
    .language:       OpenCL C
    .language_version:
      - 2
      - 0
    .max_flat_workgroup_size: 1024
    .name:           _ZN2at6native12_GLOBAL__N_126cunn_SpatialSoftMaxForwardIN3c108BFloat16EfS4_lNS1_22SoftMaxForwardEpilogueEEEvPT1_PKT_T2_SB_SB_
    .private_segment_fixed_size: 0
    .sgpr_count:     50
    .sgpr_spill_count: 0
    .symbol:         _ZN2at6native12_GLOBAL__N_126cunn_SpatialSoftMaxForwardIN3c108BFloat16EfS4_lNS1_22SoftMaxForwardEpilogueEEEvPT1_PKT_T2_SB_SB_.kd
    .uniform_work_group_size: 1
    .uses_dynamic_stack: false
    .vgpr_count:     37
    .vgpr_spill_count: 0
    .wavefront_size: 64
  - .agpr_count:     0
    .args:
      - .address_space:  global
        .offset:         0
        .size:           8
        .value_kind:     global_buffer
      - .address_space:  global
        .offset:         8
        .size:           8
        .value_kind:     global_buffer
      - .offset:         16
        .size:           8
        .value_kind:     by_value
      - .offset:         24
        .size:           8
        .value_kind:     by_value
      - .offset:         32
        .size:           8
        .value_kind:     by_value
      - .offset:         40
        .size:           4
        .value_kind:     hidden_block_count_x
      - .offset:         44
        .size:           4
        .value_kind:     hidden_block_count_y
      - .offset:         48
        .size:           4
        .value_kind:     hidden_block_count_z
      - .offset:         52
        .size:           2
        .value_kind:     hidden_group_size_x
      - .offset:         54
        .size:           2
        .value_kind:     hidden_group_size_y
      - .offset:         56
        .size:           2
        .value_kind:     hidden_group_size_z
      - .offset:         58
        .size:           2
        .value_kind:     hidden_remainder_x
      - .offset:         60
        .size:           2
        .value_kind:     hidden_remainder_y
      - .offset:         62
        .size:           2
        .value_kind:     hidden_remainder_z
      - .offset:         80
        .size:           8
        .value_kind:     hidden_global_offset_x
      - .offset:         88
        .size:           8
        .value_kind:     hidden_global_offset_y
      - .offset:         96
        .size:           8
        .value_kind:     hidden_global_offset_z
      - .offset:         104
        .size:           2
        .value_kind:     hidden_grid_dims
      - .offset:         160
        .size:           4
        .value_kind:     hidden_dynamic_lds_size
    .group_segment_fixed_size: 0
    .kernarg_segment_align: 8
    .kernarg_segment_size: 296
    .language:       OpenCL C
    .language_version:
      - 2
      - 0
    .max_flat_workgroup_size: 1024
    .name:           _ZN2at6native12_GLOBAL__N_126cunn_SpatialSoftMaxForwardIN3c108BFloat16EfflNS1_22SoftMaxForwardEpilogueEEEvPT1_PKT_T2_SB_SB_
    .private_segment_fixed_size: 0
    .sgpr_count:     78
    .sgpr_spill_count: 0
    .symbol:         _ZN2at6native12_GLOBAL__N_126cunn_SpatialSoftMaxForwardIN3c108BFloat16EfflNS1_22SoftMaxForwardEpilogueEEEvPT1_PKT_T2_SB_SB_.kd
    .uniform_work_group_size: 1
    .uses_dynamic_stack: false
    .vgpr_count:     64
    .vgpr_spill_count: 0
    .wavefront_size: 64
  - .agpr_count:     0
    .args:
      - .address_space:  global
        .offset:         0
        .size:           8
        .value_kind:     global_buffer
      - .address_space:  global
        .offset:         8
        .size:           8
        .value_kind:     global_buffer
      - .address_space:  global
        .offset:         16
        .size:           8
        .value_kind:     global_buffer
      - .offset:         24
        .size:           4
        .value_kind:     by_value
      - .offset:         28
        .size:           4
        .value_kind:     by_value
      - .offset:         32
        .size:           4
        .value_kind:     by_value
      - .address_space:  global
        .offset:         40
        .size:           8
        .value_kind:     global_buffer
      - .offset:         48
        .size:           4
        .value_kind:     hidden_block_count_x
      - .offset:         52
        .size:           4
        .value_kind:     hidden_block_count_y
      - .offset:         56
        .size:           4
        .value_kind:     hidden_block_count_z
      - .offset:         60
        .size:           2
        .value_kind:     hidden_group_size_x
      - .offset:         62
        .size:           2
        .value_kind:     hidden_group_size_y
      - .offset:         64
        .size:           2
        .value_kind:     hidden_group_size_z
      - .offset:         66
        .size:           2
        .value_kind:     hidden_remainder_x
      - .offset:         68
        .size:           2
        .value_kind:     hidden_remainder_y
      - .offset:         70
        .size:           2
        .value_kind:     hidden_remainder_z
      - .offset:         88
        .size:           8
        .value_kind:     hidden_global_offset_x
      - .offset:         96
        .size:           8
        .value_kind:     hidden_global_offset_y
      - .offset:         104
        .size:           8
        .value_kind:     hidden_global_offset_z
      - .offset:         112
        .size:           2
        .value_kind:     hidden_grid_dims
    .group_segment_fixed_size: 0
    .kernarg_segment_align: 8
    .kernarg_segment_size: 304
    .language:       OpenCL C
    .language_version:
      - 2
      - 0
    .max_flat_workgroup_size: 1024
    .name:           _ZN12_GLOBAL__N_121softmax_warp_backwardIdddLi0ELb0ELb0ELi64EEEvPT0_PKT_S5_iiiPKb
    .private_segment_fixed_size: 0
    .sgpr_count:     20
    .sgpr_spill_count: 0
    .symbol:         _ZN12_GLOBAL__N_121softmax_warp_backwardIdddLi0ELb0ELb0ELi64EEEvPT0_PKT_S5_iiiPKb.kd
    .uniform_work_group_size: 1
    .uses_dynamic_stack: false
    .vgpr_count:     15
    .vgpr_spill_count: 0
    .wavefront_size: 64
  - .agpr_count:     0
    .args:
      - .address_space:  global
        .offset:         0
        .size:           8
        .value_kind:     global_buffer
      - .address_space:  global
        .offset:         8
        .size:           8
        .value_kind:     global_buffer
      - .address_space:  global
        .offset:         16
        .size:           8
        .value_kind:     global_buffer
      - .offset:         24
        .size:           4
        .value_kind:     by_value
      - .offset:         28
        .size:           4
        .value_kind:     by_value
      - .offset:         32
        .size:           4
        .value_kind:     by_value
      - .address_space:  global
        .offset:         40
        .size:           8
        .value_kind:     global_buffer
      - .offset:         48
        .size:           4
        .value_kind:     hidden_block_count_x
      - .offset:         52
        .size:           4
        .value_kind:     hidden_block_count_y
      - .offset:         56
        .size:           4
        .value_kind:     hidden_block_count_z
      - .offset:         60
        .size:           2
        .value_kind:     hidden_group_size_x
      - .offset:         62
        .size:           2
        .value_kind:     hidden_group_size_y
      - .offset:         64
        .size:           2
        .value_kind:     hidden_group_size_z
      - .offset:         66
        .size:           2
        .value_kind:     hidden_remainder_x
      - .offset:         68
        .size:           2
        .value_kind:     hidden_remainder_y
      - .offset:         70
        .size:           2
        .value_kind:     hidden_remainder_z
      - .offset:         88
        .size:           8
        .value_kind:     hidden_global_offset_x
      - .offset:         96
        .size:           8
        .value_kind:     hidden_global_offset_y
      - .offset:         104
        .size:           8
        .value_kind:     hidden_global_offset_z
      - .offset:         112
        .size:           2
        .value_kind:     hidden_grid_dims
    .group_segment_fixed_size: 0
    .kernarg_segment_align: 8
    .kernarg_segment_size: 304
    .language:       OpenCL C
    .language_version:
      - 2
      - 0
    .max_flat_workgroup_size: 1024
    .name:           _ZN12_GLOBAL__N_121softmax_warp_backwardIdddLi0ELb0ELb0ELi32EEEvPT0_PKT_S5_iiiPKb
    .private_segment_fixed_size: 0
    .sgpr_count:     20
    .sgpr_spill_count: 0
    .symbol:         _ZN12_GLOBAL__N_121softmax_warp_backwardIdddLi0ELb0ELb0ELi32EEEvPT0_PKT_S5_iiiPKb.kd
    .uniform_work_group_size: 1
    .uses_dynamic_stack: false
    .vgpr_count:     15
    .vgpr_spill_count: 0
    .wavefront_size: 64
  - .agpr_count:     0
    .args:
      - .address_space:  global
        .offset:         0
        .size:           8
        .value_kind:     global_buffer
      - .address_space:  global
        .offset:         8
        .size:           8
        .value_kind:     global_buffer
      - .address_space:  global
        .offset:         16
        .size:           8
        .value_kind:     global_buffer
      - .offset:         24
        .size:           4
        .value_kind:     by_value
      - .offset:         28
        .size:           4
        .value_kind:     by_value
      - .offset:         32
        .size:           4
        .value_kind:     by_value
      - .address_space:  global
        .offset:         40
        .size:           8
        .value_kind:     global_buffer
      - .offset:         48
        .size:           4
        .value_kind:     hidden_block_count_x
      - .offset:         52
        .size:           4
        .value_kind:     hidden_block_count_y
      - .offset:         56
        .size:           4
        .value_kind:     hidden_block_count_z
      - .offset:         60
        .size:           2
        .value_kind:     hidden_group_size_x
      - .offset:         62
        .size:           2
        .value_kind:     hidden_group_size_y
      - .offset:         64
        .size:           2
        .value_kind:     hidden_group_size_z
      - .offset:         66
        .size:           2
        .value_kind:     hidden_remainder_x
      - .offset:         68
        .size:           2
        .value_kind:     hidden_remainder_y
      - .offset:         70
        .size:           2
        .value_kind:     hidden_remainder_z
      - .offset:         88
        .size:           8
        .value_kind:     hidden_global_offset_x
      - .offset:         96
        .size:           8
        .value_kind:     hidden_global_offset_y
      - .offset:         104
        .size:           8
        .value_kind:     hidden_global_offset_z
      - .offset:         112
        .size:           2
        .value_kind:     hidden_grid_dims
    .group_segment_fixed_size: 0
    .kernarg_segment_align: 8
    .kernarg_segment_size: 304
    .language:       OpenCL C
    .language_version:
      - 2
      - 0
    .max_flat_workgroup_size: 1024
    .name:           _ZN12_GLOBAL__N_121softmax_warp_backwardIdddLi1ELb0ELb0ELi64EEEvPT0_PKT_S5_iiiPKb
    .private_segment_fixed_size: 0
    .sgpr_count:     20
    .sgpr_spill_count: 0
    .symbol:         _ZN12_GLOBAL__N_121softmax_warp_backwardIdddLi1ELb0ELb0ELi64EEEvPT0_PKT_S5_iiiPKb.kd
    .uniform_work_group_size: 1
    .uses_dynamic_stack: false
    .vgpr_count:     20
    .vgpr_spill_count: 0
    .wavefront_size: 64
  - .agpr_count:     0
    .args:
      - .address_space:  global
        .offset:         0
        .size:           8
        .value_kind:     global_buffer
      - .address_space:  global
        .offset:         8
        .size:           8
        .value_kind:     global_buffer
      - .address_space:  global
        .offset:         16
        .size:           8
        .value_kind:     global_buffer
      - .offset:         24
        .size:           4
        .value_kind:     by_value
      - .offset:         28
        .size:           4
        .value_kind:     by_value
      - .offset:         32
        .size:           4
        .value_kind:     by_value
      - .address_space:  global
        .offset:         40
        .size:           8
        .value_kind:     global_buffer
      - .offset:         48
        .size:           4
        .value_kind:     hidden_block_count_x
      - .offset:         52
        .size:           4
        .value_kind:     hidden_block_count_y
      - .offset:         56
        .size:           4
        .value_kind:     hidden_block_count_z
      - .offset:         60
        .size:           2
        .value_kind:     hidden_group_size_x
      - .offset:         62
        .size:           2
        .value_kind:     hidden_group_size_y
      - .offset:         64
        .size:           2
        .value_kind:     hidden_group_size_z
      - .offset:         66
        .size:           2
        .value_kind:     hidden_remainder_x
      - .offset:         68
        .size:           2
        .value_kind:     hidden_remainder_y
      - .offset:         70
        .size:           2
        .value_kind:     hidden_remainder_z
      - .offset:         88
        .size:           8
        .value_kind:     hidden_global_offset_x
      - .offset:         96
        .size:           8
        .value_kind:     hidden_global_offset_y
      - .offset:         104
        .size:           8
        .value_kind:     hidden_global_offset_z
      - .offset:         112
        .size:           2
        .value_kind:     hidden_grid_dims
    .group_segment_fixed_size: 0
    .kernarg_segment_align: 8
    .kernarg_segment_size: 304
    .language:       OpenCL C
    .language_version:
      - 2
      - 0
    .max_flat_workgroup_size: 1024
    .name:           _ZN12_GLOBAL__N_121softmax_warp_backwardIdddLi1ELb0ELb0ELi32EEEvPT0_PKT_S5_iiiPKb
    .private_segment_fixed_size: 0
    .sgpr_count:     20
    .sgpr_spill_count: 0
    .symbol:         _ZN12_GLOBAL__N_121softmax_warp_backwardIdddLi1ELb0ELb0ELi32EEEvPT0_PKT_S5_iiiPKb.kd
    .uniform_work_group_size: 1
    .uses_dynamic_stack: false
    .vgpr_count:     20
    .vgpr_spill_count: 0
    .wavefront_size: 64
  - .agpr_count:     0
    .args:
      - .address_space:  global
        .offset:         0
        .size:           8
        .value_kind:     global_buffer
      - .address_space:  global
        .offset:         8
        .size:           8
        .value_kind:     global_buffer
      - .address_space:  global
        .offset:         16
        .size:           8
        .value_kind:     global_buffer
      - .offset:         24
        .size:           4
        .value_kind:     by_value
      - .offset:         28
        .size:           4
        .value_kind:     by_value
      - .offset:         32
        .size:           4
        .value_kind:     by_value
      - .address_space:  global
        .offset:         40
        .size:           8
        .value_kind:     global_buffer
      - .offset:         48
        .size:           4
        .value_kind:     hidden_block_count_x
      - .offset:         52
        .size:           4
        .value_kind:     hidden_block_count_y
      - .offset:         56
        .size:           4
        .value_kind:     hidden_block_count_z
      - .offset:         60
        .size:           2
        .value_kind:     hidden_group_size_x
      - .offset:         62
        .size:           2
        .value_kind:     hidden_group_size_y
      - .offset:         64
        .size:           2
        .value_kind:     hidden_group_size_z
      - .offset:         66
        .size:           2
        .value_kind:     hidden_remainder_x
      - .offset:         68
        .size:           2
        .value_kind:     hidden_remainder_y
      - .offset:         70
        .size:           2
        .value_kind:     hidden_remainder_z
      - .offset:         88
        .size:           8
        .value_kind:     hidden_global_offset_x
      - .offset:         96
        .size:           8
        .value_kind:     hidden_global_offset_y
      - .offset:         104
        .size:           8
        .value_kind:     hidden_global_offset_z
      - .offset:         112
        .size:           2
        .value_kind:     hidden_grid_dims
    .group_segment_fixed_size: 0
    .kernarg_segment_align: 8
    .kernarg_segment_size: 304
    .language:       OpenCL C
    .language_version:
      - 2
      - 0
    .max_flat_workgroup_size: 1024
    .name:           _ZN12_GLOBAL__N_121softmax_warp_backwardIdddLi2ELb0ELb0ELi64EEEvPT0_PKT_S5_iiiPKb
    .private_segment_fixed_size: 0
    .sgpr_count:     20
    .sgpr_spill_count: 0
    .symbol:         _ZN12_GLOBAL__N_121softmax_warp_backwardIdddLi2ELb0ELb0ELi64EEEvPT0_PKT_S5_iiiPKb.kd
    .uniform_work_group_size: 1
    .uses_dynamic_stack: false
    .vgpr_count:     21
    .vgpr_spill_count: 0
    .wavefront_size: 64
  - .agpr_count:     0
    .args:
      - .address_space:  global
        .offset:         0
        .size:           8
        .value_kind:     global_buffer
      - .address_space:  global
        .offset:         8
        .size:           8
        .value_kind:     global_buffer
      - .address_space:  global
        .offset:         16
        .size:           8
        .value_kind:     global_buffer
      - .offset:         24
        .size:           4
        .value_kind:     by_value
      - .offset:         28
        .size:           4
        .value_kind:     by_value
      - .offset:         32
        .size:           4
        .value_kind:     by_value
      - .address_space:  global
        .offset:         40
        .size:           8
        .value_kind:     global_buffer
      - .offset:         48
        .size:           4
        .value_kind:     hidden_block_count_x
      - .offset:         52
        .size:           4
        .value_kind:     hidden_block_count_y
      - .offset:         56
        .size:           4
        .value_kind:     hidden_block_count_z
      - .offset:         60
        .size:           2
        .value_kind:     hidden_group_size_x
      - .offset:         62
        .size:           2
        .value_kind:     hidden_group_size_y
      - .offset:         64
        .size:           2
        .value_kind:     hidden_group_size_z
      - .offset:         66
        .size:           2
        .value_kind:     hidden_remainder_x
      - .offset:         68
        .size:           2
        .value_kind:     hidden_remainder_y
      - .offset:         70
        .size:           2
        .value_kind:     hidden_remainder_z
      - .offset:         88
        .size:           8
        .value_kind:     hidden_global_offset_x
      - .offset:         96
        .size:           8
        .value_kind:     hidden_global_offset_y
      - .offset:         104
        .size:           8
        .value_kind:     hidden_global_offset_z
      - .offset:         112
        .size:           2
        .value_kind:     hidden_grid_dims
    .group_segment_fixed_size: 0
    .kernarg_segment_align: 8
    .kernarg_segment_size: 304
    .language:       OpenCL C
    .language_version:
      - 2
      - 0
    .max_flat_workgroup_size: 1024
    .name:           _ZN12_GLOBAL__N_121softmax_warp_backwardIdddLi2ELb0ELb0ELi32EEEvPT0_PKT_S5_iiiPKb
    .private_segment_fixed_size: 0
    .sgpr_count:     20
    .sgpr_spill_count: 0
    .symbol:         _ZN12_GLOBAL__N_121softmax_warp_backwardIdddLi2ELb0ELb0ELi32EEEvPT0_PKT_S5_iiiPKb.kd
    .uniform_work_group_size: 1
    .uses_dynamic_stack: false
    .vgpr_count:     21
    .vgpr_spill_count: 0
    .wavefront_size: 64
  - .agpr_count:     0
    .args:
      - .address_space:  global
        .offset:         0
        .size:           8
        .value_kind:     global_buffer
      - .address_space:  global
        .offset:         8
        .size:           8
        .value_kind:     global_buffer
      - .address_space:  global
        .offset:         16
        .size:           8
        .value_kind:     global_buffer
      - .offset:         24
        .size:           4
        .value_kind:     by_value
      - .offset:         28
        .size:           4
        .value_kind:     by_value
      - .offset:         32
        .size:           4
        .value_kind:     by_value
      - .address_space:  global
        .offset:         40
        .size:           8
        .value_kind:     global_buffer
      - .offset:         48
        .size:           4
        .value_kind:     hidden_block_count_x
      - .offset:         52
        .size:           4
        .value_kind:     hidden_block_count_y
      - .offset:         56
        .size:           4
        .value_kind:     hidden_block_count_z
      - .offset:         60
        .size:           2
        .value_kind:     hidden_group_size_x
      - .offset:         62
        .size:           2
        .value_kind:     hidden_group_size_y
      - .offset:         64
        .size:           2
        .value_kind:     hidden_group_size_z
      - .offset:         66
        .size:           2
        .value_kind:     hidden_remainder_x
      - .offset:         68
        .size:           2
        .value_kind:     hidden_remainder_y
      - .offset:         70
        .size:           2
        .value_kind:     hidden_remainder_z
      - .offset:         88
        .size:           8
        .value_kind:     hidden_global_offset_x
      - .offset:         96
        .size:           8
        .value_kind:     hidden_global_offset_y
      - .offset:         104
        .size:           8
        .value_kind:     hidden_global_offset_z
      - .offset:         112
        .size:           2
        .value_kind:     hidden_grid_dims
    .group_segment_fixed_size: 0
    .kernarg_segment_align: 8
    .kernarg_segment_size: 304
    .language:       OpenCL C
    .language_version:
      - 2
      - 0
    .max_flat_workgroup_size: 1024
    .name:           _ZN12_GLOBAL__N_121softmax_warp_backwardIdddLi3ELb0ELb0ELi64EEEvPT0_PKT_S5_iiiPKb
    .private_segment_fixed_size: 0
    .sgpr_count:     20
    .sgpr_spill_count: 0
    .symbol:         _ZN12_GLOBAL__N_121softmax_warp_backwardIdddLi3ELb0ELb0ELi64EEEvPT0_PKT_S5_iiiPKb.kd
    .uniform_work_group_size: 1
    .uses_dynamic_stack: false
    .vgpr_count:     21
    .vgpr_spill_count: 0
    .wavefront_size: 64
  - .agpr_count:     0
    .args:
      - .address_space:  global
        .offset:         0
        .size:           8
        .value_kind:     global_buffer
      - .address_space:  global
        .offset:         8
        .size:           8
        .value_kind:     global_buffer
      - .address_space:  global
        .offset:         16
        .size:           8
        .value_kind:     global_buffer
      - .offset:         24
        .size:           4
        .value_kind:     by_value
      - .offset:         28
        .size:           4
        .value_kind:     by_value
      - .offset:         32
        .size:           4
        .value_kind:     by_value
      - .address_space:  global
        .offset:         40
        .size:           8
        .value_kind:     global_buffer
      - .offset:         48
        .size:           4
        .value_kind:     hidden_block_count_x
      - .offset:         52
        .size:           4
        .value_kind:     hidden_block_count_y
      - .offset:         56
        .size:           4
        .value_kind:     hidden_block_count_z
      - .offset:         60
        .size:           2
        .value_kind:     hidden_group_size_x
      - .offset:         62
        .size:           2
        .value_kind:     hidden_group_size_y
      - .offset:         64
        .size:           2
        .value_kind:     hidden_group_size_z
      - .offset:         66
        .size:           2
        .value_kind:     hidden_remainder_x
      - .offset:         68
        .size:           2
        .value_kind:     hidden_remainder_y
      - .offset:         70
        .size:           2
        .value_kind:     hidden_remainder_z
      - .offset:         88
        .size:           8
        .value_kind:     hidden_global_offset_x
      - .offset:         96
        .size:           8
        .value_kind:     hidden_global_offset_y
      - .offset:         104
        .size:           8
        .value_kind:     hidden_global_offset_z
      - .offset:         112
        .size:           2
        .value_kind:     hidden_grid_dims
    .group_segment_fixed_size: 0
    .kernarg_segment_align: 8
    .kernarg_segment_size: 304
    .language:       OpenCL C
    .language_version:
      - 2
      - 0
    .max_flat_workgroup_size: 1024
    .name:           _ZN12_GLOBAL__N_121softmax_warp_backwardIdddLi3ELb0ELb0ELi32EEEvPT0_PKT_S5_iiiPKb
    .private_segment_fixed_size: 0
    .sgpr_count:     20
    .sgpr_spill_count: 0
    .symbol:         _ZN12_GLOBAL__N_121softmax_warp_backwardIdddLi3ELb0ELb0ELi32EEEvPT0_PKT_S5_iiiPKb.kd
    .uniform_work_group_size: 1
    .uses_dynamic_stack: false
    .vgpr_count:     21
    .vgpr_spill_count: 0
    .wavefront_size: 64
  - .agpr_count:     0
    .args:
      - .address_space:  global
        .offset:         0
        .size:           8
        .value_kind:     global_buffer
      - .address_space:  global
        .offset:         8
        .size:           8
        .value_kind:     global_buffer
      - .address_space:  global
        .offset:         16
        .size:           8
        .value_kind:     global_buffer
      - .offset:         24
        .size:           4
        .value_kind:     by_value
      - .offset:         28
        .size:           4
        .value_kind:     by_value
      - .offset:         32
        .size:           4
        .value_kind:     by_value
      - .address_space:  global
        .offset:         40
        .size:           8
        .value_kind:     global_buffer
      - .offset:         48
        .size:           4
        .value_kind:     hidden_block_count_x
      - .offset:         52
        .size:           4
        .value_kind:     hidden_block_count_y
      - .offset:         56
        .size:           4
        .value_kind:     hidden_block_count_z
      - .offset:         60
        .size:           2
        .value_kind:     hidden_group_size_x
      - .offset:         62
        .size:           2
        .value_kind:     hidden_group_size_y
      - .offset:         64
        .size:           2
        .value_kind:     hidden_group_size_z
      - .offset:         66
        .size:           2
        .value_kind:     hidden_remainder_x
      - .offset:         68
        .size:           2
        .value_kind:     hidden_remainder_y
      - .offset:         70
        .size:           2
        .value_kind:     hidden_remainder_z
      - .offset:         88
        .size:           8
        .value_kind:     hidden_global_offset_x
      - .offset:         96
        .size:           8
        .value_kind:     hidden_global_offset_y
      - .offset:         104
        .size:           8
        .value_kind:     hidden_global_offset_z
      - .offset:         112
        .size:           2
        .value_kind:     hidden_grid_dims
    .group_segment_fixed_size: 0
    .kernarg_segment_align: 8
    .kernarg_segment_size: 304
    .language:       OpenCL C
    .language_version:
      - 2
      - 0
    .max_flat_workgroup_size: 1024
    .name:           _ZN12_GLOBAL__N_121softmax_warp_backwardIdddLi4ELb0ELb0ELi64EEEvPT0_PKT_S5_iiiPKb
    .private_segment_fixed_size: 0
    .sgpr_count:     20
    .sgpr_spill_count: 0
    .symbol:         _ZN12_GLOBAL__N_121softmax_warp_backwardIdddLi4ELb0ELb0ELi64EEEvPT0_PKT_S5_iiiPKb.kd
    .uniform_work_group_size: 1
    .uses_dynamic_stack: false
    .vgpr_count:     21
    .vgpr_spill_count: 0
    .wavefront_size: 64
  - .agpr_count:     0
    .args:
      - .address_space:  global
        .offset:         0
        .size:           8
        .value_kind:     global_buffer
      - .address_space:  global
        .offset:         8
        .size:           8
        .value_kind:     global_buffer
      - .address_space:  global
        .offset:         16
        .size:           8
        .value_kind:     global_buffer
      - .offset:         24
        .size:           4
        .value_kind:     by_value
      - .offset:         28
        .size:           4
        .value_kind:     by_value
      - .offset:         32
        .size:           4
        .value_kind:     by_value
      - .address_space:  global
        .offset:         40
        .size:           8
        .value_kind:     global_buffer
      - .offset:         48
        .size:           4
        .value_kind:     hidden_block_count_x
      - .offset:         52
        .size:           4
        .value_kind:     hidden_block_count_y
      - .offset:         56
        .size:           4
        .value_kind:     hidden_block_count_z
      - .offset:         60
        .size:           2
        .value_kind:     hidden_group_size_x
      - .offset:         62
        .size:           2
        .value_kind:     hidden_group_size_y
      - .offset:         64
        .size:           2
        .value_kind:     hidden_group_size_z
      - .offset:         66
        .size:           2
        .value_kind:     hidden_remainder_x
      - .offset:         68
        .size:           2
        .value_kind:     hidden_remainder_y
      - .offset:         70
        .size:           2
        .value_kind:     hidden_remainder_z
      - .offset:         88
        .size:           8
        .value_kind:     hidden_global_offset_x
      - .offset:         96
        .size:           8
        .value_kind:     hidden_global_offset_y
      - .offset:         104
        .size:           8
        .value_kind:     hidden_global_offset_z
      - .offset:         112
        .size:           2
        .value_kind:     hidden_grid_dims
    .group_segment_fixed_size: 0
    .kernarg_segment_align: 8
    .kernarg_segment_size: 304
    .language:       OpenCL C
    .language_version:
      - 2
      - 0
    .max_flat_workgroup_size: 1024
    .name:           _ZN12_GLOBAL__N_121softmax_warp_backwardIdddLi4ELb0ELb0ELi32EEEvPT0_PKT_S5_iiiPKb
    .private_segment_fixed_size: 0
    .sgpr_count:     20
    .sgpr_spill_count: 0
    .symbol:         _ZN12_GLOBAL__N_121softmax_warp_backwardIdddLi4ELb0ELb0ELi32EEEvPT0_PKT_S5_iiiPKb.kd
    .uniform_work_group_size: 1
    .uses_dynamic_stack: false
    .vgpr_count:     21
    .vgpr_spill_count: 0
    .wavefront_size: 64
  - .agpr_count:     0
    .args:
      - .address_space:  global
        .offset:         0
        .size:           8
        .value_kind:     global_buffer
      - .address_space:  global
        .offset:         8
        .size:           8
        .value_kind:     global_buffer
      - .address_space:  global
        .offset:         16
        .size:           8
        .value_kind:     global_buffer
      - .offset:         24
        .size:           4
        .value_kind:     by_value
      - .offset:         28
        .size:           4
        .value_kind:     by_value
      - .offset:         32
        .size:           4
        .value_kind:     by_value
      - .address_space:  global
        .offset:         40
        .size:           8
        .value_kind:     global_buffer
      - .offset:         48
        .size:           4
        .value_kind:     hidden_block_count_x
      - .offset:         52
        .size:           4
        .value_kind:     hidden_block_count_y
      - .offset:         56
        .size:           4
        .value_kind:     hidden_block_count_z
      - .offset:         60
        .size:           2
        .value_kind:     hidden_group_size_x
      - .offset:         62
        .size:           2
        .value_kind:     hidden_group_size_y
      - .offset:         64
        .size:           2
        .value_kind:     hidden_group_size_z
      - .offset:         66
        .size:           2
        .value_kind:     hidden_remainder_x
      - .offset:         68
        .size:           2
        .value_kind:     hidden_remainder_y
      - .offset:         70
        .size:           2
        .value_kind:     hidden_remainder_z
      - .offset:         88
        .size:           8
        .value_kind:     hidden_global_offset_x
      - .offset:         96
        .size:           8
        .value_kind:     hidden_global_offset_y
      - .offset:         104
        .size:           8
        .value_kind:     hidden_global_offset_z
      - .offset:         112
        .size:           2
        .value_kind:     hidden_grid_dims
    .group_segment_fixed_size: 0
    .kernarg_segment_align: 8
    .kernarg_segment_size: 304
    .language:       OpenCL C
    .language_version:
      - 2
      - 0
    .max_flat_workgroup_size: 1024
    .name:           _ZN12_GLOBAL__N_121softmax_warp_backwardIdddLi5ELb0ELb0ELi64EEEvPT0_PKT_S5_iiiPKb
    .private_segment_fixed_size: 0
    .sgpr_count:     20
    .sgpr_spill_count: 0
    .symbol:         _ZN12_GLOBAL__N_121softmax_warp_backwardIdddLi5ELb0ELb0ELi64EEEvPT0_PKT_S5_iiiPKb.kd
    .uniform_work_group_size: 1
    .uses_dynamic_stack: false
    .vgpr_count:     21
    .vgpr_spill_count: 0
    .wavefront_size: 64
  - .agpr_count:     0
    .args:
      - .address_space:  global
        .offset:         0
        .size:           8
        .value_kind:     global_buffer
      - .address_space:  global
        .offset:         8
        .size:           8
        .value_kind:     global_buffer
      - .address_space:  global
        .offset:         16
        .size:           8
        .value_kind:     global_buffer
      - .offset:         24
        .size:           4
        .value_kind:     by_value
      - .offset:         28
        .size:           4
        .value_kind:     by_value
      - .offset:         32
        .size:           4
        .value_kind:     by_value
      - .address_space:  global
        .offset:         40
        .size:           8
        .value_kind:     global_buffer
      - .offset:         48
        .size:           4
        .value_kind:     hidden_block_count_x
      - .offset:         52
        .size:           4
        .value_kind:     hidden_block_count_y
      - .offset:         56
        .size:           4
        .value_kind:     hidden_block_count_z
      - .offset:         60
        .size:           2
        .value_kind:     hidden_group_size_x
      - .offset:         62
        .size:           2
        .value_kind:     hidden_group_size_y
      - .offset:         64
        .size:           2
        .value_kind:     hidden_group_size_z
      - .offset:         66
        .size:           2
        .value_kind:     hidden_remainder_x
      - .offset:         68
        .size:           2
        .value_kind:     hidden_remainder_y
      - .offset:         70
        .size:           2
        .value_kind:     hidden_remainder_z
      - .offset:         88
        .size:           8
        .value_kind:     hidden_global_offset_x
      - .offset:         96
        .size:           8
        .value_kind:     hidden_global_offset_y
      - .offset:         104
        .size:           8
        .value_kind:     hidden_global_offset_z
      - .offset:         112
        .size:           2
        .value_kind:     hidden_grid_dims
    .group_segment_fixed_size: 0
    .kernarg_segment_align: 8
    .kernarg_segment_size: 304
    .language:       OpenCL C
    .language_version:
      - 2
      - 0
    .max_flat_workgroup_size: 1024
    .name:           _ZN12_GLOBAL__N_121softmax_warp_backwardIdddLi5ELb0ELb0ELi32EEEvPT0_PKT_S5_iiiPKb
    .private_segment_fixed_size: 0
    .sgpr_count:     20
    .sgpr_spill_count: 0
    .symbol:         _ZN12_GLOBAL__N_121softmax_warp_backwardIdddLi5ELb0ELb0ELi32EEEvPT0_PKT_S5_iiiPKb.kd
    .uniform_work_group_size: 1
    .uses_dynamic_stack: false
    .vgpr_count:     21
    .vgpr_spill_count: 0
    .wavefront_size: 64
  - .agpr_count:     0
    .args:
      - .address_space:  global
        .offset:         0
        .size:           8
        .value_kind:     global_buffer
      - .address_space:  global
        .offset:         8
        .size:           8
        .value_kind:     global_buffer
      - .address_space:  global
        .offset:         16
        .size:           8
        .value_kind:     global_buffer
      - .offset:         24
        .size:           4
        .value_kind:     by_value
      - .offset:         28
        .size:           4
        .value_kind:     by_value
      - .offset:         32
        .size:           4
        .value_kind:     by_value
      - .address_space:  global
        .offset:         40
        .size:           8
        .value_kind:     global_buffer
      - .offset:         48
        .size:           4
        .value_kind:     hidden_block_count_x
      - .offset:         52
        .size:           4
        .value_kind:     hidden_block_count_y
      - .offset:         56
        .size:           4
        .value_kind:     hidden_block_count_z
      - .offset:         60
        .size:           2
        .value_kind:     hidden_group_size_x
      - .offset:         62
        .size:           2
        .value_kind:     hidden_group_size_y
      - .offset:         64
        .size:           2
        .value_kind:     hidden_group_size_z
      - .offset:         66
        .size:           2
        .value_kind:     hidden_remainder_x
      - .offset:         68
        .size:           2
        .value_kind:     hidden_remainder_y
      - .offset:         70
        .size:           2
        .value_kind:     hidden_remainder_z
      - .offset:         88
        .size:           8
        .value_kind:     hidden_global_offset_x
      - .offset:         96
        .size:           8
        .value_kind:     hidden_global_offset_y
      - .offset:         104
        .size:           8
        .value_kind:     hidden_global_offset_z
      - .offset:         112
        .size:           2
        .value_kind:     hidden_grid_dims
    .group_segment_fixed_size: 0
    .kernarg_segment_align: 8
    .kernarg_segment_size: 304
    .language:       OpenCL C
    .language_version:
      - 2
      - 0
    .max_flat_workgroup_size: 1024
    .name:           _ZN12_GLOBAL__N_121softmax_warp_backwardIdddLi6ELb0ELb0ELi64EEEvPT0_PKT_S5_iiiPKb
    .private_segment_fixed_size: 0
    .sgpr_count:     20
    .sgpr_spill_count: 0
    .symbol:         _ZN12_GLOBAL__N_121softmax_warp_backwardIdddLi6ELb0ELb0ELi64EEEvPT0_PKT_S5_iiiPKb.kd
    .uniform_work_group_size: 1
    .uses_dynamic_stack: false
    .vgpr_count:     21
    .vgpr_spill_count: 0
    .wavefront_size: 64
  - .agpr_count:     0
    .args:
      - .address_space:  global
        .offset:         0
        .size:           8
        .value_kind:     global_buffer
      - .address_space:  global
        .offset:         8
        .size:           8
        .value_kind:     global_buffer
      - .address_space:  global
        .offset:         16
        .size:           8
        .value_kind:     global_buffer
      - .offset:         24
        .size:           4
        .value_kind:     by_value
      - .offset:         28
        .size:           4
        .value_kind:     by_value
      - .offset:         32
        .size:           4
        .value_kind:     by_value
      - .address_space:  global
        .offset:         40
        .size:           8
        .value_kind:     global_buffer
      - .offset:         48
        .size:           4
        .value_kind:     hidden_block_count_x
      - .offset:         52
        .size:           4
        .value_kind:     hidden_block_count_y
      - .offset:         56
        .size:           4
        .value_kind:     hidden_block_count_z
      - .offset:         60
        .size:           2
        .value_kind:     hidden_group_size_x
      - .offset:         62
        .size:           2
        .value_kind:     hidden_group_size_y
      - .offset:         64
        .size:           2
        .value_kind:     hidden_group_size_z
      - .offset:         66
        .size:           2
        .value_kind:     hidden_remainder_x
      - .offset:         68
        .size:           2
        .value_kind:     hidden_remainder_y
      - .offset:         70
        .size:           2
        .value_kind:     hidden_remainder_z
      - .offset:         88
        .size:           8
        .value_kind:     hidden_global_offset_x
      - .offset:         96
        .size:           8
        .value_kind:     hidden_global_offset_y
      - .offset:         104
        .size:           8
        .value_kind:     hidden_global_offset_z
      - .offset:         112
        .size:           2
        .value_kind:     hidden_grid_dims
    .group_segment_fixed_size: 0
    .kernarg_segment_align: 8
    .kernarg_segment_size: 304
    .language:       OpenCL C
    .language_version:
      - 2
      - 0
    .max_flat_workgroup_size: 1024
    .name:           _ZN12_GLOBAL__N_121softmax_warp_backwardIdddLi6ELb0ELb0ELi32EEEvPT0_PKT_S5_iiiPKb
    .private_segment_fixed_size: 0
    .sgpr_count:     20
    .sgpr_spill_count: 0
    .symbol:         _ZN12_GLOBAL__N_121softmax_warp_backwardIdddLi6ELb0ELb0ELi32EEEvPT0_PKT_S5_iiiPKb.kd
    .uniform_work_group_size: 1
    .uses_dynamic_stack: false
    .vgpr_count:     29
    .vgpr_spill_count: 0
    .wavefront_size: 64
  - .agpr_count:     0
    .args:
      - .address_space:  global
        .offset:         0
        .size:           8
        .value_kind:     global_buffer
      - .address_space:  global
        .offset:         8
        .size:           8
        .value_kind:     global_buffer
      - .address_space:  global
        .offset:         16
        .size:           8
        .value_kind:     global_buffer
      - .offset:         24
        .size:           4
        .value_kind:     by_value
      - .offset:         28
        .size:           4
        .value_kind:     by_value
      - .offset:         32
        .size:           4
        .value_kind:     by_value
      - .address_space:  global
        .offset:         40
        .size:           8
        .value_kind:     global_buffer
      - .offset:         48
        .size:           4
        .value_kind:     hidden_block_count_x
      - .offset:         52
        .size:           4
        .value_kind:     hidden_block_count_y
      - .offset:         56
        .size:           4
        .value_kind:     hidden_block_count_z
      - .offset:         60
        .size:           2
        .value_kind:     hidden_group_size_x
      - .offset:         62
        .size:           2
        .value_kind:     hidden_group_size_y
      - .offset:         64
        .size:           2
        .value_kind:     hidden_group_size_z
      - .offset:         66
        .size:           2
        .value_kind:     hidden_remainder_x
      - .offset:         68
        .size:           2
        .value_kind:     hidden_remainder_y
      - .offset:         70
        .size:           2
        .value_kind:     hidden_remainder_z
      - .offset:         88
        .size:           8
        .value_kind:     hidden_global_offset_x
      - .offset:         96
        .size:           8
        .value_kind:     hidden_global_offset_y
      - .offset:         104
        .size:           8
        .value_kind:     hidden_global_offset_z
      - .offset:         112
        .size:           2
        .value_kind:     hidden_grid_dims
    .group_segment_fixed_size: 0
    .kernarg_segment_align: 8
    .kernarg_segment_size: 304
    .language:       OpenCL C
    .language_version:
      - 2
      - 0
    .max_flat_workgroup_size: 1024
    .name:           _ZN12_GLOBAL__N_121softmax_warp_backwardIdddLi7ELb0ELb0ELi64EEEvPT0_PKT_S5_iiiPKb
    .private_segment_fixed_size: 0
    .sgpr_count:     20
    .sgpr_spill_count: 0
    .symbol:         _ZN12_GLOBAL__N_121softmax_warp_backwardIdddLi7ELb0ELb0ELi64EEEvPT0_PKT_S5_iiiPKb.kd
    .uniform_work_group_size: 1
    .uses_dynamic_stack: false
    .vgpr_count:     29
    .vgpr_spill_count: 0
    .wavefront_size: 64
  - .agpr_count:     0
    .args:
      - .address_space:  global
        .offset:         0
        .size:           8
        .value_kind:     global_buffer
      - .address_space:  global
        .offset:         8
        .size:           8
        .value_kind:     global_buffer
      - .address_space:  global
        .offset:         16
        .size:           8
        .value_kind:     global_buffer
      - .offset:         24
        .size:           4
        .value_kind:     by_value
      - .offset:         28
        .size:           4
        .value_kind:     by_value
      - .offset:         32
        .size:           4
        .value_kind:     by_value
      - .address_space:  global
        .offset:         40
        .size:           8
        .value_kind:     global_buffer
      - .offset:         48
        .size:           4
        .value_kind:     hidden_block_count_x
      - .offset:         52
        .size:           4
        .value_kind:     hidden_block_count_y
      - .offset:         56
        .size:           4
        .value_kind:     hidden_block_count_z
      - .offset:         60
        .size:           2
        .value_kind:     hidden_group_size_x
      - .offset:         62
        .size:           2
        .value_kind:     hidden_group_size_y
      - .offset:         64
        .size:           2
        .value_kind:     hidden_group_size_z
      - .offset:         66
        .size:           2
        .value_kind:     hidden_remainder_x
      - .offset:         68
        .size:           2
        .value_kind:     hidden_remainder_y
      - .offset:         70
        .size:           2
        .value_kind:     hidden_remainder_z
      - .offset:         88
        .size:           8
        .value_kind:     hidden_global_offset_x
      - .offset:         96
        .size:           8
        .value_kind:     hidden_global_offset_y
      - .offset:         104
        .size:           8
        .value_kind:     hidden_global_offset_z
      - .offset:         112
        .size:           2
        .value_kind:     hidden_grid_dims
    .group_segment_fixed_size: 0
    .kernarg_segment_align: 8
    .kernarg_segment_size: 304
    .language:       OpenCL C
    .language_version:
      - 2
      - 0
    .max_flat_workgroup_size: 1024
    .name:           _ZN12_GLOBAL__N_121softmax_warp_backwardIdddLi7ELb0ELb0ELi32EEEvPT0_PKT_S5_iiiPKb
    .private_segment_fixed_size: 0
    .sgpr_count:     24
    .sgpr_spill_count: 0
    .symbol:         _ZN12_GLOBAL__N_121softmax_warp_backwardIdddLi7ELb0ELb0ELi32EEEvPT0_PKT_S5_iiiPKb.kd
    .uniform_work_group_size: 1
    .uses_dynamic_stack: false
    .vgpr_count:     45
    .vgpr_spill_count: 0
    .wavefront_size: 64
  - .agpr_count:     0
    .args:
      - .address_space:  global
        .offset:         0
        .size:           8
        .value_kind:     global_buffer
      - .address_space:  global
        .offset:         8
        .size:           8
        .value_kind:     global_buffer
      - .address_space:  global
        .offset:         16
        .size:           8
        .value_kind:     global_buffer
      - .offset:         24
        .size:           4
        .value_kind:     by_value
      - .offset:         28
        .size:           4
        .value_kind:     by_value
      - .offset:         32
        .size:           4
        .value_kind:     by_value
      - .address_space:  global
        .offset:         40
        .size:           8
        .value_kind:     global_buffer
      - .offset:         48
        .size:           4
        .value_kind:     hidden_block_count_x
      - .offset:         52
        .size:           4
        .value_kind:     hidden_block_count_y
      - .offset:         56
        .size:           4
        .value_kind:     hidden_block_count_z
      - .offset:         60
        .size:           2
        .value_kind:     hidden_group_size_x
      - .offset:         62
        .size:           2
        .value_kind:     hidden_group_size_y
      - .offset:         64
        .size:           2
        .value_kind:     hidden_group_size_z
      - .offset:         66
        .size:           2
        .value_kind:     hidden_remainder_x
      - .offset:         68
        .size:           2
        .value_kind:     hidden_remainder_y
      - .offset:         70
        .size:           2
        .value_kind:     hidden_remainder_z
      - .offset:         88
        .size:           8
        .value_kind:     hidden_global_offset_x
      - .offset:         96
        .size:           8
        .value_kind:     hidden_global_offset_y
      - .offset:         104
        .size:           8
        .value_kind:     hidden_global_offset_z
      - .offset:         112
        .size:           2
        .value_kind:     hidden_grid_dims
    .group_segment_fixed_size: 0
    .kernarg_segment_align: 8
    .kernarg_segment_size: 304
    .language:       OpenCL C
    .language_version:
      - 2
      - 0
    .max_flat_workgroup_size: 1024
    .name:           _ZN12_GLOBAL__N_121softmax_warp_backwardIdddLi8ELb0ELb0ELi64EEEvPT0_PKT_S5_iiiPKb
    .private_segment_fixed_size: 0
    .sgpr_count:     20
    .sgpr_spill_count: 0
    .symbol:         _ZN12_GLOBAL__N_121softmax_warp_backwardIdddLi8ELb0ELb0ELi64EEEvPT0_PKT_S5_iiiPKb.kd
    .uniform_work_group_size: 1
    .uses_dynamic_stack: false
    .vgpr_count:     25
    .vgpr_spill_count: 0
    .wavefront_size: 64
  - .agpr_count:     0
    .args:
      - .address_space:  global
        .offset:         0
        .size:           8
        .value_kind:     global_buffer
      - .address_space:  global
        .offset:         8
        .size:           8
        .value_kind:     global_buffer
      - .address_space:  global
        .offset:         16
        .size:           8
        .value_kind:     global_buffer
      - .offset:         24
        .size:           4
        .value_kind:     by_value
      - .offset:         28
        .size:           4
        .value_kind:     by_value
      - .offset:         32
        .size:           4
        .value_kind:     by_value
      - .address_space:  global
        .offset:         40
        .size:           8
        .value_kind:     global_buffer
      - .offset:         48
        .size:           4
        .value_kind:     hidden_block_count_x
      - .offset:         52
        .size:           4
        .value_kind:     hidden_block_count_y
      - .offset:         56
        .size:           4
        .value_kind:     hidden_block_count_z
      - .offset:         60
        .size:           2
        .value_kind:     hidden_group_size_x
      - .offset:         62
        .size:           2
        .value_kind:     hidden_group_size_y
      - .offset:         64
        .size:           2
        .value_kind:     hidden_group_size_z
      - .offset:         66
        .size:           2
        .value_kind:     hidden_remainder_x
      - .offset:         68
        .size:           2
        .value_kind:     hidden_remainder_y
      - .offset:         70
        .size:           2
        .value_kind:     hidden_remainder_z
      - .offset:         88
        .size:           8
        .value_kind:     hidden_global_offset_x
      - .offset:         96
        .size:           8
        .value_kind:     hidden_global_offset_y
      - .offset:         104
        .size:           8
        .value_kind:     hidden_global_offset_z
      - .offset:         112
        .size:           2
        .value_kind:     hidden_grid_dims
    .group_segment_fixed_size: 0
    .kernarg_segment_align: 8
    .kernarg_segment_size: 304
    .language:       OpenCL C
    .language_version:
      - 2
      - 0
    .max_flat_workgroup_size: 1024
    .name:           _ZN12_GLOBAL__N_121softmax_warp_backwardIdddLi8ELb0ELb0ELi32EEEvPT0_PKT_S5_iiiPKb
    .private_segment_fixed_size: 0
    .sgpr_count:     28
    .sgpr_spill_count: 0
    .symbol:         _ZN12_GLOBAL__N_121softmax_warp_backwardIdddLi8ELb0ELb0ELi32EEEvPT0_PKT_S5_iiiPKb.kd
    .uniform_work_group_size: 1
    .uses_dynamic_stack: false
    .vgpr_count:     41
    .vgpr_spill_count: 0
    .wavefront_size: 64
  - .agpr_count:     0
    .args:
      - .address_space:  global
        .offset:         0
        .size:           8
        .value_kind:     global_buffer
      - .address_space:  global
        .offset:         8
        .size:           8
        .value_kind:     global_buffer
      - .address_space:  global
        .offset:         16
        .size:           8
        .value_kind:     global_buffer
      - .offset:         24
        .size:           4
        .value_kind:     by_value
      - .offset:         28
        .size:           4
        .value_kind:     by_value
      - .offset:         32
        .size:           4
        .value_kind:     by_value
      - .address_space:  global
        .offset:         40
        .size:           8
        .value_kind:     global_buffer
      - .offset:         48
        .size:           4
        .value_kind:     hidden_block_count_x
      - .offset:         52
        .size:           4
        .value_kind:     hidden_block_count_y
      - .offset:         56
        .size:           4
        .value_kind:     hidden_block_count_z
      - .offset:         60
        .size:           2
        .value_kind:     hidden_group_size_x
      - .offset:         62
        .size:           2
        .value_kind:     hidden_group_size_y
      - .offset:         64
        .size:           2
        .value_kind:     hidden_group_size_z
      - .offset:         66
        .size:           2
        .value_kind:     hidden_remainder_x
      - .offset:         68
        .size:           2
        .value_kind:     hidden_remainder_y
      - .offset:         70
        .size:           2
        .value_kind:     hidden_remainder_z
      - .offset:         88
        .size:           8
        .value_kind:     hidden_global_offset_x
      - .offset:         96
        .size:           8
        .value_kind:     hidden_global_offset_y
      - .offset:         104
        .size:           8
        .value_kind:     hidden_global_offset_z
      - .offset:         112
        .size:           2
        .value_kind:     hidden_grid_dims
    .group_segment_fixed_size: 0
    .kernarg_segment_align: 8
    .kernarg_segment_size: 304
    .language:       OpenCL C
    .language_version:
      - 2
      - 0
    .max_flat_workgroup_size: 1024
    .name:           _ZN12_GLOBAL__N_121softmax_warp_backwardIdddLi9ELb0ELb0ELi64EEEvPT0_PKT_S5_iiiPKb
    .private_segment_fixed_size: 0
    .sgpr_count:     28
    .sgpr_spill_count: 0
    .symbol:         _ZN12_GLOBAL__N_121softmax_warp_backwardIdddLi9ELb0ELb0ELi64EEEvPT0_PKT_S5_iiiPKb.kd
    .uniform_work_group_size: 1
    .uses_dynamic_stack: false
    .vgpr_count:     41
    .vgpr_spill_count: 0
    .wavefront_size: 64
  - .agpr_count:     0
    .args:
      - .address_space:  global
        .offset:         0
        .size:           8
        .value_kind:     global_buffer
      - .address_space:  global
        .offset:         8
        .size:           8
        .value_kind:     global_buffer
      - .address_space:  global
        .offset:         16
        .size:           8
        .value_kind:     global_buffer
      - .offset:         24
        .size:           4
        .value_kind:     by_value
      - .offset:         28
        .size:           4
        .value_kind:     by_value
      - .offset:         32
        .size:           4
        .value_kind:     by_value
      - .address_space:  global
        .offset:         40
        .size:           8
        .value_kind:     global_buffer
      - .offset:         48
        .size:           4
        .value_kind:     hidden_block_count_x
      - .offset:         52
        .size:           4
        .value_kind:     hidden_block_count_y
      - .offset:         56
        .size:           4
        .value_kind:     hidden_block_count_z
      - .offset:         60
        .size:           2
        .value_kind:     hidden_group_size_x
      - .offset:         62
        .size:           2
        .value_kind:     hidden_group_size_y
      - .offset:         64
        .size:           2
        .value_kind:     hidden_group_size_z
      - .offset:         66
        .size:           2
        .value_kind:     hidden_remainder_x
      - .offset:         68
        .size:           2
        .value_kind:     hidden_remainder_y
      - .offset:         70
        .size:           2
        .value_kind:     hidden_remainder_z
      - .offset:         88
        .size:           8
        .value_kind:     hidden_global_offset_x
      - .offset:         96
        .size:           8
        .value_kind:     hidden_global_offset_y
      - .offset:         104
        .size:           8
        .value_kind:     hidden_global_offset_z
      - .offset:         112
        .size:           2
        .value_kind:     hidden_grid_dims
    .group_segment_fixed_size: 0
    .kernarg_segment_align: 8
    .kernarg_segment_size: 304
    .language:       OpenCL C
    .language_version:
      - 2
      - 0
    .max_flat_workgroup_size: 1024
    .name:           _ZN12_GLOBAL__N_121softmax_warp_backwardIdddLi9ELb0ELb0ELi32EEEvPT0_PKT_S5_iiiPKb
    .private_segment_fixed_size: 0
    .sgpr_count:     44
    .sgpr_spill_count: 0
    .symbol:         _ZN12_GLOBAL__N_121softmax_warp_backwardIdddLi9ELb0ELb0ELi32EEEvPT0_PKT_S5_iiiPKb.kd
    .uniform_work_group_size: 1
    .uses_dynamic_stack: false
    .vgpr_count:     73
    .vgpr_spill_count: 0
    .wavefront_size: 64
  - .agpr_count:     0
    .args:
      - .address_space:  global
        .offset:         0
        .size:           8
        .value_kind:     global_buffer
      - .address_space:  global
        .offset:         8
        .size:           8
        .value_kind:     global_buffer
      - .address_space:  global
        .offset:         16
        .size:           8
        .value_kind:     global_buffer
      - .offset:         24
        .size:           4
        .value_kind:     by_value
      - .offset:         28
        .size:           4
        .value_kind:     by_value
      - .offset:         32
        .size:           4
        .value_kind:     by_value
      - .address_space:  global
        .offset:         40
        .size:           8
        .value_kind:     global_buffer
      - .offset:         48
        .size:           4
        .value_kind:     hidden_block_count_x
      - .offset:         52
        .size:           4
        .value_kind:     hidden_block_count_y
      - .offset:         56
        .size:           4
        .value_kind:     hidden_block_count_z
      - .offset:         60
        .size:           2
        .value_kind:     hidden_group_size_x
      - .offset:         62
        .size:           2
        .value_kind:     hidden_group_size_y
      - .offset:         64
        .size:           2
        .value_kind:     hidden_group_size_z
      - .offset:         66
        .size:           2
        .value_kind:     hidden_remainder_x
      - .offset:         68
        .size:           2
        .value_kind:     hidden_remainder_y
      - .offset:         70
        .size:           2
        .value_kind:     hidden_remainder_z
      - .offset:         88
        .size:           8
        .value_kind:     hidden_global_offset_x
      - .offset:         96
        .size:           8
        .value_kind:     hidden_global_offset_y
      - .offset:         104
        .size:           8
        .value_kind:     hidden_global_offset_z
      - .offset:         112
        .size:           2
        .value_kind:     hidden_grid_dims
    .group_segment_fixed_size: 0
    .kernarg_segment_align: 8
    .kernarg_segment_size: 304
    .language:       OpenCL C
    .language_version:
      - 2
      - 0
    .max_flat_workgroup_size: 1024
    .name:           _ZN12_GLOBAL__N_121softmax_warp_backwardIdddLi10ELb0ELb0ELi64EEEvPT0_PKT_S5_iiiPKb
    .private_segment_fixed_size: 0
    .sgpr_count:     48
    .sgpr_spill_count: 0
    .symbol:         _ZN12_GLOBAL__N_121softmax_warp_backwardIdddLi10ELb0ELb0ELi64EEEvPT0_PKT_S5_iiiPKb.kd
    .uniform_work_group_size: 1
    .uses_dynamic_stack: false
    .vgpr_count:     73
    .vgpr_spill_count: 0
    .wavefront_size: 64
  - .agpr_count:     0
    .args:
      - .address_space:  global
        .offset:         0
        .size:           8
        .value_kind:     global_buffer
      - .address_space:  global
        .offset:         8
        .size:           8
        .value_kind:     global_buffer
      - .address_space:  global
        .offset:         16
        .size:           8
        .value_kind:     global_buffer
      - .offset:         24
        .size:           4
        .value_kind:     by_value
      - .offset:         28
        .size:           4
        .value_kind:     by_value
      - .offset:         32
        .size:           4
        .value_kind:     by_value
      - .address_space:  global
        .offset:         40
        .size:           8
        .value_kind:     global_buffer
      - .offset:         48
        .size:           4
        .value_kind:     hidden_block_count_x
      - .offset:         52
        .size:           4
        .value_kind:     hidden_block_count_y
      - .offset:         56
        .size:           4
        .value_kind:     hidden_block_count_z
      - .offset:         60
        .size:           2
        .value_kind:     hidden_group_size_x
      - .offset:         62
        .size:           2
        .value_kind:     hidden_group_size_y
      - .offset:         64
        .size:           2
        .value_kind:     hidden_group_size_z
      - .offset:         66
        .size:           2
        .value_kind:     hidden_remainder_x
      - .offset:         68
        .size:           2
        .value_kind:     hidden_remainder_y
      - .offset:         70
        .size:           2
        .value_kind:     hidden_remainder_z
      - .offset:         88
        .size:           8
        .value_kind:     hidden_global_offset_x
      - .offset:         96
        .size:           8
        .value_kind:     hidden_global_offset_y
      - .offset:         104
        .size:           8
        .value_kind:     hidden_global_offset_z
      - .offset:         112
        .size:           2
        .value_kind:     hidden_grid_dims
    .group_segment_fixed_size: 0
    .kernarg_segment_align: 8
    .kernarg_segment_size: 304
    .language:       OpenCL C
    .language_version:
      - 2
      - 0
    .max_flat_workgroup_size: 1024
    .name:           _ZN12_GLOBAL__N_121softmax_warp_backwardIdddLi10ELb0ELb0ELi32EEEvPT0_PKT_S5_iiiPKb
    .private_segment_fixed_size: 40
    .sgpr_count:     84
    .sgpr_spill_count: 0
    .symbol:         _ZN12_GLOBAL__N_121softmax_warp_backwardIdddLi10ELb0ELb0ELi32EEEvPT0_PKT_S5_iiiPKb.kd
    .uniform_work_group_size: 1
    .uses_dynamic_stack: false
    .vgpr_count:     128
    .vgpr_spill_count: 17
    .wavefront_size: 64
  - .agpr_count:     0
    .args:
      - .address_space:  global
        .offset:         0
        .size:           8
        .value_kind:     global_buffer
      - .address_space:  global
        .offset:         8
        .size:           8
        .value_kind:     global_buffer
      - .address_space:  global
        .offset:         16
        .size:           8
        .value_kind:     global_buffer
      - .offset:         24
        .size:           8
        .value_kind:     by_value
      - .offset:         32
        .size:           4
        .value_kind:     hidden_block_count_x
      - .offset:         36
        .size:           4
        .value_kind:     hidden_block_count_y
      - .offset:         40
        .size:           4
        .value_kind:     hidden_block_count_z
      - .offset:         44
        .size:           2
        .value_kind:     hidden_group_size_x
      - .offset:         46
        .size:           2
        .value_kind:     hidden_group_size_y
      - .offset:         48
        .size:           2
        .value_kind:     hidden_group_size_z
      - .offset:         50
        .size:           2
        .value_kind:     hidden_remainder_x
      - .offset:         52
        .size:           2
        .value_kind:     hidden_remainder_y
      - .offset:         54
        .size:           2
        .value_kind:     hidden_remainder_z
      - .offset:         72
        .size:           8
        .value_kind:     hidden_global_offset_x
      - .offset:         80
        .size:           8
        .value_kind:     hidden_global_offset_y
      - .offset:         88
        .size:           8
        .value_kind:     hidden_global_offset_z
      - .offset:         96
        .size:           2
        .value_kind:     hidden_grid_dims
      - .offset:         152
        .size:           4
        .value_kind:     hidden_dynamic_lds_size
    .group_segment_fixed_size: 0
    .kernarg_segment_align: 8
    .kernarg_segment_size: 288
    .language:       OpenCL C
    .language_version:
      - 2
      - 0
    .max_flat_workgroup_size: 1024
    .name:           _ZN2at6native12_GLOBAL__N_124cunn_SoftMaxBackwardSmemILi2EdddNS1_23SoftMaxBackwardEpilogueEEEvPT0_PKT2_S8_l
    .private_segment_fixed_size: 0
    .sgpr_count:     24
    .sgpr_spill_count: 0
    .symbol:         _ZN2at6native12_GLOBAL__N_124cunn_SoftMaxBackwardSmemILi2EdddNS1_23SoftMaxBackwardEpilogueEEEvPT0_PKT2_S8_l.kd
    .uniform_work_group_size: 1
    .uses_dynamic_stack: false
    .vgpr_count:     20
    .vgpr_spill_count: 0
    .wavefront_size: 64
  - .agpr_count:     0
    .args:
      - .address_space:  global
        .offset:         0
        .size:           8
        .value_kind:     global_buffer
      - .address_space:  global
        .offset:         8
        .size:           8
        .value_kind:     global_buffer
      - .address_space:  global
        .offset:         16
        .size:           8
        .value_kind:     global_buffer
      - .offset:         24
        .size:           8
        .value_kind:     by_value
      - .offset:         32
        .size:           4
        .value_kind:     hidden_block_count_x
      - .offset:         36
        .size:           4
        .value_kind:     hidden_block_count_y
      - .offset:         40
        .size:           4
        .value_kind:     hidden_block_count_z
      - .offset:         44
        .size:           2
        .value_kind:     hidden_group_size_x
      - .offset:         46
        .size:           2
        .value_kind:     hidden_group_size_y
      - .offset:         48
        .size:           2
        .value_kind:     hidden_group_size_z
      - .offset:         50
        .size:           2
        .value_kind:     hidden_remainder_x
      - .offset:         52
        .size:           2
        .value_kind:     hidden_remainder_y
      - .offset:         54
        .size:           2
        .value_kind:     hidden_remainder_z
      - .offset:         72
        .size:           8
        .value_kind:     hidden_global_offset_x
      - .offset:         80
        .size:           8
        .value_kind:     hidden_global_offset_y
      - .offset:         88
        .size:           8
        .value_kind:     hidden_global_offset_z
      - .offset:         96
        .size:           2
        .value_kind:     hidden_grid_dims
      - .offset:         152
        .size:           4
        .value_kind:     hidden_dynamic_lds_size
    .group_segment_fixed_size: 0
    .kernarg_segment_align: 8
    .kernarg_segment_size: 288
    .language:       OpenCL C
    .language_version:
      - 2
      - 0
    .max_flat_workgroup_size: 1024
    .name:           _ZN2at6native12_GLOBAL__N_120cunn_SoftMaxBackwardILi2EdddNS1_23SoftMaxBackwardEpilogueEEEvPT0_PKT2_S8_l
    .private_segment_fixed_size: 0
    .sgpr_count:     59
    .sgpr_spill_count: 0
    .symbol:         _ZN2at6native12_GLOBAL__N_120cunn_SoftMaxBackwardILi2EdddNS1_23SoftMaxBackwardEpilogueEEEvPT0_PKT2_S8_l.kd
    .uniform_work_group_size: 1
    .uses_dynamic_stack: false
    .vgpr_count:     28
    .vgpr_spill_count: 0
    .wavefront_size: 64
  - .agpr_count:     0
    .args:
      - .address_space:  global
        .offset:         0
        .size:           8
        .value_kind:     global_buffer
      - .address_space:  global
        .offset:         8
        .size:           8
        .value_kind:     global_buffer
      - .address_space:  global
        .offset:         16
        .size:           8
        .value_kind:     global_buffer
      - .offset:         24
        .size:           4
        .value_kind:     by_value
      - .offset:         28
        .size:           4
        .value_kind:     by_value
      - .offset:         32
        .size:           4
        .value_kind:     by_value
      - .address_space:  global
        .offset:         40
        .size:           8
        .value_kind:     global_buffer
      - .offset:         48
        .size:           4
        .value_kind:     hidden_block_count_x
      - .offset:         52
        .size:           4
        .value_kind:     hidden_block_count_y
      - .offset:         56
        .size:           4
        .value_kind:     hidden_block_count_z
      - .offset:         60
        .size:           2
        .value_kind:     hidden_group_size_x
      - .offset:         62
        .size:           2
        .value_kind:     hidden_group_size_y
      - .offset:         64
        .size:           2
        .value_kind:     hidden_group_size_z
      - .offset:         66
        .size:           2
        .value_kind:     hidden_remainder_x
      - .offset:         68
        .size:           2
        .value_kind:     hidden_remainder_y
      - .offset:         70
        .size:           2
        .value_kind:     hidden_remainder_z
      - .offset:         88
        .size:           8
        .value_kind:     hidden_global_offset_x
      - .offset:         96
        .size:           8
        .value_kind:     hidden_global_offset_y
      - .offset:         104
        .size:           8
        .value_kind:     hidden_global_offset_z
      - .offset:         112
        .size:           2
        .value_kind:     hidden_grid_dims
    .group_segment_fixed_size: 0
    .kernarg_segment_align: 8
    .kernarg_segment_size: 304
    .language:       OpenCL C
    .language_version:
      - 2
      - 0
    .max_flat_workgroup_size: 1024
    .name:           _ZN12_GLOBAL__N_121softmax_warp_backwardIfffLi0ELb0ELb0ELi64EEEvPT0_PKT_S5_iiiPKb
    .private_segment_fixed_size: 0
    .sgpr_count:     20
    .sgpr_spill_count: 0
    .symbol:         _ZN12_GLOBAL__N_121softmax_warp_backwardIfffLi0ELb0ELb0ELi64EEEvPT0_PKT_S5_iiiPKb.kd
    .uniform_work_group_size: 1
    .uses_dynamic_stack: false
    .vgpr_count:     11
    .vgpr_spill_count: 0
    .wavefront_size: 64
  - .agpr_count:     0
    .args:
      - .address_space:  global
        .offset:         0
        .size:           8
        .value_kind:     global_buffer
      - .address_space:  global
        .offset:         8
        .size:           8
        .value_kind:     global_buffer
      - .address_space:  global
        .offset:         16
        .size:           8
        .value_kind:     global_buffer
      - .offset:         24
        .size:           4
        .value_kind:     by_value
      - .offset:         28
        .size:           4
        .value_kind:     by_value
      - .offset:         32
        .size:           4
        .value_kind:     by_value
      - .address_space:  global
        .offset:         40
        .size:           8
        .value_kind:     global_buffer
      - .offset:         48
        .size:           4
        .value_kind:     hidden_block_count_x
      - .offset:         52
        .size:           4
        .value_kind:     hidden_block_count_y
      - .offset:         56
        .size:           4
        .value_kind:     hidden_block_count_z
      - .offset:         60
        .size:           2
        .value_kind:     hidden_group_size_x
      - .offset:         62
        .size:           2
        .value_kind:     hidden_group_size_y
      - .offset:         64
        .size:           2
        .value_kind:     hidden_group_size_z
      - .offset:         66
        .size:           2
        .value_kind:     hidden_remainder_x
      - .offset:         68
        .size:           2
        .value_kind:     hidden_remainder_y
      - .offset:         70
        .size:           2
        .value_kind:     hidden_remainder_z
      - .offset:         88
        .size:           8
        .value_kind:     hidden_global_offset_x
      - .offset:         96
        .size:           8
        .value_kind:     hidden_global_offset_y
      - .offset:         104
        .size:           8
        .value_kind:     hidden_global_offset_z
      - .offset:         112
        .size:           2
        .value_kind:     hidden_grid_dims
    .group_segment_fixed_size: 0
    .kernarg_segment_align: 8
    .kernarg_segment_size: 304
    .language:       OpenCL C
    .language_version:
      - 2
      - 0
    .max_flat_workgroup_size: 1024
    .name:           _ZN12_GLOBAL__N_121softmax_warp_backwardIfffLi0ELb0ELb0ELi32EEEvPT0_PKT_S5_iiiPKb
    .private_segment_fixed_size: 0
    .sgpr_count:     20
    .sgpr_spill_count: 0
    .symbol:         _ZN12_GLOBAL__N_121softmax_warp_backwardIfffLi0ELb0ELb0ELi32EEEvPT0_PKT_S5_iiiPKb.kd
    .uniform_work_group_size: 1
    .uses_dynamic_stack: false
    .vgpr_count:     11
    .vgpr_spill_count: 0
    .wavefront_size: 64
  - .agpr_count:     0
    .args:
      - .address_space:  global
        .offset:         0
        .size:           8
        .value_kind:     global_buffer
      - .address_space:  global
        .offset:         8
        .size:           8
        .value_kind:     global_buffer
      - .address_space:  global
        .offset:         16
        .size:           8
        .value_kind:     global_buffer
      - .offset:         24
        .size:           4
        .value_kind:     by_value
      - .offset:         28
        .size:           4
        .value_kind:     by_value
      - .offset:         32
        .size:           4
        .value_kind:     by_value
      - .address_space:  global
        .offset:         40
        .size:           8
        .value_kind:     global_buffer
      - .offset:         48
        .size:           4
        .value_kind:     hidden_block_count_x
      - .offset:         52
        .size:           4
        .value_kind:     hidden_block_count_y
      - .offset:         56
        .size:           4
        .value_kind:     hidden_block_count_z
      - .offset:         60
        .size:           2
        .value_kind:     hidden_group_size_x
      - .offset:         62
        .size:           2
        .value_kind:     hidden_group_size_y
      - .offset:         64
        .size:           2
        .value_kind:     hidden_group_size_z
      - .offset:         66
        .size:           2
        .value_kind:     hidden_remainder_x
      - .offset:         68
        .size:           2
        .value_kind:     hidden_remainder_y
      - .offset:         70
        .size:           2
        .value_kind:     hidden_remainder_z
      - .offset:         88
        .size:           8
        .value_kind:     hidden_global_offset_x
      - .offset:         96
        .size:           8
        .value_kind:     hidden_global_offset_y
      - .offset:         104
        .size:           8
        .value_kind:     hidden_global_offset_z
      - .offset:         112
        .size:           2
        .value_kind:     hidden_grid_dims
    .group_segment_fixed_size: 0
    .kernarg_segment_align: 8
    .kernarg_segment_size: 304
    .language:       OpenCL C
    .language_version:
      - 2
      - 0
    .max_flat_workgroup_size: 1024
    .name:           _ZN12_GLOBAL__N_121softmax_warp_backwardIfffLi1ELb0ELb0ELi64EEEvPT0_PKT_S5_iiiPKb
    .private_segment_fixed_size: 0
    .sgpr_count:     20
    .sgpr_spill_count: 0
    .symbol:         _ZN12_GLOBAL__N_121softmax_warp_backwardIfffLi1ELb0ELb0ELi64EEEvPT0_PKT_S5_iiiPKb.kd
    .uniform_work_group_size: 1
    .uses_dynamic_stack: false
    .vgpr_count:     12
    .vgpr_spill_count: 0
    .wavefront_size: 64
  - .agpr_count:     0
    .args:
      - .address_space:  global
        .offset:         0
        .size:           8
        .value_kind:     global_buffer
      - .address_space:  global
        .offset:         8
        .size:           8
        .value_kind:     global_buffer
      - .address_space:  global
        .offset:         16
        .size:           8
        .value_kind:     global_buffer
      - .offset:         24
        .size:           4
        .value_kind:     by_value
      - .offset:         28
        .size:           4
        .value_kind:     by_value
      - .offset:         32
        .size:           4
        .value_kind:     by_value
      - .address_space:  global
        .offset:         40
        .size:           8
        .value_kind:     global_buffer
      - .offset:         48
        .size:           4
        .value_kind:     hidden_block_count_x
      - .offset:         52
        .size:           4
        .value_kind:     hidden_block_count_y
      - .offset:         56
        .size:           4
        .value_kind:     hidden_block_count_z
      - .offset:         60
        .size:           2
        .value_kind:     hidden_group_size_x
      - .offset:         62
        .size:           2
        .value_kind:     hidden_group_size_y
      - .offset:         64
        .size:           2
        .value_kind:     hidden_group_size_z
      - .offset:         66
        .size:           2
        .value_kind:     hidden_remainder_x
      - .offset:         68
        .size:           2
        .value_kind:     hidden_remainder_y
      - .offset:         70
        .size:           2
        .value_kind:     hidden_remainder_z
      - .offset:         88
        .size:           8
        .value_kind:     hidden_global_offset_x
      - .offset:         96
        .size:           8
        .value_kind:     hidden_global_offset_y
      - .offset:         104
        .size:           8
        .value_kind:     hidden_global_offset_z
      - .offset:         112
        .size:           2
        .value_kind:     hidden_grid_dims
    .group_segment_fixed_size: 0
    .kernarg_segment_align: 8
    .kernarg_segment_size: 304
    .language:       OpenCL C
    .language_version:
      - 2
      - 0
    .max_flat_workgroup_size: 1024
    .name:           _ZN12_GLOBAL__N_121softmax_warp_backwardIfffLi1ELb0ELb0ELi32EEEvPT0_PKT_S5_iiiPKb
    .private_segment_fixed_size: 0
    .sgpr_count:     20
    .sgpr_spill_count: 0
    .symbol:         _ZN12_GLOBAL__N_121softmax_warp_backwardIfffLi1ELb0ELb0ELi32EEEvPT0_PKT_S5_iiiPKb.kd
    .uniform_work_group_size: 1
    .uses_dynamic_stack: false
    .vgpr_count:     12
    .vgpr_spill_count: 0
    .wavefront_size: 64
  - .agpr_count:     0
    .args:
      - .address_space:  global
        .offset:         0
        .size:           8
        .value_kind:     global_buffer
      - .address_space:  global
        .offset:         8
        .size:           8
        .value_kind:     global_buffer
      - .address_space:  global
        .offset:         16
        .size:           8
        .value_kind:     global_buffer
      - .offset:         24
        .size:           4
        .value_kind:     by_value
      - .offset:         28
        .size:           4
        .value_kind:     by_value
      - .offset:         32
        .size:           4
        .value_kind:     by_value
      - .address_space:  global
        .offset:         40
        .size:           8
        .value_kind:     global_buffer
      - .offset:         48
        .size:           4
        .value_kind:     hidden_block_count_x
      - .offset:         52
        .size:           4
        .value_kind:     hidden_block_count_y
      - .offset:         56
        .size:           4
        .value_kind:     hidden_block_count_z
      - .offset:         60
        .size:           2
        .value_kind:     hidden_group_size_x
      - .offset:         62
        .size:           2
        .value_kind:     hidden_group_size_y
      - .offset:         64
        .size:           2
        .value_kind:     hidden_group_size_z
      - .offset:         66
        .size:           2
        .value_kind:     hidden_remainder_x
      - .offset:         68
        .size:           2
        .value_kind:     hidden_remainder_y
      - .offset:         70
        .size:           2
        .value_kind:     hidden_remainder_z
      - .offset:         88
        .size:           8
        .value_kind:     hidden_global_offset_x
      - .offset:         96
        .size:           8
        .value_kind:     hidden_global_offset_y
      - .offset:         104
        .size:           8
        .value_kind:     hidden_global_offset_z
      - .offset:         112
        .size:           2
        .value_kind:     hidden_grid_dims
    .group_segment_fixed_size: 0
    .kernarg_segment_align: 8
    .kernarg_segment_size: 304
    .language:       OpenCL C
    .language_version:
      - 2
      - 0
    .max_flat_workgroup_size: 1024
    .name:           _ZN12_GLOBAL__N_121softmax_warp_backwardIfffLi2ELb0ELb0ELi64EEEvPT0_PKT_S5_iiiPKb
    .private_segment_fixed_size: 0
    .sgpr_count:     20
    .sgpr_spill_count: 0
    .symbol:         _ZN12_GLOBAL__N_121softmax_warp_backwardIfffLi2ELb0ELb0ELi64EEEvPT0_PKT_S5_iiiPKb.kd
    .uniform_work_group_size: 1
    .uses_dynamic_stack: false
    .vgpr_count:     14
    .vgpr_spill_count: 0
    .wavefront_size: 64
  - .agpr_count:     0
    .args:
      - .address_space:  global
        .offset:         0
        .size:           8
        .value_kind:     global_buffer
      - .address_space:  global
        .offset:         8
        .size:           8
        .value_kind:     global_buffer
      - .address_space:  global
        .offset:         16
        .size:           8
        .value_kind:     global_buffer
      - .offset:         24
        .size:           4
        .value_kind:     by_value
      - .offset:         28
        .size:           4
        .value_kind:     by_value
      - .offset:         32
        .size:           4
        .value_kind:     by_value
      - .address_space:  global
        .offset:         40
        .size:           8
        .value_kind:     global_buffer
      - .offset:         48
        .size:           4
        .value_kind:     hidden_block_count_x
      - .offset:         52
        .size:           4
        .value_kind:     hidden_block_count_y
      - .offset:         56
        .size:           4
        .value_kind:     hidden_block_count_z
      - .offset:         60
        .size:           2
        .value_kind:     hidden_group_size_x
      - .offset:         62
        .size:           2
        .value_kind:     hidden_group_size_y
      - .offset:         64
        .size:           2
        .value_kind:     hidden_group_size_z
      - .offset:         66
        .size:           2
        .value_kind:     hidden_remainder_x
      - .offset:         68
        .size:           2
        .value_kind:     hidden_remainder_y
      - .offset:         70
        .size:           2
        .value_kind:     hidden_remainder_z
      - .offset:         88
        .size:           8
        .value_kind:     hidden_global_offset_x
      - .offset:         96
        .size:           8
        .value_kind:     hidden_global_offset_y
      - .offset:         104
        .size:           8
        .value_kind:     hidden_global_offset_z
      - .offset:         112
        .size:           2
        .value_kind:     hidden_grid_dims
    .group_segment_fixed_size: 0
    .kernarg_segment_align: 8
    .kernarg_segment_size: 304
    .language:       OpenCL C
    .language_version:
      - 2
      - 0
    .max_flat_workgroup_size: 1024
    .name:           _ZN12_GLOBAL__N_121softmax_warp_backwardIfffLi2ELb0ELb0ELi32EEEvPT0_PKT_S5_iiiPKb
    .private_segment_fixed_size: 0
    .sgpr_count:     20
    .sgpr_spill_count: 0
    .symbol:         _ZN12_GLOBAL__N_121softmax_warp_backwardIfffLi2ELb0ELb0ELi32EEEvPT0_PKT_S5_iiiPKb.kd
    .uniform_work_group_size: 1
    .uses_dynamic_stack: false
    .vgpr_count:     14
    .vgpr_spill_count: 0
    .wavefront_size: 64
  - .agpr_count:     0
    .args:
      - .address_space:  global
        .offset:         0
        .size:           8
        .value_kind:     global_buffer
      - .address_space:  global
        .offset:         8
        .size:           8
        .value_kind:     global_buffer
      - .address_space:  global
        .offset:         16
        .size:           8
        .value_kind:     global_buffer
      - .offset:         24
        .size:           4
        .value_kind:     by_value
      - .offset:         28
        .size:           4
        .value_kind:     by_value
      - .offset:         32
        .size:           4
        .value_kind:     by_value
      - .address_space:  global
        .offset:         40
        .size:           8
        .value_kind:     global_buffer
      - .offset:         48
        .size:           4
        .value_kind:     hidden_block_count_x
      - .offset:         52
        .size:           4
        .value_kind:     hidden_block_count_y
      - .offset:         56
        .size:           4
        .value_kind:     hidden_block_count_z
      - .offset:         60
        .size:           2
        .value_kind:     hidden_group_size_x
      - .offset:         62
        .size:           2
        .value_kind:     hidden_group_size_y
      - .offset:         64
        .size:           2
        .value_kind:     hidden_group_size_z
      - .offset:         66
        .size:           2
        .value_kind:     hidden_remainder_x
      - .offset:         68
        .size:           2
        .value_kind:     hidden_remainder_y
      - .offset:         70
        .size:           2
        .value_kind:     hidden_remainder_z
      - .offset:         88
        .size:           8
        .value_kind:     hidden_global_offset_x
      - .offset:         96
        .size:           8
        .value_kind:     hidden_global_offset_y
      - .offset:         104
        .size:           8
        .value_kind:     hidden_global_offset_z
      - .offset:         112
        .size:           2
        .value_kind:     hidden_grid_dims
    .group_segment_fixed_size: 0
    .kernarg_segment_align: 8
    .kernarg_segment_size: 304
    .language:       OpenCL C
    .language_version:
      - 2
      - 0
    .max_flat_workgroup_size: 1024
    .name:           _ZN12_GLOBAL__N_121softmax_warp_backwardIfffLi3ELb0ELb0ELi64EEEvPT0_PKT_S5_iiiPKb
    .private_segment_fixed_size: 0
    .sgpr_count:     20
    .sgpr_spill_count: 0
    .symbol:         _ZN12_GLOBAL__N_121softmax_warp_backwardIfffLi3ELb0ELb0ELi64EEEvPT0_PKT_S5_iiiPKb.kd
    .uniform_work_group_size: 1
    .uses_dynamic_stack: false
    .vgpr_count:     14
    .vgpr_spill_count: 0
    .wavefront_size: 64
  - .agpr_count:     0
    .args:
      - .address_space:  global
        .offset:         0
        .size:           8
        .value_kind:     global_buffer
      - .address_space:  global
        .offset:         8
        .size:           8
        .value_kind:     global_buffer
      - .address_space:  global
        .offset:         16
        .size:           8
        .value_kind:     global_buffer
      - .offset:         24
        .size:           4
        .value_kind:     by_value
      - .offset:         28
        .size:           4
        .value_kind:     by_value
      - .offset:         32
        .size:           4
        .value_kind:     by_value
      - .address_space:  global
        .offset:         40
        .size:           8
        .value_kind:     global_buffer
      - .offset:         48
        .size:           4
        .value_kind:     hidden_block_count_x
      - .offset:         52
        .size:           4
        .value_kind:     hidden_block_count_y
      - .offset:         56
        .size:           4
        .value_kind:     hidden_block_count_z
      - .offset:         60
        .size:           2
        .value_kind:     hidden_group_size_x
      - .offset:         62
        .size:           2
        .value_kind:     hidden_group_size_y
      - .offset:         64
        .size:           2
        .value_kind:     hidden_group_size_z
      - .offset:         66
        .size:           2
        .value_kind:     hidden_remainder_x
      - .offset:         68
        .size:           2
        .value_kind:     hidden_remainder_y
      - .offset:         70
        .size:           2
        .value_kind:     hidden_remainder_z
      - .offset:         88
        .size:           8
        .value_kind:     hidden_global_offset_x
      - .offset:         96
        .size:           8
        .value_kind:     hidden_global_offset_y
      - .offset:         104
        .size:           8
        .value_kind:     hidden_global_offset_z
      - .offset:         112
        .size:           2
        .value_kind:     hidden_grid_dims
    .group_segment_fixed_size: 0
    .kernarg_segment_align: 8
    .kernarg_segment_size: 304
    .language:       OpenCL C
    .language_version:
      - 2
      - 0
    .max_flat_workgroup_size: 1024
    .name:           _ZN12_GLOBAL__N_121softmax_warp_backwardIfffLi3ELb0ELb0ELi32EEEvPT0_PKT_S5_iiiPKb
    .private_segment_fixed_size: 0
    .sgpr_count:     20
    .sgpr_spill_count: 0
    .symbol:         _ZN12_GLOBAL__N_121softmax_warp_backwardIfffLi3ELb0ELb0ELi32EEEvPT0_PKT_S5_iiiPKb.kd
    .uniform_work_group_size: 1
    .uses_dynamic_stack: false
    .vgpr_count:     14
    .vgpr_spill_count: 0
    .wavefront_size: 64
  - .agpr_count:     0
    .args:
      - .address_space:  global
        .offset:         0
        .size:           8
        .value_kind:     global_buffer
      - .address_space:  global
        .offset:         8
        .size:           8
        .value_kind:     global_buffer
      - .address_space:  global
        .offset:         16
        .size:           8
        .value_kind:     global_buffer
      - .offset:         24
        .size:           4
        .value_kind:     by_value
      - .offset:         28
        .size:           4
        .value_kind:     by_value
      - .offset:         32
        .size:           4
        .value_kind:     by_value
      - .address_space:  global
        .offset:         40
        .size:           8
        .value_kind:     global_buffer
      - .offset:         48
        .size:           4
        .value_kind:     hidden_block_count_x
      - .offset:         52
        .size:           4
        .value_kind:     hidden_block_count_y
      - .offset:         56
        .size:           4
        .value_kind:     hidden_block_count_z
      - .offset:         60
        .size:           2
        .value_kind:     hidden_group_size_x
      - .offset:         62
        .size:           2
        .value_kind:     hidden_group_size_y
      - .offset:         64
        .size:           2
        .value_kind:     hidden_group_size_z
      - .offset:         66
        .size:           2
        .value_kind:     hidden_remainder_x
      - .offset:         68
        .size:           2
        .value_kind:     hidden_remainder_y
      - .offset:         70
        .size:           2
        .value_kind:     hidden_remainder_z
      - .offset:         88
        .size:           8
        .value_kind:     hidden_global_offset_x
      - .offset:         96
        .size:           8
        .value_kind:     hidden_global_offset_y
      - .offset:         104
        .size:           8
        .value_kind:     hidden_global_offset_z
      - .offset:         112
        .size:           2
        .value_kind:     hidden_grid_dims
    .group_segment_fixed_size: 0
    .kernarg_segment_align: 8
    .kernarg_segment_size: 304
    .language:       OpenCL C
    .language_version:
      - 2
      - 0
    .max_flat_workgroup_size: 1024
    .name:           _ZN12_GLOBAL__N_121softmax_warp_backwardIfffLi4ELb0ELb0ELi64EEEvPT0_PKT_S5_iiiPKb
    .private_segment_fixed_size: 0
    .sgpr_count:     20
    .sgpr_spill_count: 0
    .symbol:         _ZN12_GLOBAL__N_121softmax_warp_backwardIfffLi4ELb0ELb0ELi64EEEvPT0_PKT_S5_iiiPKb.kd
    .uniform_work_group_size: 1
    .uses_dynamic_stack: false
    .vgpr_count:     14
    .vgpr_spill_count: 0
    .wavefront_size: 64
  - .agpr_count:     0
    .args:
      - .address_space:  global
        .offset:         0
        .size:           8
        .value_kind:     global_buffer
      - .address_space:  global
        .offset:         8
        .size:           8
        .value_kind:     global_buffer
      - .address_space:  global
        .offset:         16
        .size:           8
        .value_kind:     global_buffer
      - .offset:         24
        .size:           4
        .value_kind:     by_value
      - .offset:         28
        .size:           4
        .value_kind:     by_value
      - .offset:         32
        .size:           4
        .value_kind:     by_value
      - .address_space:  global
        .offset:         40
        .size:           8
        .value_kind:     global_buffer
      - .offset:         48
        .size:           4
        .value_kind:     hidden_block_count_x
      - .offset:         52
        .size:           4
        .value_kind:     hidden_block_count_y
      - .offset:         56
        .size:           4
        .value_kind:     hidden_block_count_z
      - .offset:         60
        .size:           2
        .value_kind:     hidden_group_size_x
      - .offset:         62
        .size:           2
        .value_kind:     hidden_group_size_y
      - .offset:         64
        .size:           2
        .value_kind:     hidden_group_size_z
      - .offset:         66
        .size:           2
        .value_kind:     hidden_remainder_x
      - .offset:         68
        .size:           2
        .value_kind:     hidden_remainder_y
      - .offset:         70
        .size:           2
        .value_kind:     hidden_remainder_z
      - .offset:         88
        .size:           8
        .value_kind:     hidden_global_offset_x
      - .offset:         96
        .size:           8
        .value_kind:     hidden_global_offset_y
      - .offset:         104
        .size:           8
        .value_kind:     hidden_global_offset_z
      - .offset:         112
        .size:           2
        .value_kind:     hidden_grid_dims
    .group_segment_fixed_size: 0
    .kernarg_segment_align: 8
    .kernarg_segment_size: 304
    .language:       OpenCL C
    .language_version:
      - 2
      - 0
    .max_flat_workgroup_size: 1024
    .name:           _ZN12_GLOBAL__N_121softmax_warp_backwardIfffLi4ELb0ELb0ELi32EEEvPT0_PKT_S5_iiiPKb
    .private_segment_fixed_size: 0
    .sgpr_count:     20
    .sgpr_spill_count: 0
    .symbol:         _ZN12_GLOBAL__N_121softmax_warp_backwardIfffLi4ELb0ELb0ELi32EEEvPT0_PKT_S5_iiiPKb.kd
    .uniform_work_group_size: 1
    .uses_dynamic_stack: false
    .vgpr_count:     14
    .vgpr_spill_count: 0
    .wavefront_size: 64
  - .agpr_count:     0
    .args:
      - .address_space:  global
        .offset:         0
        .size:           8
        .value_kind:     global_buffer
      - .address_space:  global
        .offset:         8
        .size:           8
        .value_kind:     global_buffer
      - .address_space:  global
        .offset:         16
        .size:           8
        .value_kind:     global_buffer
      - .offset:         24
        .size:           4
        .value_kind:     by_value
      - .offset:         28
        .size:           4
        .value_kind:     by_value
      - .offset:         32
        .size:           4
        .value_kind:     by_value
      - .address_space:  global
        .offset:         40
        .size:           8
        .value_kind:     global_buffer
      - .offset:         48
        .size:           4
        .value_kind:     hidden_block_count_x
      - .offset:         52
        .size:           4
        .value_kind:     hidden_block_count_y
      - .offset:         56
        .size:           4
        .value_kind:     hidden_block_count_z
      - .offset:         60
        .size:           2
        .value_kind:     hidden_group_size_x
      - .offset:         62
        .size:           2
        .value_kind:     hidden_group_size_y
      - .offset:         64
        .size:           2
        .value_kind:     hidden_group_size_z
      - .offset:         66
        .size:           2
        .value_kind:     hidden_remainder_x
      - .offset:         68
        .size:           2
        .value_kind:     hidden_remainder_y
      - .offset:         70
        .size:           2
        .value_kind:     hidden_remainder_z
      - .offset:         88
        .size:           8
        .value_kind:     hidden_global_offset_x
      - .offset:         96
        .size:           8
        .value_kind:     hidden_global_offset_y
      - .offset:         104
        .size:           8
        .value_kind:     hidden_global_offset_z
      - .offset:         112
        .size:           2
        .value_kind:     hidden_grid_dims
    .group_segment_fixed_size: 0
    .kernarg_segment_align: 8
    .kernarg_segment_size: 304
    .language:       OpenCL C
    .language_version:
      - 2
      - 0
    .max_flat_workgroup_size: 1024
    .name:           _ZN12_GLOBAL__N_121softmax_warp_backwardIfffLi5ELb0ELb0ELi64EEEvPT0_PKT_S5_iiiPKb
    .private_segment_fixed_size: 0
    .sgpr_count:     20
    .sgpr_spill_count: 0
    .symbol:         _ZN12_GLOBAL__N_121softmax_warp_backwardIfffLi5ELb0ELb0ELi64EEEvPT0_PKT_S5_iiiPKb.kd
    .uniform_work_group_size: 1
    .uses_dynamic_stack: false
    .vgpr_count:     14
    .vgpr_spill_count: 0
    .wavefront_size: 64
  - .agpr_count:     0
    .args:
      - .address_space:  global
        .offset:         0
        .size:           8
        .value_kind:     global_buffer
      - .address_space:  global
        .offset:         8
        .size:           8
        .value_kind:     global_buffer
      - .address_space:  global
        .offset:         16
        .size:           8
        .value_kind:     global_buffer
      - .offset:         24
        .size:           4
        .value_kind:     by_value
      - .offset:         28
        .size:           4
        .value_kind:     by_value
      - .offset:         32
        .size:           4
        .value_kind:     by_value
      - .address_space:  global
        .offset:         40
        .size:           8
        .value_kind:     global_buffer
      - .offset:         48
        .size:           4
        .value_kind:     hidden_block_count_x
      - .offset:         52
        .size:           4
        .value_kind:     hidden_block_count_y
      - .offset:         56
        .size:           4
        .value_kind:     hidden_block_count_z
      - .offset:         60
        .size:           2
        .value_kind:     hidden_group_size_x
      - .offset:         62
        .size:           2
        .value_kind:     hidden_group_size_y
      - .offset:         64
        .size:           2
        .value_kind:     hidden_group_size_z
      - .offset:         66
        .size:           2
        .value_kind:     hidden_remainder_x
      - .offset:         68
        .size:           2
        .value_kind:     hidden_remainder_y
      - .offset:         70
        .size:           2
        .value_kind:     hidden_remainder_z
      - .offset:         88
        .size:           8
        .value_kind:     hidden_global_offset_x
      - .offset:         96
        .size:           8
        .value_kind:     hidden_global_offset_y
      - .offset:         104
        .size:           8
        .value_kind:     hidden_global_offset_z
      - .offset:         112
        .size:           2
        .value_kind:     hidden_grid_dims
    .group_segment_fixed_size: 0
    .kernarg_segment_align: 8
    .kernarg_segment_size: 304
    .language:       OpenCL C
    .language_version:
      - 2
      - 0
    .max_flat_workgroup_size: 1024
    .name:           _ZN12_GLOBAL__N_121softmax_warp_backwardIfffLi5ELb0ELb0ELi32EEEvPT0_PKT_S5_iiiPKb
    .private_segment_fixed_size: 0
    .sgpr_count:     20
    .sgpr_spill_count: 0
    .symbol:         _ZN12_GLOBAL__N_121softmax_warp_backwardIfffLi5ELb0ELb0ELi32EEEvPT0_PKT_S5_iiiPKb.kd
    .uniform_work_group_size: 1
    .uses_dynamic_stack: false
    .vgpr_count:     14
    .vgpr_spill_count: 0
    .wavefront_size: 64
  - .agpr_count:     0
    .args:
      - .address_space:  global
        .offset:         0
        .size:           8
        .value_kind:     global_buffer
      - .address_space:  global
        .offset:         8
        .size:           8
        .value_kind:     global_buffer
      - .address_space:  global
        .offset:         16
        .size:           8
        .value_kind:     global_buffer
      - .offset:         24
        .size:           4
        .value_kind:     by_value
      - .offset:         28
        .size:           4
        .value_kind:     by_value
      - .offset:         32
        .size:           4
        .value_kind:     by_value
      - .address_space:  global
        .offset:         40
        .size:           8
        .value_kind:     global_buffer
      - .offset:         48
        .size:           4
        .value_kind:     hidden_block_count_x
      - .offset:         52
        .size:           4
        .value_kind:     hidden_block_count_y
      - .offset:         56
        .size:           4
        .value_kind:     hidden_block_count_z
      - .offset:         60
        .size:           2
        .value_kind:     hidden_group_size_x
      - .offset:         62
        .size:           2
        .value_kind:     hidden_group_size_y
      - .offset:         64
        .size:           2
        .value_kind:     hidden_group_size_z
      - .offset:         66
        .size:           2
        .value_kind:     hidden_remainder_x
      - .offset:         68
        .size:           2
        .value_kind:     hidden_remainder_y
      - .offset:         70
        .size:           2
        .value_kind:     hidden_remainder_z
      - .offset:         88
        .size:           8
        .value_kind:     hidden_global_offset_x
      - .offset:         96
        .size:           8
        .value_kind:     hidden_global_offset_y
      - .offset:         104
        .size:           8
        .value_kind:     hidden_global_offset_z
      - .offset:         112
        .size:           2
        .value_kind:     hidden_grid_dims
    .group_segment_fixed_size: 0
    .kernarg_segment_align: 8
    .kernarg_segment_size: 304
    .language:       OpenCL C
    .language_version:
      - 2
      - 0
    .max_flat_workgroup_size: 1024
    .name:           _ZN12_GLOBAL__N_121softmax_warp_backwardIfffLi6ELb0ELb0ELi64EEEvPT0_PKT_S5_iiiPKb
    .private_segment_fixed_size: 0
    .sgpr_count:     20
    .sgpr_spill_count: 0
    .symbol:         _ZN12_GLOBAL__N_121softmax_warp_backwardIfffLi6ELb0ELb0ELi64EEEvPT0_PKT_S5_iiiPKb.kd
    .uniform_work_group_size: 1
    .uses_dynamic_stack: false
    .vgpr_count:     14
    .vgpr_spill_count: 0
    .wavefront_size: 64
  - .agpr_count:     0
    .args:
      - .address_space:  global
        .offset:         0
        .size:           8
        .value_kind:     global_buffer
      - .address_space:  global
        .offset:         8
        .size:           8
        .value_kind:     global_buffer
      - .address_space:  global
        .offset:         16
        .size:           8
        .value_kind:     global_buffer
      - .offset:         24
        .size:           4
        .value_kind:     by_value
      - .offset:         28
        .size:           4
        .value_kind:     by_value
      - .offset:         32
        .size:           4
        .value_kind:     by_value
      - .address_space:  global
        .offset:         40
        .size:           8
        .value_kind:     global_buffer
      - .offset:         48
        .size:           4
        .value_kind:     hidden_block_count_x
      - .offset:         52
        .size:           4
        .value_kind:     hidden_block_count_y
      - .offset:         56
        .size:           4
        .value_kind:     hidden_block_count_z
      - .offset:         60
        .size:           2
        .value_kind:     hidden_group_size_x
      - .offset:         62
        .size:           2
        .value_kind:     hidden_group_size_y
      - .offset:         64
        .size:           2
        .value_kind:     hidden_group_size_z
      - .offset:         66
        .size:           2
        .value_kind:     hidden_remainder_x
      - .offset:         68
        .size:           2
        .value_kind:     hidden_remainder_y
      - .offset:         70
        .size:           2
        .value_kind:     hidden_remainder_z
      - .offset:         88
        .size:           8
        .value_kind:     hidden_global_offset_x
      - .offset:         96
        .size:           8
        .value_kind:     hidden_global_offset_y
      - .offset:         104
        .size:           8
        .value_kind:     hidden_global_offset_z
      - .offset:         112
        .size:           2
        .value_kind:     hidden_grid_dims
    .group_segment_fixed_size: 0
    .kernarg_segment_align: 8
    .kernarg_segment_size: 304
    .language:       OpenCL C
    .language_version:
      - 2
      - 0
    .max_flat_workgroup_size: 1024
    .name:           _ZN12_GLOBAL__N_121softmax_warp_backwardIfffLi6ELb0ELb0ELi32EEEvPT0_PKT_S5_iiiPKb
    .private_segment_fixed_size: 0
    .sgpr_count:     20
    .sgpr_spill_count: 0
    .symbol:         _ZN12_GLOBAL__N_121softmax_warp_backwardIfffLi6ELb0ELb0ELi32EEEvPT0_PKT_S5_iiiPKb.kd
    .uniform_work_group_size: 1
    .uses_dynamic_stack: false
    .vgpr_count:     18
    .vgpr_spill_count: 0
    .wavefront_size: 64
  - .agpr_count:     0
    .args:
      - .address_space:  global
        .offset:         0
        .size:           8
        .value_kind:     global_buffer
      - .address_space:  global
        .offset:         8
        .size:           8
        .value_kind:     global_buffer
      - .address_space:  global
        .offset:         16
        .size:           8
        .value_kind:     global_buffer
      - .offset:         24
        .size:           4
        .value_kind:     by_value
      - .offset:         28
        .size:           4
        .value_kind:     by_value
      - .offset:         32
        .size:           4
        .value_kind:     by_value
      - .address_space:  global
        .offset:         40
        .size:           8
        .value_kind:     global_buffer
      - .offset:         48
        .size:           4
        .value_kind:     hidden_block_count_x
      - .offset:         52
        .size:           4
        .value_kind:     hidden_block_count_y
      - .offset:         56
        .size:           4
        .value_kind:     hidden_block_count_z
      - .offset:         60
        .size:           2
        .value_kind:     hidden_group_size_x
      - .offset:         62
        .size:           2
        .value_kind:     hidden_group_size_y
      - .offset:         64
        .size:           2
        .value_kind:     hidden_group_size_z
      - .offset:         66
        .size:           2
        .value_kind:     hidden_remainder_x
      - .offset:         68
        .size:           2
        .value_kind:     hidden_remainder_y
      - .offset:         70
        .size:           2
        .value_kind:     hidden_remainder_z
      - .offset:         88
        .size:           8
        .value_kind:     hidden_global_offset_x
      - .offset:         96
        .size:           8
        .value_kind:     hidden_global_offset_y
      - .offset:         104
        .size:           8
        .value_kind:     hidden_global_offset_z
      - .offset:         112
        .size:           2
        .value_kind:     hidden_grid_dims
    .group_segment_fixed_size: 0
    .kernarg_segment_align: 8
    .kernarg_segment_size: 304
    .language:       OpenCL C
    .language_version:
      - 2
      - 0
    .max_flat_workgroup_size: 1024
    .name:           _ZN12_GLOBAL__N_121softmax_warp_backwardIfffLi7ELb0ELb0ELi64EEEvPT0_PKT_S5_iiiPKb
    .private_segment_fixed_size: 0
    .sgpr_count:     20
    .sgpr_spill_count: 0
    .symbol:         _ZN12_GLOBAL__N_121softmax_warp_backwardIfffLi7ELb0ELb0ELi64EEEvPT0_PKT_S5_iiiPKb.kd
    .uniform_work_group_size: 1
    .uses_dynamic_stack: false
    .vgpr_count:     18
    .vgpr_spill_count: 0
    .wavefront_size: 64
  - .agpr_count:     0
    .args:
      - .address_space:  global
        .offset:         0
        .size:           8
        .value_kind:     global_buffer
      - .address_space:  global
        .offset:         8
        .size:           8
        .value_kind:     global_buffer
      - .address_space:  global
        .offset:         16
        .size:           8
        .value_kind:     global_buffer
      - .offset:         24
        .size:           4
        .value_kind:     by_value
      - .offset:         28
        .size:           4
        .value_kind:     by_value
      - .offset:         32
        .size:           4
        .value_kind:     by_value
      - .address_space:  global
        .offset:         40
        .size:           8
        .value_kind:     global_buffer
      - .offset:         48
        .size:           4
        .value_kind:     hidden_block_count_x
      - .offset:         52
        .size:           4
        .value_kind:     hidden_block_count_y
      - .offset:         56
        .size:           4
        .value_kind:     hidden_block_count_z
      - .offset:         60
        .size:           2
        .value_kind:     hidden_group_size_x
      - .offset:         62
        .size:           2
        .value_kind:     hidden_group_size_y
      - .offset:         64
        .size:           2
        .value_kind:     hidden_group_size_z
      - .offset:         66
        .size:           2
        .value_kind:     hidden_remainder_x
      - .offset:         68
        .size:           2
        .value_kind:     hidden_remainder_y
      - .offset:         70
        .size:           2
        .value_kind:     hidden_remainder_z
      - .offset:         88
        .size:           8
        .value_kind:     hidden_global_offset_x
      - .offset:         96
        .size:           8
        .value_kind:     hidden_global_offset_y
      - .offset:         104
        .size:           8
        .value_kind:     hidden_global_offset_z
      - .offset:         112
        .size:           2
        .value_kind:     hidden_grid_dims
    .group_segment_fixed_size: 0
    .kernarg_segment_align: 8
    .kernarg_segment_size: 304
    .language:       OpenCL C
    .language_version:
      - 2
      - 0
    .max_flat_workgroup_size: 1024
    .name:           _ZN12_GLOBAL__N_121softmax_warp_backwardIfffLi7ELb0ELb0ELi32EEEvPT0_PKT_S5_iiiPKb
    .private_segment_fixed_size: 0
    .sgpr_count:     24
    .sgpr_spill_count: 0
    .symbol:         _ZN12_GLOBAL__N_121softmax_warp_backwardIfffLi7ELb0ELb0ELi32EEEvPT0_PKT_S5_iiiPKb.kd
    .uniform_work_group_size: 1
    .uses_dynamic_stack: false
    .vgpr_count:     26
    .vgpr_spill_count: 0
    .wavefront_size: 64
  - .agpr_count:     0
    .args:
      - .address_space:  global
        .offset:         0
        .size:           8
        .value_kind:     global_buffer
      - .address_space:  global
        .offset:         8
        .size:           8
        .value_kind:     global_buffer
      - .address_space:  global
        .offset:         16
        .size:           8
        .value_kind:     global_buffer
      - .offset:         24
        .size:           4
        .value_kind:     by_value
      - .offset:         28
        .size:           4
        .value_kind:     by_value
      - .offset:         32
        .size:           4
        .value_kind:     by_value
      - .address_space:  global
        .offset:         40
        .size:           8
        .value_kind:     global_buffer
      - .offset:         48
        .size:           4
        .value_kind:     hidden_block_count_x
      - .offset:         52
        .size:           4
        .value_kind:     hidden_block_count_y
      - .offset:         56
        .size:           4
        .value_kind:     hidden_block_count_z
      - .offset:         60
        .size:           2
        .value_kind:     hidden_group_size_x
      - .offset:         62
        .size:           2
        .value_kind:     hidden_group_size_y
      - .offset:         64
        .size:           2
        .value_kind:     hidden_group_size_z
      - .offset:         66
        .size:           2
        .value_kind:     hidden_remainder_x
      - .offset:         68
        .size:           2
        .value_kind:     hidden_remainder_y
      - .offset:         70
        .size:           2
        .value_kind:     hidden_remainder_z
      - .offset:         88
        .size:           8
        .value_kind:     hidden_global_offset_x
      - .offset:         96
        .size:           8
        .value_kind:     hidden_global_offset_y
      - .offset:         104
        .size:           8
        .value_kind:     hidden_global_offset_z
      - .offset:         112
        .size:           2
        .value_kind:     hidden_grid_dims
    .group_segment_fixed_size: 0
    .kernarg_segment_align: 8
    .kernarg_segment_size: 304
    .language:       OpenCL C
    .language_version:
      - 2
      - 0
    .max_flat_workgroup_size: 1024
    .name:           _ZN12_GLOBAL__N_121softmax_warp_backwardIfffLi8ELb0ELb0ELi64EEEvPT0_PKT_S5_iiiPKb
    .private_segment_fixed_size: 0
    .sgpr_count:     20
    .sgpr_spill_count: 0
    .symbol:         _ZN12_GLOBAL__N_121softmax_warp_backwardIfffLi8ELb0ELb0ELi64EEEvPT0_PKT_S5_iiiPKb.kd
    .uniform_work_group_size: 1
    .uses_dynamic_stack: false
    .vgpr_count:     15
    .vgpr_spill_count: 0
    .wavefront_size: 64
  - .agpr_count:     0
    .args:
      - .address_space:  global
        .offset:         0
        .size:           8
        .value_kind:     global_buffer
      - .address_space:  global
        .offset:         8
        .size:           8
        .value_kind:     global_buffer
      - .address_space:  global
        .offset:         16
        .size:           8
        .value_kind:     global_buffer
      - .offset:         24
        .size:           4
        .value_kind:     by_value
      - .offset:         28
        .size:           4
        .value_kind:     by_value
      - .offset:         32
        .size:           4
        .value_kind:     by_value
      - .address_space:  global
        .offset:         40
        .size:           8
        .value_kind:     global_buffer
      - .offset:         48
        .size:           4
        .value_kind:     hidden_block_count_x
      - .offset:         52
        .size:           4
        .value_kind:     hidden_block_count_y
      - .offset:         56
        .size:           4
        .value_kind:     hidden_block_count_z
      - .offset:         60
        .size:           2
        .value_kind:     hidden_group_size_x
      - .offset:         62
        .size:           2
        .value_kind:     hidden_group_size_y
      - .offset:         64
        .size:           2
        .value_kind:     hidden_group_size_z
      - .offset:         66
        .size:           2
        .value_kind:     hidden_remainder_x
      - .offset:         68
        .size:           2
        .value_kind:     hidden_remainder_y
      - .offset:         70
        .size:           2
        .value_kind:     hidden_remainder_z
      - .offset:         88
        .size:           8
        .value_kind:     hidden_global_offset_x
      - .offset:         96
        .size:           8
        .value_kind:     hidden_global_offset_y
      - .offset:         104
        .size:           8
        .value_kind:     hidden_global_offset_z
      - .offset:         112
        .size:           2
        .value_kind:     hidden_grid_dims
    .group_segment_fixed_size: 0
    .kernarg_segment_align: 8
    .kernarg_segment_size: 304
    .language:       OpenCL C
    .language_version:
      - 2
      - 0
    .max_flat_workgroup_size: 1024
    .name:           _ZN12_GLOBAL__N_121softmax_warp_backwardIfffLi8ELb0ELb0ELi32EEEvPT0_PKT_S5_iiiPKb
    .private_segment_fixed_size: 0
    .sgpr_count:     28
    .sgpr_spill_count: 0
    .symbol:         _ZN12_GLOBAL__N_121softmax_warp_backwardIfffLi8ELb0ELb0ELi32EEEvPT0_PKT_S5_iiiPKb.kd
    .uniform_work_group_size: 1
    .uses_dynamic_stack: false
    .vgpr_count:     23
    .vgpr_spill_count: 0
    .wavefront_size: 64
  - .agpr_count:     0
    .args:
      - .address_space:  global
        .offset:         0
        .size:           8
        .value_kind:     global_buffer
      - .address_space:  global
        .offset:         8
        .size:           8
        .value_kind:     global_buffer
      - .address_space:  global
        .offset:         16
        .size:           8
        .value_kind:     global_buffer
      - .offset:         24
        .size:           4
        .value_kind:     by_value
      - .offset:         28
        .size:           4
        .value_kind:     by_value
      - .offset:         32
        .size:           4
        .value_kind:     by_value
      - .address_space:  global
        .offset:         40
        .size:           8
        .value_kind:     global_buffer
      - .offset:         48
        .size:           4
        .value_kind:     hidden_block_count_x
      - .offset:         52
        .size:           4
        .value_kind:     hidden_block_count_y
      - .offset:         56
        .size:           4
        .value_kind:     hidden_block_count_z
      - .offset:         60
        .size:           2
        .value_kind:     hidden_group_size_x
      - .offset:         62
        .size:           2
        .value_kind:     hidden_group_size_y
      - .offset:         64
        .size:           2
        .value_kind:     hidden_group_size_z
      - .offset:         66
        .size:           2
        .value_kind:     hidden_remainder_x
      - .offset:         68
        .size:           2
        .value_kind:     hidden_remainder_y
      - .offset:         70
        .size:           2
        .value_kind:     hidden_remainder_z
      - .offset:         88
        .size:           8
        .value_kind:     hidden_global_offset_x
      - .offset:         96
        .size:           8
        .value_kind:     hidden_global_offset_y
      - .offset:         104
        .size:           8
        .value_kind:     hidden_global_offset_z
      - .offset:         112
        .size:           2
        .value_kind:     hidden_grid_dims
    .group_segment_fixed_size: 0
    .kernarg_segment_align: 8
    .kernarg_segment_size: 304
    .language:       OpenCL C
    .language_version:
      - 2
      - 0
    .max_flat_workgroup_size: 1024
    .name:           _ZN12_GLOBAL__N_121softmax_warp_backwardIfffLi9ELb0ELb0ELi64EEEvPT0_PKT_S5_iiiPKb
    .private_segment_fixed_size: 0
    .sgpr_count:     28
    .sgpr_spill_count: 0
    .symbol:         _ZN12_GLOBAL__N_121softmax_warp_backwardIfffLi9ELb0ELb0ELi64EEEvPT0_PKT_S5_iiiPKb.kd
    .uniform_work_group_size: 1
    .uses_dynamic_stack: false
    .vgpr_count:     23
    .vgpr_spill_count: 0
    .wavefront_size: 64
  - .agpr_count:     0
    .args:
      - .address_space:  global
        .offset:         0
        .size:           8
        .value_kind:     global_buffer
      - .address_space:  global
        .offset:         8
        .size:           8
        .value_kind:     global_buffer
      - .address_space:  global
        .offset:         16
        .size:           8
        .value_kind:     global_buffer
      - .offset:         24
        .size:           4
        .value_kind:     by_value
      - .offset:         28
        .size:           4
        .value_kind:     by_value
      - .offset:         32
        .size:           4
        .value_kind:     by_value
      - .address_space:  global
        .offset:         40
        .size:           8
        .value_kind:     global_buffer
      - .offset:         48
        .size:           4
        .value_kind:     hidden_block_count_x
      - .offset:         52
        .size:           4
        .value_kind:     hidden_block_count_y
      - .offset:         56
        .size:           4
        .value_kind:     hidden_block_count_z
      - .offset:         60
        .size:           2
        .value_kind:     hidden_group_size_x
      - .offset:         62
        .size:           2
        .value_kind:     hidden_group_size_y
      - .offset:         64
        .size:           2
        .value_kind:     hidden_group_size_z
      - .offset:         66
        .size:           2
        .value_kind:     hidden_remainder_x
      - .offset:         68
        .size:           2
        .value_kind:     hidden_remainder_y
      - .offset:         70
        .size:           2
        .value_kind:     hidden_remainder_z
      - .offset:         88
        .size:           8
        .value_kind:     hidden_global_offset_x
      - .offset:         96
        .size:           8
        .value_kind:     hidden_global_offset_y
      - .offset:         104
        .size:           8
        .value_kind:     hidden_global_offset_z
      - .offset:         112
        .size:           2
        .value_kind:     hidden_grid_dims
    .group_segment_fixed_size: 0
    .kernarg_segment_align: 8
    .kernarg_segment_size: 304
    .language:       OpenCL C
    .language_version:
      - 2
      - 0
    .max_flat_workgroup_size: 1024
    .name:           _ZN12_GLOBAL__N_121softmax_warp_backwardIfffLi9ELb0ELb0ELi32EEEvPT0_PKT_S5_iiiPKb
    .private_segment_fixed_size: 0
    .sgpr_count:     44
    .sgpr_spill_count: 0
    .symbol:         _ZN12_GLOBAL__N_121softmax_warp_backwardIfffLi9ELb0ELb0ELi32EEEvPT0_PKT_S5_iiiPKb.kd
    .uniform_work_group_size: 1
    .uses_dynamic_stack: false
    .vgpr_count:     39
    .vgpr_spill_count: 0
    .wavefront_size: 64
  - .agpr_count:     0
    .args:
      - .address_space:  global
        .offset:         0
        .size:           8
        .value_kind:     global_buffer
      - .address_space:  global
        .offset:         8
        .size:           8
        .value_kind:     global_buffer
      - .address_space:  global
        .offset:         16
        .size:           8
        .value_kind:     global_buffer
      - .offset:         24
        .size:           4
        .value_kind:     by_value
      - .offset:         28
        .size:           4
        .value_kind:     by_value
      - .offset:         32
        .size:           4
        .value_kind:     by_value
      - .address_space:  global
        .offset:         40
        .size:           8
        .value_kind:     global_buffer
      - .offset:         48
        .size:           4
        .value_kind:     hidden_block_count_x
      - .offset:         52
        .size:           4
        .value_kind:     hidden_block_count_y
      - .offset:         56
        .size:           4
        .value_kind:     hidden_block_count_z
      - .offset:         60
        .size:           2
        .value_kind:     hidden_group_size_x
      - .offset:         62
        .size:           2
        .value_kind:     hidden_group_size_y
      - .offset:         64
        .size:           2
        .value_kind:     hidden_group_size_z
      - .offset:         66
        .size:           2
        .value_kind:     hidden_remainder_x
      - .offset:         68
        .size:           2
        .value_kind:     hidden_remainder_y
      - .offset:         70
        .size:           2
        .value_kind:     hidden_remainder_z
      - .offset:         88
        .size:           8
        .value_kind:     hidden_global_offset_x
      - .offset:         96
        .size:           8
        .value_kind:     hidden_global_offset_y
      - .offset:         104
        .size:           8
        .value_kind:     hidden_global_offset_z
      - .offset:         112
        .size:           2
        .value_kind:     hidden_grid_dims
    .group_segment_fixed_size: 0
    .kernarg_segment_align: 8
    .kernarg_segment_size: 304
    .language:       OpenCL C
    .language_version:
      - 2
      - 0
    .max_flat_workgroup_size: 1024
    .name:           _ZN12_GLOBAL__N_121softmax_warp_backwardIfffLi10ELb0ELb0ELi64EEEvPT0_PKT_S5_iiiPKb
    .private_segment_fixed_size: 0
    .sgpr_count:     44
    .sgpr_spill_count: 0
    .symbol:         _ZN12_GLOBAL__N_121softmax_warp_backwardIfffLi10ELb0ELb0ELi64EEEvPT0_PKT_S5_iiiPKb.kd
    .uniform_work_group_size: 1
    .uses_dynamic_stack: false
    .vgpr_count:     39
    .vgpr_spill_count: 0
    .wavefront_size: 64
  - .agpr_count:     0
    .args:
      - .address_space:  global
        .offset:         0
        .size:           8
        .value_kind:     global_buffer
      - .address_space:  global
        .offset:         8
        .size:           8
        .value_kind:     global_buffer
      - .address_space:  global
        .offset:         16
        .size:           8
        .value_kind:     global_buffer
      - .offset:         24
        .size:           4
        .value_kind:     by_value
      - .offset:         28
        .size:           4
        .value_kind:     by_value
      - .offset:         32
        .size:           4
        .value_kind:     by_value
      - .address_space:  global
        .offset:         40
        .size:           8
        .value_kind:     global_buffer
      - .offset:         48
        .size:           4
        .value_kind:     hidden_block_count_x
      - .offset:         52
        .size:           4
        .value_kind:     hidden_block_count_y
      - .offset:         56
        .size:           4
        .value_kind:     hidden_block_count_z
      - .offset:         60
        .size:           2
        .value_kind:     hidden_group_size_x
      - .offset:         62
        .size:           2
        .value_kind:     hidden_group_size_y
      - .offset:         64
        .size:           2
        .value_kind:     hidden_group_size_z
      - .offset:         66
        .size:           2
        .value_kind:     hidden_remainder_x
      - .offset:         68
        .size:           2
        .value_kind:     hidden_remainder_y
      - .offset:         70
        .size:           2
        .value_kind:     hidden_remainder_z
      - .offset:         88
        .size:           8
        .value_kind:     hidden_global_offset_x
      - .offset:         96
        .size:           8
        .value_kind:     hidden_global_offset_y
      - .offset:         104
        .size:           8
        .value_kind:     hidden_global_offset_z
      - .offset:         112
        .size:           2
        .value_kind:     hidden_grid_dims
    .group_segment_fixed_size: 0
    .kernarg_segment_align: 8
    .kernarg_segment_size: 304
    .language:       OpenCL C
    .language_version:
      - 2
      - 0
    .max_flat_workgroup_size: 1024
    .name:           _ZN12_GLOBAL__N_121softmax_warp_backwardIfffLi10ELb0ELb0ELi32EEEvPT0_PKT_S5_iiiPKb
    .private_segment_fixed_size: 0
    .sgpr_count:     76
    .sgpr_spill_count: 0
    .symbol:         _ZN12_GLOBAL__N_121softmax_warp_backwardIfffLi10ELb0ELb0ELi32EEEvPT0_PKT_S5_iiiPKb.kd
    .uniform_work_group_size: 1
    .uses_dynamic_stack: false
    .vgpr_count:     71
    .vgpr_spill_count: 0
    .wavefront_size: 64
  - .agpr_count:     0
    .args:
      - .address_space:  global
        .offset:         0
        .size:           8
        .value_kind:     global_buffer
      - .address_space:  global
        .offset:         8
        .size:           8
        .value_kind:     global_buffer
      - .address_space:  global
        .offset:         16
        .size:           8
        .value_kind:     global_buffer
      - .offset:         24
        .size:           8
        .value_kind:     by_value
      - .offset:         32
        .size:           4
        .value_kind:     hidden_block_count_x
      - .offset:         36
        .size:           4
        .value_kind:     hidden_block_count_y
      - .offset:         40
        .size:           4
        .value_kind:     hidden_block_count_z
      - .offset:         44
        .size:           2
        .value_kind:     hidden_group_size_x
      - .offset:         46
        .size:           2
        .value_kind:     hidden_group_size_y
      - .offset:         48
        .size:           2
        .value_kind:     hidden_group_size_z
      - .offset:         50
        .size:           2
        .value_kind:     hidden_remainder_x
      - .offset:         52
        .size:           2
        .value_kind:     hidden_remainder_y
      - .offset:         54
        .size:           2
        .value_kind:     hidden_remainder_z
      - .offset:         72
        .size:           8
        .value_kind:     hidden_global_offset_x
      - .offset:         80
        .size:           8
        .value_kind:     hidden_global_offset_y
      - .offset:         88
        .size:           8
        .value_kind:     hidden_global_offset_z
      - .offset:         96
        .size:           2
        .value_kind:     hidden_grid_dims
      - .offset:         152
        .size:           4
        .value_kind:     hidden_dynamic_lds_size
    .group_segment_fixed_size: 0
    .kernarg_segment_align: 8
    .kernarg_segment_size: 288
    .language:       OpenCL C
    .language_version:
      - 2
      - 0
    .max_flat_workgroup_size: 1024
    .name:           _ZN2at6native12_GLOBAL__N_124cunn_SoftMaxBackwardSmemILi4EfffNS1_23SoftMaxBackwardEpilogueEEEvPT0_PKT2_S8_l
    .private_segment_fixed_size: 0
    .sgpr_count:     24
    .sgpr_spill_count: 0
    .symbol:         _ZN2at6native12_GLOBAL__N_124cunn_SoftMaxBackwardSmemILi4EfffNS1_23SoftMaxBackwardEpilogueEEEvPT0_PKT2_S8_l.kd
    .uniform_work_group_size: 1
    .uses_dynamic_stack: false
    .vgpr_count:     20
    .vgpr_spill_count: 0
    .wavefront_size: 64
  - .agpr_count:     0
    .args:
      - .address_space:  global
        .offset:         0
        .size:           8
        .value_kind:     global_buffer
      - .address_space:  global
        .offset:         8
        .size:           8
        .value_kind:     global_buffer
      - .address_space:  global
        .offset:         16
        .size:           8
        .value_kind:     global_buffer
      - .offset:         24
        .size:           8
        .value_kind:     by_value
      - .offset:         32
        .size:           4
        .value_kind:     hidden_block_count_x
      - .offset:         36
        .size:           4
        .value_kind:     hidden_block_count_y
      - .offset:         40
        .size:           4
        .value_kind:     hidden_block_count_z
      - .offset:         44
        .size:           2
        .value_kind:     hidden_group_size_x
      - .offset:         46
        .size:           2
        .value_kind:     hidden_group_size_y
      - .offset:         48
        .size:           2
        .value_kind:     hidden_group_size_z
      - .offset:         50
        .size:           2
        .value_kind:     hidden_remainder_x
      - .offset:         52
        .size:           2
        .value_kind:     hidden_remainder_y
      - .offset:         54
        .size:           2
        .value_kind:     hidden_remainder_z
      - .offset:         72
        .size:           8
        .value_kind:     hidden_global_offset_x
      - .offset:         80
        .size:           8
        .value_kind:     hidden_global_offset_y
      - .offset:         88
        .size:           8
        .value_kind:     hidden_global_offset_z
      - .offset:         96
        .size:           2
        .value_kind:     hidden_grid_dims
      - .offset:         152
        .size:           4
        .value_kind:     hidden_dynamic_lds_size
    .group_segment_fixed_size: 0
    .kernarg_segment_align: 8
    .kernarg_segment_size: 288
    .language:       OpenCL C
    .language_version:
      - 2
      - 0
    .max_flat_workgroup_size: 1024
    .name:           _ZN2at6native12_GLOBAL__N_120cunn_SoftMaxBackwardILi4EfffNS1_23SoftMaxBackwardEpilogueEEEvPT0_PKT2_S8_l
    .private_segment_fixed_size: 0
    .sgpr_count:     77
    .sgpr_spill_count: 0
    .symbol:         _ZN2at6native12_GLOBAL__N_120cunn_SoftMaxBackwardILi4EfffNS1_23SoftMaxBackwardEpilogueEEEvPT0_PKT2_S8_l.kd
    .uniform_work_group_size: 1
    .uses_dynamic_stack: false
    .vgpr_count:     37
    .vgpr_spill_count: 0
    .wavefront_size: 64
  - .agpr_count:     0
    .args:
      - .address_space:  global
        .offset:         0
        .size:           8
        .value_kind:     global_buffer
      - .address_space:  global
        .offset:         8
        .size:           8
        .value_kind:     global_buffer
      - .address_space:  global
        .offset:         16
        .size:           8
        .value_kind:     global_buffer
      - .offset:         24
        .size:           4
        .value_kind:     by_value
      - .offset:         28
        .size:           4
        .value_kind:     by_value
      - .offset:         32
        .size:           4
        .value_kind:     by_value
      - .address_space:  global
        .offset:         40
        .size:           8
        .value_kind:     global_buffer
      - .offset:         48
        .size:           4
        .value_kind:     hidden_block_count_x
      - .offset:         52
        .size:           4
        .value_kind:     hidden_block_count_y
      - .offset:         56
        .size:           4
        .value_kind:     hidden_block_count_z
      - .offset:         60
        .size:           2
        .value_kind:     hidden_group_size_x
      - .offset:         62
        .size:           2
        .value_kind:     hidden_group_size_y
      - .offset:         64
        .size:           2
        .value_kind:     hidden_group_size_z
      - .offset:         66
        .size:           2
        .value_kind:     hidden_remainder_x
      - .offset:         68
        .size:           2
        .value_kind:     hidden_remainder_y
      - .offset:         70
        .size:           2
        .value_kind:     hidden_remainder_z
      - .offset:         88
        .size:           8
        .value_kind:     hidden_global_offset_x
      - .offset:         96
        .size:           8
        .value_kind:     hidden_global_offset_y
      - .offset:         104
        .size:           8
        .value_kind:     hidden_global_offset_z
      - .offset:         112
        .size:           2
        .value_kind:     hidden_grid_dims
    .group_segment_fixed_size: 0
    .kernarg_segment_align: 8
    .kernarg_segment_size: 304
    .language:       OpenCL C
    .language_version:
      - 2
      - 0
    .max_flat_workgroup_size: 1024
    .name:           _ZN12_GLOBAL__N_121softmax_warp_backwardIN3c104HalfES2_fLi0ELb0ELb0ELi64EEEvPT0_PKT_S7_iiiPKb
    .private_segment_fixed_size: 0
    .sgpr_count:     20
    .sgpr_spill_count: 0
    .symbol:         _ZN12_GLOBAL__N_121softmax_warp_backwardIN3c104HalfES2_fLi0ELb0ELb0ELi64EEEvPT0_PKT_S7_iiiPKb.kd
    .uniform_work_group_size: 1
    .uses_dynamic_stack: false
    .vgpr_count:     11
    .vgpr_spill_count: 0
    .wavefront_size: 64
  - .agpr_count:     0
    .args:
      - .address_space:  global
        .offset:         0
        .size:           8
        .value_kind:     global_buffer
      - .address_space:  global
        .offset:         8
        .size:           8
        .value_kind:     global_buffer
      - .address_space:  global
        .offset:         16
        .size:           8
        .value_kind:     global_buffer
      - .offset:         24
        .size:           4
        .value_kind:     by_value
      - .offset:         28
        .size:           4
        .value_kind:     by_value
      - .offset:         32
        .size:           4
        .value_kind:     by_value
      - .address_space:  global
        .offset:         40
        .size:           8
        .value_kind:     global_buffer
      - .offset:         48
        .size:           4
        .value_kind:     hidden_block_count_x
      - .offset:         52
        .size:           4
        .value_kind:     hidden_block_count_y
      - .offset:         56
        .size:           4
        .value_kind:     hidden_block_count_z
      - .offset:         60
        .size:           2
        .value_kind:     hidden_group_size_x
      - .offset:         62
        .size:           2
        .value_kind:     hidden_group_size_y
      - .offset:         64
        .size:           2
        .value_kind:     hidden_group_size_z
      - .offset:         66
        .size:           2
        .value_kind:     hidden_remainder_x
      - .offset:         68
        .size:           2
        .value_kind:     hidden_remainder_y
      - .offset:         70
        .size:           2
        .value_kind:     hidden_remainder_z
      - .offset:         88
        .size:           8
        .value_kind:     hidden_global_offset_x
      - .offset:         96
        .size:           8
        .value_kind:     hidden_global_offset_y
      - .offset:         104
        .size:           8
        .value_kind:     hidden_global_offset_z
      - .offset:         112
        .size:           2
        .value_kind:     hidden_grid_dims
    .group_segment_fixed_size: 0
    .kernarg_segment_align: 8
    .kernarg_segment_size: 304
    .language:       OpenCL C
    .language_version:
      - 2
      - 0
    .max_flat_workgroup_size: 1024
    .name:           _ZN12_GLOBAL__N_121softmax_warp_backwardIN3c104HalfES2_fLi0ELb0ELb0ELi32EEEvPT0_PKT_S7_iiiPKb
    .private_segment_fixed_size: 0
    .sgpr_count:     20
    .sgpr_spill_count: 0
    .symbol:         _ZN12_GLOBAL__N_121softmax_warp_backwardIN3c104HalfES2_fLi0ELb0ELb0ELi32EEEvPT0_PKT_S7_iiiPKb.kd
    .uniform_work_group_size: 1
    .uses_dynamic_stack: false
    .vgpr_count:     11
    .vgpr_spill_count: 0
    .wavefront_size: 64
  - .agpr_count:     0
    .args:
      - .address_space:  global
        .offset:         0
        .size:           8
        .value_kind:     global_buffer
      - .address_space:  global
        .offset:         8
        .size:           8
        .value_kind:     global_buffer
      - .address_space:  global
        .offset:         16
        .size:           8
        .value_kind:     global_buffer
      - .offset:         24
        .size:           4
        .value_kind:     by_value
      - .offset:         28
        .size:           4
        .value_kind:     by_value
      - .offset:         32
        .size:           4
        .value_kind:     by_value
      - .address_space:  global
        .offset:         40
        .size:           8
        .value_kind:     global_buffer
      - .offset:         48
        .size:           4
        .value_kind:     hidden_block_count_x
      - .offset:         52
        .size:           4
        .value_kind:     hidden_block_count_y
      - .offset:         56
        .size:           4
        .value_kind:     hidden_block_count_z
      - .offset:         60
        .size:           2
        .value_kind:     hidden_group_size_x
      - .offset:         62
        .size:           2
        .value_kind:     hidden_group_size_y
      - .offset:         64
        .size:           2
        .value_kind:     hidden_group_size_z
      - .offset:         66
        .size:           2
        .value_kind:     hidden_remainder_x
      - .offset:         68
        .size:           2
        .value_kind:     hidden_remainder_y
      - .offset:         70
        .size:           2
        .value_kind:     hidden_remainder_z
      - .offset:         88
        .size:           8
        .value_kind:     hidden_global_offset_x
      - .offset:         96
        .size:           8
        .value_kind:     hidden_global_offset_y
      - .offset:         104
        .size:           8
        .value_kind:     hidden_global_offset_z
      - .offset:         112
        .size:           2
        .value_kind:     hidden_grid_dims
    .group_segment_fixed_size: 0
    .kernarg_segment_align: 8
    .kernarg_segment_size: 304
    .language:       OpenCL C
    .language_version:
      - 2
      - 0
    .max_flat_workgroup_size: 1024
    .name:           _ZN12_GLOBAL__N_121softmax_warp_backwardIN3c104HalfES2_fLi1ELb0ELb0ELi64EEEvPT0_PKT_S7_iiiPKb
    .private_segment_fixed_size: 0
    .sgpr_count:     20
    .sgpr_spill_count: 0
    .symbol:         _ZN12_GLOBAL__N_121softmax_warp_backwardIN3c104HalfES2_fLi1ELb0ELb0ELi64EEEvPT0_PKT_S7_iiiPKb.kd
    .uniform_work_group_size: 1
    .uses_dynamic_stack: false
    .vgpr_count:     12
    .vgpr_spill_count: 0
    .wavefront_size: 64
  - .agpr_count:     0
    .args:
      - .address_space:  global
        .offset:         0
        .size:           8
        .value_kind:     global_buffer
      - .address_space:  global
        .offset:         8
        .size:           8
        .value_kind:     global_buffer
      - .address_space:  global
        .offset:         16
        .size:           8
        .value_kind:     global_buffer
      - .offset:         24
        .size:           4
        .value_kind:     by_value
      - .offset:         28
        .size:           4
        .value_kind:     by_value
      - .offset:         32
        .size:           4
        .value_kind:     by_value
      - .address_space:  global
        .offset:         40
        .size:           8
        .value_kind:     global_buffer
      - .offset:         48
        .size:           4
        .value_kind:     hidden_block_count_x
      - .offset:         52
        .size:           4
        .value_kind:     hidden_block_count_y
      - .offset:         56
        .size:           4
        .value_kind:     hidden_block_count_z
      - .offset:         60
        .size:           2
        .value_kind:     hidden_group_size_x
      - .offset:         62
        .size:           2
        .value_kind:     hidden_group_size_y
      - .offset:         64
        .size:           2
        .value_kind:     hidden_group_size_z
      - .offset:         66
        .size:           2
        .value_kind:     hidden_remainder_x
      - .offset:         68
        .size:           2
        .value_kind:     hidden_remainder_y
      - .offset:         70
        .size:           2
        .value_kind:     hidden_remainder_z
      - .offset:         88
        .size:           8
        .value_kind:     hidden_global_offset_x
      - .offset:         96
        .size:           8
        .value_kind:     hidden_global_offset_y
      - .offset:         104
        .size:           8
        .value_kind:     hidden_global_offset_z
      - .offset:         112
        .size:           2
        .value_kind:     hidden_grid_dims
    .group_segment_fixed_size: 0
    .kernarg_segment_align: 8
    .kernarg_segment_size: 304
    .language:       OpenCL C
    .language_version:
      - 2
      - 0
    .max_flat_workgroup_size: 1024
    .name:           _ZN12_GLOBAL__N_121softmax_warp_backwardIN3c104HalfES2_fLi1ELb0ELb0ELi32EEEvPT0_PKT_S7_iiiPKb
    .private_segment_fixed_size: 0
    .sgpr_count:     20
    .sgpr_spill_count: 0
    .symbol:         _ZN12_GLOBAL__N_121softmax_warp_backwardIN3c104HalfES2_fLi1ELb0ELb0ELi32EEEvPT0_PKT_S7_iiiPKb.kd
    .uniform_work_group_size: 1
    .uses_dynamic_stack: false
    .vgpr_count:     12
    .vgpr_spill_count: 0
    .wavefront_size: 64
  - .agpr_count:     0
    .args:
      - .address_space:  global
        .offset:         0
        .size:           8
        .value_kind:     global_buffer
      - .address_space:  global
        .offset:         8
        .size:           8
        .value_kind:     global_buffer
      - .address_space:  global
        .offset:         16
        .size:           8
        .value_kind:     global_buffer
      - .offset:         24
        .size:           4
        .value_kind:     by_value
      - .offset:         28
        .size:           4
        .value_kind:     by_value
      - .offset:         32
        .size:           4
        .value_kind:     by_value
      - .address_space:  global
        .offset:         40
        .size:           8
        .value_kind:     global_buffer
      - .offset:         48
        .size:           4
        .value_kind:     hidden_block_count_x
      - .offset:         52
        .size:           4
        .value_kind:     hidden_block_count_y
      - .offset:         56
        .size:           4
        .value_kind:     hidden_block_count_z
      - .offset:         60
        .size:           2
        .value_kind:     hidden_group_size_x
      - .offset:         62
        .size:           2
        .value_kind:     hidden_group_size_y
      - .offset:         64
        .size:           2
        .value_kind:     hidden_group_size_z
      - .offset:         66
        .size:           2
        .value_kind:     hidden_remainder_x
      - .offset:         68
        .size:           2
        .value_kind:     hidden_remainder_y
      - .offset:         70
        .size:           2
        .value_kind:     hidden_remainder_z
      - .offset:         88
        .size:           8
        .value_kind:     hidden_global_offset_x
      - .offset:         96
        .size:           8
        .value_kind:     hidden_global_offset_y
      - .offset:         104
        .size:           8
        .value_kind:     hidden_global_offset_z
      - .offset:         112
        .size:           2
        .value_kind:     hidden_grid_dims
    .group_segment_fixed_size: 0
    .kernarg_segment_align: 8
    .kernarg_segment_size: 304
    .language:       OpenCL C
    .language_version:
      - 2
      - 0
    .max_flat_workgroup_size: 1024
    .name:           _ZN12_GLOBAL__N_121softmax_warp_backwardIN3c104HalfES2_fLi2ELb0ELb0ELi64EEEvPT0_PKT_S7_iiiPKb
    .private_segment_fixed_size: 0
    .sgpr_count:     20
    .sgpr_spill_count: 0
    .symbol:         _ZN12_GLOBAL__N_121softmax_warp_backwardIN3c104HalfES2_fLi2ELb0ELb0ELi64EEEvPT0_PKT_S7_iiiPKb.kd
    .uniform_work_group_size: 1
    .uses_dynamic_stack: false
    .vgpr_count:     14
    .vgpr_spill_count: 0
    .wavefront_size: 64
  - .agpr_count:     0
    .args:
      - .address_space:  global
        .offset:         0
        .size:           8
        .value_kind:     global_buffer
      - .address_space:  global
        .offset:         8
        .size:           8
        .value_kind:     global_buffer
      - .address_space:  global
        .offset:         16
        .size:           8
        .value_kind:     global_buffer
      - .offset:         24
        .size:           4
        .value_kind:     by_value
      - .offset:         28
        .size:           4
        .value_kind:     by_value
      - .offset:         32
        .size:           4
        .value_kind:     by_value
      - .address_space:  global
        .offset:         40
        .size:           8
        .value_kind:     global_buffer
      - .offset:         48
        .size:           4
        .value_kind:     hidden_block_count_x
      - .offset:         52
        .size:           4
        .value_kind:     hidden_block_count_y
      - .offset:         56
        .size:           4
        .value_kind:     hidden_block_count_z
      - .offset:         60
        .size:           2
        .value_kind:     hidden_group_size_x
      - .offset:         62
        .size:           2
        .value_kind:     hidden_group_size_y
      - .offset:         64
        .size:           2
        .value_kind:     hidden_group_size_z
      - .offset:         66
        .size:           2
        .value_kind:     hidden_remainder_x
      - .offset:         68
        .size:           2
        .value_kind:     hidden_remainder_y
      - .offset:         70
        .size:           2
        .value_kind:     hidden_remainder_z
      - .offset:         88
        .size:           8
        .value_kind:     hidden_global_offset_x
      - .offset:         96
        .size:           8
        .value_kind:     hidden_global_offset_y
      - .offset:         104
        .size:           8
        .value_kind:     hidden_global_offset_z
      - .offset:         112
        .size:           2
        .value_kind:     hidden_grid_dims
    .group_segment_fixed_size: 0
    .kernarg_segment_align: 8
    .kernarg_segment_size: 304
    .language:       OpenCL C
    .language_version:
      - 2
      - 0
    .max_flat_workgroup_size: 1024
    .name:           _ZN12_GLOBAL__N_121softmax_warp_backwardIN3c104HalfES2_fLi2ELb0ELb0ELi32EEEvPT0_PKT_S7_iiiPKb
    .private_segment_fixed_size: 0
    .sgpr_count:     20
    .sgpr_spill_count: 0
    .symbol:         _ZN12_GLOBAL__N_121softmax_warp_backwardIN3c104HalfES2_fLi2ELb0ELb0ELi32EEEvPT0_PKT_S7_iiiPKb.kd
    .uniform_work_group_size: 1
    .uses_dynamic_stack: false
    .vgpr_count:     14
    .vgpr_spill_count: 0
    .wavefront_size: 64
  - .agpr_count:     0
    .args:
      - .address_space:  global
        .offset:         0
        .size:           8
        .value_kind:     global_buffer
      - .address_space:  global
        .offset:         8
        .size:           8
        .value_kind:     global_buffer
      - .address_space:  global
        .offset:         16
        .size:           8
        .value_kind:     global_buffer
      - .offset:         24
        .size:           4
        .value_kind:     by_value
      - .offset:         28
        .size:           4
        .value_kind:     by_value
      - .offset:         32
        .size:           4
        .value_kind:     by_value
      - .address_space:  global
        .offset:         40
        .size:           8
        .value_kind:     global_buffer
      - .offset:         48
        .size:           4
        .value_kind:     hidden_block_count_x
      - .offset:         52
        .size:           4
        .value_kind:     hidden_block_count_y
      - .offset:         56
        .size:           4
        .value_kind:     hidden_block_count_z
      - .offset:         60
        .size:           2
        .value_kind:     hidden_group_size_x
      - .offset:         62
        .size:           2
        .value_kind:     hidden_group_size_y
      - .offset:         64
        .size:           2
        .value_kind:     hidden_group_size_z
      - .offset:         66
        .size:           2
        .value_kind:     hidden_remainder_x
      - .offset:         68
        .size:           2
        .value_kind:     hidden_remainder_y
      - .offset:         70
        .size:           2
        .value_kind:     hidden_remainder_z
      - .offset:         88
        .size:           8
        .value_kind:     hidden_global_offset_x
      - .offset:         96
        .size:           8
        .value_kind:     hidden_global_offset_y
      - .offset:         104
        .size:           8
        .value_kind:     hidden_global_offset_z
      - .offset:         112
        .size:           2
        .value_kind:     hidden_grid_dims
    .group_segment_fixed_size: 0
    .kernarg_segment_align: 8
    .kernarg_segment_size: 304
    .language:       OpenCL C
    .language_version:
      - 2
      - 0
    .max_flat_workgroup_size: 1024
    .name:           _ZN12_GLOBAL__N_121softmax_warp_backwardIN3c104HalfES2_fLi3ELb0ELb0ELi64EEEvPT0_PKT_S7_iiiPKb
    .private_segment_fixed_size: 0
    .sgpr_count:     20
    .sgpr_spill_count: 0
    .symbol:         _ZN12_GLOBAL__N_121softmax_warp_backwardIN3c104HalfES2_fLi3ELb0ELb0ELi64EEEvPT0_PKT_S7_iiiPKb.kd
    .uniform_work_group_size: 1
    .uses_dynamic_stack: false
    .vgpr_count:     14
    .vgpr_spill_count: 0
    .wavefront_size: 64
  - .agpr_count:     0
    .args:
      - .address_space:  global
        .offset:         0
        .size:           8
        .value_kind:     global_buffer
      - .address_space:  global
        .offset:         8
        .size:           8
        .value_kind:     global_buffer
      - .address_space:  global
        .offset:         16
        .size:           8
        .value_kind:     global_buffer
      - .offset:         24
        .size:           4
        .value_kind:     by_value
      - .offset:         28
        .size:           4
        .value_kind:     by_value
      - .offset:         32
        .size:           4
        .value_kind:     by_value
      - .address_space:  global
        .offset:         40
        .size:           8
        .value_kind:     global_buffer
      - .offset:         48
        .size:           4
        .value_kind:     hidden_block_count_x
      - .offset:         52
        .size:           4
        .value_kind:     hidden_block_count_y
      - .offset:         56
        .size:           4
        .value_kind:     hidden_block_count_z
      - .offset:         60
        .size:           2
        .value_kind:     hidden_group_size_x
      - .offset:         62
        .size:           2
        .value_kind:     hidden_group_size_y
      - .offset:         64
        .size:           2
        .value_kind:     hidden_group_size_z
      - .offset:         66
        .size:           2
        .value_kind:     hidden_remainder_x
      - .offset:         68
        .size:           2
        .value_kind:     hidden_remainder_y
      - .offset:         70
        .size:           2
        .value_kind:     hidden_remainder_z
      - .offset:         88
        .size:           8
        .value_kind:     hidden_global_offset_x
      - .offset:         96
        .size:           8
        .value_kind:     hidden_global_offset_y
      - .offset:         104
        .size:           8
        .value_kind:     hidden_global_offset_z
      - .offset:         112
        .size:           2
        .value_kind:     hidden_grid_dims
    .group_segment_fixed_size: 0
    .kernarg_segment_align: 8
    .kernarg_segment_size: 304
    .language:       OpenCL C
    .language_version:
      - 2
      - 0
    .max_flat_workgroup_size: 1024
    .name:           _ZN12_GLOBAL__N_121softmax_warp_backwardIN3c104HalfES2_fLi3ELb0ELb0ELi32EEEvPT0_PKT_S7_iiiPKb
    .private_segment_fixed_size: 0
    .sgpr_count:     20
    .sgpr_spill_count: 0
    .symbol:         _ZN12_GLOBAL__N_121softmax_warp_backwardIN3c104HalfES2_fLi3ELb0ELb0ELi32EEEvPT0_PKT_S7_iiiPKb.kd
    .uniform_work_group_size: 1
    .uses_dynamic_stack: false
    .vgpr_count:     14
    .vgpr_spill_count: 0
    .wavefront_size: 64
  - .agpr_count:     0
    .args:
      - .address_space:  global
        .offset:         0
        .size:           8
        .value_kind:     global_buffer
      - .address_space:  global
        .offset:         8
        .size:           8
        .value_kind:     global_buffer
      - .address_space:  global
        .offset:         16
        .size:           8
        .value_kind:     global_buffer
      - .offset:         24
        .size:           4
        .value_kind:     by_value
      - .offset:         28
        .size:           4
        .value_kind:     by_value
      - .offset:         32
        .size:           4
        .value_kind:     by_value
      - .address_space:  global
        .offset:         40
        .size:           8
        .value_kind:     global_buffer
      - .offset:         48
        .size:           4
        .value_kind:     hidden_block_count_x
      - .offset:         52
        .size:           4
        .value_kind:     hidden_block_count_y
      - .offset:         56
        .size:           4
        .value_kind:     hidden_block_count_z
      - .offset:         60
        .size:           2
        .value_kind:     hidden_group_size_x
      - .offset:         62
        .size:           2
        .value_kind:     hidden_group_size_y
      - .offset:         64
        .size:           2
        .value_kind:     hidden_group_size_z
      - .offset:         66
        .size:           2
        .value_kind:     hidden_remainder_x
      - .offset:         68
        .size:           2
        .value_kind:     hidden_remainder_y
      - .offset:         70
        .size:           2
        .value_kind:     hidden_remainder_z
      - .offset:         88
        .size:           8
        .value_kind:     hidden_global_offset_x
      - .offset:         96
        .size:           8
        .value_kind:     hidden_global_offset_y
      - .offset:         104
        .size:           8
        .value_kind:     hidden_global_offset_z
      - .offset:         112
        .size:           2
        .value_kind:     hidden_grid_dims
    .group_segment_fixed_size: 0
    .kernarg_segment_align: 8
    .kernarg_segment_size: 304
    .language:       OpenCL C
    .language_version:
      - 2
      - 0
    .max_flat_workgroup_size: 1024
    .name:           _ZN12_GLOBAL__N_121softmax_warp_backwardIN3c104HalfES2_fLi4ELb0ELb0ELi64EEEvPT0_PKT_S7_iiiPKb
    .private_segment_fixed_size: 0
    .sgpr_count:     20
    .sgpr_spill_count: 0
    .symbol:         _ZN12_GLOBAL__N_121softmax_warp_backwardIN3c104HalfES2_fLi4ELb0ELb0ELi64EEEvPT0_PKT_S7_iiiPKb.kd
    .uniform_work_group_size: 1
    .uses_dynamic_stack: false
    .vgpr_count:     14
    .vgpr_spill_count: 0
    .wavefront_size: 64
  - .agpr_count:     0
    .args:
      - .address_space:  global
        .offset:         0
        .size:           8
        .value_kind:     global_buffer
      - .address_space:  global
        .offset:         8
        .size:           8
        .value_kind:     global_buffer
      - .address_space:  global
        .offset:         16
        .size:           8
        .value_kind:     global_buffer
      - .offset:         24
        .size:           4
        .value_kind:     by_value
      - .offset:         28
        .size:           4
        .value_kind:     by_value
      - .offset:         32
        .size:           4
        .value_kind:     by_value
      - .address_space:  global
        .offset:         40
        .size:           8
        .value_kind:     global_buffer
      - .offset:         48
        .size:           4
        .value_kind:     hidden_block_count_x
      - .offset:         52
        .size:           4
        .value_kind:     hidden_block_count_y
      - .offset:         56
        .size:           4
        .value_kind:     hidden_block_count_z
      - .offset:         60
        .size:           2
        .value_kind:     hidden_group_size_x
      - .offset:         62
        .size:           2
        .value_kind:     hidden_group_size_y
      - .offset:         64
        .size:           2
        .value_kind:     hidden_group_size_z
      - .offset:         66
        .size:           2
        .value_kind:     hidden_remainder_x
      - .offset:         68
        .size:           2
        .value_kind:     hidden_remainder_y
      - .offset:         70
        .size:           2
        .value_kind:     hidden_remainder_z
      - .offset:         88
        .size:           8
        .value_kind:     hidden_global_offset_x
      - .offset:         96
        .size:           8
        .value_kind:     hidden_global_offset_y
      - .offset:         104
        .size:           8
        .value_kind:     hidden_global_offset_z
      - .offset:         112
        .size:           2
        .value_kind:     hidden_grid_dims
    .group_segment_fixed_size: 0
    .kernarg_segment_align: 8
    .kernarg_segment_size: 304
    .language:       OpenCL C
    .language_version:
      - 2
      - 0
    .max_flat_workgroup_size: 1024
    .name:           _ZN12_GLOBAL__N_121softmax_warp_backwardIN3c104HalfES2_fLi4ELb0ELb0ELi32EEEvPT0_PKT_S7_iiiPKb
    .private_segment_fixed_size: 0
    .sgpr_count:     20
    .sgpr_spill_count: 0
    .symbol:         _ZN12_GLOBAL__N_121softmax_warp_backwardIN3c104HalfES2_fLi4ELb0ELb0ELi32EEEvPT0_PKT_S7_iiiPKb.kd
    .uniform_work_group_size: 1
    .uses_dynamic_stack: false
    .vgpr_count:     14
    .vgpr_spill_count: 0
    .wavefront_size: 64
  - .agpr_count:     0
    .args:
      - .address_space:  global
        .offset:         0
        .size:           8
        .value_kind:     global_buffer
      - .address_space:  global
        .offset:         8
        .size:           8
        .value_kind:     global_buffer
      - .address_space:  global
        .offset:         16
        .size:           8
        .value_kind:     global_buffer
      - .offset:         24
        .size:           4
        .value_kind:     by_value
      - .offset:         28
        .size:           4
        .value_kind:     by_value
      - .offset:         32
        .size:           4
        .value_kind:     by_value
      - .address_space:  global
        .offset:         40
        .size:           8
        .value_kind:     global_buffer
      - .offset:         48
        .size:           4
        .value_kind:     hidden_block_count_x
      - .offset:         52
        .size:           4
        .value_kind:     hidden_block_count_y
      - .offset:         56
        .size:           4
        .value_kind:     hidden_block_count_z
      - .offset:         60
        .size:           2
        .value_kind:     hidden_group_size_x
      - .offset:         62
        .size:           2
        .value_kind:     hidden_group_size_y
      - .offset:         64
        .size:           2
        .value_kind:     hidden_group_size_z
      - .offset:         66
        .size:           2
        .value_kind:     hidden_remainder_x
      - .offset:         68
        .size:           2
        .value_kind:     hidden_remainder_y
      - .offset:         70
        .size:           2
        .value_kind:     hidden_remainder_z
      - .offset:         88
        .size:           8
        .value_kind:     hidden_global_offset_x
      - .offset:         96
        .size:           8
        .value_kind:     hidden_global_offset_y
      - .offset:         104
        .size:           8
        .value_kind:     hidden_global_offset_z
      - .offset:         112
        .size:           2
        .value_kind:     hidden_grid_dims
    .group_segment_fixed_size: 0
    .kernarg_segment_align: 8
    .kernarg_segment_size: 304
    .language:       OpenCL C
    .language_version:
      - 2
      - 0
    .max_flat_workgroup_size: 1024
    .name:           _ZN12_GLOBAL__N_121softmax_warp_backwardIN3c104HalfES2_fLi5ELb0ELb0ELi64EEEvPT0_PKT_S7_iiiPKb
    .private_segment_fixed_size: 0
    .sgpr_count:     20
    .sgpr_spill_count: 0
    .symbol:         _ZN12_GLOBAL__N_121softmax_warp_backwardIN3c104HalfES2_fLi5ELb0ELb0ELi64EEEvPT0_PKT_S7_iiiPKb.kd
    .uniform_work_group_size: 1
    .uses_dynamic_stack: false
    .vgpr_count:     14
    .vgpr_spill_count: 0
    .wavefront_size: 64
  - .agpr_count:     0
    .args:
      - .address_space:  global
        .offset:         0
        .size:           8
        .value_kind:     global_buffer
      - .address_space:  global
        .offset:         8
        .size:           8
        .value_kind:     global_buffer
      - .address_space:  global
        .offset:         16
        .size:           8
        .value_kind:     global_buffer
      - .offset:         24
        .size:           4
        .value_kind:     by_value
      - .offset:         28
        .size:           4
        .value_kind:     by_value
      - .offset:         32
        .size:           4
        .value_kind:     by_value
      - .address_space:  global
        .offset:         40
        .size:           8
        .value_kind:     global_buffer
      - .offset:         48
        .size:           4
        .value_kind:     hidden_block_count_x
      - .offset:         52
        .size:           4
        .value_kind:     hidden_block_count_y
      - .offset:         56
        .size:           4
        .value_kind:     hidden_block_count_z
      - .offset:         60
        .size:           2
        .value_kind:     hidden_group_size_x
      - .offset:         62
        .size:           2
        .value_kind:     hidden_group_size_y
      - .offset:         64
        .size:           2
        .value_kind:     hidden_group_size_z
      - .offset:         66
        .size:           2
        .value_kind:     hidden_remainder_x
      - .offset:         68
        .size:           2
        .value_kind:     hidden_remainder_y
      - .offset:         70
        .size:           2
        .value_kind:     hidden_remainder_z
      - .offset:         88
        .size:           8
        .value_kind:     hidden_global_offset_x
      - .offset:         96
        .size:           8
        .value_kind:     hidden_global_offset_y
      - .offset:         104
        .size:           8
        .value_kind:     hidden_global_offset_z
      - .offset:         112
        .size:           2
        .value_kind:     hidden_grid_dims
    .group_segment_fixed_size: 0
    .kernarg_segment_align: 8
    .kernarg_segment_size: 304
    .language:       OpenCL C
    .language_version:
      - 2
      - 0
    .max_flat_workgroup_size: 1024
    .name:           _ZN12_GLOBAL__N_121softmax_warp_backwardIN3c104HalfES2_fLi5ELb0ELb0ELi32EEEvPT0_PKT_S7_iiiPKb
    .private_segment_fixed_size: 0
    .sgpr_count:     20
    .sgpr_spill_count: 0
    .symbol:         _ZN12_GLOBAL__N_121softmax_warp_backwardIN3c104HalfES2_fLi5ELb0ELb0ELi32EEEvPT0_PKT_S7_iiiPKb.kd
    .uniform_work_group_size: 1
    .uses_dynamic_stack: false
    .vgpr_count:     14
    .vgpr_spill_count: 0
    .wavefront_size: 64
  - .agpr_count:     0
    .args:
      - .address_space:  global
        .offset:         0
        .size:           8
        .value_kind:     global_buffer
      - .address_space:  global
        .offset:         8
        .size:           8
        .value_kind:     global_buffer
      - .address_space:  global
        .offset:         16
        .size:           8
        .value_kind:     global_buffer
      - .offset:         24
        .size:           4
        .value_kind:     by_value
      - .offset:         28
        .size:           4
        .value_kind:     by_value
      - .offset:         32
        .size:           4
        .value_kind:     by_value
      - .address_space:  global
        .offset:         40
        .size:           8
        .value_kind:     global_buffer
      - .offset:         48
        .size:           4
        .value_kind:     hidden_block_count_x
      - .offset:         52
        .size:           4
        .value_kind:     hidden_block_count_y
      - .offset:         56
        .size:           4
        .value_kind:     hidden_block_count_z
      - .offset:         60
        .size:           2
        .value_kind:     hidden_group_size_x
      - .offset:         62
        .size:           2
        .value_kind:     hidden_group_size_y
      - .offset:         64
        .size:           2
        .value_kind:     hidden_group_size_z
      - .offset:         66
        .size:           2
        .value_kind:     hidden_remainder_x
      - .offset:         68
        .size:           2
        .value_kind:     hidden_remainder_y
      - .offset:         70
        .size:           2
        .value_kind:     hidden_remainder_z
      - .offset:         88
        .size:           8
        .value_kind:     hidden_global_offset_x
      - .offset:         96
        .size:           8
        .value_kind:     hidden_global_offset_y
      - .offset:         104
        .size:           8
        .value_kind:     hidden_global_offset_z
      - .offset:         112
        .size:           2
        .value_kind:     hidden_grid_dims
    .group_segment_fixed_size: 0
    .kernarg_segment_align: 8
    .kernarg_segment_size: 304
    .language:       OpenCL C
    .language_version:
      - 2
      - 0
    .max_flat_workgroup_size: 1024
    .name:           _ZN12_GLOBAL__N_121softmax_warp_backwardIN3c104HalfES2_fLi6ELb0ELb0ELi64EEEvPT0_PKT_S7_iiiPKb
    .private_segment_fixed_size: 0
    .sgpr_count:     20
    .sgpr_spill_count: 0
    .symbol:         _ZN12_GLOBAL__N_121softmax_warp_backwardIN3c104HalfES2_fLi6ELb0ELb0ELi64EEEvPT0_PKT_S7_iiiPKb.kd
    .uniform_work_group_size: 1
    .uses_dynamic_stack: false
    .vgpr_count:     14
    .vgpr_spill_count: 0
    .wavefront_size: 64
  - .agpr_count:     0
    .args:
      - .address_space:  global
        .offset:         0
        .size:           8
        .value_kind:     global_buffer
      - .address_space:  global
        .offset:         8
        .size:           8
        .value_kind:     global_buffer
      - .address_space:  global
        .offset:         16
        .size:           8
        .value_kind:     global_buffer
      - .offset:         24
        .size:           4
        .value_kind:     by_value
      - .offset:         28
        .size:           4
        .value_kind:     by_value
      - .offset:         32
        .size:           4
        .value_kind:     by_value
      - .address_space:  global
        .offset:         40
        .size:           8
        .value_kind:     global_buffer
      - .offset:         48
        .size:           4
        .value_kind:     hidden_block_count_x
      - .offset:         52
        .size:           4
        .value_kind:     hidden_block_count_y
      - .offset:         56
        .size:           4
        .value_kind:     hidden_block_count_z
      - .offset:         60
        .size:           2
        .value_kind:     hidden_group_size_x
      - .offset:         62
        .size:           2
        .value_kind:     hidden_group_size_y
      - .offset:         64
        .size:           2
        .value_kind:     hidden_group_size_z
      - .offset:         66
        .size:           2
        .value_kind:     hidden_remainder_x
      - .offset:         68
        .size:           2
        .value_kind:     hidden_remainder_y
      - .offset:         70
        .size:           2
        .value_kind:     hidden_remainder_z
      - .offset:         88
        .size:           8
        .value_kind:     hidden_global_offset_x
      - .offset:         96
        .size:           8
        .value_kind:     hidden_global_offset_y
      - .offset:         104
        .size:           8
        .value_kind:     hidden_global_offset_z
      - .offset:         112
        .size:           2
        .value_kind:     hidden_grid_dims
    .group_segment_fixed_size: 0
    .kernarg_segment_align: 8
    .kernarg_segment_size: 304
    .language:       OpenCL C
    .language_version:
      - 2
      - 0
    .max_flat_workgroup_size: 1024
    .name:           _ZN12_GLOBAL__N_121softmax_warp_backwardIN3c104HalfES2_fLi6ELb0ELb0ELi32EEEvPT0_PKT_S7_iiiPKb
    .private_segment_fixed_size: 0
    .sgpr_count:     20
    .sgpr_spill_count: 0
    .symbol:         _ZN12_GLOBAL__N_121softmax_warp_backwardIN3c104HalfES2_fLi6ELb0ELb0ELi32EEEvPT0_PKT_S7_iiiPKb.kd
    .uniform_work_group_size: 1
    .uses_dynamic_stack: false
    .vgpr_count:     18
    .vgpr_spill_count: 0
    .wavefront_size: 64
  - .agpr_count:     0
    .args:
      - .address_space:  global
        .offset:         0
        .size:           8
        .value_kind:     global_buffer
      - .address_space:  global
        .offset:         8
        .size:           8
        .value_kind:     global_buffer
      - .address_space:  global
        .offset:         16
        .size:           8
        .value_kind:     global_buffer
      - .offset:         24
        .size:           4
        .value_kind:     by_value
      - .offset:         28
        .size:           4
        .value_kind:     by_value
      - .offset:         32
        .size:           4
        .value_kind:     by_value
      - .address_space:  global
        .offset:         40
        .size:           8
        .value_kind:     global_buffer
      - .offset:         48
        .size:           4
        .value_kind:     hidden_block_count_x
      - .offset:         52
        .size:           4
        .value_kind:     hidden_block_count_y
      - .offset:         56
        .size:           4
        .value_kind:     hidden_block_count_z
      - .offset:         60
        .size:           2
        .value_kind:     hidden_group_size_x
      - .offset:         62
        .size:           2
        .value_kind:     hidden_group_size_y
      - .offset:         64
        .size:           2
        .value_kind:     hidden_group_size_z
      - .offset:         66
        .size:           2
        .value_kind:     hidden_remainder_x
      - .offset:         68
        .size:           2
        .value_kind:     hidden_remainder_y
      - .offset:         70
        .size:           2
        .value_kind:     hidden_remainder_z
      - .offset:         88
        .size:           8
        .value_kind:     hidden_global_offset_x
      - .offset:         96
        .size:           8
        .value_kind:     hidden_global_offset_y
      - .offset:         104
        .size:           8
        .value_kind:     hidden_global_offset_z
      - .offset:         112
        .size:           2
        .value_kind:     hidden_grid_dims
    .group_segment_fixed_size: 0
    .kernarg_segment_align: 8
    .kernarg_segment_size: 304
    .language:       OpenCL C
    .language_version:
      - 2
      - 0
    .max_flat_workgroup_size: 1024
    .name:           _ZN12_GLOBAL__N_121softmax_warp_backwardIN3c104HalfES2_fLi7ELb0ELb0ELi64EEEvPT0_PKT_S7_iiiPKb
    .private_segment_fixed_size: 0
    .sgpr_count:     20
    .sgpr_spill_count: 0
    .symbol:         _ZN12_GLOBAL__N_121softmax_warp_backwardIN3c104HalfES2_fLi7ELb0ELb0ELi64EEEvPT0_PKT_S7_iiiPKb.kd
    .uniform_work_group_size: 1
    .uses_dynamic_stack: false
    .vgpr_count:     18
    .vgpr_spill_count: 0
    .wavefront_size: 64
  - .agpr_count:     0
    .args:
      - .address_space:  global
        .offset:         0
        .size:           8
        .value_kind:     global_buffer
      - .address_space:  global
        .offset:         8
        .size:           8
        .value_kind:     global_buffer
      - .address_space:  global
        .offset:         16
        .size:           8
        .value_kind:     global_buffer
      - .offset:         24
        .size:           4
        .value_kind:     by_value
      - .offset:         28
        .size:           4
        .value_kind:     by_value
      - .offset:         32
        .size:           4
        .value_kind:     by_value
      - .address_space:  global
        .offset:         40
        .size:           8
        .value_kind:     global_buffer
      - .offset:         48
        .size:           4
        .value_kind:     hidden_block_count_x
      - .offset:         52
        .size:           4
        .value_kind:     hidden_block_count_y
      - .offset:         56
        .size:           4
        .value_kind:     hidden_block_count_z
      - .offset:         60
        .size:           2
        .value_kind:     hidden_group_size_x
      - .offset:         62
        .size:           2
        .value_kind:     hidden_group_size_y
      - .offset:         64
        .size:           2
        .value_kind:     hidden_group_size_z
      - .offset:         66
        .size:           2
        .value_kind:     hidden_remainder_x
      - .offset:         68
        .size:           2
        .value_kind:     hidden_remainder_y
      - .offset:         70
        .size:           2
        .value_kind:     hidden_remainder_z
      - .offset:         88
        .size:           8
        .value_kind:     hidden_global_offset_x
      - .offset:         96
        .size:           8
        .value_kind:     hidden_global_offset_y
      - .offset:         104
        .size:           8
        .value_kind:     hidden_global_offset_z
      - .offset:         112
        .size:           2
        .value_kind:     hidden_grid_dims
    .group_segment_fixed_size: 0
    .kernarg_segment_align: 8
    .kernarg_segment_size: 304
    .language:       OpenCL C
    .language_version:
      - 2
      - 0
    .max_flat_workgroup_size: 1024
    .name:           _ZN12_GLOBAL__N_121softmax_warp_backwardIN3c104HalfES2_fLi7ELb0ELb0ELi32EEEvPT0_PKT_S7_iiiPKb
    .private_segment_fixed_size: 0
    .sgpr_count:     24
    .sgpr_spill_count: 0
    .symbol:         _ZN12_GLOBAL__N_121softmax_warp_backwardIN3c104HalfES2_fLi7ELb0ELb0ELi32EEEvPT0_PKT_S7_iiiPKb.kd
    .uniform_work_group_size: 1
    .uses_dynamic_stack: false
    .vgpr_count:     26
    .vgpr_spill_count: 0
    .wavefront_size: 64
  - .agpr_count:     0
    .args:
      - .address_space:  global
        .offset:         0
        .size:           8
        .value_kind:     global_buffer
      - .address_space:  global
        .offset:         8
        .size:           8
        .value_kind:     global_buffer
      - .address_space:  global
        .offset:         16
        .size:           8
        .value_kind:     global_buffer
      - .offset:         24
        .size:           4
        .value_kind:     by_value
      - .offset:         28
        .size:           4
        .value_kind:     by_value
      - .offset:         32
        .size:           4
        .value_kind:     by_value
      - .address_space:  global
        .offset:         40
        .size:           8
        .value_kind:     global_buffer
      - .offset:         48
        .size:           4
        .value_kind:     hidden_block_count_x
      - .offset:         52
        .size:           4
        .value_kind:     hidden_block_count_y
      - .offset:         56
        .size:           4
        .value_kind:     hidden_block_count_z
      - .offset:         60
        .size:           2
        .value_kind:     hidden_group_size_x
      - .offset:         62
        .size:           2
        .value_kind:     hidden_group_size_y
      - .offset:         64
        .size:           2
        .value_kind:     hidden_group_size_z
      - .offset:         66
        .size:           2
        .value_kind:     hidden_remainder_x
      - .offset:         68
        .size:           2
        .value_kind:     hidden_remainder_y
      - .offset:         70
        .size:           2
        .value_kind:     hidden_remainder_z
      - .offset:         88
        .size:           8
        .value_kind:     hidden_global_offset_x
      - .offset:         96
        .size:           8
        .value_kind:     hidden_global_offset_y
      - .offset:         104
        .size:           8
        .value_kind:     hidden_global_offset_z
      - .offset:         112
        .size:           2
        .value_kind:     hidden_grid_dims
    .group_segment_fixed_size: 0
    .kernarg_segment_align: 8
    .kernarg_segment_size: 304
    .language:       OpenCL C
    .language_version:
      - 2
      - 0
    .max_flat_workgroup_size: 1024
    .name:           _ZN12_GLOBAL__N_121softmax_warp_backwardIN3c104HalfES2_fLi8ELb0ELb0ELi64EEEvPT0_PKT_S7_iiiPKb
    .private_segment_fixed_size: 0
    .sgpr_count:     20
    .sgpr_spill_count: 0
    .symbol:         _ZN12_GLOBAL__N_121softmax_warp_backwardIN3c104HalfES2_fLi8ELb0ELb0ELi64EEEvPT0_PKT_S7_iiiPKb.kd
    .uniform_work_group_size: 1
    .uses_dynamic_stack: false
    .vgpr_count:     16
    .vgpr_spill_count: 0
    .wavefront_size: 64
  - .agpr_count:     0
    .args:
      - .address_space:  global
        .offset:         0
        .size:           8
        .value_kind:     global_buffer
      - .address_space:  global
        .offset:         8
        .size:           8
        .value_kind:     global_buffer
      - .address_space:  global
        .offset:         16
        .size:           8
        .value_kind:     global_buffer
      - .offset:         24
        .size:           4
        .value_kind:     by_value
      - .offset:         28
        .size:           4
        .value_kind:     by_value
      - .offset:         32
        .size:           4
        .value_kind:     by_value
      - .address_space:  global
        .offset:         40
        .size:           8
        .value_kind:     global_buffer
      - .offset:         48
        .size:           4
        .value_kind:     hidden_block_count_x
      - .offset:         52
        .size:           4
        .value_kind:     hidden_block_count_y
      - .offset:         56
        .size:           4
        .value_kind:     hidden_block_count_z
      - .offset:         60
        .size:           2
        .value_kind:     hidden_group_size_x
      - .offset:         62
        .size:           2
        .value_kind:     hidden_group_size_y
      - .offset:         64
        .size:           2
        .value_kind:     hidden_group_size_z
      - .offset:         66
        .size:           2
        .value_kind:     hidden_remainder_x
      - .offset:         68
        .size:           2
        .value_kind:     hidden_remainder_y
      - .offset:         70
        .size:           2
        .value_kind:     hidden_remainder_z
      - .offset:         88
        .size:           8
        .value_kind:     hidden_global_offset_x
      - .offset:         96
        .size:           8
        .value_kind:     hidden_global_offset_y
      - .offset:         104
        .size:           8
        .value_kind:     hidden_global_offset_z
      - .offset:         112
        .size:           2
        .value_kind:     hidden_grid_dims
    .group_segment_fixed_size: 0
    .kernarg_segment_align: 8
    .kernarg_segment_size: 304
    .language:       OpenCL C
    .language_version:
      - 2
      - 0
    .max_flat_workgroup_size: 1024
    .name:           _ZN12_GLOBAL__N_121softmax_warp_backwardIN3c104HalfES2_fLi8ELb0ELb0ELi32EEEvPT0_PKT_S7_iiiPKb
    .private_segment_fixed_size: 0
    .sgpr_count:     26
    .sgpr_spill_count: 0
    .symbol:         _ZN12_GLOBAL__N_121softmax_warp_backwardIN3c104HalfES2_fLi8ELb0ELb0ELi32EEEvPT0_PKT_S7_iiiPKb.kd
    .uniform_work_group_size: 1
    .uses_dynamic_stack: false
    .vgpr_count:     24
    .vgpr_spill_count: 0
    .wavefront_size: 64
  - .agpr_count:     0
    .args:
      - .address_space:  global
        .offset:         0
        .size:           8
        .value_kind:     global_buffer
      - .address_space:  global
        .offset:         8
        .size:           8
        .value_kind:     global_buffer
      - .address_space:  global
        .offset:         16
        .size:           8
        .value_kind:     global_buffer
      - .offset:         24
        .size:           4
        .value_kind:     by_value
      - .offset:         28
        .size:           4
        .value_kind:     by_value
      - .offset:         32
        .size:           4
        .value_kind:     by_value
      - .address_space:  global
        .offset:         40
        .size:           8
        .value_kind:     global_buffer
      - .offset:         48
        .size:           4
        .value_kind:     hidden_block_count_x
      - .offset:         52
        .size:           4
        .value_kind:     hidden_block_count_y
      - .offset:         56
        .size:           4
        .value_kind:     hidden_block_count_z
      - .offset:         60
        .size:           2
        .value_kind:     hidden_group_size_x
      - .offset:         62
        .size:           2
        .value_kind:     hidden_group_size_y
      - .offset:         64
        .size:           2
        .value_kind:     hidden_group_size_z
      - .offset:         66
        .size:           2
        .value_kind:     hidden_remainder_x
      - .offset:         68
        .size:           2
        .value_kind:     hidden_remainder_y
      - .offset:         70
        .size:           2
        .value_kind:     hidden_remainder_z
      - .offset:         88
        .size:           8
        .value_kind:     hidden_global_offset_x
      - .offset:         96
        .size:           8
        .value_kind:     hidden_global_offset_y
      - .offset:         104
        .size:           8
        .value_kind:     hidden_global_offset_z
      - .offset:         112
        .size:           2
        .value_kind:     hidden_grid_dims
    .group_segment_fixed_size: 0
    .kernarg_segment_align: 8
    .kernarg_segment_size: 304
    .language:       OpenCL C
    .language_version:
      - 2
      - 0
    .max_flat_workgroup_size: 1024
    .name:           _ZN12_GLOBAL__N_121softmax_warp_backwardIN3c104HalfES2_fLi9ELb0ELb0ELi64EEEvPT0_PKT_S7_iiiPKb
    .private_segment_fixed_size: 0
    .sgpr_count:     26
    .sgpr_spill_count: 0
    .symbol:         _ZN12_GLOBAL__N_121softmax_warp_backwardIN3c104HalfES2_fLi9ELb0ELb0ELi64EEEvPT0_PKT_S7_iiiPKb.kd
    .uniform_work_group_size: 1
    .uses_dynamic_stack: false
    .vgpr_count:     24
    .vgpr_spill_count: 0
    .wavefront_size: 64
  - .agpr_count:     0
    .args:
      - .address_space:  global
        .offset:         0
        .size:           8
        .value_kind:     global_buffer
      - .address_space:  global
        .offset:         8
        .size:           8
        .value_kind:     global_buffer
      - .address_space:  global
        .offset:         16
        .size:           8
        .value_kind:     global_buffer
      - .offset:         24
        .size:           4
        .value_kind:     by_value
      - .offset:         28
        .size:           4
        .value_kind:     by_value
      - .offset:         32
        .size:           4
        .value_kind:     by_value
      - .address_space:  global
        .offset:         40
        .size:           8
        .value_kind:     global_buffer
      - .offset:         48
        .size:           4
        .value_kind:     hidden_block_count_x
      - .offset:         52
        .size:           4
        .value_kind:     hidden_block_count_y
      - .offset:         56
        .size:           4
        .value_kind:     hidden_block_count_z
      - .offset:         60
        .size:           2
        .value_kind:     hidden_group_size_x
      - .offset:         62
        .size:           2
        .value_kind:     hidden_group_size_y
      - .offset:         64
        .size:           2
        .value_kind:     hidden_group_size_z
      - .offset:         66
        .size:           2
        .value_kind:     hidden_remainder_x
      - .offset:         68
        .size:           2
        .value_kind:     hidden_remainder_y
      - .offset:         70
        .size:           2
        .value_kind:     hidden_remainder_z
      - .offset:         88
        .size:           8
        .value_kind:     hidden_global_offset_x
      - .offset:         96
        .size:           8
        .value_kind:     hidden_global_offset_y
      - .offset:         104
        .size:           8
        .value_kind:     hidden_global_offset_z
      - .offset:         112
        .size:           2
        .value_kind:     hidden_grid_dims
    .group_segment_fixed_size: 0
    .kernarg_segment_align: 8
    .kernarg_segment_size: 304
    .language:       OpenCL C
    .language_version:
      - 2
      - 0
    .max_flat_workgroup_size: 1024
    .name:           _ZN12_GLOBAL__N_121softmax_warp_backwardIN3c104HalfES2_fLi9ELb0ELb0ELi32EEEvPT0_PKT_S7_iiiPKb
    .private_segment_fixed_size: 0
    .sgpr_count:     44
    .sgpr_spill_count: 0
    .symbol:         _ZN12_GLOBAL__N_121softmax_warp_backwardIN3c104HalfES2_fLi9ELb0ELb0ELi32EEEvPT0_PKT_S7_iiiPKb.kd
    .uniform_work_group_size: 1
    .uses_dynamic_stack: false
    .vgpr_count:     40
    .vgpr_spill_count: 0
    .wavefront_size: 64
  - .agpr_count:     0
    .args:
      - .address_space:  global
        .offset:         0
        .size:           8
        .value_kind:     global_buffer
      - .address_space:  global
        .offset:         8
        .size:           8
        .value_kind:     global_buffer
      - .address_space:  global
        .offset:         16
        .size:           8
        .value_kind:     global_buffer
      - .offset:         24
        .size:           4
        .value_kind:     by_value
      - .offset:         28
        .size:           4
        .value_kind:     by_value
      - .offset:         32
        .size:           4
        .value_kind:     by_value
      - .address_space:  global
        .offset:         40
        .size:           8
        .value_kind:     global_buffer
      - .offset:         48
        .size:           4
        .value_kind:     hidden_block_count_x
      - .offset:         52
        .size:           4
        .value_kind:     hidden_block_count_y
      - .offset:         56
        .size:           4
        .value_kind:     hidden_block_count_z
      - .offset:         60
        .size:           2
        .value_kind:     hidden_group_size_x
      - .offset:         62
        .size:           2
        .value_kind:     hidden_group_size_y
      - .offset:         64
        .size:           2
        .value_kind:     hidden_group_size_z
      - .offset:         66
        .size:           2
        .value_kind:     hidden_remainder_x
      - .offset:         68
        .size:           2
        .value_kind:     hidden_remainder_y
      - .offset:         70
        .size:           2
        .value_kind:     hidden_remainder_z
      - .offset:         88
        .size:           8
        .value_kind:     hidden_global_offset_x
      - .offset:         96
        .size:           8
        .value_kind:     hidden_global_offset_y
      - .offset:         104
        .size:           8
        .value_kind:     hidden_global_offset_z
      - .offset:         112
        .size:           2
        .value_kind:     hidden_grid_dims
    .group_segment_fixed_size: 0
    .kernarg_segment_align: 8
    .kernarg_segment_size: 304
    .language:       OpenCL C
    .language_version:
      - 2
      - 0
    .max_flat_workgroup_size: 1024
    .name:           _ZN12_GLOBAL__N_121softmax_warp_backwardIN3c104HalfES2_fLi10ELb0ELb0ELi64EEEvPT0_PKT_S7_iiiPKb
    .private_segment_fixed_size: 0
    .sgpr_count:     44
    .sgpr_spill_count: 0
    .symbol:         _ZN12_GLOBAL__N_121softmax_warp_backwardIN3c104HalfES2_fLi10ELb0ELb0ELi64EEEvPT0_PKT_S7_iiiPKb.kd
    .uniform_work_group_size: 1
    .uses_dynamic_stack: false
    .vgpr_count:     39
    .vgpr_spill_count: 0
    .wavefront_size: 64
  - .agpr_count:     0
    .args:
      - .address_space:  global
        .offset:         0
        .size:           8
        .value_kind:     global_buffer
      - .address_space:  global
        .offset:         8
        .size:           8
        .value_kind:     global_buffer
      - .address_space:  global
        .offset:         16
        .size:           8
        .value_kind:     global_buffer
      - .offset:         24
        .size:           4
        .value_kind:     by_value
      - .offset:         28
        .size:           4
        .value_kind:     by_value
      - .offset:         32
        .size:           4
        .value_kind:     by_value
      - .address_space:  global
        .offset:         40
        .size:           8
        .value_kind:     global_buffer
      - .offset:         48
        .size:           4
        .value_kind:     hidden_block_count_x
      - .offset:         52
        .size:           4
        .value_kind:     hidden_block_count_y
      - .offset:         56
        .size:           4
        .value_kind:     hidden_block_count_z
      - .offset:         60
        .size:           2
        .value_kind:     hidden_group_size_x
      - .offset:         62
        .size:           2
        .value_kind:     hidden_group_size_y
      - .offset:         64
        .size:           2
        .value_kind:     hidden_group_size_z
      - .offset:         66
        .size:           2
        .value_kind:     hidden_remainder_x
      - .offset:         68
        .size:           2
        .value_kind:     hidden_remainder_y
      - .offset:         70
        .size:           2
        .value_kind:     hidden_remainder_z
      - .offset:         88
        .size:           8
        .value_kind:     hidden_global_offset_x
      - .offset:         96
        .size:           8
        .value_kind:     hidden_global_offset_y
      - .offset:         104
        .size:           8
        .value_kind:     hidden_global_offset_z
      - .offset:         112
        .size:           2
        .value_kind:     hidden_grid_dims
    .group_segment_fixed_size: 0
    .kernarg_segment_align: 8
    .kernarg_segment_size: 304
    .language:       OpenCL C
    .language_version:
      - 2
      - 0
    .max_flat_workgroup_size: 1024
    .name:           _ZN12_GLOBAL__N_121softmax_warp_backwardIN3c104HalfES2_fLi10ELb0ELb0ELi32EEEvPT0_PKT_S7_iiiPKb
    .private_segment_fixed_size: 0
    .sgpr_count:     76
    .sgpr_spill_count: 0
    .symbol:         _ZN12_GLOBAL__N_121softmax_warp_backwardIN3c104HalfES2_fLi10ELb0ELb0ELi32EEEvPT0_PKT_S7_iiiPKb.kd
    .uniform_work_group_size: 1
    .uses_dynamic_stack: false
    .vgpr_count:     71
    .vgpr_spill_count: 0
    .wavefront_size: 64
  - .agpr_count:     0
    .args:
      - .address_space:  global
        .offset:         0
        .size:           8
        .value_kind:     global_buffer
      - .address_space:  global
        .offset:         8
        .size:           8
        .value_kind:     global_buffer
      - .address_space:  global
        .offset:         16
        .size:           8
        .value_kind:     global_buffer
      - .offset:         24
        .size:           8
        .value_kind:     by_value
      - .offset:         32
        .size:           4
        .value_kind:     hidden_block_count_x
      - .offset:         36
        .size:           4
        .value_kind:     hidden_block_count_y
      - .offset:         40
        .size:           4
        .value_kind:     hidden_block_count_z
      - .offset:         44
        .size:           2
        .value_kind:     hidden_group_size_x
      - .offset:         46
        .size:           2
        .value_kind:     hidden_group_size_y
      - .offset:         48
        .size:           2
        .value_kind:     hidden_group_size_z
      - .offset:         50
        .size:           2
        .value_kind:     hidden_remainder_x
      - .offset:         52
        .size:           2
        .value_kind:     hidden_remainder_y
      - .offset:         54
        .size:           2
        .value_kind:     hidden_remainder_z
      - .offset:         72
        .size:           8
        .value_kind:     hidden_global_offset_x
      - .offset:         80
        .size:           8
        .value_kind:     hidden_global_offset_y
      - .offset:         88
        .size:           8
        .value_kind:     hidden_global_offset_z
      - .offset:         96
        .size:           2
        .value_kind:     hidden_grid_dims
      - .offset:         152
        .size:           4
        .value_kind:     hidden_dynamic_lds_size
    .group_segment_fixed_size: 0
    .kernarg_segment_align: 8
    .kernarg_segment_size: 288
    .language:       OpenCL C
    .language_version:
      - 2
      - 0
    .max_flat_workgroup_size: 1024
    .name:           _ZN2at6native12_GLOBAL__N_124cunn_SoftMaxBackwardSmemILi8EN3c104HalfEfS4_NS1_23SoftMaxBackwardEpilogueEEEvPT0_PKT2_SA_l
    .private_segment_fixed_size: 0
    .sgpr_count:     24
    .sgpr_spill_count: 0
    .symbol:         _ZN2at6native12_GLOBAL__N_124cunn_SoftMaxBackwardSmemILi8EN3c104HalfEfS4_NS1_23SoftMaxBackwardEpilogueEEEvPT0_PKT2_SA_l.kd
    .uniform_work_group_size: 1
    .uses_dynamic_stack: false
    .vgpr_count:     32
    .vgpr_spill_count: 0
    .wavefront_size: 64
  - .agpr_count:     0
    .args:
      - .address_space:  global
        .offset:         0
        .size:           8
        .value_kind:     global_buffer
      - .address_space:  global
        .offset:         8
        .size:           8
        .value_kind:     global_buffer
      - .address_space:  global
        .offset:         16
        .size:           8
        .value_kind:     global_buffer
      - .offset:         24
        .size:           8
        .value_kind:     by_value
      - .offset:         32
        .size:           4
        .value_kind:     hidden_block_count_x
      - .offset:         36
        .size:           4
        .value_kind:     hidden_block_count_y
      - .offset:         40
        .size:           4
        .value_kind:     hidden_block_count_z
      - .offset:         44
        .size:           2
        .value_kind:     hidden_group_size_x
      - .offset:         46
        .size:           2
        .value_kind:     hidden_group_size_y
      - .offset:         48
        .size:           2
        .value_kind:     hidden_group_size_z
      - .offset:         50
        .size:           2
        .value_kind:     hidden_remainder_x
      - .offset:         52
        .size:           2
        .value_kind:     hidden_remainder_y
      - .offset:         54
        .size:           2
        .value_kind:     hidden_remainder_z
      - .offset:         72
        .size:           8
        .value_kind:     hidden_global_offset_x
      - .offset:         80
        .size:           8
        .value_kind:     hidden_global_offset_y
      - .offset:         88
        .size:           8
        .value_kind:     hidden_global_offset_z
      - .offset:         96
        .size:           2
        .value_kind:     hidden_grid_dims
      - .offset:         152
        .size:           4
        .value_kind:     hidden_dynamic_lds_size
    .group_segment_fixed_size: 0
    .kernarg_segment_align: 8
    .kernarg_segment_size: 288
    .language:       OpenCL C
    .language_version:
      - 2
      - 0
    .max_flat_workgroup_size: 1024
    .name:           _ZN2at6native12_GLOBAL__N_120cunn_SoftMaxBackwardILi8EN3c104HalfEfS4_NS1_23SoftMaxBackwardEpilogueEEEvPT0_PKT2_SA_l
    .private_segment_fixed_size: 0
    .sgpr_count:     44
    .sgpr_spill_count: 0
    .symbol:         _ZN2at6native12_GLOBAL__N_120cunn_SoftMaxBackwardILi8EN3c104HalfEfS4_NS1_23SoftMaxBackwardEpilogueEEEvPT0_PKT2_SA_l.kd
    .uniform_work_group_size: 1
    .uses_dynamic_stack: false
    .vgpr_count:     66
    .vgpr_spill_count: 0
    .wavefront_size: 64
  - .agpr_count:     0
    .args:
      - .address_space:  global
        .offset:         0
        .size:           8
        .value_kind:     global_buffer
      - .address_space:  global
        .offset:         8
        .size:           8
        .value_kind:     global_buffer
      - .address_space:  global
        .offset:         16
        .size:           8
        .value_kind:     global_buffer
      - .offset:         24
        .size:           4
        .value_kind:     by_value
      - .offset:         28
        .size:           4
        .value_kind:     by_value
      - .offset:         32
        .size:           4
        .value_kind:     by_value
      - .address_space:  global
        .offset:         40
        .size:           8
        .value_kind:     global_buffer
      - .offset:         48
        .size:           4
        .value_kind:     hidden_block_count_x
      - .offset:         52
        .size:           4
        .value_kind:     hidden_block_count_y
      - .offset:         56
        .size:           4
        .value_kind:     hidden_block_count_z
      - .offset:         60
        .size:           2
        .value_kind:     hidden_group_size_x
      - .offset:         62
        .size:           2
        .value_kind:     hidden_group_size_y
      - .offset:         64
        .size:           2
        .value_kind:     hidden_group_size_z
      - .offset:         66
        .size:           2
        .value_kind:     hidden_remainder_x
      - .offset:         68
        .size:           2
        .value_kind:     hidden_remainder_y
      - .offset:         70
        .size:           2
        .value_kind:     hidden_remainder_z
      - .offset:         88
        .size:           8
        .value_kind:     hidden_global_offset_x
      - .offset:         96
        .size:           8
        .value_kind:     hidden_global_offset_y
      - .offset:         104
        .size:           8
        .value_kind:     hidden_global_offset_z
      - .offset:         112
        .size:           2
        .value_kind:     hidden_grid_dims
    .group_segment_fixed_size: 0
    .kernarg_segment_align: 8
    .kernarg_segment_size: 304
    .language:       OpenCL C
    .language_version:
      - 2
      - 0
    .max_flat_workgroup_size: 1024
    .name:           _ZN12_GLOBAL__N_121softmax_warp_backwardIfN3c104HalfEfLi0ELb0ELb0ELi64EEEvPT0_PKT_S7_iiiPKb
    .private_segment_fixed_size: 0
    .sgpr_count:     20
    .sgpr_spill_count: 0
    .symbol:         _ZN12_GLOBAL__N_121softmax_warp_backwardIfN3c104HalfEfLi0ELb0ELb0ELi64EEEvPT0_PKT_S7_iiiPKb.kd
    .uniform_work_group_size: 1
    .uses_dynamic_stack: false
    .vgpr_count:     11
    .vgpr_spill_count: 0
    .wavefront_size: 64
  - .agpr_count:     0
    .args:
      - .address_space:  global
        .offset:         0
        .size:           8
        .value_kind:     global_buffer
      - .address_space:  global
        .offset:         8
        .size:           8
        .value_kind:     global_buffer
      - .address_space:  global
        .offset:         16
        .size:           8
        .value_kind:     global_buffer
      - .offset:         24
        .size:           4
        .value_kind:     by_value
      - .offset:         28
        .size:           4
        .value_kind:     by_value
      - .offset:         32
        .size:           4
        .value_kind:     by_value
      - .address_space:  global
        .offset:         40
        .size:           8
        .value_kind:     global_buffer
      - .offset:         48
        .size:           4
        .value_kind:     hidden_block_count_x
      - .offset:         52
        .size:           4
        .value_kind:     hidden_block_count_y
      - .offset:         56
        .size:           4
        .value_kind:     hidden_block_count_z
      - .offset:         60
        .size:           2
        .value_kind:     hidden_group_size_x
      - .offset:         62
        .size:           2
        .value_kind:     hidden_group_size_y
      - .offset:         64
        .size:           2
        .value_kind:     hidden_group_size_z
      - .offset:         66
        .size:           2
        .value_kind:     hidden_remainder_x
      - .offset:         68
        .size:           2
        .value_kind:     hidden_remainder_y
      - .offset:         70
        .size:           2
        .value_kind:     hidden_remainder_z
      - .offset:         88
        .size:           8
        .value_kind:     hidden_global_offset_x
      - .offset:         96
        .size:           8
        .value_kind:     hidden_global_offset_y
      - .offset:         104
        .size:           8
        .value_kind:     hidden_global_offset_z
      - .offset:         112
        .size:           2
        .value_kind:     hidden_grid_dims
    .group_segment_fixed_size: 0
    .kernarg_segment_align: 8
    .kernarg_segment_size: 304
    .language:       OpenCL C
    .language_version:
      - 2
      - 0
    .max_flat_workgroup_size: 1024
    .name:           _ZN12_GLOBAL__N_121softmax_warp_backwardIfN3c104HalfEfLi0ELb0ELb0ELi32EEEvPT0_PKT_S7_iiiPKb
    .private_segment_fixed_size: 0
    .sgpr_count:     20
    .sgpr_spill_count: 0
    .symbol:         _ZN12_GLOBAL__N_121softmax_warp_backwardIfN3c104HalfEfLi0ELb0ELb0ELi32EEEvPT0_PKT_S7_iiiPKb.kd
    .uniform_work_group_size: 1
    .uses_dynamic_stack: false
    .vgpr_count:     11
    .vgpr_spill_count: 0
    .wavefront_size: 64
  - .agpr_count:     0
    .args:
      - .address_space:  global
        .offset:         0
        .size:           8
        .value_kind:     global_buffer
      - .address_space:  global
        .offset:         8
        .size:           8
        .value_kind:     global_buffer
      - .address_space:  global
        .offset:         16
        .size:           8
        .value_kind:     global_buffer
      - .offset:         24
        .size:           4
        .value_kind:     by_value
      - .offset:         28
        .size:           4
        .value_kind:     by_value
      - .offset:         32
        .size:           4
        .value_kind:     by_value
      - .address_space:  global
        .offset:         40
        .size:           8
        .value_kind:     global_buffer
      - .offset:         48
        .size:           4
        .value_kind:     hidden_block_count_x
      - .offset:         52
        .size:           4
        .value_kind:     hidden_block_count_y
      - .offset:         56
        .size:           4
        .value_kind:     hidden_block_count_z
      - .offset:         60
        .size:           2
        .value_kind:     hidden_group_size_x
      - .offset:         62
        .size:           2
        .value_kind:     hidden_group_size_y
      - .offset:         64
        .size:           2
        .value_kind:     hidden_group_size_z
      - .offset:         66
        .size:           2
        .value_kind:     hidden_remainder_x
      - .offset:         68
        .size:           2
        .value_kind:     hidden_remainder_y
      - .offset:         70
        .size:           2
        .value_kind:     hidden_remainder_z
      - .offset:         88
        .size:           8
        .value_kind:     hidden_global_offset_x
      - .offset:         96
        .size:           8
        .value_kind:     hidden_global_offset_y
      - .offset:         104
        .size:           8
        .value_kind:     hidden_global_offset_z
      - .offset:         112
        .size:           2
        .value_kind:     hidden_grid_dims
    .group_segment_fixed_size: 0
    .kernarg_segment_align: 8
    .kernarg_segment_size: 304
    .language:       OpenCL C
    .language_version:
      - 2
      - 0
    .max_flat_workgroup_size: 1024
    .name:           _ZN12_GLOBAL__N_121softmax_warp_backwardIfN3c104HalfEfLi1ELb0ELb0ELi64EEEvPT0_PKT_S7_iiiPKb
    .private_segment_fixed_size: 0
    .sgpr_count:     20
    .sgpr_spill_count: 0
    .symbol:         _ZN12_GLOBAL__N_121softmax_warp_backwardIfN3c104HalfEfLi1ELb0ELb0ELi64EEEvPT0_PKT_S7_iiiPKb.kd
    .uniform_work_group_size: 1
    .uses_dynamic_stack: false
    .vgpr_count:     12
    .vgpr_spill_count: 0
    .wavefront_size: 64
  - .agpr_count:     0
    .args:
      - .address_space:  global
        .offset:         0
        .size:           8
        .value_kind:     global_buffer
      - .address_space:  global
        .offset:         8
        .size:           8
        .value_kind:     global_buffer
      - .address_space:  global
        .offset:         16
        .size:           8
        .value_kind:     global_buffer
      - .offset:         24
        .size:           4
        .value_kind:     by_value
      - .offset:         28
        .size:           4
        .value_kind:     by_value
      - .offset:         32
        .size:           4
        .value_kind:     by_value
      - .address_space:  global
        .offset:         40
        .size:           8
        .value_kind:     global_buffer
      - .offset:         48
        .size:           4
        .value_kind:     hidden_block_count_x
      - .offset:         52
        .size:           4
        .value_kind:     hidden_block_count_y
      - .offset:         56
        .size:           4
        .value_kind:     hidden_block_count_z
      - .offset:         60
        .size:           2
        .value_kind:     hidden_group_size_x
      - .offset:         62
        .size:           2
        .value_kind:     hidden_group_size_y
      - .offset:         64
        .size:           2
        .value_kind:     hidden_group_size_z
      - .offset:         66
        .size:           2
        .value_kind:     hidden_remainder_x
      - .offset:         68
        .size:           2
        .value_kind:     hidden_remainder_y
      - .offset:         70
        .size:           2
        .value_kind:     hidden_remainder_z
      - .offset:         88
        .size:           8
        .value_kind:     hidden_global_offset_x
      - .offset:         96
        .size:           8
        .value_kind:     hidden_global_offset_y
      - .offset:         104
        .size:           8
        .value_kind:     hidden_global_offset_z
      - .offset:         112
        .size:           2
        .value_kind:     hidden_grid_dims
    .group_segment_fixed_size: 0
    .kernarg_segment_align: 8
    .kernarg_segment_size: 304
    .language:       OpenCL C
    .language_version:
      - 2
      - 0
    .max_flat_workgroup_size: 1024
    .name:           _ZN12_GLOBAL__N_121softmax_warp_backwardIfN3c104HalfEfLi1ELb0ELb0ELi32EEEvPT0_PKT_S7_iiiPKb
    .private_segment_fixed_size: 0
    .sgpr_count:     20
    .sgpr_spill_count: 0
    .symbol:         _ZN12_GLOBAL__N_121softmax_warp_backwardIfN3c104HalfEfLi1ELb0ELb0ELi32EEEvPT0_PKT_S7_iiiPKb.kd
    .uniform_work_group_size: 1
    .uses_dynamic_stack: false
    .vgpr_count:     12
    .vgpr_spill_count: 0
    .wavefront_size: 64
  - .agpr_count:     0
    .args:
      - .address_space:  global
        .offset:         0
        .size:           8
        .value_kind:     global_buffer
      - .address_space:  global
        .offset:         8
        .size:           8
        .value_kind:     global_buffer
      - .address_space:  global
        .offset:         16
        .size:           8
        .value_kind:     global_buffer
      - .offset:         24
        .size:           4
        .value_kind:     by_value
      - .offset:         28
        .size:           4
        .value_kind:     by_value
      - .offset:         32
        .size:           4
        .value_kind:     by_value
      - .address_space:  global
        .offset:         40
        .size:           8
        .value_kind:     global_buffer
      - .offset:         48
        .size:           4
        .value_kind:     hidden_block_count_x
      - .offset:         52
        .size:           4
        .value_kind:     hidden_block_count_y
      - .offset:         56
        .size:           4
        .value_kind:     hidden_block_count_z
      - .offset:         60
        .size:           2
        .value_kind:     hidden_group_size_x
      - .offset:         62
        .size:           2
        .value_kind:     hidden_group_size_y
      - .offset:         64
        .size:           2
        .value_kind:     hidden_group_size_z
      - .offset:         66
        .size:           2
        .value_kind:     hidden_remainder_x
      - .offset:         68
        .size:           2
        .value_kind:     hidden_remainder_y
      - .offset:         70
        .size:           2
        .value_kind:     hidden_remainder_z
      - .offset:         88
        .size:           8
        .value_kind:     hidden_global_offset_x
      - .offset:         96
        .size:           8
        .value_kind:     hidden_global_offset_y
      - .offset:         104
        .size:           8
        .value_kind:     hidden_global_offset_z
      - .offset:         112
        .size:           2
        .value_kind:     hidden_grid_dims
    .group_segment_fixed_size: 0
    .kernarg_segment_align: 8
    .kernarg_segment_size: 304
    .language:       OpenCL C
    .language_version:
      - 2
      - 0
    .max_flat_workgroup_size: 1024
    .name:           _ZN12_GLOBAL__N_121softmax_warp_backwardIfN3c104HalfEfLi2ELb0ELb0ELi64EEEvPT0_PKT_S7_iiiPKb
    .private_segment_fixed_size: 0
    .sgpr_count:     20
    .sgpr_spill_count: 0
    .symbol:         _ZN12_GLOBAL__N_121softmax_warp_backwardIfN3c104HalfEfLi2ELb0ELb0ELi64EEEvPT0_PKT_S7_iiiPKb.kd
    .uniform_work_group_size: 1
    .uses_dynamic_stack: false
    .vgpr_count:     14
    .vgpr_spill_count: 0
    .wavefront_size: 64
  - .agpr_count:     0
    .args:
      - .address_space:  global
        .offset:         0
        .size:           8
        .value_kind:     global_buffer
      - .address_space:  global
        .offset:         8
        .size:           8
        .value_kind:     global_buffer
      - .address_space:  global
        .offset:         16
        .size:           8
        .value_kind:     global_buffer
      - .offset:         24
        .size:           4
        .value_kind:     by_value
      - .offset:         28
        .size:           4
        .value_kind:     by_value
      - .offset:         32
        .size:           4
        .value_kind:     by_value
      - .address_space:  global
        .offset:         40
        .size:           8
        .value_kind:     global_buffer
      - .offset:         48
        .size:           4
        .value_kind:     hidden_block_count_x
      - .offset:         52
        .size:           4
        .value_kind:     hidden_block_count_y
      - .offset:         56
        .size:           4
        .value_kind:     hidden_block_count_z
      - .offset:         60
        .size:           2
        .value_kind:     hidden_group_size_x
      - .offset:         62
        .size:           2
        .value_kind:     hidden_group_size_y
      - .offset:         64
        .size:           2
        .value_kind:     hidden_group_size_z
      - .offset:         66
        .size:           2
        .value_kind:     hidden_remainder_x
      - .offset:         68
        .size:           2
        .value_kind:     hidden_remainder_y
      - .offset:         70
        .size:           2
        .value_kind:     hidden_remainder_z
      - .offset:         88
        .size:           8
        .value_kind:     hidden_global_offset_x
      - .offset:         96
        .size:           8
        .value_kind:     hidden_global_offset_y
      - .offset:         104
        .size:           8
        .value_kind:     hidden_global_offset_z
      - .offset:         112
        .size:           2
        .value_kind:     hidden_grid_dims
    .group_segment_fixed_size: 0
    .kernarg_segment_align: 8
    .kernarg_segment_size: 304
    .language:       OpenCL C
    .language_version:
      - 2
      - 0
    .max_flat_workgroup_size: 1024
    .name:           _ZN12_GLOBAL__N_121softmax_warp_backwardIfN3c104HalfEfLi2ELb0ELb0ELi32EEEvPT0_PKT_S7_iiiPKb
    .private_segment_fixed_size: 0
    .sgpr_count:     20
    .sgpr_spill_count: 0
    .symbol:         _ZN12_GLOBAL__N_121softmax_warp_backwardIfN3c104HalfEfLi2ELb0ELb0ELi32EEEvPT0_PKT_S7_iiiPKb.kd
    .uniform_work_group_size: 1
    .uses_dynamic_stack: false
    .vgpr_count:     14
    .vgpr_spill_count: 0
    .wavefront_size: 64
  - .agpr_count:     0
    .args:
      - .address_space:  global
        .offset:         0
        .size:           8
        .value_kind:     global_buffer
      - .address_space:  global
        .offset:         8
        .size:           8
        .value_kind:     global_buffer
      - .address_space:  global
        .offset:         16
        .size:           8
        .value_kind:     global_buffer
      - .offset:         24
        .size:           4
        .value_kind:     by_value
      - .offset:         28
        .size:           4
        .value_kind:     by_value
      - .offset:         32
        .size:           4
        .value_kind:     by_value
      - .address_space:  global
        .offset:         40
        .size:           8
        .value_kind:     global_buffer
      - .offset:         48
        .size:           4
        .value_kind:     hidden_block_count_x
      - .offset:         52
        .size:           4
        .value_kind:     hidden_block_count_y
      - .offset:         56
        .size:           4
        .value_kind:     hidden_block_count_z
      - .offset:         60
        .size:           2
        .value_kind:     hidden_group_size_x
      - .offset:         62
        .size:           2
        .value_kind:     hidden_group_size_y
      - .offset:         64
        .size:           2
        .value_kind:     hidden_group_size_z
      - .offset:         66
        .size:           2
        .value_kind:     hidden_remainder_x
      - .offset:         68
        .size:           2
        .value_kind:     hidden_remainder_y
      - .offset:         70
        .size:           2
        .value_kind:     hidden_remainder_z
      - .offset:         88
        .size:           8
        .value_kind:     hidden_global_offset_x
      - .offset:         96
        .size:           8
        .value_kind:     hidden_global_offset_y
      - .offset:         104
        .size:           8
        .value_kind:     hidden_global_offset_z
      - .offset:         112
        .size:           2
        .value_kind:     hidden_grid_dims
    .group_segment_fixed_size: 0
    .kernarg_segment_align: 8
    .kernarg_segment_size: 304
    .language:       OpenCL C
    .language_version:
      - 2
      - 0
    .max_flat_workgroup_size: 1024
    .name:           _ZN12_GLOBAL__N_121softmax_warp_backwardIfN3c104HalfEfLi3ELb0ELb0ELi64EEEvPT0_PKT_S7_iiiPKb
    .private_segment_fixed_size: 0
    .sgpr_count:     20
    .sgpr_spill_count: 0
    .symbol:         _ZN12_GLOBAL__N_121softmax_warp_backwardIfN3c104HalfEfLi3ELb0ELb0ELi64EEEvPT0_PKT_S7_iiiPKb.kd
    .uniform_work_group_size: 1
    .uses_dynamic_stack: false
    .vgpr_count:     14
    .vgpr_spill_count: 0
    .wavefront_size: 64
  - .agpr_count:     0
    .args:
      - .address_space:  global
        .offset:         0
        .size:           8
        .value_kind:     global_buffer
      - .address_space:  global
        .offset:         8
        .size:           8
        .value_kind:     global_buffer
      - .address_space:  global
        .offset:         16
        .size:           8
        .value_kind:     global_buffer
      - .offset:         24
        .size:           4
        .value_kind:     by_value
      - .offset:         28
        .size:           4
        .value_kind:     by_value
      - .offset:         32
        .size:           4
        .value_kind:     by_value
      - .address_space:  global
        .offset:         40
        .size:           8
        .value_kind:     global_buffer
      - .offset:         48
        .size:           4
        .value_kind:     hidden_block_count_x
      - .offset:         52
        .size:           4
        .value_kind:     hidden_block_count_y
      - .offset:         56
        .size:           4
        .value_kind:     hidden_block_count_z
      - .offset:         60
        .size:           2
        .value_kind:     hidden_group_size_x
      - .offset:         62
        .size:           2
        .value_kind:     hidden_group_size_y
      - .offset:         64
        .size:           2
        .value_kind:     hidden_group_size_z
      - .offset:         66
        .size:           2
        .value_kind:     hidden_remainder_x
      - .offset:         68
        .size:           2
        .value_kind:     hidden_remainder_y
      - .offset:         70
        .size:           2
        .value_kind:     hidden_remainder_z
      - .offset:         88
        .size:           8
        .value_kind:     hidden_global_offset_x
      - .offset:         96
        .size:           8
        .value_kind:     hidden_global_offset_y
      - .offset:         104
        .size:           8
        .value_kind:     hidden_global_offset_z
      - .offset:         112
        .size:           2
        .value_kind:     hidden_grid_dims
    .group_segment_fixed_size: 0
    .kernarg_segment_align: 8
    .kernarg_segment_size: 304
    .language:       OpenCL C
    .language_version:
      - 2
      - 0
    .max_flat_workgroup_size: 1024
    .name:           _ZN12_GLOBAL__N_121softmax_warp_backwardIfN3c104HalfEfLi3ELb0ELb0ELi32EEEvPT0_PKT_S7_iiiPKb
    .private_segment_fixed_size: 0
    .sgpr_count:     20
    .sgpr_spill_count: 0
    .symbol:         _ZN12_GLOBAL__N_121softmax_warp_backwardIfN3c104HalfEfLi3ELb0ELb0ELi32EEEvPT0_PKT_S7_iiiPKb.kd
    .uniform_work_group_size: 1
    .uses_dynamic_stack: false
    .vgpr_count:     14
    .vgpr_spill_count: 0
    .wavefront_size: 64
  - .agpr_count:     0
    .args:
      - .address_space:  global
        .offset:         0
        .size:           8
        .value_kind:     global_buffer
      - .address_space:  global
        .offset:         8
        .size:           8
        .value_kind:     global_buffer
      - .address_space:  global
        .offset:         16
        .size:           8
        .value_kind:     global_buffer
      - .offset:         24
        .size:           4
        .value_kind:     by_value
      - .offset:         28
        .size:           4
        .value_kind:     by_value
      - .offset:         32
        .size:           4
        .value_kind:     by_value
      - .address_space:  global
        .offset:         40
        .size:           8
        .value_kind:     global_buffer
      - .offset:         48
        .size:           4
        .value_kind:     hidden_block_count_x
      - .offset:         52
        .size:           4
        .value_kind:     hidden_block_count_y
      - .offset:         56
        .size:           4
        .value_kind:     hidden_block_count_z
      - .offset:         60
        .size:           2
        .value_kind:     hidden_group_size_x
      - .offset:         62
        .size:           2
        .value_kind:     hidden_group_size_y
      - .offset:         64
        .size:           2
        .value_kind:     hidden_group_size_z
      - .offset:         66
        .size:           2
        .value_kind:     hidden_remainder_x
      - .offset:         68
        .size:           2
        .value_kind:     hidden_remainder_y
      - .offset:         70
        .size:           2
        .value_kind:     hidden_remainder_z
      - .offset:         88
        .size:           8
        .value_kind:     hidden_global_offset_x
      - .offset:         96
        .size:           8
        .value_kind:     hidden_global_offset_y
      - .offset:         104
        .size:           8
        .value_kind:     hidden_global_offset_z
      - .offset:         112
        .size:           2
        .value_kind:     hidden_grid_dims
    .group_segment_fixed_size: 0
    .kernarg_segment_align: 8
    .kernarg_segment_size: 304
    .language:       OpenCL C
    .language_version:
      - 2
      - 0
    .max_flat_workgroup_size: 1024
    .name:           _ZN12_GLOBAL__N_121softmax_warp_backwardIfN3c104HalfEfLi4ELb0ELb0ELi64EEEvPT0_PKT_S7_iiiPKb
    .private_segment_fixed_size: 0
    .sgpr_count:     20
    .sgpr_spill_count: 0
    .symbol:         _ZN12_GLOBAL__N_121softmax_warp_backwardIfN3c104HalfEfLi4ELb0ELb0ELi64EEEvPT0_PKT_S7_iiiPKb.kd
    .uniform_work_group_size: 1
    .uses_dynamic_stack: false
    .vgpr_count:     14
    .vgpr_spill_count: 0
    .wavefront_size: 64
  - .agpr_count:     0
    .args:
      - .address_space:  global
        .offset:         0
        .size:           8
        .value_kind:     global_buffer
      - .address_space:  global
        .offset:         8
        .size:           8
        .value_kind:     global_buffer
      - .address_space:  global
        .offset:         16
        .size:           8
        .value_kind:     global_buffer
      - .offset:         24
        .size:           4
        .value_kind:     by_value
      - .offset:         28
        .size:           4
        .value_kind:     by_value
      - .offset:         32
        .size:           4
        .value_kind:     by_value
      - .address_space:  global
        .offset:         40
        .size:           8
        .value_kind:     global_buffer
      - .offset:         48
        .size:           4
        .value_kind:     hidden_block_count_x
      - .offset:         52
        .size:           4
        .value_kind:     hidden_block_count_y
      - .offset:         56
        .size:           4
        .value_kind:     hidden_block_count_z
      - .offset:         60
        .size:           2
        .value_kind:     hidden_group_size_x
      - .offset:         62
        .size:           2
        .value_kind:     hidden_group_size_y
      - .offset:         64
        .size:           2
        .value_kind:     hidden_group_size_z
      - .offset:         66
        .size:           2
        .value_kind:     hidden_remainder_x
      - .offset:         68
        .size:           2
        .value_kind:     hidden_remainder_y
      - .offset:         70
        .size:           2
        .value_kind:     hidden_remainder_z
      - .offset:         88
        .size:           8
        .value_kind:     hidden_global_offset_x
      - .offset:         96
        .size:           8
        .value_kind:     hidden_global_offset_y
      - .offset:         104
        .size:           8
        .value_kind:     hidden_global_offset_z
      - .offset:         112
        .size:           2
        .value_kind:     hidden_grid_dims
    .group_segment_fixed_size: 0
    .kernarg_segment_align: 8
    .kernarg_segment_size: 304
    .language:       OpenCL C
    .language_version:
      - 2
      - 0
    .max_flat_workgroup_size: 1024
    .name:           _ZN12_GLOBAL__N_121softmax_warp_backwardIfN3c104HalfEfLi4ELb0ELb0ELi32EEEvPT0_PKT_S7_iiiPKb
    .private_segment_fixed_size: 0
    .sgpr_count:     20
    .sgpr_spill_count: 0
    .symbol:         _ZN12_GLOBAL__N_121softmax_warp_backwardIfN3c104HalfEfLi4ELb0ELb0ELi32EEEvPT0_PKT_S7_iiiPKb.kd
    .uniform_work_group_size: 1
    .uses_dynamic_stack: false
    .vgpr_count:     14
    .vgpr_spill_count: 0
    .wavefront_size: 64
  - .agpr_count:     0
    .args:
      - .address_space:  global
        .offset:         0
        .size:           8
        .value_kind:     global_buffer
      - .address_space:  global
        .offset:         8
        .size:           8
        .value_kind:     global_buffer
      - .address_space:  global
        .offset:         16
        .size:           8
        .value_kind:     global_buffer
      - .offset:         24
        .size:           4
        .value_kind:     by_value
      - .offset:         28
        .size:           4
        .value_kind:     by_value
      - .offset:         32
        .size:           4
        .value_kind:     by_value
      - .address_space:  global
        .offset:         40
        .size:           8
        .value_kind:     global_buffer
      - .offset:         48
        .size:           4
        .value_kind:     hidden_block_count_x
      - .offset:         52
        .size:           4
        .value_kind:     hidden_block_count_y
      - .offset:         56
        .size:           4
        .value_kind:     hidden_block_count_z
      - .offset:         60
        .size:           2
        .value_kind:     hidden_group_size_x
      - .offset:         62
        .size:           2
        .value_kind:     hidden_group_size_y
      - .offset:         64
        .size:           2
        .value_kind:     hidden_group_size_z
      - .offset:         66
        .size:           2
        .value_kind:     hidden_remainder_x
      - .offset:         68
        .size:           2
        .value_kind:     hidden_remainder_y
      - .offset:         70
        .size:           2
        .value_kind:     hidden_remainder_z
      - .offset:         88
        .size:           8
        .value_kind:     hidden_global_offset_x
      - .offset:         96
        .size:           8
        .value_kind:     hidden_global_offset_y
      - .offset:         104
        .size:           8
        .value_kind:     hidden_global_offset_z
      - .offset:         112
        .size:           2
        .value_kind:     hidden_grid_dims
    .group_segment_fixed_size: 0
    .kernarg_segment_align: 8
    .kernarg_segment_size: 304
    .language:       OpenCL C
    .language_version:
      - 2
      - 0
    .max_flat_workgroup_size: 1024
    .name:           _ZN12_GLOBAL__N_121softmax_warp_backwardIfN3c104HalfEfLi5ELb0ELb0ELi64EEEvPT0_PKT_S7_iiiPKb
    .private_segment_fixed_size: 0
    .sgpr_count:     20
    .sgpr_spill_count: 0
    .symbol:         _ZN12_GLOBAL__N_121softmax_warp_backwardIfN3c104HalfEfLi5ELb0ELb0ELi64EEEvPT0_PKT_S7_iiiPKb.kd
    .uniform_work_group_size: 1
    .uses_dynamic_stack: false
    .vgpr_count:     14
    .vgpr_spill_count: 0
    .wavefront_size: 64
  - .agpr_count:     0
    .args:
      - .address_space:  global
        .offset:         0
        .size:           8
        .value_kind:     global_buffer
      - .address_space:  global
        .offset:         8
        .size:           8
        .value_kind:     global_buffer
      - .address_space:  global
        .offset:         16
        .size:           8
        .value_kind:     global_buffer
      - .offset:         24
        .size:           4
        .value_kind:     by_value
      - .offset:         28
        .size:           4
        .value_kind:     by_value
      - .offset:         32
        .size:           4
        .value_kind:     by_value
      - .address_space:  global
        .offset:         40
        .size:           8
        .value_kind:     global_buffer
      - .offset:         48
        .size:           4
        .value_kind:     hidden_block_count_x
      - .offset:         52
        .size:           4
        .value_kind:     hidden_block_count_y
      - .offset:         56
        .size:           4
        .value_kind:     hidden_block_count_z
      - .offset:         60
        .size:           2
        .value_kind:     hidden_group_size_x
      - .offset:         62
        .size:           2
        .value_kind:     hidden_group_size_y
      - .offset:         64
        .size:           2
        .value_kind:     hidden_group_size_z
      - .offset:         66
        .size:           2
        .value_kind:     hidden_remainder_x
      - .offset:         68
        .size:           2
        .value_kind:     hidden_remainder_y
      - .offset:         70
        .size:           2
        .value_kind:     hidden_remainder_z
      - .offset:         88
        .size:           8
        .value_kind:     hidden_global_offset_x
      - .offset:         96
        .size:           8
        .value_kind:     hidden_global_offset_y
      - .offset:         104
        .size:           8
        .value_kind:     hidden_global_offset_z
      - .offset:         112
        .size:           2
        .value_kind:     hidden_grid_dims
    .group_segment_fixed_size: 0
    .kernarg_segment_align: 8
    .kernarg_segment_size: 304
    .language:       OpenCL C
    .language_version:
      - 2
      - 0
    .max_flat_workgroup_size: 1024
    .name:           _ZN12_GLOBAL__N_121softmax_warp_backwardIfN3c104HalfEfLi5ELb0ELb0ELi32EEEvPT0_PKT_S7_iiiPKb
    .private_segment_fixed_size: 0
    .sgpr_count:     20
    .sgpr_spill_count: 0
    .symbol:         _ZN12_GLOBAL__N_121softmax_warp_backwardIfN3c104HalfEfLi5ELb0ELb0ELi32EEEvPT0_PKT_S7_iiiPKb.kd
    .uniform_work_group_size: 1
    .uses_dynamic_stack: false
    .vgpr_count:     14
    .vgpr_spill_count: 0
    .wavefront_size: 64
  - .agpr_count:     0
    .args:
      - .address_space:  global
        .offset:         0
        .size:           8
        .value_kind:     global_buffer
      - .address_space:  global
        .offset:         8
        .size:           8
        .value_kind:     global_buffer
      - .address_space:  global
        .offset:         16
        .size:           8
        .value_kind:     global_buffer
      - .offset:         24
        .size:           4
        .value_kind:     by_value
      - .offset:         28
        .size:           4
        .value_kind:     by_value
      - .offset:         32
        .size:           4
        .value_kind:     by_value
      - .address_space:  global
        .offset:         40
        .size:           8
        .value_kind:     global_buffer
      - .offset:         48
        .size:           4
        .value_kind:     hidden_block_count_x
      - .offset:         52
        .size:           4
        .value_kind:     hidden_block_count_y
      - .offset:         56
        .size:           4
        .value_kind:     hidden_block_count_z
      - .offset:         60
        .size:           2
        .value_kind:     hidden_group_size_x
      - .offset:         62
        .size:           2
        .value_kind:     hidden_group_size_y
      - .offset:         64
        .size:           2
        .value_kind:     hidden_group_size_z
      - .offset:         66
        .size:           2
        .value_kind:     hidden_remainder_x
      - .offset:         68
        .size:           2
        .value_kind:     hidden_remainder_y
      - .offset:         70
        .size:           2
        .value_kind:     hidden_remainder_z
      - .offset:         88
        .size:           8
        .value_kind:     hidden_global_offset_x
      - .offset:         96
        .size:           8
        .value_kind:     hidden_global_offset_y
      - .offset:         104
        .size:           8
        .value_kind:     hidden_global_offset_z
      - .offset:         112
        .size:           2
        .value_kind:     hidden_grid_dims
    .group_segment_fixed_size: 0
    .kernarg_segment_align: 8
    .kernarg_segment_size: 304
    .language:       OpenCL C
    .language_version:
      - 2
      - 0
    .max_flat_workgroup_size: 1024
    .name:           _ZN12_GLOBAL__N_121softmax_warp_backwardIfN3c104HalfEfLi6ELb0ELb0ELi64EEEvPT0_PKT_S7_iiiPKb
    .private_segment_fixed_size: 0
    .sgpr_count:     20
    .sgpr_spill_count: 0
    .symbol:         _ZN12_GLOBAL__N_121softmax_warp_backwardIfN3c104HalfEfLi6ELb0ELb0ELi64EEEvPT0_PKT_S7_iiiPKb.kd
    .uniform_work_group_size: 1
    .uses_dynamic_stack: false
    .vgpr_count:     14
    .vgpr_spill_count: 0
    .wavefront_size: 64
  - .agpr_count:     0
    .args:
      - .address_space:  global
        .offset:         0
        .size:           8
        .value_kind:     global_buffer
      - .address_space:  global
        .offset:         8
        .size:           8
        .value_kind:     global_buffer
      - .address_space:  global
        .offset:         16
        .size:           8
        .value_kind:     global_buffer
      - .offset:         24
        .size:           4
        .value_kind:     by_value
      - .offset:         28
        .size:           4
        .value_kind:     by_value
      - .offset:         32
        .size:           4
        .value_kind:     by_value
      - .address_space:  global
        .offset:         40
        .size:           8
        .value_kind:     global_buffer
      - .offset:         48
        .size:           4
        .value_kind:     hidden_block_count_x
      - .offset:         52
        .size:           4
        .value_kind:     hidden_block_count_y
      - .offset:         56
        .size:           4
        .value_kind:     hidden_block_count_z
      - .offset:         60
        .size:           2
        .value_kind:     hidden_group_size_x
      - .offset:         62
        .size:           2
        .value_kind:     hidden_group_size_y
      - .offset:         64
        .size:           2
        .value_kind:     hidden_group_size_z
      - .offset:         66
        .size:           2
        .value_kind:     hidden_remainder_x
      - .offset:         68
        .size:           2
        .value_kind:     hidden_remainder_y
      - .offset:         70
        .size:           2
        .value_kind:     hidden_remainder_z
      - .offset:         88
        .size:           8
        .value_kind:     hidden_global_offset_x
      - .offset:         96
        .size:           8
        .value_kind:     hidden_global_offset_y
      - .offset:         104
        .size:           8
        .value_kind:     hidden_global_offset_z
      - .offset:         112
        .size:           2
        .value_kind:     hidden_grid_dims
    .group_segment_fixed_size: 0
    .kernarg_segment_align: 8
    .kernarg_segment_size: 304
    .language:       OpenCL C
    .language_version:
      - 2
      - 0
    .max_flat_workgroup_size: 1024
    .name:           _ZN12_GLOBAL__N_121softmax_warp_backwardIfN3c104HalfEfLi6ELb0ELb0ELi32EEEvPT0_PKT_S7_iiiPKb
    .private_segment_fixed_size: 0
    .sgpr_count:     20
    .sgpr_spill_count: 0
    .symbol:         _ZN12_GLOBAL__N_121softmax_warp_backwardIfN3c104HalfEfLi6ELb0ELb0ELi32EEEvPT0_PKT_S7_iiiPKb.kd
    .uniform_work_group_size: 1
    .uses_dynamic_stack: false
    .vgpr_count:     18
    .vgpr_spill_count: 0
    .wavefront_size: 64
  - .agpr_count:     0
    .args:
      - .address_space:  global
        .offset:         0
        .size:           8
        .value_kind:     global_buffer
      - .address_space:  global
        .offset:         8
        .size:           8
        .value_kind:     global_buffer
      - .address_space:  global
        .offset:         16
        .size:           8
        .value_kind:     global_buffer
      - .offset:         24
        .size:           4
        .value_kind:     by_value
      - .offset:         28
        .size:           4
        .value_kind:     by_value
      - .offset:         32
        .size:           4
        .value_kind:     by_value
      - .address_space:  global
        .offset:         40
        .size:           8
        .value_kind:     global_buffer
      - .offset:         48
        .size:           4
        .value_kind:     hidden_block_count_x
      - .offset:         52
        .size:           4
        .value_kind:     hidden_block_count_y
      - .offset:         56
        .size:           4
        .value_kind:     hidden_block_count_z
      - .offset:         60
        .size:           2
        .value_kind:     hidden_group_size_x
      - .offset:         62
        .size:           2
        .value_kind:     hidden_group_size_y
      - .offset:         64
        .size:           2
        .value_kind:     hidden_group_size_z
      - .offset:         66
        .size:           2
        .value_kind:     hidden_remainder_x
      - .offset:         68
        .size:           2
        .value_kind:     hidden_remainder_y
      - .offset:         70
        .size:           2
        .value_kind:     hidden_remainder_z
      - .offset:         88
        .size:           8
        .value_kind:     hidden_global_offset_x
      - .offset:         96
        .size:           8
        .value_kind:     hidden_global_offset_y
      - .offset:         104
        .size:           8
        .value_kind:     hidden_global_offset_z
      - .offset:         112
        .size:           2
        .value_kind:     hidden_grid_dims
    .group_segment_fixed_size: 0
    .kernarg_segment_align: 8
    .kernarg_segment_size: 304
    .language:       OpenCL C
    .language_version:
      - 2
      - 0
    .max_flat_workgroup_size: 1024
    .name:           _ZN12_GLOBAL__N_121softmax_warp_backwardIfN3c104HalfEfLi7ELb0ELb0ELi64EEEvPT0_PKT_S7_iiiPKb
    .private_segment_fixed_size: 0
    .sgpr_count:     20
    .sgpr_spill_count: 0
    .symbol:         _ZN12_GLOBAL__N_121softmax_warp_backwardIfN3c104HalfEfLi7ELb0ELb0ELi64EEEvPT0_PKT_S7_iiiPKb.kd
    .uniform_work_group_size: 1
    .uses_dynamic_stack: false
    .vgpr_count:     18
    .vgpr_spill_count: 0
    .wavefront_size: 64
  - .agpr_count:     0
    .args:
      - .address_space:  global
        .offset:         0
        .size:           8
        .value_kind:     global_buffer
      - .address_space:  global
        .offset:         8
        .size:           8
        .value_kind:     global_buffer
      - .address_space:  global
        .offset:         16
        .size:           8
        .value_kind:     global_buffer
      - .offset:         24
        .size:           4
        .value_kind:     by_value
      - .offset:         28
        .size:           4
        .value_kind:     by_value
      - .offset:         32
        .size:           4
        .value_kind:     by_value
      - .address_space:  global
        .offset:         40
        .size:           8
        .value_kind:     global_buffer
      - .offset:         48
        .size:           4
        .value_kind:     hidden_block_count_x
      - .offset:         52
        .size:           4
        .value_kind:     hidden_block_count_y
      - .offset:         56
        .size:           4
        .value_kind:     hidden_block_count_z
      - .offset:         60
        .size:           2
        .value_kind:     hidden_group_size_x
      - .offset:         62
        .size:           2
        .value_kind:     hidden_group_size_y
      - .offset:         64
        .size:           2
        .value_kind:     hidden_group_size_z
      - .offset:         66
        .size:           2
        .value_kind:     hidden_remainder_x
      - .offset:         68
        .size:           2
        .value_kind:     hidden_remainder_y
      - .offset:         70
        .size:           2
        .value_kind:     hidden_remainder_z
      - .offset:         88
        .size:           8
        .value_kind:     hidden_global_offset_x
      - .offset:         96
        .size:           8
        .value_kind:     hidden_global_offset_y
      - .offset:         104
        .size:           8
        .value_kind:     hidden_global_offset_z
      - .offset:         112
        .size:           2
        .value_kind:     hidden_grid_dims
    .group_segment_fixed_size: 0
    .kernarg_segment_align: 8
    .kernarg_segment_size: 304
    .language:       OpenCL C
    .language_version:
      - 2
      - 0
    .max_flat_workgroup_size: 1024
    .name:           _ZN12_GLOBAL__N_121softmax_warp_backwardIfN3c104HalfEfLi7ELb0ELb0ELi32EEEvPT0_PKT_S7_iiiPKb
    .private_segment_fixed_size: 0
    .sgpr_count:     24
    .sgpr_spill_count: 0
    .symbol:         _ZN12_GLOBAL__N_121softmax_warp_backwardIfN3c104HalfEfLi7ELb0ELb0ELi32EEEvPT0_PKT_S7_iiiPKb.kd
    .uniform_work_group_size: 1
    .uses_dynamic_stack: false
    .vgpr_count:     26
    .vgpr_spill_count: 0
    .wavefront_size: 64
  - .agpr_count:     0
    .args:
      - .address_space:  global
        .offset:         0
        .size:           8
        .value_kind:     global_buffer
      - .address_space:  global
        .offset:         8
        .size:           8
        .value_kind:     global_buffer
      - .address_space:  global
        .offset:         16
        .size:           8
        .value_kind:     global_buffer
      - .offset:         24
        .size:           4
        .value_kind:     by_value
      - .offset:         28
        .size:           4
        .value_kind:     by_value
      - .offset:         32
        .size:           4
        .value_kind:     by_value
      - .address_space:  global
        .offset:         40
        .size:           8
        .value_kind:     global_buffer
      - .offset:         48
        .size:           4
        .value_kind:     hidden_block_count_x
      - .offset:         52
        .size:           4
        .value_kind:     hidden_block_count_y
      - .offset:         56
        .size:           4
        .value_kind:     hidden_block_count_z
      - .offset:         60
        .size:           2
        .value_kind:     hidden_group_size_x
      - .offset:         62
        .size:           2
        .value_kind:     hidden_group_size_y
      - .offset:         64
        .size:           2
        .value_kind:     hidden_group_size_z
      - .offset:         66
        .size:           2
        .value_kind:     hidden_remainder_x
      - .offset:         68
        .size:           2
        .value_kind:     hidden_remainder_y
      - .offset:         70
        .size:           2
        .value_kind:     hidden_remainder_z
      - .offset:         88
        .size:           8
        .value_kind:     hidden_global_offset_x
      - .offset:         96
        .size:           8
        .value_kind:     hidden_global_offset_y
      - .offset:         104
        .size:           8
        .value_kind:     hidden_global_offset_z
      - .offset:         112
        .size:           2
        .value_kind:     hidden_grid_dims
    .group_segment_fixed_size: 0
    .kernarg_segment_align: 8
    .kernarg_segment_size: 304
    .language:       OpenCL C
    .language_version:
      - 2
      - 0
    .max_flat_workgroup_size: 1024
    .name:           _ZN12_GLOBAL__N_121softmax_warp_backwardIfN3c104HalfEfLi8ELb0ELb0ELi64EEEvPT0_PKT_S7_iiiPKb
    .private_segment_fixed_size: 0
    .sgpr_count:     20
    .sgpr_spill_count: 0
    .symbol:         _ZN12_GLOBAL__N_121softmax_warp_backwardIfN3c104HalfEfLi8ELb0ELb0ELi64EEEvPT0_PKT_S7_iiiPKb.kd
    .uniform_work_group_size: 1
    .uses_dynamic_stack: false
    .vgpr_count:     15
    .vgpr_spill_count: 0
    .wavefront_size: 64
  - .agpr_count:     0
    .args:
      - .address_space:  global
        .offset:         0
        .size:           8
        .value_kind:     global_buffer
      - .address_space:  global
        .offset:         8
        .size:           8
        .value_kind:     global_buffer
      - .address_space:  global
        .offset:         16
        .size:           8
        .value_kind:     global_buffer
      - .offset:         24
        .size:           4
        .value_kind:     by_value
      - .offset:         28
        .size:           4
        .value_kind:     by_value
      - .offset:         32
        .size:           4
        .value_kind:     by_value
      - .address_space:  global
        .offset:         40
        .size:           8
        .value_kind:     global_buffer
      - .offset:         48
        .size:           4
        .value_kind:     hidden_block_count_x
      - .offset:         52
        .size:           4
        .value_kind:     hidden_block_count_y
      - .offset:         56
        .size:           4
        .value_kind:     hidden_block_count_z
      - .offset:         60
        .size:           2
        .value_kind:     hidden_group_size_x
      - .offset:         62
        .size:           2
        .value_kind:     hidden_group_size_y
      - .offset:         64
        .size:           2
        .value_kind:     hidden_group_size_z
      - .offset:         66
        .size:           2
        .value_kind:     hidden_remainder_x
      - .offset:         68
        .size:           2
        .value_kind:     hidden_remainder_y
      - .offset:         70
        .size:           2
        .value_kind:     hidden_remainder_z
      - .offset:         88
        .size:           8
        .value_kind:     hidden_global_offset_x
      - .offset:         96
        .size:           8
        .value_kind:     hidden_global_offset_y
      - .offset:         104
        .size:           8
        .value_kind:     hidden_global_offset_z
      - .offset:         112
        .size:           2
        .value_kind:     hidden_grid_dims
    .group_segment_fixed_size: 0
    .kernarg_segment_align: 8
    .kernarg_segment_size: 304
    .language:       OpenCL C
    .language_version:
      - 2
      - 0
    .max_flat_workgroup_size: 1024
    .name:           _ZN12_GLOBAL__N_121softmax_warp_backwardIfN3c104HalfEfLi8ELb0ELb0ELi32EEEvPT0_PKT_S7_iiiPKb
    .private_segment_fixed_size: 0
    .sgpr_count:     28
    .sgpr_spill_count: 0
    .symbol:         _ZN12_GLOBAL__N_121softmax_warp_backwardIfN3c104HalfEfLi8ELb0ELb0ELi32EEEvPT0_PKT_S7_iiiPKb.kd
    .uniform_work_group_size: 1
    .uses_dynamic_stack: false
    .vgpr_count:     23
    .vgpr_spill_count: 0
    .wavefront_size: 64
  - .agpr_count:     0
    .args:
      - .address_space:  global
        .offset:         0
        .size:           8
        .value_kind:     global_buffer
      - .address_space:  global
        .offset:         8
        .size:           8
        .value_kind:     global_buffer
      - .address_space:  global
        .offset:         16
        .size:           8
        .value_kind:     global_buffer
      - .offset:         24
        .size:           4
        .value_kind:     by_value
      - .offset:         28
        .size:           4
        .value_kind:     by_value
      - .offset:         32
        .size:           4
        .value_kind:     by_value
      - .address_space:  global
        .offset:         40
        .size:           8
        .value_kind:     global_buffer
      - .offset:         48
        .size:           4
        .value_kind:     hidden_block_count_x
      - .offset:         52
        .size:           4
        .value_kind:     hidden_block_count_y
      - .offset:         56
        .size:           4
        .value_kind:     hidden_block_count_z
      - .offset:         60
        .size:           2
        .value_kind:     hidden_group_size_x
      - .offset:         62
        .size:           2
        .value_kind:     hidden_group_size_y
      - .offset:         64
        .size:           2
        .value_kind:     hidden_group_size_z
      - .offset:         66
        .size:           2
        .value_kind:     hidden_remainder_x
      - .offset:         68
        .size:           2
        .value_kind:     hidden_remainder_y
      - .offset:         70
        .size:           2
        .value_kind:     hidden_remainder_z
      - .offset:         88
        .size:           8
        .value_kind:     hidden_global_offset_x
      - .offset:         96
        .size:           8
        .value_kind:     hidden_global_offset_y
      - .offset:         104
        .size:           8
        .value_kind:     hidden_global_offset_z
      - .offset:         112
        .size:           2
        .value_kind:     hidden_grid_dims
    .group_segment_fixed_size: 0
    .kernarg_segment_align: 8
    .kernarg_segment_size: 304
    .language:       OpenCL C
    .language_version:
      - 2
      - 0
    .max_flat_workgroup_size: 1024
    .name:           _ZN12_GLOBAL__N_121softmax_warp_backwardIfN3c104HalfEfLi9ELb0ELb0ELi64EEEvPT0_PKT_S7_iiiPKb
    .private_segment_fixed_size: 0
    .sgpr_count:     28
    .sgpr_spill_count: 0
    .symbol:         _ZN12_GLOBAL__N_121softmax_warp_backwardIfN3c104HalfEfLi9ELb0ELb0ELi64EEEvPT0_PKT_S7_iiiPKb.kd
    .uniform_work_group_size: 1
    .uses_dynamic_stack: false
    .vgpr_count:     23
    .vgpr_spill_count: 0
    .wavefront_size: 64
  - .agpr_count:     0
    .args:
      - .address_space:  global
        .offset:         0
        .size:           8
        .value_kind:     global_buffer
      - .address_space:  global
        .offset:         8
        .size:           8
        .value_kind:     global_buffer
      - .address_space:  global
        .offset:         16
        .size:           8
        .value_kind:     global_buffer
      - .offset:         24
        .size:           4
        .value_kind:     by_value
      - .offset:         28
        .size:           4
        .value_kind:     by_value
      - .offset:         32
        .size:           4
        .value_kind:     by_value
      - .address_space:  global
        .offset:         40
        .size:           8
        .value_kind:     global_buffer
      - .offset:         48
        .size:           4
        .value_kind:     hidden_block_count_x
      - .offset:         52
        .size:           4
        .value_kind:     hidden_block_count_y
      - .offset:         56
        .size:           4
        .value_kind:     hidden_block_count_z
      - .offset:         60
        .size:           2
        .value_kind:     hidden_group_size_x
      - .offset:         62
        .size:           2
        .value_kind:     hidden_group_size_y
      - .offset:         64
        .size:           2
        .value_kind:     hidden_group_size_z
      - .offset:         66
        .size:           2
        .value_kind:     hidden_remainder_x
      - .offset:         68
        .size:           2
        .value_kind:     hidden_remainder_y
      - .offset:         70
        .size:           2
        .value_kind:     hidden_remainder_z
      - .offset:         88
        .size:           8
        .value_kind:     hidden_global_offset_x
      - .offset:         96
        .size:           8
        .value_kind:     hidden_global_offset_y
      - .offset:         104
        .size:           8
        .value_kind:     hidden_global_offset_z
      - .offset:         112
        .size:           2
        .value_kind:     hidden_grid_dims
    .group_segment_fixed_size: 0
    .kernarg_segment_align: 8
    .kernarg_segment_size: 304
    .language:       OpenCL C
    .language_version:
      - 2
      - 0
    .max_flat_workgroup_size: 1024
    .name:           _ZN12_GLOBAL__N_121softmax_warp_backwardIfN3c104HalfEfLi9ELb0ELb0ELi32EEEvPT0_PKT_S7_iiiPKb
    .private_segment_fixed_size: 0
    .sgpr_count:     44
    .sgpr_spill_count: 0
    .symbol:         _ZN12_GLOBAL__N_121softmax_warp_backwardIfN3c104HalfEfLi9ELb0ELb0ELi32EEEvPT0_PKT_S7_iiiPKb.kd
    .uniform_work_group_size: 1
    .uses_dynamic_stack: false
    .vgpr_count:     39
    .vgpr_spill_count: 0
    .wavefront_size: 64
  - .agpr_count:     0
    .args:
      - .address_space:  global
        .offset:         0
        .size:           8
        .value_kind:     global_buffer
      - .address_space:  global
        .offset:         8
        .size:           8
        .value_kind:     global_buffer
      - .address_space:  global
        .offset:         16
        .size:           8
        .value_kind:     global_buffer
      - .offset:         24
        .size:           4
        .value_kind:     by_value
      - .offset:         28
        .size:           4
        .value_kind:     by_value
      - .offset:         32
        .size:           4
        .value_kind:     by_value
      - .address_space:  global
        .offset:         40
        .size:           8
        .value_kind:     global_buffer
      - .offset:         48
        .size:           4
        .value_kind:     hidden_block_count_x
      - .offset:         52
        .size:           4
        .value_kind:     hidden_block_count_y
      - .offset:         56
        .size:           4
        .value_kind:     hidden_block_count_z
      - .offset:         60
        .size:           2
        .value_kind:     hidden_group_size_x
      - .offset:         62
        .size:           2
        .value_kind:     hidden_group_size_y
      - .offset:         64
        .size:           2
        .value_kind:     hidden_group_size_z
      - .offset:         66
        .size:           2
        .value_kind:     hidden_remainder_x
      - .offset:         68
        .size:           2
        .value_kind:     hidden_remainder_y
      - .offset:         70
        .size:           2
        .value_kind:     hidden_remainder_z
      - .offset:         88
        .size:           8
        .value_kind:     hidden_global_offset_x
      - .offset:         96
        .size:           8
        .value_kind:     hidden_global_offset_y
      - .offset:         104
        .size:           8
        .value_kind:     hidden_global_offset_z
      - .offset:         112
        .size:           2
        .value_kind:     hidden_grid_dims
    .group_segment_fixed_size: 0
    .kernarg_segment_align: 8
    .kernarg_segment_size: 304
    .language:       OpenCL C
    .language_version:
      - 2
      - 0
    .max_flat_workgroup_size: 1024
    .name:           _ZN12_GLOBAL__N_121softmax_warp_backwardIfN3c104HalfEfLi10ELb0ELb0ELi64EEEvPT0_PKT_S7_iiiPKb
    .private_segment_fixed_size: 0
    .sgpr_count:     44
    .sgpr_spill_count: 0
    .symbol:         _ZN12_GLOBAL__N_121softmax_warp_backwardIfN3c104HalfEfLi10ELb0ELb0ELi64EEEvPT0_PKT_S7_iiiPKb.kd
    .uniform_work_group_size: 1
    .uses_dynamic_stack: false
    .vgpr_count:     39
    .vgpr_spill_count: 0
    .wavefront_size: 64
  - .agpr_count:     0
    .args:
      - .address_space:  global
        .offset:         0
        .size:           8
        .value_kind:     global_buffer
      - .address_space:  global
        .offset:         8
        .size:           8
        .value_kind:     global_buffer
      - .address_space:  global
        .offset:         16
        .size:           8
        .value_kind:     global_buffer
      - .offset:         24
        .size:           4
        .value_kind:     by_value
      - .offset:         28
        .size:           4
        .value_kind:     by_value
      - .offset:         32
        .size:           4
        .value_kind:     by_value
      - .address_space:  global
        .offset:         40
        .size:           8
        .value_kind:     global_buffer
      - .offset:         48
        .size:           4
        .value_kind:     hidden_block_count_x
      - .offset:         52
        .size:           4
        .value_kind:     hidden_block_count_y
      - .offset:         56
        .size:           4
        .value_kind:     hidden_block_count_z
      - .offset:         60
        .size:           2
        .value_kind:     hidden_group_size_x
      - .offset:         62
        .size:           2
        .value_kind:     hidden_group_size_y
      - .offset:         64
        .size:           2
        .value_kind:     hidden_group_size_z
      - .offset:         66
        .size:           2
        .value_kind:     hidden_remainder_x
      - .offset:         68
        .size:           2
        .value_kind:     hidden_remainder_y
      - .offset:         70
        .size:           2
        .value_kind:     hidden_remainder_z
      - .offset:         88
        .size:           8
        .value_kind:     hidden_global_offset_x
      - .offset:         96
        .size:           8
        .value_kind:     hidden_global_offset_y
      - .offset:         104
        .size:           8
        .value_kind:     hidden_global_offset_z
      - .offset:         112
        .size:           2
        .value_kind:     hidden_grid_dims
    .group_segment_fixed_size: 0
    .kernarg_segment_align: 8
    .kernarg_segment_size: 304
    .language:       OpenCL C
    .language_version:
      - 2
      - 0
    .max_flat_workgroup_size: 1024
    .name:           _ZN12_GLOBAL__N_121softmax_warp_backwardIfN3c104HalfEfLi10ELb0ELb0ELi32EEEvPT0_PKT_S7_iiiPKb
    .private_segment_fixed_size: 0
    .sgpr_count:     76
    .sgpr_spill_count: 0
    .symbol:         _ZN12_GLOBAL__N_121softmax_warp_backwardIfN3c104HalfEfLi10ELb0ELb0ELi32EEEvPT0_PKT_S7_iiiPKb.kd
    .uniform_work_group_size: 1
    .uses_dynamic_stack: false
    .vgpr_count:     71
    .vgpr_spill_count: 0
    .wavefront_size: 64
  - .agpr_count:     0
    .args:
      - .address_space:  global
        .offset:         0
        .size:           8
        .value_kind:     global_buffer
      - .address_space:  global
        .offset:         8
        .size:           8
        .value_kind:     global_buffer
      - .address_space:  global
        .offset:         16
        .size:           8
        .value_kind:     global_buffer
      - .offset:         24
        .size:           8
        .value_kind:     by_value
      - .offset:         32
        .size:           4
        .value_kind:     hidden_block_count_x
      - .offset:         36
        .size:           4
        .value_kind:     hidden_block_count_y
      - .offset:         40
        .size:           4
        .value_kind:     hidden_block_count_z
      - .offset:         44
        .size:           2
        .value_kind:     hidden_group_size_x
      - .offset:         46
        .size:           2
        .value_kind:     hidden_group_size_y
      - .offset:         48
        .size:           2
        .value_kind:     hidden_group_size_z
      - .offset:         50
        .size:           2
        .value_kind:     hidden_remainder_x
      - .offset:         52
        .size:           2
        .value_kind:     hidden_remainder_y
      - .offset:         54
        .size:           2
        .value_kind:     hidden_remainder_z
      - .offset:         72
        .size:           8
        .value_kind:     hidden_global_offset_x
      - .offset:         80
        .size:           8
        .value_kind:     hidden_global_offset_y
      - .offset:         88
        .size:           8
        .value_kind:     hidden_global_offset_z
      - .offset:         96
        .size:           2
        .value_kind:     hidden_grid_dims
      - .offset:         152
        .size:           4
        .value_kind:     hidden_dynamic_lds_size
    .group_segment_fixed_size: 0
    .kernarg_segment_align: 8
    .kernarg_segment_size: 288
    .language:       OpenCL C
    .language_version:
      - 2
      - 0
    .max_flat_workgroup_size: 1024
    .name:           _ZN2at6native12_GLOBAL__N_124cunn_SoftMaxBackwardSmemILi4EN3c104HalfEffNS1_23SoftMaxBackwardEpilogueEEEvPT0_PKT2_SA_l
    .private_segment_fixed_size: 0
    .sgpr_count:     24
    .sgpr_spill_count: 0
    .symbol:         _ZN2at6native12_GLOBAL__N_124cunn_SoftMaxBackwardSmemILi4EN3c104HalfEffNS1_23SoftMaxBackwardEpilogueEEEvPT0_PKT2_SA_l.kd
    .uniform_work_group_size: 1
    .uses_dynamic_stack: false
    .vgpr_count:     22
    .vgpr_spill_count: 0
    .wavefront_size: 64
  - .agpr_count:     0
    .args:
      - .address_space:  global
        .offset:         0
        .size:           8
        .value_kind:     global_buffer
      - .address_space:  global
        .offset:         8
        .size:           8
        .value_kind:     global_buffer
      - .address_space:  global
        .offset:         16
        .size:           8
        .value_kind:     global_buffer
      - .offset:         24
        .size:           8
        .value_kind:     by_value
      - .offset:         32
        .size:           4
        .value_kind:     hidden_block_count_x
      - .offset:         36
        .size:           4
        .value_kind:     hidden_block_count_y
      - .offset:         40
        .size:           4
        .value_kind:     hidden_block_count_z
      - .offset:         44
        .size:           2
        .value_kind:     hidden_group_size_x
      - .offset:         46
        .size:           2
        .value_kind:     hidden_group_size_y
      - .offset:         48
        .size:           2
        .value_kind:     hidden_group_size_z
      - .offset:         50
        .size:           2
        .value_kind:     hidden_remainder_x
      - .offset:         52
        .size:           2
        .value_kind:     hidden_remainder_y
      - .offset:         54
        .size:           2
        .value_kind:     hidden_remainder_z
      - .offset:         72
        .size:           8
        .value_kind:     hidden_global_offset_x
      - .offset:         80
        .size:           8
        .value_kind:     hidden_global_offset_y
      - .offset:         88
        .size:           8
        .value_kind:     hidden_global_offset_z
      - .offset:         96
        .size:           2
        .value_kind:     hidden_grid_dims
      - .offset:         152
        .size:           4
        .value_kind:     hidden_dynamic_lds_size
    .group_segment_fixed_size: 0
    .kernarg_segment_align: 8
    .kernarg_segment_size: 288
    .language:       OpenCL C
    .language_version:
      - 2
      - 0
    .max_flat_workgroup_size: 1024
    .name:           _ZN2at6native12_GLOBAL__N_120cunn_SoftMaxBackwardILi4EN3c104HalfEffNS1_23SoftMaxBackwardEpilogueEEEvPT0_PKT2_SA_l
    .private_segment_fixed_size: 0
    .sgpr_count:     75
    .sgpr_spill_count: 0
    .symbol:         _ZN2at6native12_GLOBAL__N_120cunn_SoftMaxBackwardILi4EN3c104HalfEffNS1_23SoftMaxBackwardEpilogueEEEvPT0_PKT2_SA_l.kd
    .uniform_work_group_size: 1
    .uses_dynamic_stack: false
    .vgpr_count:     32
    .vgpr_spill_count: 0
    .wavefront_size: 64
  - .agpr_count:     0
    .args:
      - .address_space:  global
        .offset:         0
        .size:           8
        .value_kind:     global_buffer
      - .address_space:  global
        .offset:         8
        .size:           8
        .value_kind:     global_buffer
      - .address_space:  global
        .offset:         16
        .size:           8
        .value_kind:     global_buffer
      - .offset:         24
        .size:           4
        .value_kind:     by_value
      - .offset:         28
        .size:           4
        .value_kind:     by_value
      - .offset:         32
        .size:           4
        .value_kind:     by_value
      - .address_space:  global
        .offset:         40
        .size:           8
        .value_kind:     global_buffer
      - .offset:         48
        .size:           4
        .value_kind:     hidden_block_count_x
      - .offset:         52
        .size:           4
        .value_kind:     hidden_block_count_y
      - .offset:         56
        .size:           4
        .value_kind:     hidden_block_count_z
      - .offset:         60
        .size:           2
        .value_kind:     hidden_group_size_x
      - .offset:         62
        .size:           2
        .value_kind:     hidden_group_size_y
      - .offset:         64
        .size:           2
        .value_kind:     hidden_group_size_z
      - .offset:         66
        .size:           2
        .value_kind:     hidden_remainder_x
      - .offset:         68
        .size:           2
        .value_kind:     hidden_remainder_y
      - .offset:         70
        .size:           2
        .value_kind:     hidden_remainder_z
      - .offset:         88
        .size:           8
        .value_kind:     hidden_global_offset_x
      - .offset:         96
        .size:           8
        .value_kind:     hidden_global_offset_y
      - .offset:         104
        .size:           8
        .value_kind:     hidden_global_offset_z
      - .offset:         112
        .size:           2
        .value_kind:     hidden_grid_dims
    .group_segment_fixed_size: 0
    .kernarg_segment_align: 8
    .kernarg_segment_size: 304
    .language:       OpenCL C
    .language_version:
      - 2
      - 0
    .max_flat_workgroup_size: 1024
    .name:           _ZN12_GLOBAL__N_121softmax_warp_backwardIN3c108BFloat16ES2_fLi0ELb0ELb0ELi64EEEvPT0_PKT_S7_iiiPKb
    .private_segment_fixed_size: 0
    .sgpr_count:     20
    .sgpr_spill_count: 0
    .symbol:         _ZN12_GLOBAL__N_121softmax_warp_backwardIN3c108BFloat16ES2_fLi0ELb0ELb0ELi64EEEvPT0_PKT_S7_iiiPKb.kd
    .uniform_work_group_size: 1
    .uses_dynamic_stack: false
    .vgpr_count:     11
    .vgpr_spill_count: 0
    .wavefront_size: 64
  - .agpr_count:     0
    .args:
      - .address_space:  global
        .offset:         0
        .size:           8
        .value_kind:     global_buffer
      - .address_space:  global
        .offset:         8
        .size:           8
        .value_kind:     global_buffer
      - .address_space:  global
        .offset:         16
        .size:           8
        .value_kind:     global_buffer
      - .offset:         24
        .size:           4
        .value_kind:     by_value
      - .offset:         28
        .size:           4
        .value_kind:     by_value
      - .offset:         32
        .size:           4
        .value_kind:     by_value
      - .address_space:  global
        .offset:         40
        .size:           8
        .value_kind:     global_buffer
      - .offset:         48
        .size:           4
        .value_kind:     hidden_block_count_x
      - .offset:         52
        .size:           4
        .value_kind:     hidden_block_count_y
      - .offset:         56
        .size:           4
        .value_kind:     hidden_block_count_z
      - .offset:         60
        .size:           2
        .value_kind:     hidden_group_size_x
      - .offset:         62
        .size:           2
        .value_kind:     hidden_group_size_y
      - .offset:         64
        .size:           2
        .value_kind:     hidden_group_size_z
      - .offset:         66
        .size:           2
        .value_kind:     hidden_remainder_x
      - .offset:         68
        .size:           2
        .value_kind:     hidden_remainder_y
      - .offset:         70
        .size:           2
        .value_kind:     hidden_remainder_z
      - .offset:         88
        .size:           8
        .value_kind:     hidden_global_offset_x
      - .offset:         96
        .size:           8
        .value_kind:     hidden_global_offset_y
      - .offset:         104
        .size:           8
        .value_kind:     hidden_global_offset_z
      - .offset:         112
        .size:           2
        .value_kind:     hidden_grid_dims
    .group_segment_fixed_size: 0
    .kernarg_segment_align: 8
    .kernarg_segment_size: 304
    .language:       OpenCL C
    .language_version:
      - 2
      - 0
    .max_flat_workgroup_size: 1024
    .name:           _ZN12_GLOBAL__N_121softmax_warp_backwardIN3c108BFloat16ES2_fLi0ELb0ELb0ELi32EEEvPT0_PKT_S7_iiiPKb
    .private_segment_fixed_size: 0
    .sgpr_count:     20
    .sgpr_spill_count: 0
    .symbol:         _ZN12_GLOBAL__N_121softmax_warp_backwardIN3c108BFloat16ES2_fLi0ELb0ELb0ELi32EEEvPT0_PKT_S7_iiiPKb.kd
    .uniform_work_group_size: 1
    .uses_dynamic_stack: false
    .vgpr_count:     11
    .vgpr_spill_count: 0
    .wavefront_size: 64
  - .agpr_count:     0
    .args:
      - .address_space:  global
        .offset:         0
        .size:           8
        .value_kind:     global_buffer
      - .address_space:  global
        .offset:         8
        .size:           8
        .value_kind:     global_buffer
      - .address_space:  global
        .offset:         16
        .size:           8
        .value_kind:     global_buffer
      - .offset:         24
        .size:           4
        .value_kind:     by_value
      - .offset:         28
        .size:           4
        .value_kind:     by_value
      - .offset:         32
        .size:           4
        .value_kind:     by_value
      - .address_space:  global
        .offset:         40
        .size:           8
        .value_kind:     global_buffer
      - .offset:         48
        .size:           4
        .value_kind:     hidden_block_count_x
      - .offset:         52
        .size:           4
        .value_kind:     hidden_block_count_y
      - .offset:         56
        .size:           4
        .value_kind:     hidden_block_count_z
      - .offset:         60
        .size:           2
        .value_kind:     hidden_group_size_x
      - .offset:         62
        .size:           2
        .value_kind:     hidden_group_size_y
      - .offset:         64
        .size:           2
        .value_kind:     hidden_group_size_z
      - .offset:         66
        .size:           2
        .value_kind:     hidden_remainder_x
      - .offset:         68
        .size:           2
        .value_kind:     hidden_remainder_y
      - .offset:         70
        .size:           2
        .value_kind:     hidden_remainder_z
      - .offset:         88
        .size:           8
        .value_kind:     hidden_global_offset_x
      - .offset:         96
        .size:           8
        .value_kind:     hidden_global_offset_y
      - .offset:         104
        .size:           8
        .value_kind:     hidden_global_offset_z
      - .offset:         112
        .size:           2
        .value_kind:     hidden_grid_dims
    .group_segment_fixed_size: 0
    .kernarg_segment_align: 8
    .kernarg_segment_size: 304
    .language:       OpenCL C
    .language_version:
      - 2
      - 0
    .max_flat_workgroup_size: 1024
    .name:           _ZN12_GLOBAL__N_121softmax_warp_backwardIN3c108BFloat16ES2_fLi1ELb0ELb0ELi64EEEvPT0_PKT_S7_iiiPKb
    .private_segment_fixed_size: 0
    .sgpr_count:     20
    .sgpr_spill_count: 0
    .symbol:         _ZN12_GLOBAL__N_121softmax_warp_backwardIN3c108BFloat16ES2_fLi1ELb0ELb0ELi64EEEvPT0_PKT_S7_iiiPKb.kd
    .uniform_work_group_size: 1
    .uses_dynamic_stack: false
    .vgpr_count:     12
    .vgpr_spill_count: 0
    .wavefront_size: 64
  - .agpr_count:     0
    .args:
      - .address_space:  global
        .offset:         0
        .size:           8
        .value_kind:     global_buffer
      - .address_space:  global
        .offset:         8
        .size:           8
        .value_kind:     global_buffer
      - .address_space:  global
        .offset:         16
        .size:           8
        .value_kind:     global_buffer
      - .offset:         24
        .size:           4
        .value_kind:     by_value
      - .offset:         28
        .size:           4
        .value_kind:     by_value
      - .offset:         32
        .size:           4
        .value_kind:     by_value
      - .address_space:  global
        .offset:         40
        .size:           8
        .value_kind:     global_buffer
      - .offset:         48
        .size:           4
        .value_kind:     hidden_block_count_x
      - .offset:         52
        .size:           4
        .value_kind:     hidden_block_count_y
      - .offset:         56
        .size:           4
        .value_kind:     hidden_block_count_z
      - .offset:         60
        .size:           2
        .value_kind:     hidden_group_size_x
      - .offset:         62
        .size:           2
        .value_kind:     hidden_group_size_y
      - .offset:         64
        .size:           2
        .value_kind:     hidden_group_size_z
      - .offset:         66
        .size:           2
        .value_kind:     hidden_remainder_x
      - .offset:         68
        .size:           2
        .value_kind:     hidden_remainder_y
      - .offset:         70
        .size:           2
        .value_kind:     hidden_remainder_z
      - .offset:         88
        .size:           8
        .value_kind:     hidden_global_offset_x
      - .offset:         96
        .size:           8
        .value_kind:     hidden_global_offset_y
      - .offset:         104
        .size:           8
        .value_kind:     hidden_global_offset_z
      - .offset:         112
        .size:           2
        .value_kind:     hidden_grid_dims
    .group_segment_fixed_size: 0
    .kernarg_segment_align: 8
    .kernarg_segment_size: 304
    .language:       OpenCL C
    .language_version:
      - 2
      - 0
    .max_flat_workgroup_size: 1024
    .name:           _ZN12_GLOBAL__N_121softmax_warp_backwardIN3c108BFloat16ES2_fLi1ELb0ELb0ELi32EEEvPT0_PKT_S7_iiiPKb
    .private_segment_fixed_size: 0
    .sgpr_count:     20
    .sgpr_spill_count: 0
    .symbol:         _ZN12_GLOBAL__N_121softmax_warp_backwardIN3c108BFloat16ES2_fLi1ELb0ELb0ELi32EEEvPT0_PKT_S7_iiiPKb.kd
    .uniform_work_group_size: 1
    .uses_dynamic_stack: false
    .vgpr_count:     12
    .vgpr_spill_count: 0
    .wavefront_size: 64
  - .agpr_count:     0
    .args:
      - .address_space:  global
        .offset:         0
        .size:           8
        .value_kind:     global_buffer
      - .address_space:  global
        .offset:         8
        .size:           8
        .value_kind:     global_buffer
      - .address_space:  global
        .offset:         16
        .size:           8
        .value_kind:     global_buffer
      - .offset:         24
        .size:           4
        .value_kind:     by_value
      - .offset:         28
        .size:           4
        .value_kind:     by_value
      - .offset:         32
        .size:           4
        .value_kind:     by_value
      - .address_space:  global
        .offset:         40
        .size:           8
        .value_kind:     global_buffer
      - .offset:         48
        .size:           4
        .value_kind:     hidden_block_count_x
      - .offset:         52
        .size:           4
        .value_kind:     hidden_block_count_y
      - .offset:         56
        .size:           4
        .value_kind:     hidden_block_count_z
      - .offset:         60
        .size:           2
        .value_kind:     hidden_group_size_x
      - .offset:         62
        .size:           2
        .value_kind:     hidden_group_size_y
      - .offset:         64
        .size:           2
        .value_kind:     hidden_group_size_z
      - .offset:         66
        .size:           2
        .value_kind:     hidden_remainder_x
      - .offset:         68
        .size:           2
        .value_kind:     hidden_remainder_y
      - .offset:         70
        .size:           2
        .value_kind:     hidden_remainder_z
      - .offset:         88
        .size:           8
        .value_kind:     hidden_global_offset_x
      - .offset:         96
        .size:           8
        .value_kind:     hidden_global_offset_y
      - .offset:         104
        .size:           8
        .value_kind:     hidden_global_offset_z
      - .offset:         112
        .size:           2
        .value_kind:     hidden_grid_dims
    .group_segment_fixed_size: 0
    .kernarg_segment_align: 8
    .kernarg_segment_size: 304
    .language:       OpenCL C
    .language_version:
      - 2
      - 0
    .max_flat_workgroup_size: 1024
    .name:           _ZN12_GLOBAL__N_121softmax_warp_backwardIN3c108BFloat16ES2_fLi2ELb0ELb0ELi64EEEvPT0_PKT_S7_iiiPKb
    .private_segment_fixed_size: 0
    .sgpr_count:     20
    .sgpr_spill_count: 0
    .symbol:         _ZN12_GLOBAL__N_121softmax_warp_backwardIN3c108BFloat16ES2_fLi2ELb0ELb0ELi64EEEvPT0_PKT_S7_iiiPKb.kd
    .uniform_work_group_size: 1
    .uses_dynamic_stack: false
    .vgpr_count:     14
    .vgpr_spill_count: 0
    .wavefront_size: 64
  - .agpr_count:     0
    .args:
      - .address_space:  global
        .offset:         0
        .size:           8
        .value_kind:     global_buffer
      - .address_space:  global
        .offset:         8
        .size:           8
        .value_kind:     global_buffer
      - .address_space:  global
        .offset:         16
        .size:           8
        .value_kind:     global_buffer
      - .offset:         24
        .size:           4
        .value_kind:     by_value
      - .offset:         28
        .size:           4
        .value_kind:     by_value
      - .offset:         32
        .size:           4
        .value_kind:     by_value
      - .address_space:  global
        .offset:         40
        .size:           8
        .value_kind:     global_buffer
      - .offset:         48
        .size:           4
        .value_kind:     hidden_block_count_x
      - .offset:         52
        .size:           4
        .value_kind:     hidden_block_count_y
      - .offset:         56
        .size:           4
        .value_kind:     hidden_block_count_z
      - .offset:         60
        .size:           2
        .value_kind:     hidden_group_size_x
      - .offset:         62
        .size:           2
        .value_kind:     hidden_group_size_y
      - .offset:         64
        .size:           2
        .value_kind:     hidden_group_size_z
      - .offset:         66
        .size:           2
        .value_kind:     hidden_remainder_x
      - .offset:         68
        .size:           2
        .value_kind:     hidden_remainder_y
      - .offset:         70
        .size:           2
        .value_kind:     hidden_remainder_z
      - .offset:         88
        .size:           8
        .value_kind:     hidden_global_offset_x
      - .offset:         96
        .size:           8
        .value_kind:     hidden_global_offset_y
      - .offset:         104
        .size:           8
        .value_kind:     hidden_global_offset_z
      - .offset:         112
        .size:           2
        .value_kind:     hidden_grid_dims
    .group_segment_fixed_size: 0
    .kernarg_segment_align: 8
    .kernarg_segment_size: 304
    .language:       OpenCL C
    .language_version:
      - 2
      - 0
    .max_flat_workgroup_size: 1024
    .name:           _ZN12_GLOBAL__N_121softmax_warp_backwardIN3c108BFloat16ES2_fLi2ELb0ELb0ELi32EEEvPT0_PKT_S7_iiiPKb
    .private_segment_fixed_size: 0
    .sgpr_count:     20
    .sgpr_spill_count: 0
    .symbol:         _ZN12_GLOBAL__N_121softmax_warp_backwardIN3c108BFloat16ES2_fLi2ELb0ELb0ELi32EEEvPT0_PKT_S7_iiiPKb.kd
    .uniform_work_group_size: 1
    .uses_dynamic_stack: false
    .vgpr_count:     14
    .vgpr_spill_count: 0
    .wavefront_size: 64
  - .agpr_count:     0
    .args:
      - .address_space:  global
        .offset:         0
        .size:           8
        .value_kind:     global_buffer
      - .address_space:  global
        .offset:         8
        .size:           8
        .value_kind:     global_buffer
      - .address_space:  global
        .offset:         16
        .size:           8
        .value_kind:     global_buffer
      - .offset:         24
        .size:           4
        .value_kind:     by_value
      - .offset:         28
        .size:           4
        .value_kind:     by_value
      - .offset:         32
        .size:           4
        .value_kind:     by_value
      - .address_space:  global
        .offset:         40
        .size:           8
        .value_kind:     global_buffer
      - .offset:         48
        .size:           4
        .value_kind:     hidden_block_count_x
      - .offset:         52
        .size:           4
        .value_kind:     hidden_block_count_y
      - .offset:         56
        .size:           4
        .value_kind:     hidden_block_count_z
      - .offset:         60
        .size:           2
        .value_kind:     hidden_group_size_x
      - .offset:         62
        .size:           2
        .value_kind:     hidden_group_size_y
      - .offset:         64
        .size:           2
        .value_kind:     hidden_group_size_z
      - .offset:         66
        .size:           2
        .value_kind:     hidden_remainder_x
      - .offset:         68
        .size:           2
        .value_kind:     hidden_remainder_y
      - .offset:         70
        .size:           2
        .value_kind:     hidden_remainder_z
      - .offset:         88
        .size:           8
        .value_kind:     hidden_global_offset_x
      - .offset:         96
        .size:           8
        .value_kind:     hidden_global_offset_y
      - .offset:         104
        .size:           8
        .value_kind:     hidden_global_offset_z
      - .offset:         112
        .size:           2
        .value_kind:     hidden_grid_dims
    .group_segment_fixed_size: 0
    .kernarg_segment_align: 8
    .kernarg_segment_size: 304
    .language:       OpenCL C
    .language_version:
      - 2
      - 0
    .max_flat_workgroup_size: 1024
    .name:           _ZN12_GLOBAL__N_121softmax_warp_backwardIN3c108BFloat16ES2_fLi3ELb0ELb0ELi64EEEvPT0_PKT_S7_iiiPKb
    .private_segment_fixed_size: 0
    .sgpr_count:     20
    .sgpr_spill_count: 0
    .symbol:         _ZN12_GLOBAL__N_121softmax_warp_backwardIN3c108BFloat16ES2_fLi3ELb0ELb0ELi64EEEvPT0_PKT_S7_iiiPKb.kd
    .uniform_work_group_size: 1
    .uses_dynamic_stack: false
    .vgpr_count:     14
    .vgpr_spill_count: 0
    .wavefront_size: 64
  - .agpr_count:     0
    .args:
      - .address_space:  global
        .offset:         0
        .size:           8
        .value_kind:     global_buffer
      - .address_space:  global
        .offset:         8
        .size:           8
        .value_kind:     global_buffer
      - .address_space:  global
        .offset:         16
        .size:           8
        .value_kind:     global_buffer
      - .offset:         24
        .size:           4
        .value_kind:     by_value
      - .offset:         28
        .size:           4
        .value_kind:     by_value
      - .offset:         32
        .size:           4
        .value_kind:     by_value
      - .address_space:  global
        .offset:         40
        .size:           8
        .value_kind:     global_buffer
      - .offset:         48
        .size:           4
        .value_kind:     hidden_block_count_x
      - .offset:         52
        .size:           4
        .value_kind:     hidden_block_count_y
      - .offset:         56
        .size:           4
        .value_kind:     hidden_block_count_z
      - .offset:         60
        .size:           2
        .value_kind:     hidden_group_size_x
      - .offset:         62
        .size:           2
        .value_kind:     hidden_group_size_y
      - .offset:         64
        .size:           2
        .value_kind:     hidden_group_size_z
      - .offset:         66
        .size:           2
        .value_kind:     hidden_remainder_x
      - .offset:         68
        .size:           2
        .value_kind:     hidden_remainder_y
      - .offset:         70
        .size:           2
        .value_kind:     hidden_remainder_z
      - .offset:         88
        .size:           8
        .value_kind:     hidden_global_offset_x
      - .offset:         96
        .size:           8
        .value_kind:     hidden_global_offset_y
      - .offset:         104
        .size:           8
        .value_kind:     hidden_global_offset_z
      - .offset:         112
        .size:           2
        .value_kind:     hidden_grid_dims
    .group_segment_fixed_size: 0
    .kernarg_segment_align: 8
    .kernarg_segment_size: 304
    .language:       OpenCL C
    .language_version:
      - 2
      - 0
    .max_flat_workgroup_size: 1024
    .name:           _ZN12_GLOBAL__N_121softmax_warp_backwardIN3c108BFloat16ES2_fLi3ELb0ELb0ELi32EEEvPT0_PKT_S7_iiiPKb
    .private_segment_fixed_size: 0
    .sgpr_count:     20
    .sgpr_spill_count: 0
    .symbol:         _ZN12_GLOBAL__N_121softmax_warp_backwardIN3c108BFloat16ES2_fLi3ELb0ELb0ELi32EEEvPT0_PKT_S7_iiiPKb.kd
    .uniform_work_group_size: 1
    .uses_dynamic_stack: false
    .vgpr_count:     14
    .vgpr_spill_count: 0
    .wavefront_size: 64
  - .agpr_count:     0
    .args:
      - .address_space:  global
        .offset:         0
        .size:           8
        .value_kind:     global_buffer
      - .address_space:  global
        .offset:         8
        .size:           8
        .value_kind:     global_buffer
      - .address_space:  global
        .offset:         16
        .size:           8
        .value_kind:     global_buffer
      - .offset:         24
        .size:           4
        .value_kind:     by_value
      - .offset:         28
        .size:           4
        .value_kind:     by_value
      - .offset:         32
        .size:           4
        .value_kind:     by_value
      - .address_space:  global
        .offset:         40
        .size:           8
        .value_kind:     global_buffer
      - .offset:         48
        .size:           4
        .value_kind:     hidden_block_count_x
      - .offset:         52
        .size:           4
        .value_kind:     hidden_block_count_y
      - .offset:         56
        .size:           4
        .value_kind:     hidden_block_count_z
      - .offset:         60
        .size:           2
        .value_kind:     hidden_group_size_x
      - .offset:         62
        .size:           2
        .value_kind:     hidden_group_size_y
      - .offset:         64
        .size:           2
        .value_kind:     hidden_group_size_z
      - .offset:         66
        .size:           2
        .value_kind:     hidden_remainder_x
      - .offset:         68
        .size:           2
        .value_kind:     hidden_remainder_y
      - .offset:         70
        .size:           2
        .value_kind:     hidden_remainder_z
      - .offset:         88
        .size:           8
        .value_kind:     hidden_global_offset_x
      - .offset:         96
        .size:           8
        .value_kind:     hidden_global_offset_y
      - .offset:         104
        .size:           8
        .value_kind:     hidden_global_offset_z
      - .offset:         112
        .size:           2
        .value_kind:     hidden_grid_dims
    .group_segment_fixed_size: 0
    .kernarg_segment_align: 8
    .kernarg_segment_size: 304
    .language:       OpenCL C
    .language_version:
      - 2
      - 0
    .max_flat_workgroup_size: 1024
    .name:           _ZN12_GLOBAL__N_121softmax_warp_backwardIN3c108BFloat16ES2_fLi4ELb0ELb0ELi64EEEvPT0_PKT_S7_iiiPKb
    .private_segment_fixed_size: 0
    .sgpr_count:     20
    .sgpr_spill_count: 0
    .symbol:         _ZN12_GLOBAL__N_121softmax_warp_backwardIN3c108BFloat16ES2_fLi4ELb0ELb0ELi64EEEvPT0_PKT_S7_iiiPKb.kd
    .uniform_work_group_size: 1
    .uses_dynamic_stack: false
    .vgpr_count:     14
    .vgpr_spill_count: 0
    .wavefront_size: 64
  - .agpr_count:     0
    .args:
      - .address_space:  global
        .offset:         0
        .size:           8
        .value_kind:     global_buffer
      - .address_space:  global
        .offset:         8
        .size:           8
        .value_kind:     global_buffer
      - .address_space:  global
        .offset:         16
        .size:           8
        .value_kind:     global_buffer
      - .offset:         24
        .size:           4
        .value_kind:     by_value
      - .offset:         28
        .size:           4
        .value_kind:     by_value
      - .offset:         32
        .size:           4
        .value_kind:     by_value
      - .address_space:  global
        .offset:         40
        .size:           8
        .value_kind:     global_buffer
      - .offset:         48
        .size:           4
        .value_kind:     hidden_block_count_x
      - .offset:         52
        .size:           4
        .value_kind:     hidden_block_count_y
      - .offset:         56
        .size:           4
        .value_kind:     hidden_block_count_z
      - .offset:         60
        .size:           2
        .value_kind:     hidden_group_size_x
      - .offset:         62
        .size:           2
        .value_kind:     hidden_group_size_y
      - .offset:         64
        .size:           2
        .value_kind:     hidden_group_size_z
      - .offset:         66
        .size:           2
        .value_kind:     hidden_remainder_x
      - .offset:         68
        .size:           2
        .value_kind:     hidden_remainder_y
      - .offset:         70
        .size:           2
        .value_kind:     hidden_remainder_z
      - .offset:         88
        .size:           8
        .value_kind:     hidden_global_offset_x
      - .offset:         96
        .size:           8
        .value_kind:     hidden_global_offset_y
      - .offset:         104
        .size:           8
        .value_kind:     hidden_global_offset_z
      - .offset:         112
        .size:           2
        .value_kind:     hidden_grid_dims
    .group_segment_fixed_size: 0
    .kernarg_segment_align: 8
    .kernarg_segment_size: 304
    .language:       OpenCL C
    .language_version:
      - 2
      - 0
    .max_flat_workgroup_size: 1024
    .name:           _ZN12_GLOBAL__N_121softmax_warp_backwardIN3c108BFloat16ES2_fLi4ELb0ELb0ELi32EEEvPT0_PKT_S7_iiiPKb
    .private_segment_fixed_size: 0
    .sgpr_count:     20
    .sgpr_spill_count: 0
    .symbol:         _ZN12_GLOBAL__N_121softmax_warp_backwardIN3c108BFloat16ES2_fLi4ELb0ELb0ELi32EEEvPT0_PKT_S7_iiiPKb.kd
    .uniform_work_group_size: 1
    .uses_dynamic_stack: false
    .vgpr_count:     14
    .vgpr_spill_count: 0
    .wavefront_size: 64
  - .agpr_count:     0
    .args:
      - .address_space:  global
        .offset:         0
        .size:           8
        .value_kind:     global_buffer
      - .address_space:  global
        .offset:         8
        .size:           8
        .value_kind:     global_buffer
      - .address_space:  global
        .offset:         16
        .size:           8
        .value_kind:     global_buffer
      - .offset:         24
        .size:           4
        .value_kind:     by_value
      - .offset:         28
        .size:           4
        .value_kind:     by_value
      - .offset:         32
        .size:           4
        .value_kind:     by_value
      - .address_space:  global
        .offset:         40
        .size:           8
        .value_kind:     global_buffer
      - .offset:         48
        .size:           4
        .value_kind:     hidden_block_count_x
      - .offset:         52
        .size:           4
        .value_kind:     hidden_block_count_y
      - .offset:         56
        .size:           4
        .value_kind:     hidden_block_count_z
      - .offset:         60
        .size:           2
        .value_kind:     hidden_group_size_x
      - .offset:         62
        .size:           2
        .value_kind:     hidden_group_size_y
      - .offset:         64
        .size:           2
        .value_kind:     hidden_group_size_z
      - .offset:         66
        .size:           2
        .value_kind:     hidden_remainder_x
      - .offset:         68
        .size:           2
        .value_kind:     hidden_remainder_y
      - .offset:         70
        .size:           2
        .value_kind:     hidden_remainder_z
      - .offset:         88
        .size:           8
        .value_kind:     hidden_global_offset_x
      - .offset:         96
        .size:           8
        .value_kind:     hidden_global_offset_y
      - .offset:         104
        .size:           8
        .value_kind:     hidden_global_offset_z
      - .offset:         112
        .size:           2
        .value_kind:     hidden_grid_dims
    .group_segment_fixed_size: 0
    .kernarg_segment_align: 8
    .kernarg_segment_size: 304
    .language:       OpenCL C
    .language_version:
      - 2
      - 0
    .max_flat_workgroup_size: 1024
    .name:           _ZN12_GLOBAL__N_121softmax_warp_backwardIN3c108BFloat16ES2_fLi5ELb0ELb0ELi64EEEvPT0_PKT_S7_iiiPKb
    .private_segment_fixed_size: 0
    .sgpr_count:     20
    .sgpr_spill_count: 0
    .symbol:         _ZN12_GLOBAL__N_121softmax_warp_backwardIN3c108BFloat16ES2_fLi5ELb0ELb0ELi64EEEvPT0_PKT_S7_iiiPKb.kd
    .uniform_work_group_size: 1
    .uses_dynamic_stack: false
    .vgpr_count:     14
    .vgpr_spill_count: 0
    .wavefront_size: 64
  - .agpr_count:     0
    .args:
      - .address_space:  global
        .offset:         0
        .size:           8
        .value_kind:     global_buffer
      - .address_space:  global
        .offset:         8
        .size:           8
        .value_kind:     global_buffer
      - .address_space:  global
        .offset:         16
        .size:           8
        .value_kind:     global_buffer
      - .offset:         24
        .size:           4
        .value_kind:     by_value
      - .offset:         28
        .size:           4
        .value_kind:     by_value
      - .offset:         32
        .size:           4
        .value_kind:     by_value
      - .address_space:  global
        .offset:         40
        .size:           8
        .value_kind:     global_buffer
      - .offset:         48
        .size:           4
        .value_kind:     hidden_block_count_x
      - .offset:         52
        .size:           4
        .value_kind:     hidden_block_count_y
      - .offset:         56
        .size:           4
        .value_kind:     hidden_block_count_z
      - .offset:         60
        .size:           2
        .value_kind:     hidden_group_size_x
      - .offset:         62
        .size:           2
        .value_kind:     hidden_group_size_y
      - .offset:         64
        .size:           2
        .value_kind:     hidden_group_size_z
      - .offset:         66
        .size:           2
        .value_kind:     hidden_remainder_x
      - .offset:         68
        .size:           2
        .value_kind:     hidden_remainder_y
      - .offset:         70
        .size:           2
        .value_kind:     hidden_remainder_z
      - .offset:         88
        .size:           8
        .value_kind:     hidden_global_offset_x
      - .offset:         96
        .size:           8
        .value_kind:     hidden_global_offset_y
      - .offset:         104
        .size:           8
        .value_kind:     hidden_global_offset_z
      - .offset:         112
        .size:           2
        .value_kind:     hidden_grid_dims
    .group_segment_fixed_size: 0
    .kernarg_segment_align: 8
    .kernarg_segment_size: 304
    .language:       OpenCL C
    .language_version:
      - 2
      - 0
    .max_flat_workgroup_size: 1024
    .name:           _ZN12_GLOBAL__N_121softmax_warp_backwardIN3c108BFloat16ES2_fLi5ELb0ELb0ELi32EEEvPT0_PKT_S7_iiiPKb
    .private_segment_fixed_size: 0
    .sgpr_count:     20
    .sgpr_spill_count: 0
    .symbol:         _ZN12_GLOBAL__N_121softmax_warp_backwardIN3c108BFloat16ES2_fLi5ELb0ELb0ELi32EEEvPT0_PKT_S7_iiiPKb.kd
    .uniform_work_group_size: 1
    .uses_dynamic_stack: false
    .vgpr_count:     14
    .vgpr_spill_count: 0
    .wavefront_size: 64
  - .agpr_count:     0
    .args:
      - .address_space:  global
        .offset:         0
        .size:           8
        .value_kind:     global_buffer
      - .address_space:  global
        .offset:         8
        .size:           8
        .value_kind:     global_buffer
      - .address_space:  global
        .offset:         16
        .size:           8
        .value_kind:     global_buffer
      - .offset:         24
        .size:           4
        .value_kind:     by_value
      - .offset:         28
        .size:           4
        .value_kind:     by_value
      - .offset:         32
        .size:           4
        .value_kind:     by_value
      - .address_space:  global
        .offset:         40
        .size:           8
        .value_kind:     global_buffer
      - .offset:         48
        .size:           4
        .value_kind:     hidden_block_count_x
      - .offset:         52
        .size:           4
        .value_kind:     hidden_block_count_y
      - .offset:         56
        .size:           4
        .value_kind:     hidden_block_count_z
      - .offset:         60
        .size:           2
        .value_kind:     hidden_group_size_x
      - .offset:         62
        .size:           2
        .value_kind:     hidden_group_size_y
      - .offset:         64
        .size:           2
        .value_kind:     hidden_group_size_z
      - .offset:         66
        .size:           2
        .value_kind:     hidden_remainder_x
      - .offset:         68
        .size:           2
        .value_kind:     hidden_remainder_y
      - .offset:         70
        .size:           2
        .value_kind:     hidden_remainder_z
      - .offset:         88
        .size:           8
        .value_kind:     hidden_global_offset_x
      - .offset:         96
        .size:           8
        .value_kind:     hidden_global_offset_y
      - .offset:         104
        .size:           8
        .value_kind:     hidden_global_offset_z
      - .offset:         112
        .size:           2
        .value_kind:     hidden_grid_dims
    .group_segment_fixed_size: 0
    .kernarg_segment_align: 8
    .kernarg_segment_size: 304
    .language:       OpenCL C
    .language_version:
      - 2
      - 0
    .max_flat_workgroup_size: 1024
    .name:           _ZN12_GLOBAL__N_121softmax_warp_backwardIN3c108BFloat16ES2_fLi6ELb0ELb0ELi64EEEvPT0_PKT_S7_iiiPKb
    .private_segment_fixed_size: 0
    .sgpr_count:     20
    .sgpr_spill_count: 0
    .symbol:         _ZN12_GLOBAL__N_121softmax_warp_backwardIN3c108BFloat16ES2_fLi6ELb0ELb0ELi64EEEvPT0_PKT_S7_iiiPKb.kd
    .uniform_work_group_size: 1
    .uses_dynamic_stack: false
    .vgpr_count:     14
    .vgpr_spill_count: 0
    .wavefront_size: 64
  - .agpr_count:     0
    .args:
      - .address_space:  global
        .offset:         0
        .size:           8
        .value_kind:     global_buffer
      - .address_space:  global
        .offset:         8
        .size:           8
        .value_kind:     global_buffer
      - .address_space:  global
        .offset:         16
        .size:           8
        .value_kind:     global_buffer
      - .offset:         24
        .size:           4
        .value_kind:     by_value
      - .offset:         28
        .size:           4
        .value_kind:     by_value
      - .offset:         32
        .size:           4
        .value_kind:     by_value
      - .address_space:  global
        .offset:         40
        .size:           8
        .value_kind:     global_buffer
      - .offset:         48
        .size:           4
        .value_kind:     hidden_block_count_x
      - .offset:         52
        .size:           4
        .value_kind:     hidden_block_count_y
      - .offset:         56
        .size:           4
        .value_kind:     hidden_block_count_z
      - .offset:         60
        .size:           2
        .value_kind:     hidden_group_size_x
      - .offset:         62
        .size:           2
        .value_kind:     hidden_group_size_y
      - .offset:         64
        .size:           2
        .value_kind:     hidden_group_size_z
      - .offset:         66
        .size:           2
        .value_kind:     hidden_remainder_x
      - .offset:         68
        .size:           2
        .value_kind:     hidden_remainder_y
      - .offset:         70
        .size:           2
        .value_kind:     hidden_remainder_z
      - .offset:         88
        .size:           8
        .value_kind:     hidden_global_offset_x
      - .offset:         96
        .size:           8
        .value_kind:     hidden_global_offset_y
      - .offset:         104
        .size:           8
        .value_kind:     hidden_global_offset_z
      - .offset:         112
        .size:           2
        .value_kind:     hidden_grid_dims
    .group_segment_fixed_size: 0
    .kernarg_segment_align: 8
    .kernarg_segment_size: 304
    .language:       OpenCL C
    .language_version:
      - 2
      - 0
    .max_flat_workgroup_size: 1024
    .name:           _ZN12_GLOBAL__N_121softmax_warp_backwardIN3c108BFloat16ES2_fLi6ELb0ELb0ELi32EEEvPT0_PKT_S7_iiiPKb
    .private_segment_fixed_size: 0
    .sgpr_count:     20
    .sgpr_spill_count: 0
    .symbol:         _ZN12_GLOBAL__N_121softmax_warp_backwardIN3c108BFloat16ES2_fLi6ELb0ELb0ELi32EEEvPT0_PKT_S7_iiiPKb.kd
    .uniform_work_group_size: 1
    .uses_dynamic_stack: false
    .vgpr_count:     18
    .vgpr_spill_count: 0
    .wavefront_size: 64
  - .agpr_count:     0
    .args:
      - .address_space:  global
        .offset:         0
        .size:           8
        .value_kind:     global_buffer
      - .address_space:  global
        .offset:         8
        .size:           8
        .value_kind:     global_buffer
      - .address_space:  global
        .offset:         16
        .size:           8
        .value_kind:     global_buffer
      - .offset:         24
        .size:           4
        .value_kind:     by_value
      - .offset:         28
        .size:           4
        .value_kind:     by_value
      - .offset:         32
        .size:           4
        .value_kind:     by_value
      - .address_space:  global
        .offset:         40
        .size:           8
        .value_kind:     global_buffer
      - .offset:         48
        .size:           4
        .value_kind:     hidden_block_count_x
      - .offset:         52
        .size:           4
        .value_kind:     hidden_block_count_y
      - .offset:         56
        .size:           4
        .value_kind:     hidden_block_count_z
      - .offset:         60
        .size:           2
        .value_kind:     hidden_group_size_x
      - .offset:         62
        .size:           2
        .value_kind:     hidden_group_size_y
      - .offset:         64
        .size:           2
        .value_kind:     hidden_group_size_z
      - .offset:         66
        .size:           2
        .value_kind:     hidden_remainder_x
      - .offset:         68
        .size:           2
        .value_kind:     hidden_remainder_y
      - .offset:         70
        .size:           2
        .value_kind:     hidden_remainder_z
      - .offset:         88
        .size:           8
        .value_kind:     hidden_global_offset_x
      - .offset:         96
        .size:           8
        .value_kind:     hidden_global_offset_y
      - .offset:         104
        .size:           8
        .value_kind:     hidden_global_offset_z
      - .offset:         112
        .size:           2
        .value_kind:     hidden_grid_dims
    .group_segment_fixed_size: 0
    .kernarg_segment_align: 8
    .kernarg_segment_size: 304
    .language:       OpenCL C
    .language_version:
      - 2
      - 0
    .max_flat_workgroup_size: 1024
    .name:           _ZN12_GLOBAL__N_121softmax_warp_backwardIN3c108BFloat16ES2_fLi7ELb0ELb0ELi64EEEvPT0_PKT_S7_iiiPKb
    .private_segment_fixed_size: 0
    .sgpr_count:     20
    .sgpr_spill_count: 0
    .symbol:         _ZN12_GLOBAL__N_121softmax_warp_backwardIN3c108BFloat16ES2_fLi7ELb0ELb0ELi64EEEvPT0_PKT_S7_iiiPKb.kd
    .uniform_work_group_size: 1
    .uses_dynamic_stack: false
    .vgpr_count:     18
    .vgpr_spill_count: 0
    .wavefront_size: 64
  - .agpr_count:     0
    .args:
      - .address_space:  global
        .offset:         0
        .size:           8
        .value_kind:     global_buffer
      - .address_space:  global
        .offset:         8
        .size:           8
        .value_kind:     global_buffer
      - .address_space:  global
        .offset:         16
        .size:           8
        .value_kind:     global_buffer
      - .offset:         24
        .size:           4
        .value_kind:     by_value
      - .offset:         28
        .size:           4
        .value_kind:     by_value
      - .offset:         32
        .size:           4
        .value_kind:     by_value
      - .address_space:  global
        .offset:         40
        .size:           8
        .value_kind:     global_buffer
      - .offset:         48
        .size:           4
        .value_kind:     hidden_block_count_x
      - .offset:         52
        .size:           4
        .value_kind:     hidden_block_count_y
      - .offset:         56
        .size:           4
        .value_kind:     hidden_block_count_z
      - .offset:         60
        .size:           2
        .value_kind:     hidden_group_size_x
      - .offset:         62
        .size:           2
        .value_kind:     hidden_group_size_y
      - .offset:         64
        .size:           2
        .value_kind:     hidden_group_size_z
      - .offset:         66
        .size:           2
        .value_kind:     hidden_remainder_x
      - .offset:         68
        .size:           2
        .value_kind:     hidden_remainder_y
      - .offset:         70
        .size:           2
        .value_kind:     hidden_remainder_z
      - .offset:         88
        .size:           8
        .value_kind:     hidden_global_offset_x
      - .offset:         96
        .size:           8
        .value_kind:     hidden_global_offset_y
      - .offset:         104
        .size:           8
        .value_kind:     hidden_global_offset_z
      - .offset:         112
        .size:           2
        .value_kind:     hidden_grid_dims
    .group_segment_fixed_size: 0
    .kernarg_segment_align: 8
    .kernarg_segment_size: 304
    .language:       OpenCL C
    .language_version:
      - 2
      - 0
    .max_flat_workgroup_size: 1024
    .name:           _ZN12_GLOBAL__N_121softmax_warp_backwardIN3c108BFloat16ES2_fLi7ELb0ELb0ELi32EEEvPT0_PKT_S7_iiiPKb
    .private_segment_fixed_size: 0
    .sgpr_count:     24
    .sgpr_spill_count: 0
    .symbol:         _ZN12_GLOBAL__N_121softmax_warp_backwardIN3c108BFloat16ES2_fLi7ELb0ELb0ELi32EEEvPT0_PKT_S7_iiiPKb.kd
    .uniform_work_group_size: 1
    .uses_dynamic_stack: false
    .vgpr_count:     26
    .vgpr_spill_count: 0
    .wavefront_size: 64
  - .agpr_count:     0
    .args:
      - .address_space:  global
        .offset:         0
        .size:           8
        .value_kind:     global_buffer
      - .address_space:  global
        .offset:         8
        .size:           8
        .value_kind:     global_buffer
      - .address_space:  global
        .offset:         16
        .size:           8
        .value_kind:     global_buffer
      - .offset:         24
        .size:           4
        .value_kind:     by_value
      - .offset:         28
        .size:           4
        .value_kind:     by_value
      - .offset:         32
        .size:           4
        .value_kind:     by_value
      - .address_space:  global
        .offset:         40
        .size:           8
        .value_kind:     global_buffer
      - .offset:         48
        .size:           4
        .value_kind:     hidden_block_count_x
      - .offset:         52
        .size:           4
        .value_kind:     hidden_block_count_y
      - .offset:         56
        .size:           4
        .value_kind:     hidden_block_count_z
      - .offset:         60
        .size:           2
        .value_kind:     hidden_group_size_x
      - .offset:         62
        .size:           2
        .value_kind:     hidden_group_size_y
      - .offset:         64
        .size:           2
        .value_kind:     hidden_group_size_z
      - .offset:         66
        .size:           2
        .value_kind:     hidden_remainder_x
      - .offset:         68
        .size:           2
        .value_kind:     hidden_remainder_y
      - .offset:         70
        .size:           2
        .value_kind:     hidden_remainder_z
      - .offset:         88
        .size:           8
        .value_kind:     hidden_global_offset_x
      - .offset:         96
        .size:           8
        .value_kind:     hidden_global_offset_y
      - .offset:         104
        .size:           8
        .value_kind:     hidden_global_offset_z
      - .offset:         112
        .size:           2
        .value_kind:     hidden_grid_dims
    .group_segment_fixed_size: 0
    .kernarg_segment_align: 8
    .kernarg_segment_size: 304
    .language:       OpenCL C
    .language_version:
      - 2
      - 0
    .max_flat_workgroup_size: 1024
    .name:           _ZN12_GLOBAL__N_121softmax_warp_backwardIN3c108BFloat16ES2_fLi8ELb0ELb0ELi64EEEvPT0_PKT_S7_iiiPKb
    .private_segment_fixed_size: 0
    .sgpr_count:     20
    .sgpr_spill_count: 0
    .symbol:         _ZN12_GLOBAL__N_121softmax_warp_backwardIN3c108BFloat16ES2_fLi8ELb0ELb0ELi64EEEvPT0_PKT_S7_iiiPKb.kd
    .uniform_work_group_size: 1
    .uses_dynamic_stack: false
    .vgpr_count:     16
    .vgpr_spill_count: 0
    .wavefront_size: 64
  - .agpr_count:     0
    .args:
      - .address_space:  global
        .offset:         0
        .size:           8
        .value_kind:     global_buffer
      - .address_space:  global
        .offset:         8
        .size:           8
        .value_kind:     global_buffer
      - .address_space:  global
        .offset:         16
        .size:           8
        .value_kind:     global_buffer
      - .offset:         24
        .size:           4
        .value_kind:     by_value
      - .offset:         28
        .size:           4
        .value_kind:     by_value
      - .offset:         32
        .size:           4
        .value_kind:     by_value
      - .address_space:  global
        .offset:         40
        .size:           8
        .value_kind:     global_buffer
      - .offset:         48
        .size:           4
        .value_kind:     hidden_block_count_x
      - .offset:         52
        .size:           4
        .value_kind:     hidden_block_count_y
      - .offset:         56
        .size:           4
        .value_kind:     hidden_block_count_z
      - .offset:         60
        .size:           2
        .value_kind:     hidden_group_size_x
      - .offset:         62
        .size:           2
        .value_kind:     hidden_group_size_y
      - .offset:         64
        .size:           2
        .value_kind:     hidden_group_size_z
      - .offset:         66
        .size:           2
        .value_kind:     hidden_remainder_x
      - .offset:         68
        .size:           2
        .value_kind:     hidden_remainder_y
      - .offset:         70
        .size:           2
        .value_kind:     hidden_remainder_z
      - .offset:         88
        .size:           8
        .value_kind:     hidden_global_offset_x
      - .offset:         96
        .size:           8
        .value_kind:     hidden_global_offset_y
      - .offset:         104
        .size:           8
        .value_kind:     hidden_global_offset_z
      - .offset:         112
        .size:           2
        .value_kind:     hidden_grid_dims
    .group_segment_fixed_size: 0
    .kernarg_segment_align: 8
    .kernarg_segment_size: 304
    .language:       OpenCL C
    .language_version:
      - 2
      - 0
    .max_flat_workgroup_size: 1024
    .name:           _ZN12_GLOBAL__N_121softmax_warp_backwardIN3c108BFloat16ES2_fLi8ELb0ELb0ELi32EEEvPT0_PKT_S7_iiiPKb
    .private_segment_fixed_size: 0
    .sgpr_count:     28
    .sgpr_spill_count: 0
    .symbol:         _ZN12_GLOBAL__N_121softmax_warp_backwardIN3c108BFloat16ES2_fLi8ELb0ELb0ELi32EEEvPT0_PKT_S7_iiiPKb.kd
    .uniform_work_group_size: 1
    .uses_dynamic_stack: false
    .vgpr_count:     24
    .vgpr_spill_count: 0
    .wavefront_size: 64
  - .agpr_count:     0
    .args:
      - .address_space:  global
        .offset:         0
        .size:           8
        .value_kind:     global_buffer
      - .address_space:  global
        .offset:         8
        .size:           8
        .value_kind:     global_buffer
      - .address_space:  global
        .offset:         16
        .size:           8
        .value_kind:     global_buffer
      - .offset:         24
        .size:           4
        .value_kind:     by_value
      - .offset:         28
        .size:           4
        .value_kind:     by_value
      - .offset:         32
        .size:           4
        .value_kind:     by_value
      - .address_space:  global
        .offset:         40
        .size:           8
        .value_kind:     global_buffer
      - .offset:         48
        .size:           4
        .value_kind:     hidden_block_count_x
      - .offset:         52
        .size:           4
        .value_kind:     hidden_block_count_y
      - .offset:         56
        .size:           4
        .value_kind:     hidden_block_count_z
      - .offset:         60
        .size:           2
        .value_kind:     hidden_group_size_x
      - .offset:         62
        .size:           2
        .value_kind:     hidden_group_size_y
      - .offset:         64
        .size:           2
        .value_kind:     hidden_group_size_z
      - .offset:         66
        .size:           2
        .value_kind:     hidden_remainder_x
      - .offset:         68
        .size:           2
        .value_kind:     hidden_remainder_y
      - .offset:         70
        .size:           2
        .value_kind:     hidden_remainder_z
      - .offset:         88
        .size:           8
        .value_kind:     hidden_global_offset_x
      - .offset:         96
        .size:           8
        .value_kind:     hidden_global_offset_y
      - .offset:         104
        .size:           8
        .value_kind:     hidden_global_offset_z
      - .offset:         112
        .size:           2
        .value_kind:     hidden_grid_dims
    .group_segment_fixed_size: 0
    .kernarg_segment_align: 8
    .kernarg_segment_size: 304
    .language:       OpenCL C
    .language_version:
      - 2
      - 0
    .max_flat_workgroup_size: 1024
    .name:           _ZN12_GLOBAL__N_121softmax_warp_backwardIN3c108BFloat16ES2_fLi9ELb0ELb0ELi64EEEvPT0_PKT_S7_iiiPKb
    .private_segment_fixed_size: 0
    .sgpr_count:     28
    .sgpr_spill_count: 0
    .symbol:         _ZN12_GLOBAL__N_121softmax_warp_backwardIN3c108BFloat16ES2_fLi9ELb0ELb0ELi64EEEvPT0_PKT_S7_iiiPKb.kd
    .uniform_work_group_size: 1
    .uses_dynamic_stack: false
    .vgpr_count:     24
    .vgpr_spill_count: 0
    .wavefront_size: 64
  - .agpr_count:     0
    .args:
      - .address_space:  global
        .offset:         0
        .size:           8
        .value_kind:     global_buffer
      - .address_space:  global
        .offset:         8
        .size:           8
        .value_kind:     global_buffer
      - .address_space:  global
        .offset:         16
        .size:           8
        .value_kind:     global_buffer
      - .offset:         24
        .size:           4
        .value_kind:     by_value
      - .offset:         28
        .size:           4
        .value_kind:     by_value
      - .offset:         32
        .size:           4
        .value_kind:     by_value
      - .address_space:  global
        .offset:         40
        .size:           8
        .value_kind:     global_buffer
      - .offset:         48
        .size:           4
        .value_kind:     hidden_block_count_x
      - .offset:         52
        .size:           4
        .value_kind:     hidden_block_count_y
      - .offset:         56
        .size:           4
        .value_kind:     hidden_block_count_z
      - .offset:         60
        .size:           2
        .value_kind:     hidden_group_size_x
      - .offset:         62
        .size:           2
        .value_kind:     hidden_group_size_y
      - .offset:         64
        .size:           2
        .value_kind:     hidden_group_size_z
      - .offset:         66
        .size:           2
        .value_kind:     hidden_remainder_x
      - .offset:         68
        .size:           2
        .value_kind:     hidden_remainder_y
      - .offset:         70
        .size:           2
        .value_kind:     hidden_remainder_z
      - .offset:         88
        .size:           8
        .value_kind:     hidden_global_offset_x
      - .offset:         96
        .size:           8
        .value_kind:     hidden_global_offset_y
      - .offset:         104
        .size:           8
        .value_kind:     hidden_global_offset_z
      - .offset:         112
        .size:           2
        .value_kind:     hidden_grid_dims
    .group_segment_fixed_size: 0
    .kernarg_segment_align: 8
    .kernarg_segment_size: 304
    .language:       OpenCL C
    .language_version:
      - 2
      - 0
    .max_flat_workgroup_size: 1024
    .name:           _ZN12_GLOBAL__N_121softmax_warp_backwardIN3c108BFloat16ES2_fLi9ELb0ELb0ELi32EEEvPT0_PKT_S7_iiiPKb
    .private_segment_fixed_size: 0
    .sgpr_count:     48
    .sgpr_spill_count: 0
    .symbol:         _ZN12_GLOBAL__N_121softmax_warp_backwardIN3c108BFloat16ES2_fLi9ELb0ELb0ELi32EEEvPT0_PKT_S7_iiiPKb.kd
    .uniform_work_group_size: 1
    .uses_dynamic_stack: false
    .vgpr_count:     40
    .vgpr_spill_count: 0
    .wavefront_size: 64
  - .agpr_count:     0
    .args:
      - .address_space:  global
        .offset:         0
        .size:           8
        .value_kind:     global_buffer
      - .address_space:  global
        .offset:         8
        .size:           8
        .value_kind:     global_buffer
      - .address_space:  global
        .offset:         16
        .size:           8
        .value_kind:     global_buffer
      - .offset:         24
        .size:           4
        .value_kind:     by_value
      - .offset:         28
        .size:           4
        .value_kind:     by_value
      - .offset:         32
        .size:           4
        .value_kind:     by_value
      - .address_space:  global
        .offset:         40
        .size:           8
        .value_kind:     global_buffer
      - .offset:         48
        .size:           4
        .value_kind:     hidden_block_count_x
      - .offset:         52
        .size:           4
        .value_kind:     hidden_block_count_y
      - .offset:         56
        .size:           4
        .value_kind:     hidden_block_count_z
      - .offset:         60
        .size:           2
        .value_kind:     hidden_group_size_x
      - .offset:         62
        .size:           2
        .value_kind:     hidden_group_size_y
      - .offset:         64
        .size:           2
        .value_kind:     hidden_group_size_z
      - .offset:         66
        .size:           2
        .value_kind:     hidden_remainder_x
      - .offset:         68
        .size:           2
        .value_kind:     hidden_remainder_y
      - .offset:         70
        .size:           2
        .value_kind:     hidden_remainder_z
      - .offset:         88
        .size:           8
        .value_kind:     hidden_global_offset_x
      - .offset:         96
        .size:           8
        .value_kind:     hidden_global_offset_y
      - .offset:         104
        .size:           8
        .value_kind:     hidden_global_offset_z
      - .offset:         112
        .size:           2
        .value_kind:     hidden_grid_dims
    .group_segment_fixed_size: 0
    .kernarg_segment_align: 8
    .kernarg_segment_size: 304
    .language:       OpenCL C
    .language_version:
      - 2
      - 0
    .max_flat_workgroup_size: 1024
    .name:           _ZN12_GLOBAL__N_121softmax_warp_backwardIN3c108BFloat16ES2_fLi10ELb0ELb0ELi64EEEvPT0_PKT_S7_iiiPKb
    .private_segment_fixed_size: 0
    .sgpr_count:     48
    .sgpr_spill_count: 0
    .symbol:         _ZN12_GLOBAL__N_121softmax_warp_backwardIN3c108BFloat16ES2_fLi10ELb0ELb0ELi64EEEvPT0_PKT_S7_iiiPKb.kd
    .uniform_work_group_size: 1
    .uses_dynamic_stack: false
    .vgpr_count:     39
    .vgpr_spill_count: 0
    .wavefront_size: 64
  - .agpr_count:     0
    .args:
      - .address_space:  global
        .offset:         0
        .size:           8
        .value_kind:     global_buffer
      - .address_space:  global
        .offset:         8
        .size:           8
        .value_kind:     global_buffer
      - .address_space:  global
        .offset:         16
        .size:           8
        .value_kind:     global_buffer
      - .offset:         24
        .size:           4
        .value_kind:     by_value
      - .offset:         28
        .size:           4
        .value_kind:     by_value
      - .offset:         32
        .size:           4
        .value_kind:     by_value
      - .address_space:  global
        .offset:         40
        .size:           8
        .value_kind:     global_buffer
      - .offset:         48
        .size:           4
        .value_kind:     hidden_block_count_x
      - .offset:         52
        .size:           4
        .value_kind:     hidden_block_count_y
      - .offset:         56
        .size:           4
        .value_kind:     hidden_block_count_z
      - .offset:         60
        .size:           2
        .value_kind:     hidden_group_size_x
      - .offset:         62
        .size:           2
        .value_kind:     hidden_group_size_y
      - .offset:         64
        .size:           2
        .value_kind:     hidden_group_size_z
      - .offset:         66
        .size:           2
        .value_kind:     hidden_remainder_x
      - .offset:         68
        .size:           2
        .value_kind:     hidden_remainder_y
      - .offset:         70
        .size:           2
        .value_kind:     hidden_remainder_z
      - .offset:         88
        .size:           8
        .value_kind:     hidden_global_offset_x
      - .offset:         96
        .size:           8
        .value_kind:     hidden_global_offset_y
      - .offset:         104
        .size:           8
        .value_kind:     hidden_global_offset_z
      - .offset:         112
        .size:           2
        .value_kind:     hidden_grid_dims
    .group_segment_fixed_size: 0
    .kernarg_segment_align: 8
    .kernarg_segment_size: 304
    .language:       OpenCL C
    .language_version:
      - 2
      - 0
    .max_flat_workgroup_size: 1024
    .name:           _ZN12_GLOBAL__N_121softmax_warp_backwardIN3c108BFloat16ES2_fLi10ELb0ELb0ELi32EEEvPT0_PKT_S7_iiiPKb
    .private_segment_fixed_size: 0
    .sgpr_count:     76
    .sgpr_spill_count: 0
    .symbol:         _ZN12_GLOBAL__N_121softmax_warp_backwardIN3c108BFloat16ES2_fLi10ELb0ELb0ELi32EEEvPT0_PKT_S7_iiiPKb.kd
    .uniform_work_group_size: 1
    .uses_dynamic_stack: false
    .vgpr_count:     71
    .vgpr_spill_count: 0
    .wavefront_size: 64
  - .agpr_count:     0
    .args:
      - .address_space:  global
        .offset:         0
        .size:           8
        .value_kind:     global_buffer
      - .address_space:  global
        .offset:         8
        .size:           8
        .value_kind:     global_buffer
      - .address_space:  global
        .offset:         16
        .size:           8
        .value_kind:     global_buffer
      - .offset:         24
        .size:           8
        .value_kind:     by_value
      - .offset:         32
        .size:           4
        .value_kind:     hidden_block_count_x
      - .offset:         36
        .size:           4
        .value_kind:     hidden_block_count_y
      - .offset:         40
        .size:           4
        .value_kind:     hidden_block_count_z
      - .offset:         44
        .size:           2
        .value_kind:     hidden_group_size_x
      - .offset:         46
        .size:           2
        .value_kind:     hidden_group_size_y
      - .offset:         48
        .size:           2
        .value_kind:     hidden_group_size_z
      - .offset:         50
        .size:           2
        .value_kind:     hidden_remainder_x
      - .offset:         52
        .size:           2
        .value_kind:     hidden_remainder_y
      - .offset:         54
        .size:           2
        .value_kind:     hidden_remainder_z
      - .offset:         72
        .size:           8
        .value_kind:     hidden_global_offset_x
      - .offset:         80
        .size:           8
        .value_kind:     hidden_global_offset_y
      - .offset:         88
        .size:           8
        .value_kind:     hidden_global_offset_z
      - .offset:         96
        .size:           2
        .value_kind:     hidden_grid_dims
      - .offset:         152
        .size:           4
        .value_kind:     hidden_dynamic_lds_size
    .group_segment_fixed_size: 0
    .kernarg_segment_align: 8
    .kernarg_segment_size: 288
    .language:       OpenCL C
    .language_version:
      - 2
      - 0
    .max_flat_workgroup_size: 1024
    .name:           _ZN2at6native12_GLOBAL__N_124cunn_SoftMaxBackwardSmemILi8EN3c108BFloat16EfS4_NS1_23SoftMaxBackwardEpilogueEEEvPT0_PKT2_SA_l
    .private_segment_fixed_size: 0
    .sgpr_count:     29
    .sgpr_spill_count: 0
    .symbol:         _ZN2at6native12_GLOBAL__N_124cunn_SoftMaxBackwardSmemILi8EN3c108BFloat16EfS4_NS1_23SoftMaxBackwardEpilogueEEEvPT0_PKT2_SA_l.kd
    .uniform_work_group_size: 1
    .uses_dynamic_stack: false
    .vgpr_count:     32
    .vgpr_spill_count: 0
    .wavefront_size: 64
  - .agpr_count:     0
    .args:
      - .address_space:  global
        .offset:         0
        .size:           8
        .value_kind:     global_buffer
      - .address_space:  global
        .offset:         8
        .size:           8
        .value_kind:     global_buffer
      - .address_space:  global
        .offset:         16
        .size:           8
        .value_kind:     global_buffer
      - .offset:         24
        .size:           8
        .value_kind:     by_value
      - .offset:         32
        .size:           4
        .value_kind:     hidden_block_count_x
      - .offset:         36
        .size:           4
        .value_kind:     hidden_block_count_y
      - .offset:         40
        .size:           4
        .value_kind:     hidden_block_count_z
      - .offset:         44
        .size:           2
        .value_kind:     hidden_group_size_x
      - .offset:         46
        .size:           2
        .value_kind:     hidden_group_size_y
      - .offset:         48
        .size:           2
        .value_kind:     hidden_group_size_z
      - .offset:         50
        .size:           2
        .value_kind:     hidden_remainder_x
      - .offset:         52
        .size:           2
        .value_kind:     hidden_remainder_y
      - .offset:         54
        .size:           2
        .value_kind:     hidden_remainder_z
      - .offset:         72
        .size:           8
        .value_kind:     hidden_global_offset_x
      - .offset:         80
        .size:           8
        .value_kind:     hidden_global_offset_y
      - .offset:         88
        .size:           8
        .value_kind:     hidden_global_offset_z
      - .offset:         96
        .size:           2
        .value_kind:     hidden_grid_dims
      - .offset:         152
        .size:           4
        .value_kind:     hidden_dynamic_lds_size
    .group_segment_fixed_size: 0
    .kernarg_segment_align: 8
    .kernarg_segment_size: 288
    .language:       OpenCL C
    .language_version:
      - 2
      - 0
    .max_flat_workgroup_size: 1024
    .name:           _ZN2at6native12_GLOBAL__N_120cunn_SoftMaxBackwardILi8EN3c108BFloat16EfS4_NS1_23SoftMaxBackwardEpilogueEEEvPT0_PKT2_SA_l
    .private_segment_fixed_size: 0
    .sgpr_count:     54
    .sgpr_spill_count: 0
    .symbol:         _ZN2at6native12_GLOBAL__N_120cunn_SoftMaxBackwardILi8EN3c108BFloat16EfS4_NS1_23SoftMaxBackwardEpilogueEEEvPT0_PKT2_SA_l.kd
    .uniform_work_group_size: 1
    .uses_dynamic_stack: false
    .vgpr_count:     64
    .vgpr_spill_count: 0
    .wavefront_size: 64
  - .agpr_count:     0
    .args:
      - .address_space:  global
        .offset:         0
        .size:           8
        .value_kind:     global_buffer
      - .address_space:  global
        .offset:         8
        .size:           8
        .value_kind:     global_buffer
      - .address_space:  global
        .offset:         16
        .size:           8
        .value_kind:     global_buffer
      - .offset:         24
        .size:           4
        .value_kind:     by_value
      - .offset:         28
        .size:           4
        .value_kind:     by_value
      - .offset:         32
        .size:           4
        .value_kind:     by_value
      - .address_space:  global
        .offset:         40
        .size:           8
        .value_kind:     global_buffer
      - .offset:         48
        .size:           4
        .value_kind:     hidden_block_count_x
      - .offset:         52
        .size:           4
        .value_kind:     hidden_block_count_y
      - .offset:         56
        .size:           4
        .value_kind:     hidden_block_count_z
      - .offset:         60
        .size:           2
        .value_kind:     hidden_group_size_x
      - .offset:         62
        .size:           2
        .value_kind:     hidden_group_size_y
      - .offset:         64
        .size:           2
        .value_kind:     hidden_group_size_z
      - .offset:         66
        .size:           2
        .value_kind:     hidden_remainder_x
      - .offset:         68
        .size:           2
        .value_kind:     hidden_remainder_y
      - .offset:         70
        .size:           2
        .value_kind:     hidden_remainder_z
      - .offset:         88
        .size:           8
        .value_kind:     hidden_global_offset_x
      - .offset:         96
        .size:           8
        .value_kind:     hidden_global_offset_y
      - .offset:         104
        .size:           8
        .value_kind:     hidden_global_offset_z
      - .offset:         112
        .size:           2
        .value_kind:     hidden_grid_dims
    .group_segment_fixed_size: 0
    .kernarg_segment_align: 8
    .kernarg_segment_size: 304
    .language:       OpenCL C
    .language_version:
      - 2
      - 0
    .max_flat_workgroup_size: 1024
    .name:           _ZN12_GLOBAL__N_121softmax_warp_backwardIfN3c108BFloat16EfLi0ELb0ELb0ELi64EEEvPT0_PKT_S7_iiiPKb
    .private_segment_fixed_size: 0
    .sgpr_count:     20
    .sgpr_spill_count: 0
    .symbol:         _ZN12_GLOBAL__N_121softmax_warp_backwardIfN3c108BFloat16EfLi0ELb0ELb0ELi64EEEvPT0_PKT_S7_iiiPKb.kd
    .uniform_work_group_size: 1
    .uses_dynamic_stack: false
    .vgpr_count:     11
    .vgpr_spill_count: 0
    .wavefront_size: 64
  - .agpr_count:     0
    .args:
      - .address_space:  global
        .offset:         0
        .size:           8
        .value_kind:     global_buffer
      - .address_space:  global
        .offset:         8
        .size:           8
        .value_kind:     global_buffer
      - .address_space:  global
        .offset:         16
        .size:           8
        .value_kind:     global_buffer
      - .offset:         24
        .size:           4
        .value_kind:     by_value
      - .offset:         28
        .size:           4
        .value_kind:     by_value
      - .offset:         32
        .size:           4
        .value_kind:     by_value
      - .address_space:  global
        .offset:         40
        .size:           8
        .value_kind:     global_buffer
      - .offset:         48
        .size:           4
        .value_kind:     hidden_block_count_x
      - .offset:         52
        .size:           4
        .value_kind:     hidden_block_count_y
      - .offset:         56
        .size:           4
        .value_kind:     hidden_block_count_z
      - .offset:         60
        .size:           2
        .value_kind:     hidden_group_size_x
      - .offset:         62
        .size:           2
        .value_kind:     hidden_group_size_y
      - .offset:         64
        .size:           2
        .value_kind:     hidden_group_size_z
      - .offset:         66
        .size:           2
        .value_kind:     hidden_remainder_x
      - .offset:         68
        .size:           2
        .value_kind:     hidden_remainder_y
      - .offset:         70
        .size:           2
        .value_kind:     hidden_remainder_z
      - .offset:         88
        .size:           8
        .value_kind:     hidden_global_offset_x
      - .offset:         96
        .size:           8
        .value_kind:     hidden_global_offset_y
      - .offset:         104
        .size:           8
        .value_kind:     hidden_global_offset_z
      - .offset:         112
        .size:           2
        .value_kind:     hidden_grid_dims
    .group_segment_fixed_size: 0
    .kernarg_segment_align: 8
    .kernarg_segment_size: 304
    .language:       OpenCL C
    .language_version:
      - 2
      - 0
    .max_flat_workgroup_size: 1024
    .name:           _ZN12_GLOBAL__N_121softmax_warp_backwardIfN3c108BFloat16EfLi0ELb0ELb0ELi32EEEvPT0_PKT_S7_iiiPKb
    .private_segment_fixed_size: 0
    .sgpr_count:     20
    .sgpr_spill_count: 0
    .symbol:         _ZN12_GLOBAL__N_121softmax_warp_backwardIfN3c108BFloat16EfLi0ELb0ELb0ELi32EEEvPT0_PKT_S7_iiiPKb.kd
    .uniform_work_group_size: 1
    .uses_dynamic_stack: false
    .vgpr_count:     11
    .vgpr_spill_count: 0
    .wavefront_size: 64
  - .agpr_count:     0
    .args:
      - .address_space:  global
        .offset:         0
        .size:           8
        .value_kind:     global_buffer
      - .address_space:  global
        .offset:         8
        .size:           8
        .value_kind:     global_buffer
      - .address_space:  global
        .offset:         16
        .size:           8
        .value_kind:     global_buffer
      - .offset:         24
        .size:           4
        .value_kind:     by_value
      - .offset:         28
        .size:           4
        .value_kind:     by_value
      - .offset:         32
        .size:           4
        .value_kind:     by_value
      - .address_space:  global
        .offset:         40
        .size:           8
        .value_kind:     global_buffer
      - .offset:         48
        .size:           4
        .value_kind:     hidden_block_count_x
      - .offset:         52
        .size:           4
        .value_kind:     hidden_block_count_y
      - .offset:         56
        .size:           4
        .value_kind:     hidden_block_count_z
      - .offset:         60
        .size:           2
        .value_kind:     hidden_group_size_x
      - .offset:         62
        .size:           2
        .value_kind:     hidden_group_size_y
      - .offset:         64
        .size:           2
        .value_kind:     hidden_group_size_z
      - .offset:         66
        .size:           2
        .value_kind:     hidden_remainder_x
      - .offset:         68
        .size:           2
        .value_kind:     hidden_remainder_y
      - .offset:         70
        .size:           2
        .value_kind:     hidden_remainder_z
      - .offset:         88
        .size:           8
        .value_kind:     hidden_global_offset_x
      - .offset:         96
        .size:           8
        .value_kind:     hidden_global_offset_y
      - .offset:         104
        .size:           8
        .value_kind:     hidden_global_offset_z
      - .offset:         112
        .size:           2
        .value_kind:     hidden_grid_dims
    .group_segment_fixed_size: 0
    .kernarg_segment_align: 8
    .kernarg_segment_size: 304
    .language:       OpenCL C
    .language_version:
      - 2
      - 0
    .max_flat_workgroup_size: 1024
    .name:           _ZN12_GLOBAL__N_121softmax_warp_backwardIfN3c108BFloat16EfLi1ELb0ELb0ELi64EEEvPT0_PKT_S7_iiiPKb
    .private_segment_fixed_size: 0
    .sgpr_count:     20
    .sgpr_spill_count: 0
    .symbol:         _ZN12_GLOBAL__N_121softmax_warp_backwardIfN3c108BFloat16EfLi1ELb0ELb0ELi64EEEvPT0_PKT_S7_iiiPKb.kd
    .uniform_work_group_size: 1
    .uses_dynamic_stack: false
    .vgpr_count:     12
    .vgpr_spill_count: 0
    .wavefront_size: 64
  - .agpr_count:     0
    .args:
      - .address_space:  global
        .offset:         0
        .size:           8
        .value_kind:     global_buffer
      - .address_space:  global
        .offset:         8
        .size:           8
        .value_kind:     global_buffer
      - .address_space:  global
        .offset:         16
        .size:           8
        .value_kind:     global_buffer
      - .offset:         24
        .size:           4
        .value_kind:     by_value
      - .offset:         28
        .size:           4
        .value_kind:     by_value
      - .offset:         32
        .size:           4
        .value_kind:     by_value
      - .address_space:  global
        .offset:         40
        .size:           8
        .value_kind:     global_buffer
      - .offset:         48
        .size:           4
        .value_kind:     hidden_block_count_x
      - .offset:         52
        .size:           4
        .value_kind:     hidden_block_count_y
      - .offset:         56
        .size:           4
        .value_kind:     hidden_block_count_z
      - .offset:         60
        .size:           2
        .value_kind:     hidden_group_size_x
      - .offset:         62
        .size:           2
        .value_kind:     hidden_group_size_y
      - .offset:         64
        .size:           2
        .value_kind:     hidden_group_size_z
      - .offset:         66
        .size:           2
        .value_kind:     hidden_remainder_x
      - .offset:         68
        .size:           2
        .value_kind:     hidden_remainder_y
      - .offset:         70
        .size:           2
        .value_kind:     hidden_remainder_z
      - .offset:         88
        .size:           8
        .value_kind:     hidden_global_offset_x
      - .offset:         96
        .size:           8
        .value_kind:     hidden_global_offset_y
      - .offset:         104
        .size:           8
        .value_kind:     hidden_global_offset_z
      - .offset:         112
        .size:           2
        .value_kind:     hidden_grid_dims
    .group_segment_fixed_size: 0
    .kernarg_segment_align: 8
    .kernarg_segment_size: 304
    .language:       OpenCL C
    .language_version:
      - 2
      - 0
    .max_flat_workgroup_size: 1024
    .name:           _ZN12_GLOBAL__N_121softmax_warp_backwardIfN3c108BFloat16EfLi1ELb0ELb0ELi32EEEvPT0_PKT_S7_iiiPKb
    .private_segment_fixed_size: 0
    .sgpr_count:     20
    .sgpr_spill_count: 0
    .symbol:         _ZN12_GLOBAL__N_121softmax_warp_backwardIfN3c108BFloat16EfLi1ELb0ELb0ELi32EEEvPT0_PKT_S7_iiiPKb.kd
    .uniform_work_group_size: 1
    .uses_dynamic_stack: false
    .vgpr_count:     12
    .vgpr_spill_count: 0
    .wavefront_size: 64
  - .agpr_count:     0
    .args:
      - .address_space:  global
        .offset:         0
        .size:           8
        .value_kind:     global_buffer
      - .address_space:  global
        .offset:         8
        .size:           8
        .value_kind:     global_buffer
      - .address_space:  global
        .offset:         16
        .size:           8
        .value_kind:     global_buffer
      - .offset:         24
        .size:           4
        .value_kind:     by_value
      - .offset:         28
        .size:           4
        .value_kind:     by_value
      - .offset:         32
        .size:           4
        .value_kind:     by_value
      - .address_space:  global
        .offset:         40
        .size:           8
        .value_kind:     global_buffer
      - .offset:         48
        .size:           4
        .value_kind:     hidden_block_count_x
      - .offset:         52
        .size:           4
        .value_kind:     hidden_block_count_y
      - .offset:         56
        .size:           4
        .value_kind:     hidden_block_count_z
      - .offset:         60
        .size:           2
        .value_kind:     hidden_group_size_x
      - .offset:         62
        .size:           2
        .value_kind:     hidden_group_size_y
      - .offset:         64
        .size:           2
        .value_kind:     hidden_group_size_z
      - .offset:         66
        .size:           2
        .value_kind:     hidden_remainder_x
      - .offset:         68
        .size:           2
        .value_kind:     hidden_remainder_y
      - .offset:         70
        .size:           2
        .value_kind:     hidden_remainder_z
      - .offset:         88
        .size:           8
        .value_kind:     hidden_global_offset_x
      - .offset:         96
        .size:           8
        .value_kind:     hidden_global_offset_y
      - .offset:         104
        .size:           8
        .value_kind:     hidden_global_offset_z
      - .offset:         112
        .size:           2
        .value_kind:     hidden_grid_dims
    .group_segment_fixed_size: 0
    .kernarg_segment_align: 8
    .kernarg_segment_size: 304
    .language:       OpenCL C
    .language_version:
      - 2
      - 0
    .max_flat_workgroup_size: 1024
    .name:           _ZN12_GLOBAL__N_121softmax_warp_backwardIfN3c108BFloat16EfLi2ELb0ELb0ELi64EEEvPT0_PKT_S7_iiiPKb
    .private_segment_fixed_size: 0
    .sgpr_count:     20
    .sgpr_spill_count: 0
    .symbol:         _ZN12_GLOBAL__N_121softmax_warp_backwardIfN3c108BFloat16EfLi2ELb0ELb0ELi64EEEvPT0_PKT_S7_iiiPKb.kd
    .uniform_work_group_size: 1
    .uses_dynamic_stack: false
    .vgpr_count:     14
    .vgpr_spill_count: 0
    .wavefront_size: 64
  - .agpr_count:     0
    .args:
      - .address_space:  global
        .offset:         0
        .size:           8
        .value_kind:     global_buffer
      - .address_space:  global
        .offset:         8
        .size:           8
        .value_kind:     global_buffer
      - .address_space:  global
        .offset:         16
        .size:           8
        .value_kind:     global_buffer
      - .offset:         24
        .size:           4
        .value_kind:     by_value
      - .offset:         28
        .size:           4
        .value_kind:     by_value
      - .offset:         32
        .size:           4
        .value_kind:     by_value
      - .address_space:  global
        .offset:         40
        .size:           8
        .value_kind:     global_buffer
      - .offset:         48
        .size:           4
        .value_kind:     hidden_block_count_x
      - .offset:         52
        .size:           4
        .value_kind:     hidden_block_count_y
      - .offset:         56
        .size:           4
        .value_kind:     hidden_block_count_z
      - .offset:         60
        .size:           2
        .value_kind:     hidden_group_size_x
      - .offset:         62
        .size:           2
        .value_kind:     hidden_group_size_y
      - .offset:         64
        .size:           2
        .value_kind:     hidden_group_size_z
      - .offset:         66
        .size:           2
        .value_kind:     hidden_remainder_x
      - .offset:         68
        .size:           2
        .value_kind:     hidden_remainder_y
      - .offset:         70
        .size:           2
        .value_kind:     hidden_remainder_z
      - .offset:         88
        .size:           8
        .value_kind:     hidden_global_offset_x
      - .offset:         96
        .size:           8
        .value_kind:     hidden_global_offset_y
      - .offset:         104
        .size:           8
        .value_kind:     hidden_global_offset_z
      - .offset:         112
        .size:           2
        .value_kind:     hidden_grid_dims
    .group_segment_fixed_size: 0
    .kernarg_segment_align: 8
    .kernarg_segment_size: 304
    .language:       OpenCL C
    .language_version:
      - 2
      - 0
    .max_flat_workgroup_size: 1024
    .name:           _ZN12_GLOBAL__N_121softmax_warp_backwardIfN3c108BFloat16EfLi2ELb0ELb0ELi32EEEvPT0_PKT_S7_iiiPKb
    .private_segment_fixed_size: 0
    .sgpr_count:     20
    .sgpr_spill_count: 0
    .symbol:         _ZN12_GLOBAL__N_121softmax_warp_backwardIfN3c108BFloat16EfLi2ELb0ELb0ELi32EEEvPT0_PKT_S7_iiiPKb.kd
    .uniform_work_group_size: 1
    .uses_dynamic_stack: false
    .vgpr_count:     14
    .vgpr_spill_count: 0
    .wavefront_size: 64
  - .agpr_count:     0
    .args:
      - .address_space:  global
        .offset:         0
        .size:           8
        .value_kind:     global_buffer
      - .address_space:  global
        .offset:         8
        .size:           8
        .value_kind:     global_buffer
      - .address_space:  global
        .offset:         16
        .size:           8
        .value_kind:     global_buffer
      - .offset:         24
        .size:           4
        .value_kind:     by_value
      - .offset:         28
        .size:           4
        .value_kind:     by_value
      - .offset:         32
        .size:           4
        .value_kind:     by_value
      - .address_space:  global
        .offset:         40
        .size:           8
        .value_kind:     global_buffer
      - .offset:         48
        .size:           4
        .value_kind:     hidden_block_count_x
      - .offset:         52
        .size:           4
        .value_kind:     hidden_block_count_y
      - .offset:         56
        .size:           4
        .value_kind:     hidden_block_count_z
      - .offset:         60
        .size:           2
        .value_kind:     hidden_group_size_x
      - .offset:         62
        .size:           2
        .value_kind:     hidden_group_size_y
      - .offset:         64
        .size:           2
        .value_kind:     hidden_group_size_z
      - .offset:         66
        .size:           2
        .value_kind:     hidden_remainder_x
      - .offset:         68
        .size:           2
        .value_kind:     hidden_remainder_y
      - .offset:         70
        .size:           2
        .value_kind:     hidden_remainder_z
      - .offset:         88
        .size:           8
        .value_kind:     hidden_global_offset_x
      - .offset:         96
        .size:           8
        .value_kind:     hidden_global_offset_y
      - .offset:         104
        .size:           8
        .value_kind:     hidden_global_offset_z
      - .offset:         112
        .size:           2
        .value_kind:     hidden_grid_dims
    .group_segment_fixed_size: 0
    .kernarg_segment_align: 8
    .kernarg_segment_size: 304
    .language:       OpenCL C
    .language_version:
      - 2
      - 0
    .max_flat_workgroup_size: 1024
    .name:           _ZN12_GLOBAL__N_121softmax_warp_backwardIfN3c108BFloat16EfLi3ELb0ELb0ELi64EEEvPT0_PKT_S7_iiiPKb
    .private_segment_fixed_size: 0
    .sgpr_count:     20
    .sgpr_spill_count: 0
    .symbol:         _ZN12_GLOBAL__N_121softmax_warp_backwardIfN3c108BFloat16EfLi3ELb0ELb0ELi64EEEvPT0_PKT_S7_iiiPKb.kd
    .uniform_work_group_size: 1
    .uses_dynamic_stack: false
    .vgpr_count:     14
    .vgpr_spill_count: 0
    .wavefront_size: 64
  - .agpr_count:     0
    .args:
      - .address_space:  global
        .offset:         0
        .size:           8
        .value_kind:     global_buffer
      - .address_space:  global
        .offset:         8
        .size:           8
        .value_kind:     global_buffer
      - .address_space:  global
        .offset:         16
        .size:           8
        .value_kind:     global_buffer
      - .offset:         24
        .size:           4
        .value_kind:     by_value
      - .offset:         28
        .size:           4
        .value_kind:     by_value
      - .offset:         32
        .size:           4
        .value_kind:     by_value
      - .address_space:  global
        .offset:         40
        .size:           8
        .value_kind:     global_buffer
      - .offset:         48
        .size:           4
        .value_kind:     hidden_block_count_x
      - .offset:         52
        .size:           4
        .value_kind:     hidden_block_count_y
      - .offset:         56
        .size:           4
        .value_kind:     hidden_block_count_z
      - .offset:         60
        .size:           2
        .value_kind:     hidden_group_size_x
      - .offset:         62
        .size:           2
        .value_kind:     hidden_group_size_y
      - .offset:         64
        .size:           2
        .value_kind:     hidden_group_size_z
      - .offset:         66
        .size:           2
        .value_kind:     hidden_remainder_x
      - .offset:         68
        .size:           2
        .value_kind:     hidden_remainder_y
      - .offset:         70
        .size:           2
        .value_kind:     hidden_remainder_z
      - .offset:         88
        .size:           8
        .value_kind:     hidden_global_offset_x
      - .offset:         96
        .size:           8
        .value_kind:     hidden_global_offset_y
      - .offset:         104
        .size:           8
        .value_kind:     hidden_global_offset_z
      - .offset:         112
        .size:           2
        .value_kind:     hidden_grid_dims
    .group_segment_fixed_size: 0
    .kernarg_segment_align: 8
    .kernarg_segment_size: 304
    .language:       OpenCL C
    .language_version:
      - 2
      - 0
    .max_flat_workgroup_size: 1024
    .name:           _ZN12_GLOBAL__N_121softmax_warp_backwardIfN3c108BFloat16EfLi3ELb0ELb0ELi32EEEvPT0_PKT_S7_iiiPKb
    .private_segment_fixed_size: 0
    .sgpr_count:     20
    .sgpr_spill_count: 0
    .symbol:         _ZN12_GLOBAL__N_121softmax_warp_backwardIfN3c108BFloat16EfLi3ELb0ELb0ELi32EEEvPT0_PKT_S7_iiiPKb.kd
    .uniform_work_group_size: 1
    .uses_dynamic_stack: false
    .vgpr_count:     14
    .vgpr_spill_count: 0
    .wavefront_size: 64
  - .agpr_count:     0
    .args:
      - .address_space:  global
        .offset:         0
        .size:           8
        .value_kind:     global_buffer
      - .address_space:  global
        .offset:         8
        .size:           8
        .value_kind:     global_buffer
      - .address_space:  global
        .offset:         16
        .size:           8
        .value_kind:     global_buffer
      - .offset:         24
        .size:           4
        .value_kind:     by_value
      - .offset:         28
        .size:           4
        .value_kind:     by_value
      - .offset:         32
        .size:           4
        .value_kind:     by_value
      - .address_space:  global
        .offset:         40
        .size:           8
        .value_kind:     global_buffer
      - .offset:         48
        .size:           4
        .value_kind:     hidden_block_count_x
      - .offset:         52
        .size:           4
        .value_kind:     hidden_block_count_y
      - .offset:         56
        .size:           4
        .value_kind:     hidden_block_count_z
      - .offset:         60
        .size:           2
        .value_kind:     hidden_group_size_x
      - .offset:         62
        .size:           2
        .value_kind:     hidden_group_size_y
      - .offset:         64
        .size:           2
        .value_kind:     hidden_group_size_z
      - .offset:         66
        .size:           2
        .value_kind:     hidden_remainder_x
      - .offset:         68
        .size:           2
        .value_kind:     hidden_remainder_y
      - .offset:         70
        .size:           2
        .value_kind:     hidden_remainder_z
      - .offset:         88
        .size:           8
        .value_kind:     hidden_global_offset_x
      - .offset:         96
        .size:           8
        .value_kind:     hidden_global_offset_y
      - .offset:         104
        .size:           8
        .value_kind:     hidden_global_offset_z
      - .offset:         112
        .size:           2
        .value_kind:     hidden_grid_dims
    .group_segment_fixed_size: 0
    .kernarg_segment_align: 8
    .kernarg_segment_size: 304
    .language:       OpenCL C
    .language_version:
      - 2
      - 0
    .max_flat_workgroup_size: 1024
    .name:           _ZN12_GLOBAL__N_121softmax_warp_backwardIfN3c108BFloat16EfLi4ELb0ELb0ELi64EEEvPT0_PKT_S7_iiiPKb
    .private_segment_fixed_size: 0
    .sgpr_count:     20
    .sgpr_spill_count: 0
    .symbol:         _ZN12_GLOBAL__N_121softmax_warp_backwardIfN3c108BFloat16EfLi4ELb0ELb0ELi64EEEvPT0_PKT_S7_iiiPKb.kd
    .uniform_work_group_size: 1
    .uses_dynamic_stack: false
    .vgpr_count:     14
    .vgpr_spill_count: 0
    .wavefront_size: 64
  - .agpr_count:     0
    .args:
      - .address_space:  global
        .offset:         0
        .size:           8
        .value_kind:     global_buffer
      - .address_space:  global
        .offset:         8
        .size:           8
        .value_kind:     global_buffer
      - .address_space:  global
        .offset:         16
        .size:           8
        .value_kind:     global_buffer
      - .offset:         24
        .size:           4
        .value_kind:     by_value
      - .offset:         28
        .size:           4
        .value_kind:     by_value
      - .offset:         32
        .size:           4
        .value_kind:     by_value
      - .address_space:  global
        .offset:         40
        .size:           8
        .value_kind:     global_buffer
      - .offset:         48
        .size:           4
        .value_kind:     hidden_block_count_x
      - .offset:         52
        .size:           4
        .value_kind:     hidden_block_count_y
      - .offset:         56
        .size:           4
        .value_kind:     hidden_block_count_z
      - .offset:         60
        .size:           2
        .value_kind:     hidden_group_size_x
      - .offset:         62
        .size:           2
        .value_kind:     hidden_group_size_y
      - .offset:         64
        .size:           2
        .value_kind:     hidden_group_size_z
      - .offset:         66
        .size:           2
        .value_kind:     hidden_remainder_x
      - .offset:         68
        .size:           2
        .value_kind:     hidden_remainder_y
      - .offset:         70
        .size:           2
        .value_kind:     hidden_remainder_z
      - .offset:         88
        .size:           8
        .value_kind:     hidden_global_offset_x
      - .offset:         96
        .size:           8
        .value_kind:     hidden_global_offset_y
      - .offset:         104
        .size:           8
        .value_kind:     hidden_global_offset_z
      - .offset:         112
        .size:           2
        .value_kind:     hidden_grid_dims
    .group_segment_fixed_size: 0
    .kernarg_segment_align: 8
    .kernarg_segment_size: 304
    .language:       OpenCL C
    .language_version:
      - 2
      - 0
    .max_flat_workgroup_size: 1024
    .name:           _ZN12_GLOBAL__N_121softmax_warp_backwardIfN3c108BFloat16EfLi4ELb0ELb0ELi32EEEvPT0_PKT_S7_iiiPKb
    .private_segment_fixed_size: 0
    .sgpr_count:     20
    .sgpr_spill_count: 0
    .symbol:         _ZN12_GLOBAL__N_121softmax_warp_backwardIfN3c108BFloat16EfLi4ELb0ELb0ELi32EEEvPT0_PKT_S7_iiiPKb.kd
    .uniform_work_group_size: 1
    .uses_dynamic_stack: false
    .vgpr_count:     14
    .vgpr_spill_count: 0
    .wavefront_size: 64
  - .agpr_count:     0
    .args:
      - .address_space:  global
        .offset:         0
        .size:           8
        .value_kind:     global_buffer
      - .address_space:  global
        .offset:         8
        .size:           8
        .value_kind:     global_buffer
      - .address_space:  global
        .offset:         16
        .size:           8
        .value_kind:     global_buffer
      - .offset:         24
        .size:           4
        .value_kind:     by_value
      - .offset:         28
        .size:           4
        .value_kind:     by_value
      - .offset:         32
        .size:           4
        .value_kind:     by_value
      - .address_space:  global
        .offset:         40
        .size:           8
        .value_kind:     global_buffer
      - .offset:         48
        .size:           4
        .value_kind:     hidden_block_count_x
      - .offset:         52
        .size:           4
        .value_kind:     hidden_block_count_y
      - .offset:         56
        .size:           4
        .value_kind:     hidden_block_count_z
      - .offset:         60
        .size:           2
        .value_kind:     hidden_group_size_x
      - .offset:         62
        .size:           2
        .value_kind:     hidden_group_size_y
      - .offset:         64
        .size:           2
        .value_kind:     hidden_group_size_z
      - .offset:         66
        .size:           2
        .value_kind:     hidden_remainder_x
      - .offset:         68
        .size:           2
        .value_kind:     hidden_remainder_y
      - .offset:         70
        .size:           2
        .value_kind:     hidden_remainder_z
      - .offset:         88
        .size:           8
        .value_kind:     hidden_global_offset_x
      - .offset:         96
        .size:           8
        .value_kind:     hidden_global_offset_y
      - .offset:         104
        .size:           8
        .value_kind:     hidden_global_offset_z
      - .offset:         112
        .size:           2
        .value_kind:     hidden_grid_dims
    .group_segment_fixed_size: 0
    .kernarg_segment_align: 8
    .kernarg_segment_size: 304
    .language:       OpenCL C
    .language_version:
      - 2
      - 0
    .max_flat_workgroup_size: 1024
    .name:           _ZN12_GLOBAL__N_121softmax_warp_backwardIfN3c108BFloat16EfLi5ELb0ELb0ELi64EEEvPT0_PKT_S7_iiiPKb
    .private_segment_fixed_size: 0
    .sgpr_count:     20
    .sgpr_spill_count: 0
    .symbol:         _ZN12_GLOBAL__N_121softmax_warp_backwardIfN3c108BFloat16EfLi5ELb0ELb0ELi64EEEvPT0_PKT_S7_iiiPKb.kd
    .uniform_work_group_size: 1
    .uses_dynamic_stack: false
    .vgpr_count:     14
    .vgpr_spill_count: 0
    .wavefront_size: 64
  - .agpr_count:     0
    .args:
      - .address_space:  global
        .offset:         0
        .size:           8
        .value_kind:     global_buffer
      - .address_space:  global
        .offset:         8
        .size:           8
        .value_kind:     global_buffer
      - .address_space:  global
        .offset:         16
        .size:           8
        .value_kind:     global_buffer
      - .offset:         24
        .size:           4
        .value_kind:     by_value
      - .offset:         28
        .size:           4
        .value_kind:     by_value
      - .offset:         32
        .size:           4
        .value_kind:     by_value
      - .address_space:  global
        .offset:         40
        .size:           8
        .value_kind:     global_buffer
      - .offset:         48
        .size:           4
        .value_kind:     hidden_block_count_x
      - .offset:         52
        .size:           4
        .value_kind:     hidden_block_count_y
      - .offset:         56
        .size:           4
        .value_kind:     hidden_block_count_z
      - .offset:         60
        .size:           2
        .value_kind:     hidden_group_size_x
      - .offset:         62
        .size:           2
        .value_kind:     hidden_group_size_y
      - .offset:         64
        .size:           2
        .value_kind:     hidden_group_size_z
      - .offset:         66
        .size:           2
        .value_kind:     hidden_remainder_x
      - .offset:         68
        .size:           2
        .value_kind:     hidden_remainder_y
      - .offset:         70
        .size:           2
        .value_kind:     hidden_remainder_z
      - .offset:         88
        .size:           8
        .value_kind:     hidden_global_offset_x
      - .offset:         96
        .size:           8
        .value_kind:     hidden_global_offset_y
      - .offset:         104
        .size:           8
        .value_kind:     hidden_global_offset_z
      - .offset:         112
        .size:           2
        .value_kind:     hidden_grid_dims
    .group_segment_fixed_size: 0
    .kernarg_segment_align: 8
    .kernarg_segment_size: 304
    .language:       OpenCL C
    .language_version:
      - 2
      - 0
    .max_flat_workgroup_size: 1024
    .name:           _ZN12_GLOBAL__N_121softmax_warp_backwardIfN3c108BFloat16EfLi5ELb0ELb0ELi32EEEvPT0_PKT_S7_iiiPKb
    .private_segment_fixed_size: 0
    .sgpr_count:     20
    .sgpr_spill_count: 0
    .symbol:         _ZN12_GLOBAL__N_121softmax_warp_backwardIfN3c108BFloat16EfLi5ELb0ELb0ELi32EEEvPT0_PKT_S7_iiiPKb.kd
    .uniform_work_group_size: 1
    .uses_dynamic_stack: false
    .vgpr_count:     14
    .vgpr_spill_count: 0
    .wavefront_size: 64
  - .agpr_count:     0
    .args:
      - .address_space:  global
        .offset:         0
        .size:           8
        .value_kind:     global_buffer
      - .address_space:  global
        .offset:         8
        .size:           8
        .value_kind:     global_buffer
      - .address_space:  global
        .offset:         16
        .size:           8
        .value_kind:     global_buffer
      - .offset:         24
        .size:           4
        .value_kind:     by_value
      - .offset:         28
        .size:           4
        .value_kind:     by_value
      - .offset:         32
        .size:           4
        .value_kind:     by_value
      - .address_space:  global
        .offset:         40
        .size:           8
        .value_kind:     global_buffer
      - .offset:         48
        .size:           4
        .value_kind:     hidden_block_count_x
      - .offset:         52
        .size:           4
        .value_kind:     hidden_block_count_y
      - .offset:         56
        .size:           4
        .value_kind:     hidden_block_count_z
      - .offset:         60
        .size:           2
        .value_kind:     hidden_group_size_x
      - .offset:         62
        .size:           2
        .value_kind:     hidden_group_size_y
      - .offset:         64
        .size:           2
        .value_kind:     hidden_group_size_z
      - .offset:         66
        .size:           2
        .value_kind:     hidden_remainder_x
      - .offset:         68
        .size:           2
        .value_kind:     hidden_remainder_y
      - .offset:         70
        .size:           2
        .value_kind:     hidden_remainder_z
      - .offset:         88
        .size:           8
        .value_kind:     hidden_global_offset_x
      - .offset:         96
        .size:           8
        .value_kind:     hidden_global_offset_y
      - .offset:         104
        .size:           8
        .value_kind:     hidden_global_offset_z
      - .offset:         112
        .size:           2
        .value_kind:     hidden_grid_dims
    .group_segment_fixed_size: 0
    .kernarg_segment_align: 8
    .kernarg_segment_size: 304
    .language:       OpenCL C
    .language_version:
      - 2
      - 0
    .max_flat_workgroup_size: 1024
    .name:           _ZN12_GLOBAL__N_121softmax_warp_backwardIfN3c108BFloat16EfLi6ELb0ELb0ELi64EEEvPT0_PKT_S7_iiiPKb
    .private_segment_fixed_size: 0
    .sgpr_count:     20
    .sgpr_spill_count: 0
    .symbol:         _ZN12_GLOBAL__N_121softmax_warp_backwardIfN3c108BFloat16EfLi6ELb0ELb0ELi64EEEvPT0_PKT_S7_iiiPKb.kd
    .uniform_work_group_size: 1
    .uses_dynamic_stack: false
    .vgpr_count:     14
    .vgpr_spill_count: 0
    .wavefront_size: 64
  - .agpr_count:     0
    .args:
      - .address_space:  global
        .offset:         0
        .size:           8
        .value_kind:     global_buffer
      - .address_space:  global
        .offset:         8
        .size:           8
        .value_kind:     global_buffer
      - .address_space:  global
        .offset:         16
        .size:           8
        .value_kind:     global_buffer
      - .offset:         24
        .size:           4
        .value_kind:     by_value
      - .offset:         28
        .size:           4
        .value_kind:     by_value
      - .offset:         32
        .size:           4
        .value_kind:     by_value
      - .address_space:  global
        .offset:         40
        .size:           8
        .value_kind:     global_buffer
      - .offset:         48
        .size:           4
        .value_kind:     hidden_block_count_x
      - .offset:         52
        .size:           4
        .value_kind:     hidden_block_count_y
      - .offset:         56
        .size:           4
        .value_kind:     hidden_block_count_z
      - .offset:         60
        .size:           2
        .value_kind:     hidden_group_size_x
      - .offset:         62
        .size:           2
        .value_kind:     hidden_group_size_y
      - .offset:         64
        .size:           2
        .value_kind:     hidden_group_size_z
      - .offset:         66
        .size:           2
        .value_kind:     hidden_remainder_x
      - .offset:         68
        .size:           2
        .value_kind:     hidden_remainder_y
      - .offset:         70
        .size:           2
        .value_kind:     hidden_remainder_z
      - .offset:         88
        .size:           8
        .value_kind:     hidden_global_offset_x
      - .offset:         96
        .size:           8
        .value_kind:     hidden_global_offset_y
      - .offset:         104
        .size:           8
        .value_kind:     hidden_global_offset_z
      - .offset:         112
        .size:           2
        .value_kind:     hidden_grid_dims
    .group_segment_fixed_size: 0
    .kernarg_segment_align: 8
    .kernarg_segment_size: 304
    .language:       OpenCL C
    .language_version:
      - 2
      - 0
    .max_flat_workgroup_size: 1024
    .name:           _ZN12_GLOBAL__N_121softmax_warp_backwardIfN3c108BFloat16EfLi6ELb0ELb0ELi32EEEvPT0_PKT_S7_iiiPKb
    .private_segment_fixed_size: 0
    .sgpr_count:     20
    .sgpr_spill_count: 0
    .symbol:         _ZN12_GLOBAL__N_121softmax_warp_backwardIfN3c108BFloat16EfLi6ELb0ELb0ELi32EEEvPT0_PKT_S7_iiiPKb.kd
    .uniform_work_group_size: 1
    .uses_dynamic_stack: false
    .vgpr_count:     18
    .vgpr_spill_count: 0
    .wavefront_size: 64
  - .agpr_count:     0
    .args:
      - .address_space:  global
        .offset:         0
        .size:           8
        .value_kind:     global_buffer
      - .address_space:  global
        .offset:         8
        .size:           8
        .value_kind:     global_buffer
      - .address_space:  global
        .offset:         16
        .size:           8
        .value_kind:     global_buffer
      - .offset:         24
        .size:           4
        .value_kind:     by_value
      - .offset:         28
        .size:           4
        .value_kind:     by_value
      - .offset:         32
        .size:           4
        .value_kind:     by_value
      - .address_space:  global
        .offset:         40
        .size:           8
        .value_kind:     global_buffer
      - .offset:         48
        .size:           4
        .value_kind:     hidden_block_count_x
      - .offset:         52
        .size:           4
        .value_kind:     hidden_block_count_y
      - .offset:         56
        .size:           4
        .value_kind:     hidden_block_count_z
      - .offset:         60
        .size:           2
        .value_kind:     hidden_group_size_x
      - .offset:         62
        .size:           2
        .value_kind:     hidden_group_size_y
      - .offset:         64
        .size:           2
        .value_kind:     hidden_group_size_z
      - .offset:         66
        .size:           2
        .value_kind:     hidden_remainder_x
      - .offset:         68
        .size:           2
        .value_kind:     hidden_remainder_y
      - .offset:         70
        .size:           2
        .value_kind:     hidden_remainder_z
      - .offset:         88
        .size:           8
        .value_kind:     hidden_global_offset_x
      - .offset:         96
        .size:           8
        .value_kind:     hidden_global_offset_y
      - .offset:         104
        .size:           8
        .value_kind:     hidden_global_offset_z
      - .offset:         112
        .size:           2
        .value_kind:     hidden_grid_dims
    .group_segment_fixed_size: 0
    .kernarg_segment_align: 8
    .kernarg_segment_size: 304
    .language:       OpenCL C
    .language_version:
      - 2
      - 0
    .max_flat_workgroup_size: 1024
    .name:           _ZN12_GLOBAL__N_121softmax_warp_backwardIfN3c108BFloat16EfLi7ELb0ELb0ELi64EEEvPT0_PKT_S7_iiiPKb
    .private_segment_fixed_size: 0
    .sgpr_count:     20
    .sgpr_spill_count: 0
    .symbol:         _ZN12_GLOBAL__N_121softmax_warp_backwardIfN3c108BFloat16EfLi7ELb0ELb0ELi64EEEvPT0_PKT_S7_iiiPKb.kd
    .uniform_work_group_size: 1
    .uses_dynamic_stack: false
    .vgpr_count:     18
    .vgpr_spill_count: 0
    .wavefront_size: 64
  - .agpr_count:     0
    .args:
      - .address_space:  global
        .offset:         0
        .size:           8
        .value_kind:     global_buffer
      - .address_space:  global
        .offset:         8
        .size:           8
        .value_kind:     global_buffer
      - .address_space:  global
        .offset:         16
        .size:           8
        .value_kind:     global_buffer
      - .offset:         24
        .size:           4
        .value_kind:     by_value
      - .offset:         28
        .size:           4
        .value_kind:     by_value
      - .offset:         32
        .size:           4
        .value_kind:     by_value
      - .address_space:  global
        .offset:         40
        .size:           8
        .value_kind:     global_buffer
      - .offset:         48
        .size:           4
        .value_kind:     hidden_block_count_x
      - .offset:         52
        .size:           4
        .value_kind:     hidden_block_count_y
      - .offset:         56
        .size:           4
        .value_kind:     hidden_block_count_z
      - .offset:         60
        .size:           2
        .value_kind:     hidden_group_size_x
      - .offset:         62
        .size:           2
        .value_kind:     hidden_group_size_y
      - .offset:         64
        .size:           2
        .value_kind:     hidden_group_size_z
      - .offset:         66
        .size:           2
        .value_kind:     hidden_remainder_x
      - .offset:         68
        .size:           2
        .value_kind:     hidden_remainder_y
      - .offset:         70
        .size:           2
        .value_kind:     hidden_remainder_z
      - .offset:         88
        .size:           8
        .value_kind:     hidden_global_offset_x
      - .offset:         96
        .size:           8
        .value_kind:     hidden_global_offset_y
      - .offset:         104
        .size:           8
        .value_kind:     hidden_global_offset_z
      - .offset:         112
        .size:           2
        .value_kind:     hidden_grid_dims
    .group_segment_fixed_size: 0
    .kernarg_segment_align: 8
    .kernarg_segment_size: 304
    .language:       OpenCL C
    .language_version:
      - 2
      - 0
    .max_flat_workgroup_size: 1024
    .name:           _ZN12_GLOBAL__N_121softmax_warp_backwardIfN3c108BFloat16EfLi7ELb0ELb0ELi32EEEvPT0_PKT_S7_iiiPKb
    .private_segment_fixed_size: 0
    .sgpr_count:     24
    .sgpr_spill_count: 0
    .symbol:         _ZN12_GLOBAL__N_121softmax_warp_backwardIfN3c108BFloat16EfLi7ELb0ELb0ELi32EEEvPT0_PKT_S7_iiiPKb.kd
    .uniform_work_group_size: 1
    .uses_dynamic_stack: false
    .vgpr_count:     26
    .vgpr_spill_count: 0
    .wavefront_size: 64
  - .agpr_count:     0
    .args:
      - .address_space:  global
        .offset:         0
        .size:           8
        .value_kind:     global_buffer
      - .address_space:  global
        .offset:         8
        .size:           8
        .value_kind:     global_buffer
      - .address_space:  global
        .offset:         16
        .size:           8
        .value_kind:     global_buffer
      - .offset:         24
        .size:           4
        .value_kind:     by_value
      - .offset:         28
        .size:           4
        .value_kind:     by_value
      - .offset:         32
        .size:           4
        .value_kind:     by_value
      - .address_space:  global
        .offset:         40
        .size:           8
        .value_kind:     global_buffer
      - .offset:         48
        .size:           4
        .value_kind:     hidden_block_count_x
      - .offset:         52
        .size:           4
        .value_kind:     hidden_block_count_y
      - .offset:         56
        .size:           4
        .value_kind:     hidden_block_count_z
      - .offset:         60
        .size:           2
        .value_kind:     hidden_group_size_x
      - .offset:         62
        .size:           2
        .value_kind:     hidden_group_size_y
      - .offset:         64
        .size:           2
        .value_kind:     hidden_group_size_z
      - .offset:         66
        .size:           2
        .value_kind:     hidden_remainder_x
      - .offset:         68
        .size:           2
        .value_kind:     hidden_remainder_y
      - .offset:         70
        .size:           2
        .value_kind:     hidden_remainder_z
      - .offset:         88
        .size:           8
        .value_kind:     hidden_global_offset_x
      - .offset:         96
        .size:           8
        .value_kind:     hidden_global_offset_y
      - .offset:         104
        .size:           8
        .value_kind:     hidden_global_offset_z
      - .offset:         112
        .size:           2
        .value_kind:     hidden_grid_dims
    .group_segment_fixed_size: 0
    .kernarg_segment_align: 8
    .kernarg_segment_size: 304
    .language:       OpenCL C
    .language_version:
      - 2
      - 0
    .max_flat_workgroup_size: 1024
    .name:           _ZN12_GLOBAL__N_121softmax_warp_backwardIfN3c108BFloat16EfLi8ELb0ELb0ELi64EEEvPT0_PKT_S7_iiiPKb
    .private_segment_fixed_size: 0
    .sgpr_count:     20
    .sgpr_spill_count: 0
    .symbol:         _ZN12_GLOBAL__N_121softmax_warp_backwardIfN3c108BFloat16EfLi8ELb0ELb0ELi64EEEvPT0_PKT_S7_iiiPKb.kd
    .uniform_work_group_size: 1
    .uses_dynamic_stack: false
    .vgpr_count:     15
    .vgpr_spill_count: 0
    .wavefront_size: 64
  - .agpr_count:     0
    .args:
      - .address_space:  global
        .offset:         0
        .size:           8
        .value_kind:     global_buffer
      - .address_space:  global
        .offset:         8
        .size:           8
        .value_kind:     global_buffer
      - .address_space:  global
        .offset:         16
        .size:           8
        .value_kind:     global_buffer
      - .offset:         24
        .size:           4
        .value_kind:     by_value
      - .offset:         28
        .size:           4
        .value_kind:     by_value
      - .offset:         32
        .size:           4
        .value_kind:     by_value
      - .address_space:  global
        .offset:         40
        .size:           8
        .value_kind:     global_buffer
      - .offset:         48
        .size:           4
        .value_kind:     hidden_block_count_x
      - .offset:         52
        .size:           4
        .value_kind:     hidden_block_count_y
      - .offset:         56
        .size:           4
        .value_kind:     hidden_block_count_z
      - .offset:         60
        .size:           2
        .value_kind:     hidden_group_size_x
      - .offset:         62
        .size:           2
        .value_kind:     hidden_group_size_y
      - .offset:         64
        .size:           2
        .value_kind:     hidden_group_size_z
      - .offset:         66
        .size:           2
        .value_kind:     hidden_remainder_x
      - .offset:         68
        .size:           2
        .value_kind:     hidden_remainder_y
      - .offset:         70
        .size:           2
        .value_kind:     hidden_remainder_z
      - .offset:         88
        .size:           8
        .value_kind:     hidden_global_offset_x
      - .offset:         96
        .size:           8
        .value_kind:     hidden_global_offset_y
      - .offset:         104
        .size:           8
        .value_kind:     hidden_global_offset_z
      - .offset:         112
        .size:           2
        .value_kind:     hidden_grid_dims
    .group_segment_fixed_size: 0
    .kernarg_segment_align: 8
    .kernarg_segment_size: 304
    .language:       OpenCL C
    .language_version:
      - 2
      - 0
    .max_flat_workgroup_size: 1024
    .name:           _ZN12_GLOBAL__N_121softmax_warp_backwardIfN3c108BFloat16EfLi8ELb0ELb0ELi32EEEvPT0_PKT_S7_iiiPKb
    .private_segment_fixed_size: 0
    .sgpr_count:     28
    .sgpr_spill_count: 0
    .symbol:         _ZN12_GLOBAL__N_121softmax_warp_backwardIfN3c108BFloat16EfLi8ELb0ELb0ELi32EEEvPT0_PKT_S7_iiiPKb.kd
    .uniform_work_group_size: 1
    .uses_dynamic_stack: false
    .vgpr_count:     23
    .vgpr_spill_count: 0
    .wavefront_size: 64
  - .agpr_count:     0
    .args:
      - .address_space:  global
        .offset:         0
        .size:           8
        .value_kind:     global_buffer
      - .address_space:  global
        .offset:         8
        .size:           8
        .value_kind:     global_buffer
      - .address_space:  global
        .offset:         16
        .size:           8
        .value_kind:     global_buffer
      - .offset:         24
        .size:           4
        .value_kind:     by_value
      - .offset:         28
        .size:           4
        .value_kind:     by_value
      - .offset:         32
        .size:           4
        .value_kind:     by_value
      - .address_space:  global
        .offset:         40
        .size:           8
        .value_kind:     global_buffer
      - .offset:         48
        .size:           4
        .value_kind:     hidden_block_count_x
      - .offset:         52
        .size:           4
        .value_kind:     hidden_block_count_y
      - .offset:         56
        .size:           4
        .value_kind:     hidden_block_count_z
      - .offset:         60
        .size:           2
        .value_kind:     hidden_group_size_x
      - .offset:         62
        .size:           2
        .value_kind:     hidden_group_size_y
      - .offset:         64
        .size:           2
        .value_kind:     hidden_group_size_z
      - .offset:         66
        .size:           2
        .value_kind:     hidden_remainder_x
      - .offset:         68
        .size:           2
        .value_kind:     hidden_remainder_y
      - .offset:         70
        .size:           2
        .value_kind:     hidden_remainder_z
      - .offset:         88
        .size:           8
        .value_kind:     hidden_global_offset_x
      - .offset:         96
        .size:           8
        .value_kind:     hidden_global_offset_y
      - .offset:         104
        .size:           8
        .value_kind:     hidden_global_offset_z
      - .offset:         112
        .size:           2
        .value_kind:     hidden_grid_dims
    .group_segment_fixed_size: 0
    .kernarg_segment_align: 8
    .kernarg_segment_size: 304
    .language:       OpenCL C
    .language_version:
      - 2
      - 0
    .max_flat_workgroup_size: 1024
    .name:           _ZN12_GLOBAL__N_121softmax_warp_backwardIfN3c108BFloat16EfLi9ELb0ELb0ELi64EEEvPT0_PKT_S7_iiiPKb
    .private_segment_fixed_size: 0
    .sgpr_count:     28
    .sgpr_spill_count: 0
    .symbol:         _ZN12_GLOBAL__N_121softmax_warp_backwardIfN3c108BFloat16EfLi9ELb0ELb0ELi64EEEvPT0_PKT_S7_iiiPKb.kd
    .uniform_work_group_size: 1
    .uses_dynamic_stack: false
    .vgpr_count:     23
    .vgpr_spill_count: 0
    .wavefront_size: 64
  - .agpr_count:     0
    .args:
      - .address_space:  global
        .offset:         0
        .size:           8
        .value_kind:     global_buffer
      - .address_space:  global
        .offset:         8
        .size:           8
        .value_kind:     global_buffer
      - .address_space:  global
        .offset:         16
        .size:           8
        .value_kind:     global_buffer
      - .offset:         24
        .size:           4
        .value_kind:     by_value
      - .offset:         28
        .size:           4
        .value_kind:     by_value
      - .offset:         32
        .size:           4
        .value_kind:     by_value
      - .address_space:  global
        .offset:         40
        .size:           8
        .value_kind:     global_buffer
      - .offset:         48
        .size:           4
        .value_kind:     hidden_block_count_x
      - .offset:         52
        .size:           4
        .value_kind:     hidden_block_count_y
      - .offset:         56
        .size:           4
        .value_kind:     hidden_block_count_z
      - .offset:         60
        .size:           2
        .value_kind:     hidden_group_size_x
      - .offset:         62
        .size:           2
        .value_kind:     hidden_group_size_y
      - .offset:         64
        .size:           2
        .value_kind:     hidden_group_size_z
      - .offset:         66
        .size:           2
        .value_kind:     hidden_remainder_x
      - .offset:         68
        .size:           2
        .value_kind:     hidden_remainder_y
      - .offset:         70
        .size:           2
        .value_kind:     hidden_remainder_z
      - .offset:         88
        .size:           8
        .value_kind:     hidden_global_offset_x
      - .offset:         96
        .size:           8
        .value_kind:     hidden_global_offset_y
      - .offset:         104
        .size:           8
        .value_kind:     hidden_global_offset_z
      - .offset:         112
        .size:           2
        .value_kind:     hidden_grid_dims
    .group_segment_fixed_size: 0
    .kernarg_segment_align: 8
    .kernarg_segment_size: 304
    .language:       OpenCL C
    .language_version:
      - 2
      - 0
    .max_flat_workgroup_size: 1024
    .name:           _ZN12_GLOBAL__N_121softmax_warp_backwardIfN3c108BFloat16EfLi9ELb0ELb0ELi32EEEvPT0_PKT_S7_iiiPKb
    .private_segment_fixed_size: 0
    .sgpr_count:     48
    .sgpr_spill_count: 0
    .symbol:         _ZN12_GLOBAL__N_121softmax_warp_backwardIfN3c108BFloat16EfLi9ELb0ELb0ELi32EEEvPT0_PKT_S7_iiiPKb.kd
    .uniform_work_group_size: 1
    .uses_dynamic_stack: false
    .vgpr_count:     39
    .vgpr_spill_count: 0
    .wavefront_size: 64
  - .agpr_count:     0
    .args:
      - .address_space:  global
        .offset:         0
        .size:           8
        .value_kind:     global_buffer
      - .address_space:  global
        .offset:         8
        .size:           8
        .value_kind:     global_buffer
      - .address_space:  global
        .offset:         16
        .size:           8
        .value_kind:     global_buffer
      - .offset:         24
        .size:           4
        .value_kind:     by_value
      - .offset:         28
        .size:           4
        .value_kind:     by_value
      - .offset:         32
        .size:           4
        .value_kind:     by_value
      - .address_space:  global
        .offset:         40
        .size:           8
        .value_kind:     global_buffer
      - .offset:         48
        .size:           4
        .value_kind:     hidden_block_count_x
      - .offset:         52
        .size:           4
        .value_kind:     hidden_block_count_y
      - .offset:         56
        .size:           4
        .value_kind:     hidden_block_count_z
      - .offset:         60
        .size:           2
        .value_kind:     hidden_group_size_x
      - .offset:         62
        .size:           2
        .value_kind:     hidden_group_size_y
      - .offset:         64
        .size:           2
        .value_kind:     hidden_group_size_z
      - .offset:         66
        .size:           2
        .value_kind:     hidden_remainder_x
      - .offset:         68
        .size:           2
        .value_kind:     hidden_remainder_y
      - .offset:         70
        .size:           2
        .value_kind:     hidden_remainder_z
      - .offset:         88
        .size:           8
        .value_kind:     hidden_global_offset_x
      - .offset:         96
        .size:           8
        .value_kind:     hidden_global_offset_y
      - .offset:         104
        .size:           8
        .value_kind:     hidden_global_offset_z
      - .offset:         112
        .size:           2
        .value_kind:     hidden_grid_dims
    .group_segment_fixed_size: 0
    .kernarg_segment_align: 8
    .kernarg_segment_size: 304
    .language:       OpenCL C
    .language_version:
      - 2
      - 0
    .max_flat_workgroup_size: 1024
    .name:           _ZN12_GLOBAL__N_121softmax_warp_backwardIfN3c108BFloat16EfLi10ELb0ELb0ELi64EEEvPT0_PKT_S7_iiiPKb
    .private_segment_fixed_size: 0
    .sgpr_count:     48
    .sgpr_spill_count: 0
    .symbol:         _ZN12_GLOBAL__N_121softmax_warp_backwardIfN3c108BFloat16EfLi10ELb0ELb0ELi64EEEvPT0_PKT_S7_iiiPKb.kd
    .uniform_work_group_size: 1
    .uses_dynamic_stack: false
    .vgpr_count:     39
    .vgpr_spill_count: 0
    .wavefront_size: 64
  - .agpr_count:     0
    .args:
      - .address_space:  global
        .offset:         0
        .size:           8
        .value_kind:     global_buffer
      - .address_space:  global
        .offset:         8
        .size:           8
        .value_kind:     global_buffer
      - .address_space:  global
        .offset:         16
        .size:           8
        .value_kind:     global_buffer
      - .offset:         24
        .size:           4
        .value_kind:     by_value
      - .offset:         28
        .size:           4
        .value_kind:     by_value
      - .offset:         32
        .size:           4
        .value_kind:     by_value
      - .address_space:  global
        .offset:         40
        .size:           8
        .value_kind:     global_buffer
      - .offset:         48
        .size:           4
        .value_kind:     hidden_block_count_x
      - .offset:         52
        .size:           4
        .value_kind:     hidden_block_count_y
      - .offset:         56
        .size:           4
        .value_kind:     hidden_block_count_z
      - .offset:         60
        .size:           2
        .value_kind:     hidden_group_size_x
      - .offset:         62
        .size:           2
        .value_kind:     hidden_group_size_y
      - .offset:         64
        .size:           2
        .value_kind:     hidden_group_size_z
      - .offset:         66
        .size:           2
        .value_kind:     hidden_remainder_x
      - .offset:         68
        .size:           2
        .value_kind:     hidden_remainder_y
      - .offset:         70
        .size:           2
        .value_kind:     hidden_remainder_z
      - .offset:         88
        .size:           8
        .value_kind:     hidden_global_offset_x
      - .offset:         96
        .size:           8
        .value_kind:     hidden_global_offset_y
      - .offset:         104
        .size:           8
        .value_kind:     hidden_global_offset_z
      - .offset:         112
        .size:           2
        .value_kind:     hidden_grid_dims
    .group_segment_fixed_size: 0
    .kernarg_segment_align: 8
    .kernarg_segment_size: 304
    .language:       OpenCL C
    .language_version:
      - 2
      - 0
    .max_flat_workgroup_size: 1024
    .name:           _ZN12_GLOBAL__N_121softmax_warp_backwardIfN3c108BFloat16EfLi10ELb0ELb0ELi32EEEvPT0_PKT_S7_iiiPKb
    .private_segment_fixed_size: 0
    .sgpr_count:     76
    .sgpr_spill_count: 0
    .symbol:         _ZN12_GLOBAL__N_121softmax_warp_backwardIfN3c108BFloat16EfLi10ELb0ELb0ELi32EEEvPT0_PKT_S7_iiiPKb.kd
    .uniform_work_group_size: 1
    .uses_dynamic_stack: false
    .vgpr_count:     71
    .vgpr_spill_count: 0
    .wavefront_size: 64
  - .agpr_count:     0
    .args:
      - .address_space:  global
        .offset:         0
        .size:           8
        .value_kind:     global_buffer
      - .address_space:  global
        .offset:         8
        .size:           8
        .value_kind:     global_buffer
      - .address_space:  global
        .offset:         16
        .size:           8
        .value_kind:     global_buffer
      - .offset:         24
        .size:           8
        .value_kind:     by_value
      - .offset:         32
        .size:           4
        .value_kind:     hidden_block_count_x
      - .offset:         36
        .size:           4
        .value_kind:     hidden_block_count_y
      - .offset:         40
        .size:           4
        .value_kind:     hidden_block_count_z
      - .offset:         44
        .size:           2
        .value_kind:     hidden_group_size_x
      - .offset:         46
        .size:           2
        .value_kind:     hidden_group_size_y
      - .offset:         48
        .size:           2
        .value_kind:     hidden_group_size_z
      - .offset:         50
        .size:           2
        .value_kind:     hidden_remainder_x
      - .offset:         52
        .size:           2
        .value_kind:     hidden_remainder_y
      - .offset:         54
        .size:           2
        .value_kind:     hidden_remainder_z
      - .offset:         72
        .size:           8
        .value_kind:     hidden_global_offset_x
      - .offset:         80
        .size:           8
        .value_kind:     hidden_global_offset_y
      - .offset:         88
        .size:           8
        .value_kind:     hidden_global_offset_z
      - .offset:         96
        .size:           2
        .value_kind:     hidden_grid_dims
      - .offset:         152
        .size:           4
        .value_kind:     hidden_dynamic_lds_size
    .group_segment_fixed_size: 0
    .kernarg_segment_align: 8
    .kernarg_segment_size: 288
    .language:       OpenCL C
    .language_version:
      - 2
      - 0
    .max_flat_workgroup_size: 1024
    .name:           _ZN2at6native12_GLOBAL__N_124cunn_SoftMaxBackwardSmemILi4EN3c108BFloat16EffNS1_23SoftMaxBackwardEpilogueEEEvPT0_PKT2_SA_l
    .private_segment_fixed_size: 0
    .sgpr_count:     24
    .sgpr_spill_count: 0
    .symbol:         _ZN2at6native12_GLOBAL__N_124cunn_SoftMaxBackwardSmemILi4EN3c108BFloat16EffNS1_23SoftMaxBackwardEpilogueEEEvPT0_PKT2_SA_l.kd
    .uniform_work_group_size: 1
    .uses_dynamic_stack: false
    .vgpr_count:     22
    .vgpr_spill_count: 0
    .wavefront_size: 64
  - .agpr_count:     0
    .args:
      - .address_space:  global
        .offset:         0
        .size:           8
        .value_kind:     global_buffer
      - .address_space:  global
        .offset:         8
        .size:           8
        .value_kind:     global_buffer
      - .address_space:  global
        .offset:         16
        .size:           8
        .value_kind:     global_buffer
      - .offset:         24
        .size:           8
        .value_kind:     by_value
      - .offset:         32
        .size:           4
        .value_kind:     hidden_block_count_x
      - .offset:         36
        .size:           4
        .value_kind:     hidden_block_count_y
      - .offset:         40
        .size:           4
        .value_kind:     hidden_block_count_z
      - .offset:         44
        .size:           2
        .value_kind:     hidden_group_size_x
      - .offset:         46
        .size:           2
        .value_kind:     hidden_group_size_y
      - .offset:         48
        .size:           2
        .value_kind:     hidden_group_size_z
      - .offset:         50
        .size:           2
        .value_kind:     hidden_remainder_x
      - .offset:         52
        .size:           2
        .value_kind:     hidden_remainder_y
      - .offset:         54
        .size:           2
        .value_kind:     hidden_remainder_z
      - .offset:         72
        .size:           8
        .value_kind:     hidden_global_offset_x
      - .offset:         80
        .size:           8
        .value_kind:     hidden_global_offset_y
      - .offset:         88
        .size:           8
        .value_kind:     hidden_global_offset_z
      - .offset:         96
        .size:           2
        .value_kind:     hidden_grid_dims
      - .offset:         152
        .size:           4
        .value_kind:     hidden_dynamic_lds_size
    .group_segment_fixed_size: 0
    .kernarg_segment_align: 8
    .kernarg_segment_size: 288
    .language:       OpenCL C
    .language_version:
      - 2
      - 0
    .max_flat_workgroup_size: 1024
    .name:           _ZN2at6native12_GLOBAL__N_120cunn_SoftMaxBackwardILi4EN3c108BFloat16EffNS1_23SoftMaxBackwardEpilogueEEEvPT0_PKT2_SA_l
    .private_segment_fixed_size: 0
    .sgpr_count:     75
    .sgpr_spill_count: 0
    .symbol:         _ZN2at6native12_GLOBAL__N_120cunn_SoftMaxBackwardILi4EN3c108BFloat16EffNS1_23SoftMaxBackwardEpilogueEEEvPT0_PKT2_SA_l.kd
    .uniform_work_group_size: 1
    .uses_dynamic_stack: false
    .vgpr_count:     34
    .vgpr_spill_count: 0
    .wavefront_size: 64
  - .agpr_count:     0
    .args:
      - .address_space:  global
        .offset:         0
        .size:           8
        .value_kind:     global_buffer
      - .address_space:  global
        .offset:         8
        .size:           8
        .value_kind:     global_buffer
      - .address_space:  global
        .offset:         16
        .size:           8
        .value_kind:     global_buffer
      - .offset:         24
        .size:           4
        .value_kind:     by_value
      - .offset:         28
        .size:           4
        .value_kind:     by_value
      - .offset:         32
        .size:           4
        .value_kind:     by_value
      - .offset:         40
        .size:           4
        .value_kind:     hidden_block_count_x
      - .offset:         44
        .size:           4
        .value_kind:     hidden_block_count_y
      - .offset:         48
        .size:           4
        .value_kind:     hidden_block_count_z
      - .offset:         52
        .size:           2
        .value_kind:     hidden_group_size_x
      - .offset:         54
        .size:           2
        .value_kind:     hidden_group_size_y
      - .offset:         56
        .size:           2
        .value_kind:     hidden_group_size_z
      - .offset:         58
        .size:           2
        .value_kind:     hidden_remainder_x
      - .offset:         60
        .size:           2
        .value_kind:     hidden_remainder_y
      - .offset:         62
        .size:           2
        .value_kind:     hidden_remainder_z
      - .offset:         80
        .size:           8
        .value_kind:     hidden_global_offset_x
      - .offset:         88
        .size:           8
        .value_kind:     hidden_global_offset_y
      - .offset:         96
        .size:           8
        .value_kind:     hidden_global_offset_z
      - .offset:         104
        .size:           2
        .value_kind:     hidden_grid_dims
      - .offset:         160
        .size:           4
        .value_kind:     hidden_dynamic_lds_size
    .group_segment_fixed_size: 0
    .kernarg_segment_align: 8
    .kernarg_segment_size: 296
    .language:       OpenCL C
    .language_version:
      - 2
      - 0
    .max_flat_workgroup_size: 1024
    .name:           _ZN2at6native12_GLOBAL__N_127cunn_SpatialSoftMaxBackwardIdddNS1_23SoftMaxBackwardEpilogueEEEvPT_PKT1_S8_jjj
    .private_segment_fixed_size: 0
    .sgpr_count:     38
    .sgpr_spill_count: 0
    .symbol:         _ZN2at6native12_GLOBAL__N_127cunn_SpatialSoftMaxBackwardIdddNS1_23SoftMaxBackwardEpilogueEEEvPT_PKT1_S8_jjj.kd
    .uniform_work_group_size: 1
    .uses_dynamic_stack: false
    .vgpr_count:     26
    .vgpr_spill_count: 0
    .wavefront_size: 64
  - .agpr_count:     0
    .args:
      - .address_space:  global
        .offset:         0
        .size:           8
        .value_kind:     global_buffer
      - .address_space:  global
        .offset:         8
        .size:           8
        .value_kind:     global_buffer
      - .address_space:  global
        .offset:         16
        .size:           8
        .value_kind:     global_buffer
      - .offset:         24
        .size:           4
        .value_kind:     by_value
      - .offset:         28
        .size:           4
        .value_kind:     by_value
      - .offset:         32
        .size:           4
        .value_kind:     by_value
      - .offset:         40
        .size:           4
        .value_kind:     hidden_block_count_x
      - .offset:         44
        .size:           4
        .value_kind:     hidden_block_count_y
      - .offset:         48
        .size:           4
        .value_kind:     hidden_block_count_z
      - .offset:         52
        .size:           2
        .value_kind:     hidden_group_size_x
      - .offset:         54
        .size:           2
        .value_kind:     hidden_group_size_y
      - .offset:         56
        .size:           2
        .value_kind:     hidden_group_size_z
      - .offset:         58
        .size:           2
        .value_kind:     hidden_remainder_x
      - .offset:         60
        .size:           2
        .value_kind:     hidden_remainder_y
      - .offset:         62
        .size:           2
        .value_kind:     hidden_remainder_z
      - .offset:         80
        .size:           8
        .value_kind:     hidden_global_offset_x
      - .offset:         88
        .size:           8
        .value_kind:     hidden_global_offset_y
      - .offset:         96
        .size:           8
        .value_kind:     hidden_global_offset_z
      - .offset:         104
        .size:           2
        .value_kind:     hidden_grid_dims
      - .offset:         160
        .size:           4
        .value_kind:     hidden_dynamic_lds_size
    .group_segment_fixed_size: 0
    .kernarg_segment_align: 8
    .kernarg_segment_size: 296
    .language:       OpenCL C
    .language_version:
      - 2
      - 0
    .max_flat_workgroup_size: 1024
    .name:           _ZN2at6native12_GLOBAL__N_127cunn_SpatialSoftMaxBackwardIfffNS1_23SoftMaxBackwardEpilogueEEEvPT_PKT1_S8_jjj
    .private_segment_fixed_size: 0
    .sgpr_count:     38
    .sgpr_spill_count: 0
    .symbol:         _ZN2at6native12_GLOBAL__N_127cunn_SpatialSoftMaxBackwardIfffNS1_23SoftMaxBackwardEpilogueEEEvPT_PKT1_S8_jjj.kd
    .uniform_work_group_size: 1
    .uses_dynamic_stack: false
    .vgpr_count:     22
    .vgpr_spill_count: 0
    .wavefront_size: 64
  - .agpr_count:     0
    .args:
      - .address_space:  global
        .offset:         0
        .size:           8
        .value_kind:     global_buffer
      - .address_space:  global
        .offset:         8
        .size:           8
        .value_kind:     global_buffer
      - .address_space:  global
        .offset:         16
        .size:           8
        .value_kind:     global_buffer
      - .offset:         24
        .size:           4
        .value_kind:     by_value
      - .offset:         28
        .size:           4
        .value_kind:     by_value
      - .offset:         32
        .size:           4
        .value_kind:     by_value
      - .offset:         40
        .size:           4
        .value_kind:     hidden_block_count_x
      - .offset:         44
        .size:           4
        .value_kind:     hidden_block_count_y
      - .offset:         48
        .size:           4
        .value_kind:     hidden_block_count_z
      - .offset:         52
        .size:           2
        .value_kind:     hidden_group_size_x
      - .offset:         54
        .size:           2
        .value_kind:     hidden_group_size_y
      - .offset:         56
        .size:           2
        .value_kind:     hidden_group_size_z
      - .offset:         58
        .size:           2
        .value_kind:     hidden_remainder_x
      - .offset:         60
        .size:           2
        .value_kind:     hidden_remainder_y
      - .offset:         62
        .size:           2
        .value_kind:     hidden_remainder_z
      - .offset:         80
        .size:           8
        .value_kind:     hidden_global_offset_x
      - .offset:         88
        .size:           8
        .value_kind:     hidden_global_offset_y
      - .offset:         96
        .size:           8
        .value_kind:     hidden_global_offset_z
      - .offset:         104
        .size:           2
        .value_kind:     hidden_grid_dims
      - .offset:         160
        .size:           4
        .value_kind:     hidden_dynamic_lds_size
    .group_segment_fixed_size: 0
    .kernarg_segment_align: 8
    .kernarg_segment_size: 296
    .language:       OpenCL C
    .language_version:
      - 2
      - 0
    .max_flat_workgroup_size: 1024
    .name:           _ZN2at6native12_GLOBAL__N_127cunn_SpatialSoftMaxBackwardIN3c104HalfEfS4_NS1_23SoftMaxBackwardEpilogueEEEvPT_PKT1_SA_jjj
    .private_segment_fixed_size: 0
    .sgpr_count:     38
    .sgpr_spill_count: 0
    .symbol:         _ZN2at6native12_GLOBAL__N_127cunn_SpatialSoftMaxBackwardIN3c104HalfEfS4_NS1_23SoftMaxBackwardEpilogueEEEvPT_PKT1_SA_jjj.kd
    .uniform_work_group_size: 1
    .uses_dynamic_stack: false
    .vgpr_count:     22
    .vgpr_spill_count: 0
    .wavefront_size: 64
  - .agpr_count:     0
    .args:
      - .address_space:  global
        .offset:         0
        .size:           8
        .value_kind:     global_buffer
      - .address_space:  global
        .offset:         8
        .size:           8
        .value_kind:     global_buffer
      - .address_space:  global
        .offset:         16
        .size:           8
        .value_kind:     global_buffer
      - .offset:         24
        .size:           4
        .value_kind:     by_value
      - .offset:         28
        .size:           4
        .value_kind:     by_value
      - .offset:         32
        .size:           4
        .value_kind:     by_value
      - .offset:         40
        .size:           4
        .value_kind:     hidden_block_count_x
      - .offset:         44
        .size:           4
        .value_kind:     hidden_block_count_y
      - .offset:         48
        .size:           4
        .value_kind:     hidden_block_count_z
      - .offset:         52
        .size:           2
        .value_kind:     hidden_group_size_x
      - .offset:         54
        .size:           2
        .value_kind:     hidden_group_size_y
      - .offset:         56
        .size:           2
        .value_kind:     hidden_group_size_z
      - .offset:         58
        .size:           2
        .value_kind:     hidden_remainder_x
      - .offset:         60
        .size:           2
        .value_kind:     hidden_remainder_y
      - .offset:         62
        .size:           2
        .value_kind:     hidden_remainder_z
      - .offset:         80
        .size:           8
        .value_kind:     hidden_global_offset_x
      - .offset:         88
        .size:           8
        .value_kind:     hidden_global_offset_y
      - .offset:         96
        .size:           8
        .value_kind:     hidden_global_offset_z
      - .offset:         104
        .size:           2
        .value_kind:     hidden_grid_dims
      - .offset:         160
        .size:           4
        .value_kind:     hidden_dynamic_lds_size
    .group_segment_fixed_size: 0
    .kernarg_segment_align: 8
    .kernarg_segment_size: 296
    .language:       OpenCL C
    .language_version:
      - 2
      - 0
    .max_flat_workgroup_size: 1024
    .name:           _ZN2at6native12_GLOBAL__N_127cunn_SpatialSoftMaxBackwardIN3c104HalfEffNS1_23SoftMaxBackwardEpilogueEEEvPT_PKT1_SA_jjj
    .private_segment_fixed_size: 0
    .sgpr_count:     52
    .sgpr_spill_count: 0
    .symbol:         _ZN2at6native12_GLOBAL__N_127cunn_SpatialSoftMaxBackwardIN3c104HalfEffNS1_23SoftMaxBackwardEpilogueEEEvPT_PKT1_SA_jjj.kd
    .uniform_work_group_size: 1
    .uses_dynamic_stack: false
    .vgpr_count:     25
    .vgpr_spill_count: 0
    .wavefront_size: 64
  - .agpr_count:     0
    .args:
      - .address_space:  global
        .offset:         0
        .size:           8
        .value_kind:     global_buffer
      - .address_space:  global
        .offset:         8
        .size:           8
        .value_kind:     global_buffer
      - .address_space:  global
        .offset:         16
        .size:           8
        .value_kind:     global_buffer
      - .offset:         24
        .size:           4
        .value_kind:     by_value
      - .offset:         28
        .size:           4
        .value_kind:     by_value
      - .offset:         32
        .size:           4
        .value_kind:     by_value
      - .offset:         40
        .size:           4
        .value_kind:     hidden_block_count_x
      - .offset:         44
        .size:           4
        .value_kind:     hidden_block_count_y
      - .offset:         48
        .size:           4
        .value_kind:     hidden_block_count_z
      - .offset:         52
        .size:           2
        .value_kind:     hidden_group_size_x
      - .offset:         54
        .size:           2
        .value_kind:     hidden_group_size_y
      - .offset:         56
        .size:           2
        .value_kind:     hidden_group_size_z
      - .offset:         58
        .size:           2
        .value_kind:     hidden_remainder_x
      - .offset:         60
        .size:           2
        .value_kind:     hidden_remainder_y
      - .offset:         62
        .size:           2
        .value_kind:     hidden_remainder_z
      - .offset:         80
        .size:           8
        .value_kind:     hidden_global_offset_x
      - .offset:         88
        .size:           8
        .value_kind:     hidden_global_offset_y
      - .offset:         96
        .size:           8
        .value_kind:     hidden_global_offset_z
      - .offset:         104
        .size:           2
        .value_kind:     hidden_grid_dims
      - .offset:         160
        .size:           4
        .value_kind:     hidden_dynamic_lds_size
    .group_segment_fixed_size: 0
    .kernarg_segment_align: 8
    .kernarg_segment_size: 296
    .language:       OpenCL C
    .language_version:
      - 2
      - 0
    .max_flat_workgroup_size: 1024
    .name:           _ZN2at6native12_GLOBAL__N_127cunn_SpatialSoftMaxBackwardIN3c108BFloat16EfS4_NS1_23SoftMaxBackwardEpilogueEEEvPT_PKT1_SA_jjj
    .private_segment_fixed_size: 0
    .sgpr_count:     39
    .sgpr_spill_count: 0
    .symbol:         _ZN2at6native12_GLOBAL__N_127cunn_SpatialSoftMaxBackwardIN3c108BFloat16EfS4_NS1_23SoftMaxBackwardEpilogueEEEvPT_PKT1_SA_jjj.kd
    .uniform_work_group_size: 1
    .uses_dynamic_stack: false
    .vgpr_count:     23
    .vgpr_spill_count: 0
    .wavefront_size: 64
  - .agpr_count:     0
    .args:
      - .address_space:  global
        .offset:         0
        .size:           8
        .value_kind:     global_buffer
      - .address_space:  global
        .offset:         8
        .size:           8
        .value_kind:     global_buffer
      - .address_space:  global
        .offset:         16
        .size:           8
        .value_kind:     global_buffer
      - .offset:         24
        .size:           4
        .value_kind:     by_value
      - .offset:         28
        .size:           4
        .value_kind:     by_value
      - .offset:         32
        .size:           4
        .value_kind:     by_value
      - .offset:         40
        .size:           4
        .value_kind:     hidden_block_count_x
      - .offset:         44
        .size:           4
        .value_kind:     hidden_block_count_y
      - .offset:         48
        .size:           4
        .value_kind:     hidden_block_count_z
      - .offset:         52
        .size:           2
        .value_kind:     hidden_group_size_x
      - .offset:         54
        .size:           2
        .value_kind:     hidden_group_size_y
      - .offset:         56
        .size:           2
        .value_kind:     hidden_group_size_z
      - .offset:         58
        .size:           2
        .value_kind:     hidden_remainder_x
      - .offset:         60
        .size:           2
        .value_kind:     hidden_remainder_y
      - .offset:         62
        .size:           2
        .value_kind:     hidden_remainder_z
      - .offset:         80
        .size:           8
        .value_kind:     hidden_global_offset_x
      - .offset:         88
        .size:           8
        .value_kind:     hidden_global_offset_y
      - .offset:         96
        .size:           8
        .value_kind:     hidden_global_offset_z
      - .offset:         104
        .size:           2
        .value_kind:     hidden_grid_dims
      - .offset:         160
        .size:           4
        .value_kind:     hidden_dynamic_lds_size
    .group_segment_fixed_size: 0
    .kernarg_segment_align: 8
    .kernarg_segment_size: 296
    .language:       OpenCL C
    .language_version:
      - 2
      - 0
    .max_flat_workgroup_size: 1024
    .name:           _ZN2at6native12_GLOBAL__N_127cunn_SpatialSoftMaxBackwardIN3c108BFloat16EffNS1_23SoftMaxBackwardEpilogueEEEvPT_PKT1_SA_jjj
    .private_segment_fixed_size: 0
    .sgpr_count:     53
    .sgpr_spill_count: 0
    .symbol:         _ZN2at6native12_GLOBAL__N_127cunn_SpatialSoftMaxBackwardIN3c108BFloat16EffNS1_23SoftMaxBackwardEpilogueEEEvPT_PKT1_SA_jjj.kd
    .uniform_work_group_size: 1
    .uses_dynamic_stack: false
    .vgpr_count:     26
    .vgpr_spill_count: 0
    .wavefront_size: 64
  - .agpr_count:     0
    .args:
      - .address_space:  global
        .offset:         0
        .size:           8
        .value_kind:     global_buffer
      - .address_space:  global
        .offset:         8
        .size:           8
        .value_kind:     global_buffer
      - .offset:         16
        .size:           4
        .value_kind:     by_value
      - .offset:         20
        .size:           4
        .value_kind:     by_value
      - .offset:         24
        .size:           4
        .value_kind:     by_value
      - .address_space:  global
        .offset:         32
        .size:           8
        .value_kind:     global_buffer
      - .offset:         40
        .size:           4
        .value_kind:     by_value
      - .offset:         44
        .size:           1
        .value_kind:     by_value
      - .offset:         48
        .size:           4
        .value_kind:     hidden_block_count_x
      - .offset:         52
        .size:           4
        .value_kind:     hidden_block_count_y
      - .offset:         56
        .size:           4
        .value_kind:     hidden_block_count_z
      - .offset:         60
        .size:           2
        .value_kind:     hidden_group_size_x
      - .offset:         62
        .size:           2
        .value_kind:     hidden_group_size_y
      - .offset:         64
        .size:           2
        .value_kind:     hidden_group_size_z
      - .offset:         66
        .size:           2
        .value_kind:     hidden_remainder_x
      - .offset:         68
        .size:           2
        .value_kind:     hidden_remainder_y
      - .offset:         70
        .size:           2
        .value_kind:     hidden_remainder_z
      - .offset:         88
        .size:           8
        .value_kind:     hidden_global_offset_x
      - .offset:         96
        .size:           8
        .value_kind:     hidden_global_offset_y
      - .offset:         104
        .size:           8
        .value_kind:     hidden_global_offset_z
      - .offset:         112
        .size:           2
        .value_kind:     hidden_grid_dims
    .group_segment_fixed_size: 0
    .kernarg_segment_align: 8
    .kernarg_segment_size: 304
    .language:       OpenCL C
    .language_version:
      - 2
      - 0
    .max_flat_workgroup_size: 1024
    .name:           _ZN12_GLOBAL__N_120softmax_warp_forwardIdddLi0ELb0ELb1ELi64EEEvPT0_PKT_iiiPKbib
    .private_segment_fixed_size: 0
    .sgpr_count:     24
    .sgpr_spill_count: 0
    .symbol:         _ZN12_GLOBAL__N_120softmax_warp_forwardIdddLi0ELb0ELb1ELi64EEEvPT0_PKT_iiiPKbib.kd
    .uniform_work_group_size: 1
    .uses_dynamic_stack: false
    .vgpr_count:     21
    .vgpr_spill_count: 0
    .wavefront_size: 64
  - .agpr_count:     0
    .args:
      - .address_space:  global
        .offset:         0
        .size:           8
        .value_kind:     global_buffer
      - .address_space:  global
        .offset:         8
        .size:           8
        .value_kind:     global_buffer
      - .offset:         16
        .size:           4
        .value_kind:     by_value
      - .offset:         20
        .size:           4
        .value_kind:     by_value
      - .offset:         24
        .size:           4
        .value_kind:     by_value
      - .address_space:  global
        .offset:         32
        .size:           8
        .value_kind:     global_buffer
      - .offset:         40
        .size:           4
        .value_kind:     by_value
      - .offset:         44
        .size:           1
        .value_kind:     by_value
      - .offset:         48
        .size:           4
        .value_kind:     hidden_block_count_x
      - .offset:         52
        .size:           4
        .value_kind:     hidden_block_count_y
      - .offset:         56
        .size:           4
        .value_kind:     hidden_block_count_z
      - .offset:         60
        .size:           2
        .value_kind:     hidden_group_size_x
      - .offset:         62
        .size:           2
        .value_kind:     hidden_group_size_y
      - .offset:         64
        .size:           2
        .value_kind:     hidden_group_size_z
      - .offset:         66
        .size:           2
        .value_kind:     hidden_remainder_x
      - .offset:         68
        .size:           2
        .value_kind:     hidden_remainder_y
      - .offset:         70
        .size:           2
        .value_kind:     hidden_remainder_z
      - .offset:         88
        .size:           8
        .value_kind:     hidden_global_offset_x
      - .offset:         96
        .size:           8
        .value_kind:     hidden_global_offset_y
      - .offset:         104
        .size:           8
        .value_kind:     hidden_global_offset_z
      - .offset:         112
        .size:           2
        .value_kind:     hidden_grid_dims
    .group_segment_fixed_size: 0
    .kernarg_segment_align: 8
    .kernarg_segment_size: 304
    .language:       OpenCL C
    .language_version:
      - 2
      - 0
    .max_flat_workgroup_size: 1024
    .name:           _ZN12_GLOBAL__N_120softmax_warp_forwardIdddLi0ELb0ELb1ELi32EEEvPT0_PKT_iiiPKbib
    .private_segment_fixed_size: 0
    .sgpr_count:     24
    .sgpr_spill_count: 0
    .symbol:         _ZN12_GLOBAL__N_120softmax_warp_forwardIdddLi0ELb0ELb1ELi32EEEvPT0_PKT_iiiPKbib.kd
    .uniform_work_group_size: 1
    .uses_dynamic_stack: false
    .vgpr_count:     21
    .vgpr_spill_count: 0
    .wavefront_size: 64
  - .agpr_count:     0
    .args:
      - .address_space:  global
        .offset:         0
        .size:           8
        .value_kind:     global_buffer
      - .address_space:  global
        .offset:         8
        .size:           8
        .value_kind:     global_buffer
      - .offset:         16
        .size:           4
        .value_kind:     by_value
      - .offset:         20
        .size:           4
        .value_kind:     by_value
      - .offset:         24
        .size:           4
        .value_kind:     by_value
      - .address_space:  global
        .offset:         32
        .size:           8
        .value_kind:     global_buffer
      - .offset:         40
        .size:           4
        .value_kind:     by_value
      - .offset:         44
        .size:           1
        .value_kind:     by_value
      - .offset:         48
        .size:           4
        .value_kind:     hidden_block_count_x
      - .offset:         52
        .size:           4
        .value_kind:     hidden_block_count_y
      - .offset:         56
        .size:           4
        .value_kind:     hidden_block_count_z
      - .offset:         60
        .size:           2
        .value_kind:     hidden_group_size_x
      - .offset:         62
        .size:           2
        .value_kind:     hidden_group_size_y
      - .offset:         64
        .size:           2
        .value_kind:     hidden_group_size_z
      - .offset:         66
        .size:           2
        .value_kind:     hidden_remainder_x
      - .offset:         68
        .size:           2
        .value_kind:     hidden_remainder_y
      - .offset:         70
        .size:           2
        .value_kind:     hidden_remainder_z
      - .offset:         88
        .size:           8
        .value_kind:     hidden_global_offset_x
      - .offset:         96
        .size:           8
        .value_kind:     hidden_global_offset_y
      - .offset:         104
        .size:           8
        .value_kind:     hidden_global_offset_z
      - .offset:         112
        .size:           2
        .value_kind:     hidden_grid_dims
    .group_segment_fixed_size: 0
    .kernarg_segment_align: 8
    .kernarg_segment_size: 304
    .language:       OpenCL C
    .language_version:
      - 2
      - 0
    .max_flat_workgroup_size: 1024
    .name:           _ZN12_GLOBAL__N_120softmax_warp_forwardIdddLi1ELb0ELb1ELi64EEEvPT0_PKT_iiiPKbib
    .private_segment_fixed_size: 0
    .sgpr_count:     24
    .sgpr_spill_count: 0
    .symbol:         _ZN12_GLOBAL__N_120softmax_warp_forwardIdddLi1ELb0ELb1ELi64EEEvPT0_PKT_iiiPKbib.kd
    .uniform_work_group_size: 1
    .uses_dynamic_stack: false
    .vgpr_count:     26
    .vgpr_spill_count: 0
    .wavefront_size: 64
  - .agpr_count:     0
    .args:
      - .address_space:  global
        .offset:         0
        .size:           8
        .value_kind:     global_buffer
      - .address_space:  global
        .offset:         8
        .size:           8
        .value_kind:     global_buffer
      - .offset:         16
        .size:           4
        .value_kind:     by_value
      - .offset:         20
        .size:           4
        .value_kind:     by_value
      - .offset:         24
        .size:           4
        .value_kind:     by_value
      - .address_space:  global
        .offset:         32
        .size:           8
        .value_kind:     global_buffer
      - .offset:         40
        .size:           4
        .value_kind:     by_value
      - .offset:         44
        .size:           1
        .value_kind:     by_value
      - .offset:         48
        .size:           4
        .value_kind:     hidden_block_count_x
      - .offset:         52
        .size:           4
        .value_kind:     hidden_block_count_y
      - .offset:         56
        .size:           4
        .value_kind:     hidden_block_count_z
      - .offset:         60
        .size:           2
        .value_kind:     hidden_group_size_x
      - .offset:         62
        .size:           2
        .value_kind:     hidden_group_size_y
      - .offset:         64
        .size:           2
        .value_kind:     hidden_group_size_z
      - .offset:         66
        .size:           2
        .value_kind:     hidden_remainder_x
      - .offset:         68
        .size:           2
        .value_kind:     hidden_remainder_y
      - .offset:         70
        .size:           2
        .value_kind:     hidden_remainder_z
      - .offset:         88
        .size:           8
        .value_kind:     hidden_global_offset_x
      - .offset:         96
        .size:           8
        .value_kind:     hidden_global_offset_y
      - .offset:         104
        .size:           8
        .value_kind:     hidden_global_offset_z
      - .offset:         112
        .size:           2
        .value_kind:     hidden_grid_dims
    .group_segment_fixed_size: 0
    .kernarg_segment_align: 8
    .kernarg_segment_size: 304
    .language:       OpenCL C
    .language_version:
      - 2
      - 0
    .max_flat_workgroup_size: 1024
    .name:           _ZN12_GLOBAL__N_120softmax_warp_forwardIdddLi1ELb0ELb1ELi32EEEvPT0_PKT_iiiPKbib
    .private_segment_fixed_size: 0
    .sgpr_count:     24
    .sgpr_spill_count: 0
    .symbol:         _ZN12_GLOBAL__N_120softmax_warp_forwardIdddLi1ELb0ELb1ELi32EEEvPT0_PKT_iiiPKbib.kd
    .uniform_work_group_size: 1
    .uses_dynamic_stack: false
    .vgpr_count:     26
    .vgpr_spill_count: 0
    .wavefront_size: 64
  - .agpr_count:     0
    .args:
      - .address_space:  global
        .offset:         0
        .size:           8
        .value_kind:     global_buffer
      - .address_space:  global
        .offset:         8
        .size:           8
        .value_kind:     global_buffer
      - .offset:         16
        .size:           4
        .value_kind:     by_value
      - .offset:         20
        .size:           4
        .value_kind:     by_value
      - .offset:         24
        .size:           4
        .value_kind:     by_value
      - .address_space:  global
        .offset:         32
        .size:           8
        .value_kind:     global_buffer
      - .offset:         40
        .size:           4
        .value_kind:     by_value
      - .offset:         44
        .size:           1
        .value_kind:     by_value
      - .offset:         48
        .size:           4
        .value_kind:     hidden_block_count_x
      - .offset:         52
        .size:           4
        .value_kind:     hidden_block_count_y
      - .offset:         56
        .size:           4
        .value_kind:     hidden_block_count_z
      - .offset:         60
        .size:           2
        .value_kind:     hidden_group_size_x
      - .offset:         62
        .size:           2
        .value_kind:     hidden_group_size_y
      - .offset:         64
        .size:           2
        .value_kind:     hidden_group_size_z
      - .offset:         66
        .size:           2
        .value_kind:     hidden_remainder_x
      - .offset:         68
        .size:           2
        .value_kind:     hidden_remainder_y
      - .offset:         70
        .size:           2
        .value_kind:     hidden_remainder_z
      - .offset:         88
        .size:           8
        .value_kind:     hidden_global_offset_x
      - .offset:         96
        .size:           8
        .value_kind:     hidden_global_offset_y
      - .offset:         104
        .size:           8
        .value_kind:     hidden_global_offset_z
      - .offset:         112
        .size:           2
        .value_kind:     hidden_grid_dims
    .group_segment_fixed_size: 0
    .kernarg_segment_align: 8
    .kernarg_segment_size: 304
    .language:       OpenCL C
    .language_version:
      - 2
      - 0
    .max_flat_workgroup_size: 1024
    .name:           _ZN12_GLOBAL__N_120softmax_warp_forwardIdddLi2ELb0ELb1ELi64EEEvPT0_PKT_iiiPKbib
    .private_segment_fixed_size: 0
    .sgpr_count:     24
    .sgpr_spill_count: 0
    .symbol:         _ZN12_GLOBAL__N_120softmax_warp_forwardIdddLi2ELb0ELb1ELi64EEEvPT0_PKT_iiiPKbib.kd
    .uniform_work_group_size: 1
    .uses_dynamic_stack: false
    .vgpr_count:     27
    .vgpr_spill_count: 0
    .wavefront_size: 64
  - .agpr_count:     0
    .args:
      - .address_space:  global
        .offset:         0
        .size:           8
        .value_kind:     global_buffer
      - .address_space:  global
        .offset:         8
        .size:           8
        .value_kind:     global_buffer
      - .offset:         16
        .size:           4
        .value_kind:     by_value
      - .offset:         20
        .size:           4
        .value_kind:     by_value
      - .offset:         24
        .size:           4
        .value_kind:     by_value
      - .address_space:  global
        .offset:         32
        .size:           8
        .value_kind:     global_buffer
      - .offset:         40
        .size:           4
        .value_kind:     by_value
      - .offset:         44
        .size:           1
        .value_kind:     by_value
      - .offset:         48
        .size:           4
        .value_kind:     hidden_block_count_x
      - .offset:         52
        .size:           4
        .value_kind:     hidden_block_count_y
      - .offset:         56
        .size:           4
        .value_kind:     hidden_block_count_z
      - .offset:         60
        .size:           2
        .value_kind:     hidden_group_size_x
      - .offset:         62
        .size:           2
        .value_kind:     hidden_group_size_y
      - .offset:         64
        .size:           2
        .value_kind:     hidden_group_size_z
      - .offset:         66
        .size:           2
        .value_kind:     hidden_remainder_x
      - .offset:         68
        .size:           2
        .value_kind:     hidden_remainder_y
      - .offset:         70
        .size:           2
        .value_kind:     hidden_remainder_z
      - .offset:         88
        .size:           8
        .value_kind:     hidden_global_offset_x
      - .offset:         96
        .size:           8
        .value_kind:     hidden_global_offset_y
      - .offset:         104
        .size:           8
        .value_kind:     hidden_global_offset_z
      - .offset:         112
        .size:           2
        .value_kind:     hidden_grid_dims
    .group_segment_fixed_size: 0
    .kernarg_segment_align: 8
    .kernarg_segment_size: 304
    .language:       OpenCL C
    .language_version:
      - 2
      - 0
    .max_flat_workgroup_size: 1024
    .name:           _ZN12_GLOBAL__N_120softmax_warp_forwardIdddLi2ELb0ELb1ELi32EEEvPT0_PKT_iiiPKbib
    .private_segment_fixed_size: 0
    .sgpr_count:     24
    .sgpr_spill_count: 0
    .symbol:         _ZN12_GLOBAL__N_120softmax_warp_forwardIdddLi2ELb0ELb1ELi32EEEvPT0_PKT_iiiPKbib.kd
    .uniform_work_group_size: 1
    .uses_dynamic_stack: false
    .vgpr_count:     27
    .vgpr_spill_count: 0
    .wavefront_size: 64
  - .agpr_count:     0
    .args:
      - .address_space:  global
        .offset:         0
        .size:           8
        .value_kind:     global_buffer
      - .address_space:  global
        .offset:         8
        .size:           8
        .value_kind:     global_buffer
      - .offset:         16
        .size:           4
        .value_kind:     by_value
      - .offset:         20
        .size:           4
        .value_kind:     by_value
      - .offset:         24
        .size:           4
        .value_kind:     by_value
      - .address_space:  global
        .offset:         32
        .size:           8
        .value_kind:     global_buffer
      - .offset:         40
        .size:           4
        .value_kind:     by_value
      - .offset:         44
        .size:           1
        .value_kind:     by_value
      - .offset:         48
        .size:           4
        .value_kind:     hidden_block_count_x
      - .offset:         52
        .size:           4
        .value_kind:     hidden_block_count_y
      - .offset:         56
        .size:           4
        .value_kind:     hidden_block_count_z
      - .offset:         60
        .size:           2
        .value_kind:     hidden_group_size_x
      - .offset:         62
        .size:           2
        .value_kind:     hidden_group_size_y
      - .offset:         64
        .size:           2
        .value_kind:     hidden_group_size_z
      - .offset:         66
        .size:           2
        .value_kind:     hidden_remainder_x
      - .offset:         68
        .size:           2
        .value_kind:     hidden_remainder_y
      - .offset:         70
        .size:           2
        .value_kind:     hidden_remainder_z
      - .offset:         88
        .size:           8
        .value_kind:     hidden_global_offset_x
      - .offset:         96
        .size:           8
        .value_kind:     hidden_global_offset_y
      - .offset:         104
        .size:           8
        .value_kind:     hidden_global_offset_z
      - .offset:         112
        .size:           2
        .value_kind:     hidden_grid_dims
    .group_segment_fixed_size: 0
    .kernarg_segment_align: 8
    .kernarg_segment_size: 304
    .language:       OpenCL C
    .language_version:
      - 2
      - 0
    .max_flat_workgroup_size: 1024
    .name:           _ZN12_GLOBAL__N_120softmax_warp_forwardIdddLi3ELb0ELb1ELi64EEEvPT0_PKT_iiiPKbib
    .private_segment_fixed_size: 0
    .sgpr_count:     24
    .sgpr_spill_count: 0
    .symbol:         _ZN12_GLOBAL__N_120softmax_warp_forwardIdddLi3ELb0ELb1ELi64EEEvPT0_PKT_iiiPKbib.kd
    .uniform_work_group_size: 1
    .uses_dynamic_stack: false
    .vgpr_count:     28
    .vgpr_spill_count: 0
    .wavefront_size: 64
  - .agpr_count:     0
    .args:
      - .address_space:  global
        .offset:         0
        .size:           8
        .value_kind:     global_buffer
      - .address_space:  global
        .offset:         8
        .size:           8
        .value_kind:     global_buffer
      - .offset:         16
        .size:           4
        .value_kind:     by_value
      - .offset:         20
        .size:           4
        .value_kind:     by_value
      - .offset:         24
        .size:           4
        .value_kind:     by_value
      - .address_space:  global
        .offset:         32
        .size:           8
        .value_kind:     global_buffer
      - .offset:         40
        .size:           4
        .value_kind:     by_value
      - .offset:         44
        .size:           1
        .value_kind:     by_value
      - .offset:         48
        .size:           4
        .value_kind:     hidden_block_count_x
      - .offset:         52
        .size:           4
        .value_kind:     hidden_block_count_y
      - .offset:         56
        .size:           4
        .value_kind:     hidden_block_count_z
      - .offset:         60
        .size:           2
        .value_kind:     hidden_group_size_x
      - .offset:         62
        .size:           2
        .value_kind:     hidden_group_size_y
      - .offset:         64
        .size:           2
        .value_kind:     hidden_group_size_z
      - .offset:         66
        .size:           2
        .value_kind:     hidden_remainder_x
      - .offset:         68
        .size:           2
        .value_kind:     hidden_remainder_y
      - .offset:         70
        .size:           2
        .value_kind:     hidden_remainder_z
      - .offset:         88
        .size:           8
        .value_kind:     hidden_global_offset_x
      - .offset:         96
        .size:           8
        .value_kind:     hidden_global_offset_y
      - .offset:         104
        .size:           8
        .value_kind:     hidden_global_offset_z
      - .offset:         112
        .size:           2
        .value_kind:     hidden_grid_dims
    .group_segment_fixed_size: 0
    .kernarg_segment_align: 8
    .kernarg_segment_size: 304
    .language:       OpenCL C
    .language_version:
      - 2
      - 0
    .max_flat_workgroup_size: 1024
    .name:           _ZN12_GLOBAL__N_120softmax_warp_forwardIdddLi3ELb0ELb1ELi32EEEvPT0_PKT_iiiPKbib
    .private_segment_fixed_size: 0
    .sgpr_count:     24
    .sgpr_spill_count: 0
    .symbol:         _ZN12_GLOBAL__N_120softmax_warp_forwardIdddLi3ELb0ELb1ELi32EEEvPT0_PKT_iiiPKbib.kd
    .uniform_work_group_size: 1
    .uses_dynamic_stack: false
    .vgpr_count:     28
    .vgpr_spill_count: 0
    .wavefront_size: 64
  - .agpr_count:     0
    .args:
      - .address_space:  global
        .offset:         0
        .size:           8
        .value_kind:     global_buffer
      - .address_space:  global
        .offset:         8
        .size:           8
        .value_kind:     global_buffer
      - .offset:         16
        .size:           4
        .value_kind:     by_value
      - .offset:         20
        .size:           4
        .value_kind:     by_value
      - .offset:         24
        .size:           4
        .value_kind:     by_value
      - .address_space:  global
        .offset:         32
        .size:           8
        .value_kind:     global_buffer
      - .offset:         40
        .size:           4
        .value_kind:     by_value
      - .offset:         44
        .size:           1
        .value_kind:     by_value
      - .offset:         48
        .size:           4
        .value_kind:     hidden_block_count_x
      - .offset:         52
        .size:           4
        .value_kind:     hidden_block_count_y
      - .offset:         56
        .size:           4
        .value_kind:     hidden_block_count_z
      - .offset:         60
        .size:           2
        .value_kind:     hidden_group_size_x
      - .offset:         62
        .size:           2
        .value_kind:     hidden_group_size_y
      - .offset:         64
        .size:           2
        .value_kind:     hidden_group_size_z
      - .offset:         66
        .size:           2
        .value_kind:     hidden_remainder_x
      - .offset:         68
        .size:           2
        .value_kind:     hidden_remainder_y
      - .offset:         70
        .size:           2
        .value_kind:     hidden_remainder_z
      - .offset:         88
        .size:           8
        .value_kind:     hidden_global_offset_x
      - .offset:         96
        .size:           8
        .value_kind:     hidden_global_offset_y
      - .offset:         104
        .size:           8
        .value_kind:     hidden_global_offset_z
      - .offset:         112
        .size:           2
        .value_kind:     hidden_grid_dims
    .group_segment_fixed_size: 0
    .kernarg_segment_align: 8
    .kernarg_segment_size: 304
    .language:       OpenCL C
    .language_version:
      - 2
      - 0
    .max_flat_workgroup_size: 1024
    .name:           _ZN12_GLOBAL__N_120softmax_warp_forwardIdddLi4ELb0ELb1ELi64EEEvPT0_PKT_iiiPKbib
    .private_segment_fixed_size: 0
    .sgpr_count:     24
    .sgpr_spill_count: 0
    .symbol:         _ZN12_GLOBAL__N_120softmax_warp_forwardIdddLi4ELb0ELb1ELi64EEEvPT0_PKT_iiiPKbib.kd
    .uniform_work_group_size: 1
    .uses_dynamic_stack: false
    .vgpr_count:     29
    .vgpr_spill_count: 0
    .wavefront_size: 64
  - .agpr_count:     0
    .args:
      - .address_space:  global
        .offset:         0
        .size:           8
        .value_kind:     global_buffer
      - .address_space:  global
        .offset:         8
        .size:           8
        .value_kind:     global_buffer
      - .offset:         16
        .size:           4
        .value_kind:     by_value
      - .offset:         20
        .size:           4
        .value_kind:     by_value
      - .offset:         24
        .size:           4
        .value_kind:     by_value
      - .address_space:  global
        .offset:         32
        .size:           8
        .value_kind:     global_buffer
      - .offset:         40
        .size:           4
        .value_kind:     by_value
      - .offset:         44
        .size:           1
        .value_kind:     by_value
      - .offset:         48
        .size:           4
        .value_kind:     hidden_block_count_x
      - .offset:         52
        .size:           4
        .value_kind:     hidden_block_count_y
      - .offset:         56
        .size:           4
        .value_kind:     hidden_block_count_z
      - .offset:         60
        .size:           2
        .value_kind:     hidden_group_size_x
      - .offset:         62
        .size:           2
        .value_kind:     hidden_group_size_y
      - .offset:         64
        .size:           2
        .value_kind:     hidden_group_size_z
      - .offset:         66
        .size:           2
        .value_kind:     hidden_remainder_x
      - .offset:         68
        .size:           2
        .value_kind:     hidden_remainder_y
      - .offset:         70
        .size:           2
        .value_kind:     hidden_remainder_z
      - .offset:         88
        .size:           8
        .value_kind:     hidden_global_offset_x
      - .offset:         96
        .size:           8
        .value_kind:     hidden_global_offset_y
      - .offset:         104
        .size:           8
        .value_kind:     hidden_global_offset_z
      - .offset:         112
        .size:           2
        .value_kind:     hidden_grid_dims
    .group_segment_fixed_size: 0
    .kernarg_segment_align: 8
    .kernarg_segment_size: 304
    .language:       OpenCL C
    .language_version:
      - 2
      - 0
    .max_flat_workgroup_size: 1024
    .name:           _ZN12_GLOBAL__N_120softmax_warp_forwardIdddLi4ELb0ELb1ELi32EEEvPT0_PKT_iiiPKbib
    .private_segment_fixed_size: 0
    .sgpr_count:     24
    .sgpr_spill_count: 0
    .symbol:         _ZN12_GLOBAL__N_120softmax_warp_forwardIdddLi4ELb0ELb1ELi32EEEvPT0_PKT_iiiPKbib.kd
    .uniform_work_group_size: 1
    .uses_dynamic_stack: false
    .vgpr_count:     29
    .vgpr_spill_count: 0
    .wavefront_size: 64
  - .agpr_count:     0
    .args:
      - .address_space:  global
        .offset:         0
        .size:           8
        .value_kind:     global_buffer
      - .address_space:  global
        .offset:         8
        .size:           8
        .value_kind:     global_buffer
      - .offset:         16
        .size:           4
        .value_kind:     by_value
      - .offset:         20
        .size:           4
        .value_kind:     by_value
      - .offset:         24
        .size:           4
        .value_kind:     by_value
      - .address_space:  global
        .offset:         32
        .size:           8
        .value_kind:     global_buffer
      - .offset:         40
        .size:           4
        .value_kind:     by_value
      - .offset:         44
        .size:           1
        .value_kind:     by_value
      - .offset:         48
        .size:           4
        .value_kind:     hidden_block_count_x
      - .offset:         52
        .size:           4
        .value_kind:     hidden_block_count_y
      - .offset:         56
        .size:           4
        .value_kind:     hidden_block_count_z
      - .offset:         60
        .size:           2
        .value_kind:     hidden_group_size_x
      - .offset:         62
        .size:           2
        .value_kind:     hidden_group_size_y
      - .offset:         64
        .size:           2
        .value_kind:     hidden_group_size_z
      - .offset:         66
        .size:           2
        .value_kind:     hidden_remainder_x
      - .offset:         68
        .size:           2
        .value_kind:     hidden_remainder_y
      - .offset:         70
        .size:           2
        .value_kind:     hidden_remainder_z
      - .offset:         88
        .size:           8
        .value_kind:     hidden_global_offset_x
      - .offset:         96
        .size:           8
        .value_kind:     hidden_global_offset_y
      - .offset:         104
        .size:           8
        .value_kind:     hidden_global_offset_z
      - .offset:         112
        .size:           2
        .value_kind:     hidden_grid_dims
    .group_segment_fixed_size: 0
    .kernarg_segment_align: 8
    .kernarg_segment_size: 304
    .language:       OpenCL C
    .language_version:
      - 2
      - 0
    .max_flat_workgroup_size: 1024
    .name:           _ZN12_GLOBAL__N_120softmax_warp_forwardIdddLi5ELb0ELb1ELi64EEEvPT0_PKT_iiiPKbib
    .private_segment_fixed_size: 0
    .sgpr_count:     24
    .sgpr_spill_count: 0
    .symbol:         _ZN12_GLOBAL__N_120softmax_warp_forwardIdddLi5ELb0ELb1ELi64EEEvPT0_PKT_iiiPKbib.kd
    .uniform_work_group_size: 1
    .uses_dynamic_stack: false
    .vgpr_count:     30
    .vgpr_spill_count: 0
    .wavefront_size: 64
  - .agpr_count:     0
    .args:
      - .address_space:  global
        .offset:         0
        .size:           8
        .value_kind:     global_buffer
      - .address_space:  global
        .offset:         8
        .size:           8
        .value_kind:     global_buffer
      - .offset:         16
        .size:           4
        .value_kind:     by_value
      - .offset:         20
        .size:           4
        .value_kind:     by_value
      - .offset:         24
        .size:           4
        .value_kind:     by_value
      - .address_space:  global
        .offset:         32
        .size:           8
        .value_kind:     global_buffer
      - .offset:         40
        .size:           4
        .value_kind:     by_value
      - .offset:         44
        .size:           1
        .value_kind:     by_value
      - .offset:         48
        .size:           4
        .value_kind:     hidden_block_count_x
      - .offset:         52
        .size:           4
        .value_kind:     hidden_block_count_y
      - .offset:         56
        .size:           4
        .value_kind:     hidden_block_count_z
      - .offset:         60
        .size:           2
        .value_kind:     hidden_group_size_x
      - .offset:         62
        .size:           2
        .value_kind:     hidden_group_size_y
      - .offset:         64
        .size:           2
        .value_kind:     hidden_group_size_z
      - .offset:         66
        .size:           2
        .value_kind:     hidden_remainder_x
      - .offset:         68
        .size:           2
        .value_kind:     hidden_remainder_y
      - .offset:         70
        .size:           2
        .value_kind:     hidden_remainder_z
      - .offset:         88
        .size:           8
        .value_kind:     hidden_global_offset_x
      - .offset:         96
        .size:           8
        .value_kind:     hidden_global_offset_y
      - .offset:         104
        .size:           8
        .value_kind:     hidden_global_offset_z
      - .offset:         112
        .size:           2
        .value_kind:     hidden_grid_dims
    .group_segment_fixed_size: 0
    .kernarg_segment_align: 8
    .kernarg_segment_size: 304
    .language:       OpenCL C
    .language_version:
      - 2
      - 0
    .max_flat_workgroup_size: 1024
    .name:           _ZN12_GLOBAL__N_120softmax_warp_forwardIdddLi5ELb0ELb1ELi32EEEvPT0_PKT_iiiPKbib
    .private_segment_fixed_size: 0
    .sgpr_count:     24
    .sgpr_spill_count: 0
    .symbol:         _ZN12_GLOBAL__N_120softmax_warp_forwardIdddLi5ELb0ELb1ELi32EEEvPT0_PKT_iiiPKbib.kd
    .uniform_work_group_size: 1
    .uses_dynamic_stack: false
    .vgpr_count:     30
    .vgpr_spill_count: 0
    .wavefront_size: 64
  - .agpr_count:     0
    .args:
      - .address_space:  global
        .offset:         0
        .size:           8
        .value_kind:     global_buffer
      - .address_space:  global
        .offset:         8
        .size:           8
        .value_kind:     global_buffer
      - .offset:         16
        .size:           4
        .value_kind:     by_value
      - .offset:         20
        .size:           4
        .value_kind:     by_value
      - .offset:         24
        .size:           4
        .value_kind:     by_value
      - .address_space:  global
        .offset:         32
        .size:           8
        .value_kind:     global_buffer
      - .offset:         40
        .size:           4
        .value_kind:     by_value
      - .offset:         44
        .size:           1
        .value_kind:     by_value
      - .offset:         48
        .size:           4
        .value_kind:     hidden_block_count_x
      - .offset:         52
        .size:           4
        .value_kind:     hidden_block_count_y
      - .offset:         56
        .size:           4
        .value_kind:     hidden_block_count_z
      - .offset:         60
        .size:           2
        .value_kind:     hidden_group_size_x
      - .offset:         62
        .size:           2
        .value_kind:     hidden_group_size_y
      - .offset:         64
        .size:           2
        .value_kind:     hidden_group_size_z
      - .offset:         66
        .size:           2
        .value_kind:     hidden_remainder_x
      - .offset:         68
        .size:           2
        .value_kind:     hidden_remainder_y
      - .offset:         70
        .size:           2
        .value_kind:     hidden_remainder_z
      - .offset:         88
        .size:           8
        .value_kind:     hidden_global_offset_x
      - .offset:         96
        .size:           8
        .value_kind:     hidden_global_offset_y
      - .offset:         104
        .size:           8
        .value_kind:     hidden_global_offset_z
      - .offset:         112
        .size:           2
        .value_kind:     hidden_grid_dims
    .group_segment_fixed_size: 0
    .kernarg_segment_align: 8
    .kernarg_segment_size: 304
    .language:       OpenCL C
    .language_version:
      - 2
      - 0
    .max_flat_workgroup_size: 1024
    .name:           _ZN12_GLOBAL__N_120softmax_warp_forwardIdddLi6ELb0ELb1ELi64EEEvPT0_PKT_iiiPKbib
    .private_segment_fixed_size: 0
    .sgpr_count:     24
    .sgpr_spill_count: 0
    .symbol:         _ZN12_GLOBAL__N_120softmax_warp_forwardIdddLi6ELb0ELb1ELi64EEEvPT0_PKT_iiiPKbib.kd
    .uniform_work_group_size: 1
    .uses_dynamic_stack: false
    .vgpr_count:     31
    .vgpr_spill_count: 0
    .wavefront_size: 64
  - .agpr_count:     0
    .args:
      - .address_space:  global
        .offset:         0
        .size:           8
        .value_kind:     global_buffer
      - .address_space:  global
        .offset:         8
        .size:           8
        .value_kind:     global_buffer
      - .offset:         16
        .size:           4
        .value_kind:     by_value
      - .offset:         20
        .size:           4
        .value_kind:     by_value
      - .offset:         24
        .size:           4
        .value_kind:     by_value
      - .address_space:  global
        .offset:         32
        .size:           8
        .value_kind:     global_buffer
      - .offset:         40
        .size:           4
        .value_kind:     by_value
      - .offset:         44
        .size:           1
        .value_kind:     by_value
      - .offset:         48
        .size:           4
        .value_kind:     hidden_block_count_x
      - .offset:         52
        .size:           4
        .value_kind:     hidden_block_count_y
      - .offset:         56
        .size:           4
        .value_kind:     hidden_block_count_z
      - .offset:         60
        .size:           2
        .value_kind:     hidden_group_size_x
      - .offset:         62
        .size:           2
        .value_kind:     hidden_group_size_y
      - .offset:         64
        .size:           2
        .value_kind:     hidden_group_size_z
      - .offset:         66
        .size:           2
        .value_kind:     hidden_remainder_x
      - .offset:         68
        .size:           2
        .value_kind:     hidden_remainder_y
      - .offset:         70
        .size:           2
        .value_kind:     hidden_remainder_z
      - .offset:         88
        .size:           8
        .value_kind:     hidden_global_offset_x
      - .offset:         96
        .size:           8
        .value_kind:     hidden_global_offset_y
      - .offset:         104
        .size:           8
        .value_kind:     hidden_global_offset_z
      - .offset:         112
        .size:           2
        .value_kind:     hidden_grid_dims
    .group_segment_fixed_size: 0
    .kernarg_segment_align: 8
    .kernarg_segment_size: 304
    .language:       OpenCL C
    .language_version:
      - 2
      - 0
    .max_flat_workgroup_size: 1024
    .name:           _ZN12_GLOBAL__N_120softmax_warp_forwardIdddLi6ELb0ELb1ELi32EEEvPT0_PKT_iiiPKbib
    .private_segment_fixed_size: 0
    .sgpr_count:     32
    .sgpr_spill_count: 0
    .symbol:         _ZN12_GLOBAL__N_120softmax_warp_forwardIdddLi6ELb0ELb1ELi32EEEvPT0_PKT_iiiPKbib.kd
    .uniform_work_group_size: 1
    .uses_dynamic_stack: false
    .vgpr_count:     34
    .vgpr_spill_count: 0
    .wavefront_size: 64
  - .agpr_count:     0
    .args:
      - .address_space:  global
        .offset:         0
        .size:           8
        .value_kind:     global_buffer
      - .address_space:  global
        .offset:         8
        .size:           8
        .value_kind:     global_buffer
      - .offset:         16
        .size:           4
        .value_kind:     by_value
      - .offset:         20
        .size:           4
        .value_kind:     by_value
      - .offset:         24
        .size:           4
        .value_kind:     by_value
      - .address_space:  global
        .offset:         32
        .size:           8
        .value_kind:     global_buffer
      - .offset:         40
        .size:           4
        .value_kind:     by_value
      - .offset:         44
        .size:           1
        .value_kind:     by_value
      - .offset:         48
        .size:           4
        .value_kind:     hidden_block_count_x
      - .offset:         52
        .size:           4
        .value_kind:     hidden_block_count_y
      - .offset:         56
        .size:           4
        .value_kind:     hidden_block_count_z
      - .offset:         60
        .size:           2
        .value_kind:     hidden_group_size_x
      - .offset:         62
        .size:           2
        .value_kind:     hidden_group_size_y
      - .offset:         64
        .size:           2
        .value_kind:     hidden_group_size_z
      - .offset:         66
        .size:           2
        .value_kind:     hidden_remainder_x
      - .offset:         68
        .size:           2
        .value_kind:     hidden_remainder_y
      - .offset:         70
        .size:           2
        .value_kind:     hidden_remainder_z
      - .offset:         88
        .size:           8
        .value_kind:     hidden_global_offset_x
      - .offset:         96
        .size:           8
        .value_kind:     hidden_global_offset_y
      - .offset:         104
        .size:           8
        .value_kind:     hidden_global_offset_z
      - .offset:         112
        .size:           2
        .value_kind:     hidden_grid_dims
    .group_segment_fixed_size: 0
    .kernarg_segment_align: 8
    .kernarg_segment_size: 304
    .language:       OpenCL C
    .language_version:
      - 2
      - 0
    .max_flat_workgroup_size: 1024
    .name:           _ZN12_GLOBAL__N_120softmax_warp_forwardIdddLi7ELb0ELb1ELi64EEEvPT0_PKT_iiiPKbib
    .private_segment_fixed_size: 0
    .sgpr_count:     32
    .sgpr_spill_count: 0
    .symbol:         _ZN12_GLOBAL__N_120softmax_warp_forwardIdddLi7ELb0ELb1ELi64EEEvPT0_PKT_iiiPKbib.kd
    .uniform_work_group_size: 1
    .uses_dynamic_stack: false
    .vgpr_count:     36
    .vgpr_spill_count: 0
    .wavefront_size: 64
  - .agpr_count:     0
    .args:
      - .address_space:  global
        .offset:         0
        .size:           8
        .value_kind:     global_buffer
      - .address_space:  global
        .offset:         8
        .size:           8
        .value_kind:     global_buffer
      - .offset:         16
        .size:           4
        .value_kind:     by_value
      - .offset:         20
        .size:           4
        .value_kind:     by_value
      - .offset:         24
        .size:           4
        .value_kind:     by_value
      - .address_space:  global
        .offset:         32
        .size:           8
        .value_kind:     global_buffer
      - .offset:         40
        .size:           4
        .value_kind:     by_value
      - .offset:         44
        .size:           1
        .value_kind:     by_value
      - .offset:         48
        .size:           4
        .value_kind:     hidden_block_count_x
      - .offset:         52
        .size:           4
        .value_kind:     hidden_block_count_y
      - .offset:         56
        .size:           4
        .value_kind:     hidden_block_count_z
      - .offset:         60
        .size:           2
        .value_kind:     hidden_group_size_x
      - .offset:         62
        .size:           2
        .value_kind:     hidden_group_size_y
      - .offset:         64
        .size:           2
        .value_kind:     hidden_group_size_z
      - .offset:         66
        .size:           2
        .value_kind:     hidden_remainder_x
      - .offset:         68
        .size:           2
        .value_kind:     hidden_remainder_y
      - .offset:         70
        .size:           2
        .value_kind:     hidden_remainder_z
      - .offset:         88
        .size:           8
        .value_kind:     hidden_global_offset_x
      - .offset:         96
        .size:           8
        .value_kind:     hidden_global_offset_y
      - .offset:         104
        .size:           8
        .value_kind:     hidden_global_offset_z
      - .offset:         112
        .size:           2
        .value_kind:     hidden_grid_dims
    .group_segment_fixed_size: 0
    .kernarg_segment_align: 8
    .kernarg_segment_size: 304
    .language:       OpenCL C
    .language_version:
      - 2
      - 0
    .max_flat_workgroup_size: 1024
    .name:           _ZN12_GLOBAL__N_120softmax_warp_forwardIdddLi7ELb0ELb1ELi32EEEvPT0_PKT_iiiPKbib
    .private_segment_fixed_size: 0
    .sgpr_count:     46
    .sgpr_spill_count: 0
    .symbol:         _ZN12_GLOBAL__N_120softmax_warp_forwardIdddLi7ELb0ELb1ELi32EEEvPT0_PKT_iiiPKbib.kd
    .uniform_work_group_size: 1
    .uses_dynamic_stack: false
    .vgpr_count:     46
    .vgpr_spill_count: 0
    .wavefront_size: 64
  - .agpr_count:     0
    .args:
      - .address_space:  global
        .offset:         0
        .size:           8
        .value_kind:     global_buffer
      - .address_space:  global
        .offset:         8
        .size:           8
        .value_kind:     global_buffer
      - .offset:         16
        .size:           4
        .value_kind:     by_value
      - .offset:         20
        .size:           4
        .value_kind:     by_value
      - .offset:         24
        .size:           4
        .value_kind:     by_value
      - .address_space:  global
        .offset:         32
        .size:           8
        .value_kind:     global_buffer
      - .offset:         40
        .size:           4
        .value_kind:     by_value
      - .offset:         44
        .size:           1
        .value_kind:     by_value
      - .offset:         48
        .size:           4
        .value_kind:     hidden_block_count_x
      - .offset:         52
        .size:           4
        .value_kind:     hidden_block_count_y
      - .offset:         56
        .size:           4
        .value_kind:     hidden_block_count_z
      - .offset:         60
        .size:           2
        .value_kind:     hidden_group_size_x
      - .offset:         62
        .size:           2
        .value_kind:     hidden_group_size_y
      - .offset:         64
        .size:           2
        .value_kind:     hidden_group_size_z
      - .offset:         66
        .size:           2
        .value_kind:     hidden_remainder_x
      - .offset:         68
        .size:           2
        .value_kind:     hidden_remainder_y
      - .offset:         70
        .size:           2
        .value_kind:     hidden_remainder_z
      - .offset:         88
        .size:           8
        .value_kind:     hidden_global_offset_x
      - .offset:         96
        .size:           8
        .value_kind:     hidden_global_offset_y
      - .offset:         104
        .size:           8
        .value_kind:     hidden_global_offset_z
      - .offset:         112
        .size:           2
        .value_kind:     hidden_grid_dims
    .group_segment_fixed_size: 0
    .kernarg_segment_align: 8
    .kernarg_segment_size: 304
    .language:       OpenCL C
    .language_version:
      - 2
      - 0
    .max_flat_workgroup_size: 1024
    .name:           _ZN12_GLOBAL__N_120softmax_warp_forwardIdddLi8ELb0ELb1ELi64EEEvPT0_PKT_iiiPKbib
    .private_segment_fixed_size: 0
    .sgpr_count:     30
    .sgpr_spill_count: 0
    .symbol:         _ZN12_GLOBAL__N_120softmax_warp_forwardIdddLi8ELb0ELb1ELi64EEEvPT0_PKT_iiiPKbib.kd
    .uniform_work_group_size: 1
    .uses_dynamic_stack: false
    .vgpr_count:     34
    .vgpr_spill_count: 0
    .wavefront_size: 64
  - .agpr_count:     0
    .args:
      - .address_space:  global
        .offset:         0
        .size:           8
        .value_kind:     global_buffer
      - .address_space:  global
        .offset:         8
        .size:           8
        .value_kind:     global_buffer
      - .offset:         16
        .size:           4
        .value_kind:     by_value
      - .offset:         20
        .size:           4
        .value_kind:     by_value
      - .offset:         24
        .size:           4
        .value_kind:     by_value
      - .address_space:  global
        .offset:         32
        .size:           8
        .value_kind:     global_buffer
      - .offset:         40
        .size:           4
        .value_kind:     by_value
      - .offset:         44
        .size:           1
        .value_kind:     by_value
      - .offset:         48
        .size:           4
        .value_kind:     hidden_block_count_x
      - .offset:         52
        .size:           4
        .value_kind:     hidden_block_count_y
      - .offset:         56
        .size:           4
        .value_kind:     hidden_block_count_z
      - .offset:         60
        .size:           2
        .value_kind:     hidden_group_size_x
      - .offset:         62
        .size:           2
        .value_kind:     hidden_group_size_y
      - .offset:         64
        .size:           2
        .value_kind:     hidden_group_size_z
      - .offset:         66
        .size:           2
        .value_kind:     hidden_remainder_x
      - .offset:         68
        .size:           2
        .value_kind:     hidden_remainder_y
      - .offset:         70
        .size:           2
        .value_kind:     hidden_remainder_z
      - .offset:         88
        .size:           8
        .value_kind:     hidden_global_offset_x
      - .offset:         96
        .size:           8
        .value_kind:     hidden_global_offset_y
      - .offset:         104
        .size:           8
        .value_kind:     hidden_global_offset_z
      - .offset:         112
        .size:           2
        .value_kind:     hidden_grid_dims
    .group_segment_fixed_size: 0
    .kernarg_segment_align: 8
    .kernarg_segment_size: 304
    .language:       OpenCL C
    .language_version:
      - 2
      - 0
    .max_flat_workgroup_size: 1024
    .name:           _ZN12_GLOBAL__N_120softmax_warp_forwardIdddLi8ELb0ELb1ELi32EEEvPT0_PKT_iiiPKbib
    .private_segment_fixed_size: 0
    .sgpr_count:     48
    .sgpr_spill_count: 0
    .symbol:         _ZN12_GLOBAL__N_120softmax_warp_forwardIdddLi8ELb0ELb1ELi32EEEvPT0_PKT_iiiPKbib.kd
    .uniform_work_group_size: 1
    .uses_dynamic_stack: false
    .vgpr_count:     40
    .vgpr_spill_count: 0
    .wavefront_size: 64
  - .agpr_count:     0
    .args:
      - .address_space:  global
        .offset:         0
        .size:           8
        .value_kind:     global_buffer
      - .address_space:  global
        .offset:         8
        .size:           8
        .value_kind:     global_buffer
      - .offset:         16
        .size:           4
        .value_kind:     by_value
      - .offset:         20
        .size:           4
        .value_kind:     by_value
      - .offset:         24
        .size:           4
        .value_kind:     by_value
      - .address_space:  global
        .offset:         32
        .size:           8
        .value_kind:     global_buffer
      - .offset:         40
        .size:           4
        .value_kind:     by_value
      - .offset:         44
        .size:           1
        .value_kind:     by_value
      - .offset:         48
        .size:           4
        .value_kind:     hidden_block_count_x
      - .offset:         52
        .size:           4
        .value_kind:     hidden_block_count_y
      - .offset:         56
        .size:           4
        .value_kind:     hidden_block_count_z
      - .offset:         60
        .size:           2
        .value_kind:     hidden_group_size_x
      - .offset:         62
        .size:           2
        .value_kind:     hidden_group_size_y
      - .offset:         64
        .size:           2
        .value_kind:     hidden_group_size_z
      - .offset:         66
        .size:           2
        .value_kind:     hidden_remainder_x
      - .offset:         68
        .size:           2
        .value_kind:     hidden_remainder_y
      - .offset:         70
        .size:           2
        .value_kind:     hidden_remainder_z
      - .offset:         88
        .size:           8
        .value_kind:     hidden_global_offset_x
      - .offset:         96
        .size:           8
        .value_kind:     hidden_global_offset_y
      - .offset:         104
        .size:           8
        .value_kind:     hidden_global_offset_z
      - .offset:         112
        .size:           2
        .value_kind:     hidden_grid_dims
    .group_segment_fixed_size: 0
    .kernarg_segment_align: 8
    .kernarg_segment_size: 304
    .language:       OpenCL C
    .language_version:
      - 2
      - 0
    .max_flat_workgroup_size: 1024
    .name:           _ZN12_GLOBAL__N_120softmax_warp_forwardIdddLi9ELb0ELb1ELi64EEEvPT0_PKT_iiiPKbib
    .private_segment_fixed_size: 0
    .sgpr_count:     48
    .sgpr_spill_count: 0
    .symbol:         _ZN12_GLOBAL__N_120softmax_warp_forwardIdddLi9ELb0ELb1ELi64EEEvPT0_PKT_iiiPKbib.kd
    .uniform_work_group_size: 1
    .uses_dynamic_stack: false
    .vgpr_count:     42
    .vgpr_spill_count: 0
    .wavefront_size: 64
  - .agpr_count:     0
    .args:
      - .address_space:  global
        .offset:         0
        .size:           8
        .value_kind:     global_buffer
      - .address_space:  global
        .offset:         8
        .size:           8
        .value_kind:     global_buffer
      - .offset:         16
        .size:           4
        .value_kind:     by_value
      - .offset:         20
        .size:           4
        .value_kind:     by_value
      - .offset:         24
        .size:           4
        .value_kind:     by_value
      - .address_space:  global
        .offset:         32
        .size:           8
        .value_kind:     global_buffer
      - .offset:         40
        .size:           4
        .value_kind:     by_value
      - .offset:         44
        .size:           1
        .value_kind:     by_value
      - .offset:         48
        .size:           4
        .value_kind:     hidden_block_count_x
      - .offset:         52
        .size:           4
        .value_kind:     hidden_block_count_y
      - .offset:         56
        .size:           4
        .value_kind:     hidden_block_count_z
      - .offset:         60
        .size:           2
        .value_kind:     hidden_group_size_x
      - .offset:         62
        .size:           2
        .value_kind:     hidden_group_size_y
      - .offset:         64
        .size:           2
        .value_kind:     hidden_group_size_z
      - .offset:         66
        .size:           2
        .value_kind:     hidden_remainder_x
      - .offset:         68
        .size:           2
        .value_kind:     hidden_remainder_y
      - .offset:         70
        .size:           2
        .value_kind:     hidden_remainder_z
      - .offset:         88
        .size:           8
        .value_kind:     hidden_global_offset_x
      - .offset:         96
        .size:           8
        .value_kind:     hidden_global_offset_y
      - .offset:         104
        .size:           8
        .value_kind:     hidden_global_offset_z
      - .offset:         112
        .size:           2
        .value_kind:     hidden_grid_dims
    .group_segment_fixed_size: 0
    .kernarg_segment_align: 8
    .kernarg_segment_size: 304
    .language:       OpenCL C
    .language_version:
      - 2
      - 0
    .max_flat_workgroup_size: 1024
    .name:           _ZN12_GLOBAL__N_120softmax_warp_forwardIdddLi9ELb0ELb1ELi32EEEvPT0_PKT_iiiPKbib
    .private_segment_fixed_size: 0
    .sgpr_count:     80
    .sgpr_spill_count: 0
    .symbol:         _ZN12_GLOBAL__N_120softmax_warp_forwardIdddLi9ELb0ELb1ELi32EEEvPT0_PKT_iiiPKbib.kd
    .uniform_work_group_size: 1
    .uses_dynamic_stack: false
    .vgpr_count:     56
    .vgpr_spill_count: 0
    .wavefront_size: 64
  - .agpr_count:     0
    .args:
      - .address_space:  global
        .offset:         0
        .size:           8
        .value_kind:     global_buffer
      - .address_space:  global
        .offset:         8
        .size:           8
        .value_kind:     global_buffer
      - .offset:         16
        .size:           4
        .value_kind:     by_value
      - .offset:         20
        .size:           4
        .value_kind:     by_value
      - .offset:         24
        .size:           4
        .value_kind:     by_value
      - .address_space:  global
        .offset:         32
        .size:           8
        .value_kind:     global_buffer
      - .offset:         40
        .size:           4
        .value_kind:     by_value
      - .offset:         44
        .size:           1
        .value_kind:     by_value
      - .offset:         48
        .size:           4
        .value_kind:     hidden_block_count_x
      - .offset:         52
        .size:           4
        .value_kind:     hidden_block_count_y
      - .offset:         56
        .size:           4
        .value_kind:     hidden_block_count_z
      - .offset:         60
        .size:           2
        .value_kind:     hidden_group_size_x
      - .offset:         62
        .size:           2
        .value_kind:     hidden_group_size_y
      - .offset:         64
        .size:           2
        .value_kind:     hidden_group_size_z
      - .offset:         66
        .size:           2
        .value_kind:     hidden_remainder_x
      - .offset:         68
        .size:           2
        .value_kind:     hidden_remainder_y
      - .offset:         70
        .size:           2
        .value_kind:     hidden_remainder_z
      - .offset:         88
        .size:           8
        .value_kind:     hidden_global_offset_x
      - .offset:         96
        .size:           8
        .value_kind:     hidden_global_offset_y
      - .offset:         104
        .size:           8
        .value_kind:     hidden_global_offset_z
      - .offset:         112
        .size:           2
        .value_kind:     hidden_grid_dims
    .group_segment_fixed_size: 0
    .kernarg_segment_align: 8
    .kernarg_segment_size: 304
    .language:       OpenCL C
    .language_version:
      - 2
      - 0
    .max_flat_workgroup_size: 1024
    .name:           _ZN12_GLOBAL__N_120softmax_warp_forwardIdddLi10ELb0ELb1ELi64EEEvPT0_PKT_iiiPKbib
    .private_segment_fixed_size: 0
    .sgpr_count:     82
    .sgpr_spill_count: 0
    .symbol:         _ZN12_GLOBAL__N_120softmax_warp_forwardIdddLi10ELb0ELb1ELi64EEEvPT0_PKT_iiiPKbib.kd
    .uniform_work_group_size: 1
    .uses_dynamic_stack: false
    .vgpr_count:     58
    .vgpr_spill_count: 0
    .wavefront_size: 64
  - .agpr_count:     0
    .args:
      - .address_space:  global
        .offset:         0
        .size:           8
        .value_kind:     global_buffer
      - .address_space:  global
        .offset:         8
        .size:           8
        .value_kind:     global_buffer
      - .offset:         16
        .size:           4
        .value_kind:     by_value
      - .offset:         20
        .size:           4
        .value_kind:     by_value
      - .offset:         24
        .size:           4
        .value_kind:     by_value
      - .address_space:  global
        .offset:         32
        .size:           8
        .value_kind:     global_buffer
      - .offset:         40
        .size:           4
        .value_kind:     by_value
      - .offset:         44
        .size:           1
        .value_kind:     by_value
      - .offset:         48
        .size:           4
        .value_kind:     hidden_block_count_x
      - .offset:         52
        .size:           4
        .value_kind:     hidden_block_count_y
      - .offset:         56
        .size:           4
        .value_kind:     hidden_block_count_z
      - .offset:         60
        .size:           2
        .value_kind:     hidden_group_size_x
      - .offset:         62
        .size:           2
        .value_kind:     hidden_group_size_y
      - .offset:         64
        .size:           2
        .value_kind:     hidden_group_size_z
      - .offset:         66
        .size:           2
        .value_kind:     hidden_remainder_x
      - .offset:         68
        .size:           2
        .value_kind:     hidden_remainder_y
      - .offset:         70
        .size:           2
        .value_kind:     hidden_remainder_z
      - .offset:         88
        .size:           8
        .value_kind:     hidden_global_offset_x
      - .offset:         96
        .size:           8
        .value_kind:     hidden_global_offset_y
      - .offset:         104
        .size:           8
        .value_kind:     hidden_global_offset_z
      - .offset:         112
        .size:           2
        .value_kind:     hidden_grid_dims
    .group_segment_fixed_size: 0
    .kernarg_segment_align: 8
    .kernarg_segment_size: 304
    .language:       OpenCL C
    .language_version:
      - 2
      - 0
    .max_flat_workgroup_size: 1024
    .name:           _ZN12_GLOBAL__N_120softmax_warp_forwardIdddLi10ELb0ELb1ELi32EEEvPT0_PKT_iiiPKbib
    .private_segment_fixed_size: 0
    .sgpr_count:     100
    .sgpr_spill_count: 46
    .symbol:         _ZN12_GLOBAL__N_120softmax_warp_forwardIdddLi10ELb0ELb1ELi32EEEvPT0_PKT_iiiPKbib.kd
    .uniform_work_group_size: 1
    .uses_dynamic_stack: false
    .vgpr_count:     89
    .vgpr_spill_count: 0
    .wavefront_size: 64
  - .agpr_count:     0
    .args:
      - .address_space:  global
        .offset:         0
        .size:           8
        .value_kind:     global_buffer
      - .address_space:  global
        .offset:         8
        .size:           8
        .value_kind:     global_buffer
      - .offset:         16
        .size:           4
        .value_kind:     by_value
      - .offset:         20
        .size:           4
        .value_kind:     by_value
      - .offset:         24
        .size:           4
        .value_kind:     by_value
      - .address_space:  global
        .offset:         32
        .size:           8
        .value_kind:     global_buffer
      - .offset:         40
        .size:           4
        .value_kind:     by_value
      - .offset:         44
        .size:           1
        .value_kind:     by_value
      - .offset:         48
        .size:           4
        .value_kind:     hidden_block_count_x
      - .offset:         52
        .size:           4
        .value_kind:     hidden_block_count_y
      - .offset:         56
        .size:           4
        .value_kind:     hidden_block_count_z
      - .offset:         60
        .size:           2
        .value_kind:     hidden_group_size_x
      - .offset:         62
        .size:           2
        .value_kind:     hidden_group_size_y
      - .offset:         64
        .size:           2
        .value_kind:     hidden_group_size_z
      - .offset:         66
        .size:           2
        .value_kind:     hidden_remainder_x
      - .offset:         68
        .size:           2
        .value_kind:     hidden_remainder_y
      - .offset:         70
        .size:           2
        .value_kind:     hidden_remainder_z
      - .offset:         88
        .size:           8
        .value_kind:     hidden_global_offset_x
      - .offset:         96
        .size:           8
        .value_kind:     hidden_global_offset_y
      - .offset:         104
        .size:           8
        .value_kind:     hidden_global_offset_z
      - .offset:         112
        .size:           2
        .value_kind:     hidden_grid_dims
    .group_segment_fixed_size: 0
    .kernarg_segment_align: 8
    .kernarg_segment_size: 304
    .language:       OpenCL C
    .language_version:
      - 2
      - 0
    .max_flat_workgroup_size: 1024
    .name:           _ZN12_GLOBAL__N_120softmax_warp_forwardIdddLi11ELb0ELb1ELi64EEEvPT0_PKT_iiiPKbib
    .private_segment_fixed_size: 0
    .sgpr_count:     100
    .sgpr_spill_count: 46
    .symbol:         _ZN12_GLOBAL__N_120softmax_warp_forwardIdddLi11ELb0ELb1ELi64EEEvPT0_PKT_iiiPKbib.kd
    .uniform_work_group_size: 1
    .uses_dynamic_stack: false
    .vgpr_count:     91
    .vgpr_spill_count: 0
    .wavefront_size: 64
  - .agpr_count:     0
    .args:
      - .address_space:  global
        .offset:         0
        .size:           8
        .value_kind:     global_buffer
      - .address_space:  global
        .offset:         8
        .size:           8
        .value_kind:     global_buffer
      - .offset:         16
        .size:           4
        .value_kind:     by_value
      - .offset:         20
        .size:           4
        .value_kind:     by_value
      - .offset:         24
        .size:           4
        .value_kind:     by_value
      - .address_space:  global
        .offset:         32
        .size:           8
        .value_kind:     global_buffer
      - .offset:         40
        .size:           4
        .value_kind:     by_value
      - .offset:         44
        .size:           1
        .value_kind:     by_value
      - .offset:         48
        .size:           4
        .value_kind:     hidden_block_count_x
      - .offset:         52
        .size:           4
        .value_kind:     hidden_block_count_y
      - .offset:         56
        .size:           4
        .value_kind:     hidden_block_count_z
      - .offset:         60
        .size:           2
        .value_kind:     hidden_group_size_x
      - .offset:         62
        .size:           2
        .value_kind:     hidden_group_size_y
      - .offset:         64
        .size:           2
        .value_kind:     hidden_group_size_z
      - .offset:         66
        .size:           2
        .value_kind:     hidden_remainder_x
      - .offset:         68
        .size:           2
        .value_kind:     hidden_remainder_y
      - .offset:         70
        .size:           2
        .value_kind:     hidden_remainder_z
      - .offset:         88
        .size:           8
        .value_kind:     hidden_global_offset_x
      - .offset:         96
        .size:           8
        .value_kind:     hidden_global_offset_y
      - .offset:         104
        .size:           8
        .value_kind:     hidden_global_offset_z
      - .offset:         112
        .size:           2
        .value_kind:     hidden_grid_dims
    .group_segment_fixed_size: 0
    .kernarg_segment_align: 8
    .kernarg_segment_size: 304
    .language:       OpenCL C
    .language_version:
      - 2
      - 0
    .max_flat_workgroup_size: 1024
    .name:           _ZN12_GLOBAL__N_120softmax_warp_forwardIdddLi11ELb0ELb1ELi32EEEvPT0_PKT_iiiPKbib
    .private_segment_fixed_size: 180
    .sgpr_count:     104
    .sgpr_spill_count: 174
    .symbol:         _ZN12_GLOBAL__N_120softmax_warp_forwardIdddLi11ELb0ELb1ELi32EEEvPT0_PKT_iiiPKbib.kd
    .uniform_work_group_size: 1
    .uses_dynamic_stack: false
    .vgpr_count:     128
    .vgpr_spill_count: 97
    .wavefront_size: 64
  - .agpr_count:     0
    .args:
      - .address_space:  global
        .offset:         0
        .size:           8
        .value_kind:     global_buffer
      - .address_space:  global
        .offset:         8
        .size:           8
        .value_kind:     global_buffer
      - .offset:         16
        .size:           4
        .value_kind:     by_value
      - .offset:         20
        .size:           4
        .value_kind:     by_value
      - .offset:         24
        .size:           4
        .value_kind:     by_value
      - .address_space:  global
        .offset:         32
        .size:           8
        .value_kind:     global_buffer
      - .offset:         40
        .size:           4
        .value_kind:     by_value
      - .offset:         44
        .size:           1
        .value_kind:     by_value
      - .offset:         48
        .size:           4
        .value_kind:     hidden_block_count_x
      - .offset:         52
        .size:           4
        .value_kind:     hidden_block_count_y
      - .offset:         56
        .size:           4
        .value_kind:     hidden_block_count_z
      - .offset:         60
        .size:           2
        .value_kind:     hidden_group_size_x
      - .offset:         62
        .size:           2
        .value_kind:     hidden_group_size_y
      - .offset:         64
        .size:           2
        .value_kind:     hidden_group_size_z
      - .offset:         66
        .size:           2
        .value_kind:     hidden_remainder_x
      - .offset:         68
        .size:           2
        .value_kind:     hidden_remainder_y
      - .offset:         70
        .size:           2
        .value_kind:     hidden_remainder_z
      - .offset:         88
        .size:           8
        .value_kind:     hidden_global_offset_x
      - .offset:         96
        .size:           8
        .value_kind:     hidden_global_offset_y
      - .offset:         104
        .size:           8
        .value_kind:     hidden_global_offset_z
      - .offset:         112
        .size:           2
        .value_kind:     hidden_grid_dims
    .group_segment_fixed_size: 0
    .kernarg_segment_align: 8
    .kernarg_segment_size: 304
    .language:       OpenCL C
    .language_version:
      - 2
      - 0
    .max_flat_workgroup_size: 1024
    .name:           _ZN12_GLOBAL__N_120softmax_warp_forwardIfffLi0ELb0ELb1ELi64EEEvPT0_PKT_iiiPKbib
    .private_segment_fixed_size: 0
    .sgpr_count:     22
    .sgpr_spill_count: 0
    .symbol:         _ZN12_GLOBAL__N_120softmax_warp_forwardIfffLi0ELb0ELb1ELi64EEEvPT0_PKT_iiiPKbib.kd
    .uniform_work_group_size: 1
    .uses_dynamic_stack: false
    .vgpr_count:     13
    .vgpr_spill_count: 0
    .wavefront_size: 64
  - .agpr_count:     0
    .args:
      - .address_space:  global
        .offset:         0
        .size:           8
        .value_kind:     global_buffer
      - .address_space:  global
        .offset:         8
        .size:           8
        .value_kind:     global_buffer
      - .offset:         16
        .size:           4
        .value_kind:     by_value
      - .offset:         20
        .size:           4
        .value_kind:     by_value
      - .offset:         24
        .size:           4
        .value_kind:     by_value
      - .address_space:  global
        .offset:         32
        .size:           8
        .value_kind:     global_buffer
      - .offset:         40
        .size:           4
        .value_kind:     by_value
      - .offset:         44
        .size:           1
        .value_kind:     by_value
      - .offset:         48
        .size:           4
        .value_kind:     hidden_block_count_x
      - .offset:         52
        .size:           4
        .value_kind:     hidden_block_count_y
      - .offset:         56
        .size:           4
        .value_kind:     hidden_block_count_z
      - .offset:         60
        .size:           2
        .value_kind:     hidden_group_size_x
      - .offset:         62
        .size:           2
        .value_kind:     hidden_group_size_y
      - .offset:         64
        .size:           2
        .value_kind:     hidden_group_size_z
      - .offset:         66
        .size:           2
        .value_kind:     hidden_remainder_x
      - .offset:         68
        .size:           2
        .value_kind:     hidden_remainder_y
      - .offset:         70
        .size:           2
        .value_kind:     hidden_remainder_z
      - .offset:         88
        .size:           8
        .value_kind:     hidden_global_offset_x
      - .offset:         96
        .size:           8
        .value_kind:     hidden_global_offset_y
      - .offset:         104
        .size:           8
        .value_kind:     hidden_global_offset_z
      - .offset:         112
        .size:           2
        .value_kind:     hidden_grid_dims
    .group_segment_fixed_size: 0
    .kernarg_segment_align: 8
    .kernarg_segment_size: 304
    .language:       OpenCL C
    .language_version:
      - 2
      - 0
    .max_flat_workgroup_size: 1024
    .name:           _ZN12_GLOBAL__N_120softmax_warp_forwardIfffLi0ELb0ELb1ELi32EEEvPT0_PKT_iiiPKbib
    .private_segment_fixed_size: 0
    .sgpr_count:     22
    .sgpr_spill_count: 0
    .symbol:         _ZN12_GLOBAL__N_120softmax_warp_forwardIfffLi0ELb0ELb1ELi32EEEvPT0_PKT_iiiPKbib.kd
    .uniform_work_group_size: 1
    .uses_dynamic_stack: false
    .vgpr_count:     13
    .vgpr_spill_count: 0
    .wavefront_size: 64
  - .agpr_count:     0
    .args:
      - .address_space:  global
        .offset:         0
        .size:           8
        .value_kind:     global_buffer
      - .address_space:  global
        .offset:         8
        .size:           8
        .value_kind:     global_buffer
      - .offset:         16
        .size:           4
        .value_kind:     by_value
      - .offset:         20
        .size:           4
        .value_kind:     by_value
      - .offset:         24
        .size:           4
        .value_kind:     by_value
      - .address_space:  global
        .offset:         32
        .size:           8
        .value_kind:     global_buffer
      - .offset:         40
        .size:           4
        .value_kind:     by_value
      - .offset:         44
        .size:           1
        .value_kind:     by_value
      - .offset:         48
        .size:           4
        .value_kind:     hidden_block_count_x
      - .offset:         52
        .size:           4
        .value_kind:     hidden_block_count_y
      - .offset:         56
        .size:           4
        .value_kind:     hidden_block_count_z
      - .offset:         60
        .size:           2
        .value_kind:     hidden_group_size_x
      - .offset:         62
        .size:           2
        .value_kind:     hidden_group_size_y
      - .offset:         64
        .size:           2
        .value_kind:     hidden_group_size_z
      - .offset:         66
        .size:           2
        .value_kind:     hidden_remainder_x
      - .offset:         68
        .size:           2
        .value_kind:     hidden_remainder_y
      - .offset:         70
        .size:           2
        .value_kind:     hidden_remainder_z
      - .offset:         88
        .size:           8
        .value_kind:     hidden_global_offset_x
      - .offset:         96
        .size:           8
        .value_kind:     hidden_global_offset_y
      - .offset:         104
        .size:           8
        .value_kind:     hidden_global_offset_z
      - .offset:         112
        .size:           2
        .value_kind:     hidden_grid_dims
    .group_segment_fixed_size: 0
    .kernarg_segment_align: 8
    .kernarg_segment_size: 304
    .language:       OpenCL C
    .language_version:
      - 2
      - 0
    .max_flat_workgroup_size: 1024
    .name:           _ZN12_GLOBAL__N_120softmax_warp_forwardIfffLi1ELb0ELb1ELi64EEEvPT0_PKT_iiiPKbib
    .private_segment_fixed_size: 0
    .sgpr_count:     22
    .sgpr_spill_count: 0
    .symbol:         _ZN12_GLOBAL__N_120softmax_warp_forwardIfffLi1ELb0ELb1ELi64EEEvPT0_PKT_iiiPKbib.kd
    .uniform_work_group_size: 1
    .uses_dynamic_stack: false
    .vgpr_count:     16
    .vgpr_spill_count: 0
    .wavefront_size: 64
  - .agpr_count:     0
    .args:
      - .address_space:  global
        .offset:         0
        .size:           8
        .value_kind:     global_buffer
      - .address_space:  global
        .offset:         8
        .size:           8
        .value_kind:     global_buffer
      - .offset:         16
        .size:           4
        .value_kind:     by_value
      - .offset:         20
        .size:           4
        .value_kind:     by_value
      - .offset:         24
        .size:           4
        .value_kind:     by_value
      - .address_space:  global
        .offset:         32
        .size:           8
        .value_kind:     global_buffer
      - .offset:         40
        .size:           4
        .value_kind:     by_value
      - .offset:         44
        .size:           1
        .value_kind:     by_value
      - .offset:         48
        .size:           4
        .value_kind:     hidden_block_count_x
      - .offset:         52
        .size:           4
        .value_kind:     hidden_block_count_y
      - .offset:         56
        .size:           4
        .value_kind:     hidden_block_count_z
      - .offset:         60
        .size:           2
        .value_kind:     hidden_group_size_x
      - .offset:         62
        .size:           2
        .value_kind:     hidden_group_size_y
      - .offset:         64
        .size:           2
        .value_kind:     hidden_group_size_z
      - .offset:         66
        .size:           2
        .value_kind:     hidden_remainder_x
      - .offset:         68
        .size:           2
        .value_kind:     hidden_remainder_y
      - .offset:         70
        .size:           2
        .value_kind:     hidden_remainder_z
      - .offset:         88
        .size:           8
        .value_kind:     hidden_global_offset_x
      - .offset:         96
        .size:           8
        .value_kind:     hidden_global_offset_y
      - .offset:         104
        .size:           8
        .value_kind:     hidden_global_offset_z
      - .offset:         112
        .size:           2
        .value_kind:     hidden_grid_dims
    .group_segment_fixed_size: 0
    .kernarg_segment_align: 8
    .kernarg_segment_size: 304
    .language:       OpenCL C
    .language_version:
      - 2
      - 0
    .max_flat_workgroup_size: 1024
    .name:           _ZN12_GLOBAL__N_120softmax_warp_forwardIfffLi1ELb0ELb1ELi32EEEvPT0_PKT_iiiPKbib
    .private_segment_fixed_size: 0
    .sgpr_count:     22
    .sgpr_spill_count: 0
    .symbol:         _ZN12_GLOBAL__N_120softmax_warp_forwardIfffLi1ELb0ELb1ELi32EEEvPT0_PKT_iiiPKbib.kd
    .uniform_work_group_size: 1
    .uses_dynamic_stack: false
    .vgpr_count:     16
    .vgpr_spill_count: 0
    .wavefront_size: 64
  - .agpr_count:     0
    .args:
      - .address_space:  global
        .offset:         0
        .size:           8
        .value_kind:     global_buffer
      - .address_space:  global
        .offset:         8
        .size:           8
        .value_kind:     global_buffer
      - .offset:         16
        .size:           4
        .value_kind:     by_value
      - .offset:         20
        .size:           4
        .value_kind:     by_value
      - .offset:         24
        .size:           4
        .value_kind:     by_value
      - .address_space:  global
        .offset:         32
        .size:           8
        .value_kind:     global_buffer
      - .offset:         40
        .size:           4
        .value_kind:     by_value
      - .offset:         44
        .size:           1
        .value_kind:     by_value
      - .offset:         48
        .size:           4
        .value_kind:     hidden_block_count_x
      - .offset:         52
        .size:           4
        .value_kind:     hidden_block_count_y
      - .offset:         56
        .size:           4
        .value_kind:     hidden_block_count_z
      - .offset:         60
        .size:           2
        .value_kind:     hidden_group_size_x
      - .offset:         62
        .size:           2
        .value_kind:     hidden_group_size_y
      - .offset:         64
        .size:           2
        .value_kind:     hidden_group_size_z
      - .offset:         66
        .size:           2
        .value_kind:     hidden_remainder_x
      - .offset:         68
        .size:           2
        .value_kind:     hidden_remainder_y
      - .offset:         70
        .size:           2
        .value_kind:     hidden_remainder_z
      - .offset:         88
        .size:           8
        .value_kind:     hidden_global_offset_x
      - .offset:         96
        .size:           8
        .value_kind:     hidden_global_offset_y
      - .offset:         104
        .size:           8
        .value_kind:     hidden_global_offset_z
      - .offset:         112
        .size:           2
        .value_kind:     hidden_grid_dims
    .group_segment_fixed_size: 0
    .kernarg_segment_align: 8
    .kernarg_segment_size: 304
    .language:       OpenCL C
    .language_version:
      - 2
      - 0
    .max_flat_workgroup_size: 1024
    .name:           _ZN12_GLOBAL__N_120softmax_warp_forwardIfffLi2ELb0ELb1ELi64EEEvPT0_PKT_iiiPKbib
    .private_segment_fixed_size: 0
    .sgpr_count:     22
    .sgpr_spill_count: 0
    .symbol:         _ZN12_GLOBAL__N_120softmax_warp_forwardIfffLi2ELb0ELb1ELi64EEEvPT0_PKT_iiiPKbib.kd
    .uniform_work_group_size: 1
    .uses_dynamic_stack: false
    .vgpr_count:     17
    .vgpr_spill_count: 0
    .wavefront_size: 64
  - .agpr_count:     0
    .args:
      - .address_space:  global
        .offset:         0
        .size:           8
        .value_kind:     global_buffer
      - .address_space:  global
        .offset:         8
        .size:           8
        .value_kind:     global_buffer
      - .offset:         16
        .size:           4
        .value_kind:     by_value
      - .offset:         20
        .size:           4
        .value_kind:     by_value
      - .offset:         24
        .size:           4
        .value_kind:     by_value
      - .address_space:  global
        .offset:         32
        .size:           8
        .value_kind:     global_buffer
      - .offset:         40
        .size:           4
        .value_kind:     by_value
      - .offset:         44
        .size:           1
        .value_kind:     by_value
      - .offset:         48
        .size:           4
        .value_kind:     hidden_block_count_x
      - .offset:         52
        .size:           4
        .value_kind:     hidden_block_count_y
      - .offset:         56
        .size:           4
        .value_kind:     hidden_block_count_z
      - .offset:         60
        .size:           2
        .value_kind:     hidden_group_size_x
      - .offset:         62
        .size:           2
        .value_kind:     hidden_group_size_y
      - .offset:         64
        .size:           2
        .value_kind:     hidden_group_size_z
      - .offset:         66
        .size:           2
        .value_kind:     hidden_remainder_x
      - .offset:         68
        .size:           2
        .value_kind:     hidden_remainder_y
      - .offset:         70
        .size:           2
        .value_kind:     hidden_remainder_z
      - .offset:         88
        .size:           8
        .value_kind:     hidden_global_offset_x
      - .offset:         96
        .size:           8
        .value_kind:     hidden_global_offset_y
      - .offset:         104
        .size:           8
        .value_kind:     hidden_global_offset_z
      - .offset:         112
        .size:           2
        .value_kind:     hidden_grid_dims
    .group_segment_fixed_size: 0
    .kernarg_segment_align: 8
    .kernarg_segment_size: 304
    .language:       OpenCL C
    .language_version:
      - 2
      - 0
    .max_flat_workgroup_size: 1024
    .name:           _ZN12_GLOBAL__N_120softmax_warp_forwardIfffLi2ELb0ELb1ELi32EEEvPT0_PKT_iiiPKbib
    .private_segment_fixed_size: 0
    .sgpr_count:     22
    .sgpr_spill_count: 0
    .symbol:         _ZN12_GLOBAL__N_120softmax_warp_forwardIfffLi2ELb0ELb1ELi32EEEvPT0_PKT_iiiPKbib.kd
    .uniform_work_group_size: 1
    .uses_dynamic_stack: false
    .vgpr_count:     17
    .vgpr_spill_count: 0
    .wavefront_size: 64
  - .agpr_count:     0
    .args:
      - .address_space:  global
        .offset:         0
        .size:           8
        .value_kind:     global_buffer
      - .address_space:  global
        .offset:         8
        .size:           8
        .value_kind:     global_buffer
      - .offset:         16
        .size:           4
        .value_kind:     by_value
      - .offset:         20
        .size:           4
        .value_kind:     by_value
      - .offset:         24
        .size:           4
        .value_kind:     by_value
      - .address_space:  global
        .offset:         32
        .size:           8
        .value_kind:     global_buffer
      - .offset:         40
        .size:           4
        .value_kind:     by_value
      - .offset:         44
        .size:           1
        .value_kind:     by_value
      - .offset:         48
        .size:           4
        .value_kind:     hidden_block_count_x
      - .offset:         52
        .size:           4
        .value_kind:     hidden_block_count_y
      - .offset:         56
        .size:           4
        .value_kind:     hidden_block_count_z
      - .offset:         60
        .size:           2
        .value_kind:     hidden_group_size_x
      - .offset:         62
        .size:           2
        .value_kind:     hidden_group_size_y
      - .offset:         64
        .size:           2
        .value_kind:     hidden_group_size_z
      - .offset:         66
        .size:           2
        .value_kind:     hidden_remainder_x
      - .offset:         68
        .size:           2
        .value_kind:     hidden_remainder_y
      - .offset:         70
        .size:           2
        .value_kind:     hidden_remainder_z
      - .offset:         88
        .size:           8
        .value_kind:     hidden_global_offset_x
      - .offset:         96
        .size:           8
        .value_kind:     hidden_global_offset_y
      - .offset:         104
        .size:           8
        .value_kind:     hidden_global_offset_z
      - .offset:         112
        .size:           2
        .value_kind:     hidden_grid_dims
    .group_segment_fixed_size: 0
    .kernarg_segment_align: 8
    .kernarg_segment_size: 304
    .language:       OpenCL C
    .language_version:
      - 2
      - 0
    .max_flat_workgroup_size: 1024
    .name:           _ZN12_GLOBAL__N_120softmax_warp_forwardIfffLi3ELb0ELb1ELi64EEEvPT0_PKT_iiiPKbib
    .private_segment_fixed_size: 0
    .sgpr_count:     22
    .sgpr_spill_count: 0
    .symbol:         _ZN12_GLOBAL__N_120softmax_warp_forwardIfffLi3ELb0ELb1ELi64EEEvPT0_PKT_iiiPKbib.kd
    .uniform_work_group_size: 1
    .uses_dynamic_stack: false
    .vgpr_count:     18
    .vgpr_spill_count: 0
    .wavefront_size: 64
  - .agpr_count:     0
    .args:
      - .address_space:  global
        .offset:         0
        .size:           8
        .value_kind:     global_buffer
      - .address_space:  global
        .offset:         8
        .size:           8
        .value_kind:     global_buffer
      - .offset:         16
        .size:           4
        .value_kind:     by_value
      - .offset:         20
        .size:           4
        .value_kind:     by_value
      - .offset:         24
        .size:           4
        .value_kind:     by_value
      - .address_space:  global
        .offset:         32
        .size:           8
        .value_kind:     global_buffer
      - .offset:         40
        .size:           4
        .value_kind:     by_value
      - .offset:         44
        .size:           1
        .value_kind:     by_value
      - .offset:         48
        .size:           4
        .value_kind:     hidden_block_count_x
      - .offset:         52
        .size:           4
        .value_kind:     hidden_block_count_y
      - .offset:         56
        .size:           4
        .value_kind:     hidden_block_count_z
      - .offset:         60
        .size:           2
        .value_kind:     hidden_group_size_x
      - .offset:         62
        .size:           2
        .value_kind:     hidden_group_size_y
      - .offset:         64
        .size:           2
        .value_kind:     hidden_group_size_z
      - .offset:         66
        .size:           2
        .value_kind:     hidden_remainder_x
      - .offset:         68
        .size:           2
        .value_kind:     hidden_remainder_y
      - .offset:         70
        .size:           2
        .value_kind:     hidden_remainder_z
      - .offset:         88
        .size:           8
        .value_kind:     hidden_global_offset_x
      - .offset:         96
        .size:           8
        .value_kind:     hidden_global_offset_y
      - .offset:         104
        .size:           8
        .value_kind:     hidden_global_offset_z
      - .offset:         112
        .size:           2
        .value_kind:     hidden_grid_dims
    .group_segment_fixed_size: 0
    .kernarg_segment_align: 8
    .kernarg_segment_size: 304
    .language:       OpenCL C
    .language_version:
      - 2
      - 0
    .max_flat_workgroup_size: 1024
    .name:           _ZN12_GLOBAL__N_120softmax_warp_forwardIfffLi3ELb0ELb1ELi32EEEvPT0_PKT_iiiPKbib
    .private_segment_fixed_size: 0
    .sgpr_count:     22
    .sgpr_spill_count: 0
    .symbol:         _ZN12_GLOBAL__N_120softmax_warp_forwardIfffLi3ELb0ELb1ELi32EEEvPT0_PKT_iiiPKbib.kd
    .uniform_work_group_size: 1
    .uses_dynamic_stack: false
    .vgpr_count:     18
    .vgpr_spill_count: 0
    .wavefront_size: 64
  - .agpr_count:     0
    .args:
      - .address_space:  global
        .offset:         0
        .size:           8
        .value_kind:     global_buffer
      - .address_space:  global
        .offset:         8
        .size:           8
        .value_kind:     global_buffer
      - .offset:         16
        .size:           4
        .value_kind:     by_value
      - .offset:         20
        .size:           4
        .value_kind:     by_value
      - .offset:         24
        .size:           4
        .value_kind:     by_value
      - .address_space:  global
        .offset:         32
        .size:           8
        .value_kind:     global_buffer
      - .offset:         40
        .size:           4
        .value_kind:     by_value
      - .offset:         44
        .size:           1
        .value_kind:     by_value
      - .offset:         48
        .size:           4
        .value_kind:     hidden_block_count_x
      - .offset:         52
        .size:           4
        .value_kind:     hidden_block_count_y
      - .offset:         56
        .size:           4
        .value_kind:     hidden_block_count_z
      - .offset:         60
        .size:           2
        .value_kind:     hidden_group_size_x
      - .offset:         62
        .size:           2
        .value_kind:     hidden_group_size_y
      - .offset:         64
        .size:           2
        .value_kind:     hidden_group_size_z
      - .offset:         66
        .size:           2
        .value_kind:     hidden_remainder_x
      - .offset:         68
        .size:           2
        .value_kind:     hidden_remainder_y
      - .offset:         70
        .size:           2
        .value_kind:     hidden_remainder_z
      - .offset:         88
        .size:           8
        .value_kind:     hidden_global_offset_x
      - .offset:         96
        .size:           8
        .value_kind:     hidden_global_offset_y
      - .offset:         104
        .size:           8
        .value_kind:     hidden_global_offset_z
      - .offset:         112
        .size:           2
        .value_kind:     hidden_grid_dims
    .group_segment_fixed_size: 0
    .kernarg_segment_align: 8
    .kernarg_segment_size: 304
    .language:       OpenCL C
    .language_version:
      - 2
      - 0
    .max_flat_workgroup_size: 1024
    .name:           _ZN12_GLOBAL__N_120softmax_warp_forwardIfffLi4ELb0ELb1ELi64EEEvPT0_PKT_iiiPKbib
    .private_segment_fixed_size: 0
    .sgpr_count:     22
    .sgpr_spill_count: 0
    .symbol:         _ZN12_GLOBAL__N_120softmax_warp_forwardIfffLi4ELb0ELb1ELi64EEEvPT0_PKT_iiiPKbib.kd
    .uniform_work_group_size: 1
    .uses_dynamic_stack: false
    .vgpr_count:     19
    .vgpr_spill_count: 0
    .wavefront_size: 64
  - .agpr_count:     0
    .args:
      - .address_space:  global
        .offset:         0
        .size:           8
        .value_kind:     global_buffer
      - .address_space:  global
        .offset:         8
        .size:           8
        .value_kind:     global_buffer
      - .offset:         16
        .size:           4
        .value_kind:     by_value
      - .offset:         20
        .size:           4
        .value_kind:     by_value
      - .offset:         24
        .size:           4
        .value_kind:     by_value
      - .address_space:  global
        .offset:         32
        .size:           8
        .value_kind:     global_buffer
      - .offset:         40
        .size:           4
        .value_kind:     by_value
      - .offset:         44
        .size:           1
        .value_kind:     by_value
      - .offset:         48
        .size:           4
        .value_kind:     hidden_block_count_x
      - .offset:         52
        .size:           4
        .value_kind:     hidden_block_count_y
      - .offset:         56
        .size:           4
        .value_kind:     hidden_block_count_z
      - .offset:         60
        .size:           2
        .value_kind:     hidden_group_size_x
      - .offset:         62
        .size:           2
        .value_kind:     hidden_group_size_y
      - .offset:         64
        .size:           2
        .value_kind:     hidden_group_size_z
      - .offset:         66
        .size:           2
        .value_kind:     hidden_remainder_x
      - .offset:         68
        .size:           2
        .value_kind:     hidden_remainder_y
      - .offset:         70
        .size:           2
        .value_kind:     hidden_remainder_z
      - .offset:         88
        .size:           8
        .value_kind:     hidden_global_offset_x
      - .offset:         96
        .size:           8
        .value_kind:     hidden_global_offset_y
      - .offset:         104
        .size:           8
        .value_kind:     hidden_global_offset_z
      - .offset:         112
        .size:           2
        .value_kind:     hidden_grid_dims
    .group_segment_fixed_size: 0
    .kernarg_segment_align: 8
    .kernarg_segment_size: 304
    .language:       OpenCL C
    .language_version:
      - 2
      - 0
    .max_flat_workgroup_size: 1024
    .name:           _ZN12_GLOBAL__N_120softmax_warp_forwardIfffLi4ELb0ELb1ELi32EEEvPT0_PKT_iiiPKbib
    .private_segment_fixed_size: 0
    .sgpr_count:     22
    .sgpr_spill_count: 0
    .symbol:         _ZN12_GLOBAL__N_120softmax_warp_forwardIfffLi4ELb0ELb1ELi32EEEvPT0_PKT_iiiPKbib.kd
    .uniform_work_group_size: 1
    .uses_dynamic_stack: false
    .vgpr_count:     19
    .vgpr_spill_count: 0
    .wavefront_size: 64
  - .agpr_count:     0
    .args:
      - .address_space:  global
        .offset:         0
        .size:           8
        .value_kind:     global_buffer
      - .address_space:  global
        .offset:         8
        .size:           8
        .value_kind:     global_buffer
      - .offset:         16
        .size:           4
        .value_kind:     by_value
      - .offset:         20
        .size:           4
        .value_kind:     by_value
      - .offset:         24
        .size:           4
        .value_kind:     by_value
      - .address_space:  global
        .offset:         32
        .size:           8
        .value_kind:     global_buffer
      - .offset:         40
        .size:           4
        .value_kind:     by_value
      - .offset:         44
        .size:           1
        .value_kind:     by_value
      - .offset:         48
        .size:           4
        .value_kind:     hidden_block_count_x
      - .offset:         52
        .size:           4
        .value_kind:     hidden_block_count_y
      - .offset:         56
        .size:           4
        .value_kind:     hidden_block_count_z
      - .offset:         60
        .size:           2
        .value_kind:     hidden_group_size_x
      - .offset:         62
        .size:           2
        .value_kind:     hidden_group_size_y
      - .offset:         64
        .size:           2
        .value_kind:     hidden_group_size_z
      - .offset:         66
        .size:           2
        .value_kind:     hidden_remainder_x
      - .offset:         68
        .size:           2
        .value_kind:     hidden_remainder_y
      - .offset:         70
        .size:           2
        .value_kind:     hidden_remainder_z
      - .offset:         88
        .size:           8
        .value_kind:     hidden_global_offset_x
      - .offset:         96
        .size:           8
        .value_kind:     hidden_global_offset_y
      - .offset:         104
        .size:           8
        .value_kind:     hidden_global_offset_z
      - .offset:         112
        .size:           2
        .value_kind:     hidden_grid_dims
    .group_segment_fixed_size: 0
    .kernarg_segment_align: 8
    .kernarg_segment_size: 304
    .language:       OpenCL C
    .language_version:
      - 2
      - 0
    .max_flat_workgroup_size: 1024
    .name:           _ZN12_GLOBAL__N_120softmax_warp_forwardIfffLi5ELb0ELb1ELi64EEEvPT0_PKT_iiiPKbib
    .private_segment_fixed_size: 0
    .sgpr_count:     22
    .sgpr_spill_count: 0
    .symbol:         _ZN12_GLOBAL__N_120softmax_warp_forwardIfffLi5ELb0ELb1ELi64EEEvPT0_PKT_iiiPKbib.kd
    .uniform_work_group_size: 1
    .uses_dynamic_stack: false
    .vgpr_count:     20
    .vgpr_spill_count: 0
    .wavefront_size: 64
  - .agpr_count:     0
    .args:
      - .address_space:  global
        .offset:         0
        .size:           8
        .value_kind:     global_buffer
      - .address_space:  global
        .offset:         8
        .size:           8
        .value_kind:     global_buffer
      - .offset:         16
        .size:           4
        .value_kind:     by_value
      - .offset:         20
        .size:           4
        .value_kind:     by_value
      - .offset:         24
        .size:           4
        .value_kind:     by_value
      - .address_space:  global
        .offset:         32
        .size:           8
        .value_kind:     global_buffer
      - .offset:         40
        .size:           4
        .value_kind:     by_value
      - .offset:         44
        .size:           1
        .value_kind:     by_value
      - .offset:         48
        .size:           4
        .value_kind:     hidden_block_count_x
      - .offset:         52
        .size:           4
        .value_kind:     hidden_block_count_y
      - .offset:         56
        .size:           4
        .value_kind:     hidden_block_count_z
      - .offset:         60
        .size:           2
        .value_kind:     hidden_group_size_x
      - .offset:         62
        .size:           2
        .value_kind:     hidden_group_size_y
      - .offset:         64
        .size:           2
        .value_kind:     hidden_group_size_z
      - .offset:         66
        .size:           2
        .value_kind:     hidden_remainder_x
      - .offset:         68
        .size:           2
        .value_kind:     hidden_remainder_y
      - .offset:         70
        .size:           2
        .value_kind:     hidden_remainder_z
      - .offset:         88
        .size:           8
        .value_kind:     hidden_global_offset_x
      - .offset:         96
        .size:           8
        .value_kind:     hidden_global_offset_y
      - .offset:         104
        .size:           8
        .value_kind:     hidden_global_offset_z
      - .offset:         112
        .size:           2
        .value_kind:     hidden_grid_dims
    .group_segment_fixed_size: 0
    .kernarg_segment_align: 8
    .kernarg_segment_size: 304
    .language:       OpenCL C
    .language_version:
      - 2
      - 0
    .max_flat_workgroup_size: 1024
    .name:           _ZN12_GLOBAL__N_120softmax_warp_forwardIfffLi5ELb0ELb1ELi32EEEvPT0_PKT_iiiPKbib
    .private_segment_fixed_size: 0
    .sgpr_count:     22
    .sgpr_spill_count: 0
    .symbol:         _ZN12_GLOBAL__N_120softmax_warp_forwardIfffLi5ELb0ELb1ELi32EEEvPT0_PKT_iiiPKbib.kd
    .uniform_work_group_size: 1
    .uses_dynamic_stack: false
    .vgpr_count:     20
    .vgpr_spill_count: 0
    .wavefront_size: 64
  - .agpr_count:     0
    .args:
      - .address_space:  global
        .offset:         0
        .size:           8
        .value_kind:     global_buffer
      - .address_space:  global
        .offset:         8
        .size:           8
        .value_kind:     global_buffer
      - .offset:         16
        .size:           4
        .value_kind:     by_value
      - .offset:         20
        .size:           4
        .value_kind:     by_value
      - .offset:         24
        .size:           4
        .value_kind:     by_value
      - .address_space:  global
        .offset:         32
        .size:           8
        .value_kind:     global_buffer
      - .offset:         40
        .size:           4
        .value_kind:     by_value
      - .offset:         44
        .size:           1
        .value_kind:     by_value
      - .offset:         48
        .size:           4
        .value_kind:     hidden_block_count_x
      - .offset:         52
        .size:           4
        .value_kind:     hidden_block_count_y
      - .offset:         56
        .size:           4
        .value_kind:     hidden_block_count_z
      - .offset:         60
        .size:           2
        .value_kind:     hidden_group_size_x
      - .offset:         62
        .size:           2
        .value_kind:     hidden_group_size_y
      - .offset:         64
        .size:           2
        .value_kind:     hidden_group_size_z
      - .offset:         66
        .size:           2
        .value_kind:     hidden_remainder_x
      - .offset:         68
        .size:           2
        .value_kind:     hidden_remainder_y
      - .offset:         70
        .size:           2
        .value_kind:     hidden_remainder_z
      - .offset:         88
        .size:           8
        .value_kind:     hidden_global_offset_x
      - .offset:         96
        .size:           8
        .value_kind:     hidden_global_offset_y
      - .offset:         104
        .size:           8
        .value_kind:     hidden_global_offset_z
      - .offset:         112
        .size:           2
        .value_kind:     hidden_grid_dims
    .group_segment_fixed_size: 0
    .kernarg_segment_align: 8
    .kernarg_segment_size: 304
    .language:       OpenCL C
    .language_version:
      - 2
      - 0
    .max_flat_workgroup_size: 1024
    .name:           _ZN12_GLOBAL__N_120softmax_warp_forwardIfffLi6ELb0ELb1ELi64EEEvPT0_PKT_iiiPKbib
    .private_segment_fixed_size: 0
    .sgpr_count:     22
    .sgpr_spill_count: 0
    .symbol:         _ZN12_GLOBAL__N_120softmax_warp_forwardIfffLi6ELb0ELb1ELi64EEEvPT0_PKT_iiiPKbib.kd
    .uniform_work_group_size: 1
    .uses_dynamic_stack: false
    .vgpr_count:     21
    .vgpr_spill_count: 0
    .wavefront_size: 64
  - .agpr_count:     0
    .args:
      - .address_space:  global
        .offset:         0
        .size:           8
        .value_kind:     global_buffer
      - .address_space:  global
        .offset:         8
        .size:           8
        .value_kind:     global_buffer
      - .offset:         16
        .size:           4
        .value_kind:     by_value
      - .offset:         20
        .size:           4
        .value_kind:     by_value
      - .offset:         24
        .size:           4
        .value_kind:     by_value
      - .address_space:  global
        .offset:         32
        .size:           8
        .value_kind:     global_buffer
      - .offset:         40
        .size:           4
        .value_kind:     by_value
      - .offset:         44
        .size:           1
        .value_kind:     by_value
      - .offset:         48
        .size:           4
        .value_kind:     hidden_block_count_x
      - .offset:         52
        .size:           4
        .value_kind:     hidden_block_count_y
      - .offset:         56
        .size:           4
        .value_kind:     hidden_block_count_z
      - .offset:         60
        .size:           2
        .value_kind:     hidden_group_size_x
      - .offset:         62
        .size:           2
        .value_kind:     hidden_group_size_y
      - .offset:         64
        .size:           2
        .value_kind:     hidden_group_size_z
      - .offset:         66
        .size:           2
        .value_kind:     hidden_remainder_x
      - .offset:         68
        .size:           2
        .value_kind:     hidden_remainder_y
      - .offset:         70
        .size:           2
        .value_kind:     hidden_remainder_z
      - .offset:         88
        .size:           8
        .value_kind:     hidden_global_offset_x
      - .offset:         96
        .size:           8
        .value_kind:     hidden_global_offset_y
      - .offset:         104
        .size:           8
        .value_kind:     hidden_global_offset_z
      - .offset:         112
        .size:           2
        .value_kind:     hidden_grid_dims
    .group_segment_fixed_size: 0
    .kernarg_segment_align: 8
    .kernarg_segment_size: 304
    .language:       OpenCL C
    .language_version:
      - 2
      - 0
    .max_flat_workgroup_size: 1024
    .name:           _ZN12_GLOBAL__N_120softmax_warp_forwardIfffLi6ELb0ELb1ELi32EEEvPT0_PKT_iiiPKbib
    .private_segment_fixed_size: 0
    .sgpr_count:     32
    .sgpr_spill_count: 0
    .symbol:         _ZN12_GLOBAL__N_120softmax_warp_forwardIfffLi6ELb0ELb1ELi32EEEvPT0_PKT_iiiPKbib.kd
    .uniform_work_group_size: 1
    .uses_dynamic_stack: false
    .vgpr_count:     22
    .vgpr_spill_count: 0
    .wavefront_size: 64
  - .agpr_count:     0
    .args:
      - .address_space:  global
        .offset:         0
        .size:           8
        .value_kind:     global_buffer
      - .address_space:  global
        .offset:         8
        .size:           8
        .value_kind:     global_buffer
      - .offset:         16
        .size:           4
        .value_kind:     by_value
      - .offset:         20
        .size:           4
        .value_kind:     by_value
      - .offset:         24
        .size:           4
        .value_kind:     by_value
      - .address_space:  global
        .offset:         32
        .size:           8
        .value_kind:     global_buffer
      - .offset:         40
        .size:           4
        .value_kind:     by_value
      - .offset:         44
        .size:           1
        .value_kind:     by_value
      - .offset:         48
        .size:           4
        .value_kind:     hidden_block_count_x
      - .offset:         52
        .size:           4
        .value_kind:     hidden_block_count_y
      - .offset:         56
        .size:           4
        .value_kind:     hidden_block_count_z
      - .offset:         60
        .size:           2
        .value_kind:     hidden_group_size_x
      - .offset:         62
        .size:           2
        .value_kind:     hidden_group_size_y
      - .offset:         64
        .size:           2
        .value_kind:     hidden_group_size_z
      - .offset:         66
        .size:           2
        .value_kind:     hidden_remainder_x
      - .offset:         68
        .size:           2
        .value_kind:     hidden_remainder_y
      - .offset:         70
        .size:           2
        .value_kind:     hidden_remainder_z
      - .offset:         88
        .size:           8
        .value_kind:     hidden_global_offset_x
      - .offset:         96
        .size:           8
        .value_kind:     hidden_global_offset_y
      - .offset:         104
        .size:           8
        .value_kind:     hidden_global_offset_z
      - .offset:         112
        .size:           2
        .value_kind:     hidden_grid_dims
    .group_segment_fixed_size: 0
    .kernarg_segment_align: 8
    .kernarg_segment_size: 304
    .language:       OpenCL C
    .language_version:
      - 2
      - 0
    .max_flat_workgroup_size: 1024
    .name:           _ZN12_GLOBAL__N_120softmax_warp_forwardIfffLi7ELb0ELb1ELi64EEEvPT0_PKT_iiiPKbib
    .private_segment_fixed_size: 0
    .sgpr_count:     32
    .sgpr_spill_count: 0
    .symbol:         _ZN12_GLOBAL__N_120softmax_warp_forwardIfffLi7ELb0ELb1ELi64EEEvPT0_PKT_iiiPKbib.kd
    .uniform_work_group_size: 1
    .uses_dynamic_stack: false
    .vgpr_count:     23
    .vgpr_spill_count: 0
    .wavefront_size: 64
  - .agpr_count:     0
    .args:
      - .address_space:  global
        .offset:         0
        .size:           8
        .value_kind:     global_buffer
      - .address_space:  global
        .offset:         8
        .size:           8
        .value_kind:     global_buffer
      - .offset:         16
        .size:           4
        .value_kind:     by_value
      - .offset:         20
        .size:           4
        .value_kind:     by_value
      - .offset:         24
        .size:           4
        .value_kind:     by_value
      - .address_space:  global
        .offset:         32
        .size:           8
        .value_kind:     global_buffer
      - .offset:         40
        .size:           4
        .value_kind:     by_value
      - .offset:         44
        .size:           1
        .value_kind:     by_value
      - .offset:         48
        .size:           4
        .value_kind:     hidden_block_count_x
      - .offset:         52
        .size:           4
        .value_kind:     hidden_block_count_y
      - .offset:         56
        .size:           4
        .value_kind:     hidden_block_count_z
      - .offset:         60
        .size:           2
        .value_kind:     hidden_group_size_x
      - .offset:         62
        .size:           2
        .value_kind:     hidden_group_size_y
      - .offset:         64
        .size:           2
        .value_kind:     hidden_group_size_z
      - .offset:         66
        .size:           2
        .value_kind:     hidden_remainder_x
      - .offset:         68
        .size:           2
        .value_kind:     hidden_remainder_y
      - .offset:         70
        .size:           2
        .value_kind:     hidden_remainder_z
      - .offset:         88
        .size:           8
        .value_kind:     hidden_global_offset_x
      - .offset:         96
        .size:           8
        .value_kind:     hidden_global_offset_y
      - .offset:         104
        .size:           8
        .value_kind:     hidden_global_offset_z
      - .offset:         112
        .size:           2
        .value_kind:     hidden_grid_dims
    .group_segment_fixed_size: 0
    .kernarg_segment_align: 8
    .kernarg_segment_size: 304
    .language:       OpenCL C
    .language_version:
      - 2
      - 0
    .max_flat_workgroup_size: 1024
    .name:           _ZN12_GLOBAL__N_120softmax_warp_forwardIfffLi7ELb0ELb1ELi32EEEvPT0_PKT_iiiPKbib
    .private_segment_fixed_size: 0
    .sgpr_count:     46
    .sgpr_spill_count: 0
    .symbol:         _ZN12_GLOBAL__N_120softmax_warp_forwardIfffLi7ELb0ELb1ELi32EEEvPT0_PKT_iiiPKbib.kd
    .uniform_work_group_size: 1
    .uses_dynamic_stack: false
    .vgpr_count:     27
    .vgpr_spill_count: 0
    .wavefront_size: 64
  - .agpr_count:     0
    .args:
      - .address_space:  global
        .offset:         0
        .size:           8
        .value_kind:     global_buffer
      - .address_space:  global
        .offset:         8
        .size:           8
        .value_kind:     global_buffer
      - .offset:         16
        .size:           4
        .value_kind:     by_value
      - .offset:         20
        .size:           4
        .value_kind:     by_value
      - .offset:         24
        .size:           4
        .value_kind:     by_value
      - .address_space:  global
        .offset:         32
        .size:           8
        .value_kind:     global_buffer
      - .offset:         40
        .size:           4
        .value_kind:     by_value
      - .offset:         44
        .size:           1
        .value_kind:     by_value
      - .offset:         48
        .size:           4
        .value_kind:     hidden_block_count_x
      - .offset:         52
        .size:           4
        .value_kind:     hidden_block_count_y
      - .offset:         56
        .size:           4
        .value_kind:     hidden_block_count_z
      - .offset:         60
        .size:           2
        .value_kind:     hidden_group_size_x
      - .offset:         62
        .size:           2
        .value_kind:     hidden_group_size_y
      - .offset:         64
        .size:           2
        .value_kind:     hidden_group_size_z
      - .offset:         66
        .size:           2
        .value_kind:     hidden_remainder_x
      - .offset:         68
        .size:           2
        .value_kind:     hidden_remainder_y
      - .offset:         70
        .size:           2
        .value_kind:     hidden_remainder_z
      - .offset:         88
        .size:           8
        .value_kind:     hidden_global_offset_x
      - .offset:         96
        .size:           8
        .value_kind:     hidden_global_offset_y
      - .offset:         104
        .size:           8
        .value_kind:     hidden_global_offset_z
      - .offset:         112
        .size:           2
        .value_kind:     hidden_grid_dims
    .group_segment_fixed_size: 0
    .kernarg_segment_align: 8
    .kernarg_segment_size: 304
    .language:       OpenCL C
    .language_version:
      - 2
      - 0
    .max_flat_workgroup_size: 1024
    .name:           _ZN12_GLOBAL__N_120softmax_warp_forwardIfffLi8ELb0ELb1ELi64EEEvPT0_PKT_iiiPKbib
    .private_segment_fixed_size: 0
    .sgpr_count:     30
    .sgpr_spill_count: 0
    .symbol:         _ZN12_GLOBAL__N_120softmax_warp_forwardIfffLi8ELb0ELb1ELi64EEEvPT0_PKT_iiiPKbib.kd
    .uniform_work_group_size: 1
    .uses_dynamic_stack: false
    .vgpr_count:     21
    .vgpr_spill_count: 0
    .wavefront_size: 64
  - .agpr_count:     0
    .args:
      - .address_space:  global
        .offset:         0
        .size:           8
        .value_kind:     global_buffer
      - .address_space:  global
        .offset:         8
        .size:           8
        .value_kind:     global_buffer
      - .offset:         16
        .size:           4
        .value_kind:     by_value
      - .offset:         20
        .size:           4
        .value_kind:     by_value
      - .offset:         24
        .size:           4
        .value_kind:     by_value
      - .address_space:  global
        .offset:         32
        .size:           8
        .value_kind:     global_buffer
      - .offset:         40
        .size:           4
        .value_kind:     by_value
      - .offset:         44
        .size:           1
        .value_kind:     by_value
      - .offset:         48
        .size:           4
        .value_kind:     hidden_block_count_x
      - .offset:         52
        .size:           4
        .value_kind:     hidden_block_count_y
      - .offset:         56
        .size:           4
        .value_kind:     hidden_block_count_z
      - .offset:         60
        .size:           2
        .value_kind:     hidden_group_size_x
      - .offset:         62
        .size:           2
        .value_kind:     hidden_group_size_y
      - .offset:         64
        .size:           2
        .value_kind:     hidden_group_size_z
      - .offset:         66
        .size:           2
        .value_kind:     hidden_remainder_x
      - .offset:         68
        .size:           2
        .value_kind:     hidden_remainder_y
      - .offset:         70
        .size:           2
        .value_kind:     hidden_remainder_z
      - .offset:         88
        .size:           8
        .value_kind:     hidden_global_offset_x
      - .offset:         96
        .size:           8
        .value_kind:     hidden_global_offset_y
      - .offset:         104
        .size:           8
        .value_kind:     hidden_global_offset_z
      - .offset:         112
        .size:           2
        .value_kind:     hidden_grid_dims
    .group_segment_fixed_size: 0
    .kernarg_segment_align: 8
    .kernarg_segment_size: 304
    .language:       OpenCL C
    .language_version:
      - 2
      - 0
    .max_flat_workgroup_size: 1024
    .name:           _ZN12_GLOBAL__N_120softmax_warp_forwardIfffLi8ELb0ELb1ELi32EEEvPT0_PKT_iiiPKbib
    .private_segment_fixed_size: 0
    .sgpr_count:     48
    .sgpr_spill_count: 0
    .symbol:         _ZN12_GLOBAL__N_120softmax_warp_forwardIfffLi8ELb0ELb1ELi32EEEvPT0_PKT_iiiPKbib.kd
    .uniform_work_group_size: 1
    .uses_dynamic_stack: false
    .vgpr_count:     24
    .vgpr_spill_count: 0
    .wavefront_size: 64
  - .agpr_count:     0
    .args:
      - .address_space:  global
        .offset:         0
        .size:           8
        .value_kind:     global_buffer
      - .address_space:  global
        .offset:         8
        .size:           8
        .value_kind:     global_buffer
      - .offset:         16
        .size:           4
        .value_kind:     by_value
      - .offset:         20
        .size:           4
        .value_kind:     by_value
      - .offset:         24
        .size:           4
        .value_kind:     by_value
      - .address_space:  global
        .offset:         32
        .size:           8
        .value_kind:     global_buffer
      - .offset:         40
        .size:           4
        .value_kind:     by_value
      - .offset:         44
        .size:           1
        .value_kind:     by_value
      - .offset:         48
        .size:           4
        .value_kind:     hidden_block_count_x
      - .offset:         52
        .size:           4
        .value_kind:     hidden_block_count_y
      - .offset:         56
        .size:           4
        .value_kind:     hidden_block_count_z
      - .offset:         60
        .size:           2
        .value_kind:     hidden_group_size_x
      - .offset:         62
        .size:           2
        .value_kind:     hidden_group_size_y
      - .offset:         64
        .size:           2
        .value_kind:     hidden_group_size_z
      - .offset:         66
        .size:           2
        .value_kind:     hidden_remainder_x
      - .offset:         68
        .size:           2
        .value_kind:     hidden_remainder_y
      - .offset:         70
        .size:           2
        .value_kind:     hidden_remainder_z
      - .offset:         88
        .size:           8
        .value_kind:     hidden_global_offset_x
      - .offset:         96
        .size:           8
        .value_kind:     hidden_global_offset_y
      - .offset:         104
        .size:           8
        .value_kind:     hidden_global_offset_z
      - .offset:         112
        .size:           2
        .value_kind:     hidden_grid_dims
    .group_segment_fixed_size: 0
    .kernarg_segment_align: 8
    .kernarg_segment_size: 304
    .language:       OpenCL C
    .language_version:
      - 2
      - 0
    .max_flat_workgroup_size: 1024
    .name:           _ZN12_GLOBAL__N_120softmax_warp_forwardIfffLi9ELb0ELb1ELi64EEEvPT0_PKT_iiiPKbib
    .private_segment_fixed_size: 0
    .sgpr_count:     48
    .sgpr_spill_count: 0
    .symbol:         _ZN12_GLOBAL__N_120softmax_warp_forwardIfffLi9ELb0ELb1ELi64EEEvPT0_PKT_iiiPKbib.kd
    .uniform_work_group_size: 1
    .uses_dynamic_stack: false
    .vgpr_count:     25
    .vgpr_spill_count: 0
    .wavefront_size: 64
  - .agpr_count:     0
    .args:
      - .address_space:  global
        .offset:         0
        .size:           8
        .value_kind:     global_buffer
      - .address_space:  global
        .offset:         8
        .size:           8
        .value_kind:     global_buffer
      - .offset:         16
        .size:           4
        .value_kind:     by_value
      - .offset:         20
        .size:           4
        .value_kind:     by_value
      - .offset:         24
        .size:           4
        .value_kind:     by_value
      - .address_space:  global
        .offset:         32
        .size:           8
        .value_kind:     global_buffer
      - .offset:         40
        .size:           4
        .value_kind:     by_value
      - .offset:         44
        .size:           1
        .value_kind:     by_value
      - .offset:         48
        .size:           4
        .value_kind:     hidden_block_count_x
      - .offset:         52
        .size:           4
        .value_kind:     hidden_block_count_y
      - .offset:         56
        .size:           4
        .value_kind:     hidden_block_count_z
      - .offset:         60
        .size:           2
        .value_kind:     hidden_group_size_x
      - .offset:         62
        .size:           2
        .value_kind:     hidden_group_size_y
      - .offset:         64
        .size:           2
        .value_kind:     hidden_group_size_z
      - .offset:         66
        .size:           2
        .value_kind:     hidden_remainder_x
      - .offset:         68
        .size:           2
        .value_kind:     hidden_remainder_y
      - .offset:         70
        .size:           2
        .value_kind:     hidden_remainder_z
      - .offset:         88
        .size:           8
        .value_kind:     hidden_global_offset_x
      - .offset:         96
        .size:           8
        .value_kind:     hidden_global_offset_y
      - .offset:         104
        .size:           8
        .value_kind:     hidden_global_offset_z
      - .offset:         112
        .size:           2
        .value_kind:     hidden_grid_dims
    .group_segment_fixed_size: 0
    .kernarg_segment_align: 8
    .kernarg_segment_size: 304
    .language:       OpenCL C
    .language_version:
      - 2
      - 0
    .max_flat_workgroup_size: 1024
    .name:           _ZN12_GLOBAL__N_120softmax_warp_forwardIfffLi9ELb0ELb1ELi32EEEvPT0_PKT_iiiPKbib
    .private_segment_fixed_size: 0
    .sgpr_count:     80
    .sgpr_spill_count: 0
    .symbol:         _ZN12_GLOBAL__N_120softmax_warp_forwardIfffLi9ELb0ELb1ELi32EEEvPT0_PKT_iiiPKbib.kd
    .uniform_work_group_size: 1
    .uses_dynamic_stack: false
    .vgpr_count:     32
    .vgpr_spill_count: 0
    .wavefront_size: 64
  - .agpr_count:     0
    .args:
      - .address_space:  global
        .offset:         0
        .size:           8
        .value_kind:     global_buffer
      - .address_space:  global
        .offset:         8
        .size:           8
        .value_kind:     global_buffer
      - .offset:         16
        .size:           4
        .value_kind:     by_value
      - .offset:         20
        .size:           4
        .value_kind:     by_value
      - .offset:         24
        .size:           4
        .value_kind:     by_value
      - .address_space:  global
        .offset:         32
        .size:           8
        .value_kind:     global_buffer
      - .offset:         40
        .size:           4
        .value_kind:     by_value
      - .offset:         44
        .size:           1
        .value_kind:     by_value
      - .offset:         48
        .size:           4
        .value_kind:     hidden_block_count_x
      - .offset:         52
        .size:           4
        .value_kind:     hidden_block_count_y
      - .offset:         56
        .size:           4
        .value_kind:     hidden_block_count_z
      - .offset:         60
        .size:           2
        .value_kind:     hidden_group_size_x
      - .offset:         62
        .size:           2
        .value_kind:     hidden_group_size_y
      - .offset:         64
        .size:           2
        .value_kind:     hidden_group_size_z
      - .offset:         66
        .size:           2
        .value_kind:     hidden_remainder_x
      - .offset:         68
        .size:           2
        .value_kind:     hidden_remainder_y
      - .offset:         70
        .size:           2
        .value_kind:     hidden_remainder_z
      - .offset:         88
        .size:           8
        .value_kind:     hidden_global_offset_x
      - .offset:         96
        .size:           8
        .value_kind:     hidden_global_offset_y
      - .offset:         104
        .size:           8
        .value_kind:     hidden_global_offset_z
      - .offset:         112
        .size:           2
        .value_kind:     hidden_grid_dims
    .group_segment_fixed_size: 0
    .kernarg_segment_align: 8
    .kernarg_segment_size: 304
    .language:       OpenCL C
    .language_version:
      - 2
      - 0
    .max_flat_workgroup_size: 1024
    .name:           _ZN12_GLOBAL__N_120softmax_warp_forwardIfffLi10ELb0ELb1ELi64EEEvPT0_PKT_iiiPKbib
    .private_segment_fixed_size: 0
    .sgpr_count:     80
    .sgpr_spill_count: 0
    .symbol:         _ZN12_GLOBAL__N_120softmax_warp_forwardIfffLi10ELb0ELb1ELi64EEEvPT0_PKT_iiiPKbib.kd
    .uniform_work_group_size: 1
    .uses_dynamic_stack: false
    .vgpr_count:     33
    .vgpr_spill_count: 0
    .wavefront_size: 64
  - .agpr_count:     0
    .args:
      - .address_space:  global
        .offset:         0
        .size:           8
        .value_kind:     global_buffer
      - .address_space:  global
        .offset:         8
        .size:           8
        .value_kind:     global_buffer
      - .offset:         16
        .size:           4
        .value_kind:     by_value
      - .offset:         20
        .size:           4
        .value_kind:     by_value
      - .offset:         24
        .size:           4
        .value_kind:     by_value
      - .address_space:  global
        .offset:         32
        .size:           8
        .value_kind:     global_buffer
      - .offset:         40
        .size:           4
        .value_kind:     by_value
      - .offset:         44
        .size:           1
        .value_kind:     by_value
      - .offset:         48
        .size:           4
        .value_kind:     hidden_block_count_x
      - .offset:         52
        .size:           4
        .value_kind:     hidden_block_count_y
      - .offset:         56
        .size:           4
        .value_kind:     hidden_block_count_z
      - .offset:         60
        .size:           2
        .value_kind:     hidden_group_size_x
      - .offset:         62
        .size:           2
        .value_kind:     hidden_group_size_y
      - .offset:         64
        .size:           2
        .value_kind:     hidden_group_size_z
      - .offset:         66
        .size:           2
        .value_kind:     hidden_remainder_x
      - .offset:         68
        .size:           2
        .value_kind:     hidden_remainder_y
      - .offset:         70
        .size:           2
        .value_kind:     hidden_remainder_z
      - .offset:         88
        .size:           8
        .value_kind:     hidden_global_offset_x
      - .offset:         96
        .size:           8
        .value_kind:     hidden_global_offset_y
      - .offset:         104
        .size:           8
        .value_kind:     hidden_global_offset_z
      - .offset:         112
        .size:           2
        .value_kind:     hidden_grid_dims
    .group_segment_fixed_size: 0
    .kernarg_segment_align: 8
    .kernarg_segment_size: 304
    .language:       OpenCL C
    .language_version:
      - 2
      - 0
    .max_flat_workgroup_size: 1024
    .name:           _ZN12_GLOBAL__N_120softmax_warp_forwardIfffLi10ELb0ELb1ELi32EEEvPT0_PKT_iiiPKbib
    .private_segment_fixed_size: 0
    .sgpr_count:     100
    .sgpr_spill_count: 46
    .symbol:         _ZN12_GLOBAL__N_120softmax_warp_forwardIfffLi10ELb0ELb1ELi32EEEvPT0_PKT_iiiPKbib.kd
    .uniform_work_group_size: 1
    .uses_dynamic_stack: false
    .vgpr_count:     49
    .vgpr_spill_count: 0
    .wavefront_size: 64
  - .agpr_count:     0
    .args:
      - .address_space:  global
        .offset:         0
        .size:           8
        .value_kind:     global_buffer
      - .address_space:  global
        .offset:         8
        .size:           8
        .value_kind:     global_buffer
      - .offset:         16
        .size:           4
        .value_kind:     by_value
      - .offset:         20
        .size:           4
        .value_kind:     by_value
      - .offset:         24
        .size:           4
        .value_kind:     by_value
      - .address_space:  global
        .offset:         32
        .size:           8
        .value_kind:     global_buffer
      - .offset:         40
        .size:           4
        .value_kind:     by_value
      - .offset:         44
        .size:           1
        .value_kind:     by_value
      - .offset:         48
        .size:           4
        .value_kind:     hidden_block_count_x
      - .offset:         52
        .size:           4
        .value_kind:     hidden_block_count_y
      - .offset:         56
        .size:           4
        .value_kind:     hidden_block_count_z
      - .offset:         60
        .size:           2
        .value_kind:     hidden_group_size_x
      - .offset:         62
        .size:           2
        .value_kind:     hidden_group_size_y
      - .offset:         64
        .size:           2
        .value_kind:     hidden_group_size_z
      - .offset:         66
        .size:           2
        .value_kind:     hidden_remainder_x
      - .offset:         68
        .size:           2
        .value_kind:     hidden_remainder_y
      - .offset:         70
        .size:           2
        .value_kind:     hidden_remainder_z
      - .offset:         88
        .size:           8
        .value_kind:     hidden_global_offset_x
      - .offset:         96
        .size:           8
        .value_kind:     hidden_global_offset_y
      - .offset:         104
        .size:           8
        .value_kind:     hidden_global_offset_z
      - .offset:         112
        .size:           2
        .value_kind:     hidden_grid_dims
    .group_segment_fixed_size: 0
    .kernarg_segment_align: 8
    .kernarg_segment_size: 304
    .language:       OpenCL C
    .language_version:
      - 2
      - 0
    .max_flat_workgroup_size: 1024
    .name:           _ZN12_GLOBAL__N_120softmax_warp_forwardIfffLi11ELb0ELb1ELi64EEEvPT0_PKT_iiiPKbib
    .private_segment_fixed_size: 0
    .sgpr_count:     100
    .sgpr_spill_count: 46
    .symbol:         _ZN12_GLOBAL__N_120softmax_warp_forwardIfffLi11ELb0ELb1ELi64EEEvPT0_PKT_iiiPKbib.kd
    .uniform_work_group_size: 1
    .uses_dynamic_stack: false
    .vgpr_count:     50
    .vgpr_spill_count: 0
    .wavefront_size: 64
  - .agpr_count:     0
    .args:
      - .address_space:  global
        .offset:         0
        .size:           8
        .value_kind:     global_buffer
      - .address_space:  global
        .offset:         8
        .size:           8
        .value_kind:     global_buffer
      - .offset:         16
        .size:           4
        .value_kind:     by_value
      - .offset:         20
        .size:           4
        .value_kind:     by_value
      - .offset:         24
        .size:           4
        .value_kind:     by_value
      - .address_space:  global
        .offset:         32
        .size:           8
        .value_kind:     global_buffer
      - .offset:         40
        .size:           4
        .value_kind:     by_value
      - .offset:         44
        .size:           1
        .value_kind:     by_value
      - .offset:         48
        .size:           4
        .value_kind:     hidden_block_count_x
      - .offset:         52
        .size:           4
        .value_kind:     hidden_block_count_y
      - .offset:         56
        .size:           4
        .value_kind:     hidden_block_count_z
      - .offset:         60
        .size:           2
        .value_kind:     hidden_group_size_x
      - .offset:         62
        .size:           2
        .value_kind:     hidden_group_size_y
      - .offset:         64
        .size:           2
        .value_kind:     hidden_group_size_z
      - .offset:         66
        .size:           2
        .value_kind:     hidden_remainder_x
      - .offset:         68
        .size:           2
        .value_kind:     hidden_remainder_y
      - .offset:         70
        .size:           2
        .value_kind:     hidden_remainder_z
      - .offset:         88
        .size:           8
        .value_kind:     hidden_global_offset_x
      - .offset:         96
        .size:           8
        .value_kind:     hidden_global_offset_y
      - .offset:         104
        .size:           8
        .value_kind:     hidden_global_offset_z
      - .offset:         112
        .size:           2
        .value_kind:     hidden_grid_dims
    .group_segment_fixed_size: 0
    .kernarg_segment_align: 8
    .kernarg_segment_size: 304
    .language:       OpenCL C
    .language_version:
      - 2
      - 0
    .max_flat_workgroup_size: 1024
    .name:           _ZN12_GLOBAL__N_120softmax_warp_forwardIfffLi11ELb0ELb1ELi32EEEvPT0_PKT_iiiPKbib
    .private_segment_fixed_size: 0
    .sgpr_count:     100
    .sgpr_spill_count: 174
    .symbol:         _ZN12_GLOBAL__N_120softmax_warp_forwardIfffLi11ELb0ELb1ELi32EEEvPT0_PKT_iiiPKbib.kd
    .uniform_work_group_size: 1
    .uses_dynamic_stack: false
    .vgpr_count:     83
    .vgpr_spill_count: 0
    .wavefront_size: 64
  - .agpr_count:     0
    .args:
      - .address_space:  global
        .offset:         0
        .size:           8
        .value_kind:     global_buffer
      - .address_space:  global
        .offset:         8
        .size:           8
        .value_kind:     global_buffer
      - .offset:         16
        .size:           4
        .value_kind:     by_value
      - .offset:         20
        .size:           4
        .value_kind:     by_value
      - .offset:         24
        .size:           4
        .value_kind:     by_value
      - .address_space:  global
        .offset:         32
        .size:           8
        .value_kind:     global_buffer
      - .offset:         40
        .size:           4
        .value_kind:     by_value
      - .offset:         44
        .size:           1
        .value_kind:     by_value
      - .offset:         48
        .size:           4
        .value_kind:     hidden_block_count_x
      - .offset:         52
        .size:           4
        .value_kind:     hidden_block_count_y
      - .offset:         56
        .size:           4
        .value_kind:     hidden_block_count_z
      - .offset:         60
        .size:           2
        .value_kind:     hidden_group_size_x
      - .offset:         62
        .size:           2
        .value_kind:     hidden_group_size_y
      - .offset:         64
        .size:           2
        .value_kind:     hidden_group_size_z
      - .offset:         66
        .size:           2
        .value_kind:     hidden_remainder_x
      - .offset:         68
        .size:           2
        .value_kind:     hidden_remainder_y
      - .offset:         70
        .size:           2
        .value_kind:     hidden_remainder_z
      - .offset:         88
        .size:           8
        .value_kind:     hidden_global_offset_x
      - .offset:         96
        .size:           8
        .value_kind:     hidden_global_offset_y
      - .offset:         104
        .size:           8
        .value_kind:     hidden_global_offset_z
      - .offset:         112
        .size:           2
        .value_kind:     hidden_grid_dims
    .group_segment_fixed_size: 0
    .kernarg_segment_align: 8
    .kernarg_segment_size: 304
    .language:       OpenCL C
    .language_version:
      - 2
      - 0
    .max_flat_workgroup_size: 1024
    .name:           _ZN12_GLOBAL__N_120softmax_warp_forwardIN3c104HalfES2_fLi0ELb0ELb1ELi64EEEvPT0_PKT_iiiPKbib
    .private_segment_fixed_size: 0
    .sgpr_count:     22
    .sgpr_spill_count: 0
    .symbol:         _ZN12_GLOBAL__N_120softmax_warp_forwardIN3c104HalfES2_fLi0ELb0ELb1ELi64EEEvPT0_PKT_iiiPKbib.kd
    .uniform_work_group_size: 1
    .uses_dynamic_stack: false
    .vgpr_count:     13
    .vgpr_spill_count: 0
    .wavefront_size: 64
  - .agpr_count:     0
    .args:
      - .address_space:  global
        .offset:         0
        .size:           8
        .value_kind:     global_buffer
      - .address_space:  global
        .offset:         8
        .size:           8
        .value_kind:     global_buffer
      - .offset:         16
        .size:           4
        .value_kind:     by_value
      - .offset:         20
        .size:           4
        .value_kind:     by_value
      - .offset:         24
        .size:           4
        .value_kind:     by_value
      - .address_space:  global
        .offset:         32
        .size:           8
        .value_kind:     global_buffer
      - .offset:         40
        .size:           4
        .value_kind:     by_value
      - .offset:         44
        .size:           1
        .value_kind:     by_value
      - .offset:         48
        .size:           4
        .value_kind:     hidden_block_count_x
      - .offset:         52
        .size:           4
        .value_kind:     hidden_block_count_y
      - .offset:         56
        .size:           4
        .value_kind:     hidden_block_count_z
      - .offset:         60
        .size:           2
        .value_kind:     hidden_group_size_x
      - .offset:         62
        .size:           2
        .value_kind:     hidden_group_size_y
      - .offset:         64
        .size:           2
        .value_kind:     hidden_group_size_z
      - .offset:         66
        .size:           2
        .value_kind:     hidden_remainder_x
      - .offset:         68
        .size:           2
        .value_kind:     hidden_remainder_y
      - .offset:         70
        .size:           2
        .value_kind:     hidden_remainder_z
      - .offset:         88
        .size:           8
        .value_kind:     hidden_global_offset_x
      - .offset:         96
        .size:           8
        .value_kind:     hidden_global_offset_y
      - .offset:         104
        .size:           8
        .value_kind:     hidden_global_offset_z
      - .offset:         112
        .size:           2
        .value_kind:     hidden_grid_dims
    .group_segment_fixed_size: 0
    .kernarg_segment_align: 8
    .kernarg_segment_size: 304
    .language:       OpenCL C
    .language_version:
      - 2
      - 0
    .max_flat_workgroup_size: 1024
    .name:           _ZN12_GLOBAL__N_120softmax_warp_forwardIN3c104HalfES2_fLi0ELb0ELb1ELi32EEEvPT0_PKT_iiiPKbib
    .private_segment_fixed_size: 0
    .sgpr_count:     22
    .sgpr_spill_count: 0
    .symbol:         _ZN12_GLOBAL__N_120softmax_warp_forwardIN3c104HalfES2_fLi0ELb0ELb1ELi32EEEvPT0_PKT_iiiPKbib.kd
    .uniform_work_group_size: 1
    .uses_dynamic_stack: false
    .vgpr_count:     13
    .vgpr_spill_count: 0
    .wavefront_size: 64
  - .agpr_count:     0
    .args:
      - .address_space:  global
        .offset:         0
        .size:           8
        .value_kind:     global_buffer
      - .address_space:  global
        .offset:         8
        .size:           8
        .value_kind:     global_buffer
      - .offset:         16
        .size:           4
        .value_kind:     by_value
      - .offset:         20
        .size:           4
        .value_kind:     by_value
      - .offset:         24
        .size:           4
        .value_kind:     by_value
      - .address_space:  global
        .offset:         32
        .size:           8
        .value_kind:     global_buffer
      - .offset:         40
        .size:           4
        .value_kind:     by_value
      - .offset:         44
        .size:           1
        .value_kind:     by_value
      - .offset:         48
        .size:           4
        .value_kind:     hidden_block_count_x
      - .offset:         52
        .size:           4
        .value_kind:     hidden_block_count_y
      - .offset:         56
        .size:           4
        .value_kind:     hidden_block_count_z
      - .offset:         60
        .size:           2
        .value_kind:     hidden_group_size_x
      - .offset:         62
        .size:           2
        .value_kind:     hidden_group_size_y
      - .offset:         64
        .size:           2
        .value_kind:     hidden_group_size_z
      - .offset:         66
        .size:           2
        .value_kind:     hidden_remainder_x
      - .offset:         68
        .size:           2
        .value_kind:     hidden_remainder_y
      - .offset:         70
        .size:           2
        .value_kind:     hidden_remainder_z
      - .offset:         88
        .size:           8
        .value_kind:     hidden_global_offset_x
      - .offset:         96
        .size:           8
        .value_kind:     hidden_global_offset_y
      - .offset:         104
        .size:           8
        .value_kind:     hidden_global_offset_z
      - .offset:         112
        .size:           2
        .value_kind:     hidden_grid_dims
    .group_segment_fixed_size: 0
    .kernarg_segment_align: 8
    .kernarg_segment_size: 304
    .language:       OpenCL C
    .language_version:
      - 2
      - 0
    .max_flat_workgroup_size: 1024
    .name:           _ZN12_GLOBAL__N_120softmax_warp_forwardIN3c104HalfES2_fLi1ELb0ELb1ELi64EEEvPT0_PKT_iiiPKbib
    .private_segment_fixed_size: 0
    .sgpr_count:     22
    .sgpr_spill_count: 0
    .symbol:         _ZN12_GLOBAL__N_120softmax_warp_forwardIN3c104HalfES2_fLi1ELb0ELb1ELi64EEEvPT0_PKT_iiiPKbib.kd
    .uniform_work_group_size: 1
    .uses_dynamic_stack: false
    .vgpr_count:     16
    .vgpr_spill_count: 0
    .wavefront_size: 64
  - .agpr_count:     0
    .args:
      - .address_space:  global
        .offset:         0
        .size:           8
        .value_kind:     global_buffer
      - .address_space:  global
        .offset:         8
        .size:           8
        .value_kind:     global_buffer
      - .offset:         16
        .size:           4
        .value_kind:     by_value
      - .offset:         20
        .size:           4
        .value_kind:     by_value
      - .offset:         24
        .size:           4
        .value_kind:     by_value
      - .address_space:  global
        .offset:         32
        .size:           8
        .value_kind:     global_buffer
      - .offset:         40
        .size:           4
        .value_kind:     by_value
      - .offset:         44
        .size:           1
        .value_kind:     by_value
      - .offset:         48
        .size:           4
        .value_kind:     hidden_block_count_x
      - .offset:         52
        .size:           4
        .value_kind:     hidden_block_count_y
      - .offset:         56
        .size:           4
        .value_kind:     hidden_block_count_z
      - .offset:         60
        .size:           2
        .value_kind:     hidden_group_size_x
      - .offset:         62
        .size:           2
        .value_kind:     hidden_group_size_y
      - .offset:         64
        .size:           2
        .value_kind:     hidden_group_size_z
      - .offset:         66
        .size:           2
        .value_kind:     hidden_remainder_x
      - .offset:         68
        .size:           2
        .value_kind:     hidden_remainder_y
      - .offset:         70
        .size:           2
        .value_kind:     hidden_remainder_z
      - .offset:         88
        .size:           8
        .value_kind:     hidden_global_offset_x
      - .offset:         96
        .size:           8
        .value_kind:     hidden_global_offset_y
      - .offset:         104
        .size:           8
        .value_kind:     hidden_global_offset_z
      - .offset:         112
        .size:           2
        .value_kind:     hidden_grid_dims
    .group_segment_fixed_size: 0
    .kernarg_segment_align: 8
    .kernarg_segment_size: 304
    .language:       OpenCL C
    .language_version:
      - 2
      - 0
    .max_flat_workgroup_size: 1024
    .name:           _ZN12_GLOBAL__N_120softmax_warp_forwardIN3c104HalfES2_fLi1ELb0ELb1ELi32EEEvPT0_PKT_iiiPKbib
    .private_segment_fixed_size: 0
    .sgpr_count:     22
    .sgpr_spill_count: 0
    .symbol:         _ZN12_GLOBAL__N_120softmax_warp_forwardIN3c104HalfES2_fLi1ELb0ELb1ELi32EEEvPT0_PKT_iiiPKbib.kd
    .uniform_work_group_size: 1
    .uses_dynamic_stack: false
    .vgpr_count:     16
    .vgpr_spill_count: 0
    .wavefront_size: 64
  - .agpr_count:     0
    .args:
      - .address_space:  global
        .offset:         0
        .size:           8
        .value_kind:     global_buffer
      - .address_space:  global
        .offset:         8
        .size:           8
        .value_kind:     global_buffer
      - .offset:         16
        .size:           4
        .value_kind:     by_value
      - .offset:         20
        .size:           4
        .value_kind:     by_value
      - .offset:         24
        .size:           4
        .value_kind:     by_value
      - .address_space:  global
        .offset:         32
        .size:           8
        .value_kind:     global_buffer
      - .offset:         40
        .size:           4
        .value_kind:     by_value
      - .offset:         44
        .size:           1
        .value_kind:     by_value
      - .offset:         48
        .size:           4
        .value_kind:     hidden_block_count_x
      - .offset:         52
        .size:           4
        .value_kind:     hidden_block_count_y
      - .offset:         56
        .size:           4
        .value_kind:     hidden_block_count_z
      - .offset:         60
        .size:           2
        .value_kind:     hidden_group_size_x
      - .offset:         62
        .size:           2
        .value_kind:     hidden_group_size_y
      - .offset:         64
        .size:           2
        .value_kind:     hidden_group_size_z
      - .offset:         66
        .size:           2
        .value_kind:     hidden_remainder_x
      - .offset:         68
        .size:           2
        .value_kind:     hidden_remainder_y
      - .offset:         70
        .size:           2
        .value_kind:     hidden_remainder_z
      - .offset:         88
        .size:           8
        .value_kind:     hidden_global_offset_x
      - .offset:         96
        .size:           8
        .value_kind:     hidden_global_offset_y
      - .offset:         104
        .size:           8
        .value_kind:     hidden_global_offset_z
      - .offset:         112
        .size:           2
        .value_kind:     hidden_grid_dims
    .group_segment_fixed_size: 0
    .kernarg_segment_align: 8
    .kernarg_segment_size: 304
    .language:       OpenCL C
    .language_version:
      - 2
      - 0
    .max_flat_workgroup_size: 1024
    .name:           _ZN12_GLOBAL__N_120softmax_warp_forwardIN3c104HalfES2_fLi2ELb0ELb1ELi64EEEvPT0_PKT_iiiPKbib
    .private_segment_fixed_size: 0
    .sgpr_count:     22
    .sgpr_spill_count: 0
    .symbol:         _ZN12_GLOBAL__N_120softmax_warp_forwardIN3c104HalfES2_fLi2ELb0ELb1ELi64EEEvPT0_PKT_iiiPKbib.kd
    .uniform_work_group_size: 1
    .uses_dynamic_stack: false
    .vgpr_count:     17
    .vgpr_spill_count: 0
    .wavefront_size: 64
  - .agpr_count:     0
    .args:
      - .address_space:  global
        .offset:         0
        .size:           8
        .value_kind:     global_buffer
      - .address_space:  global
        .offset:         8
        .size:           8
        .value_kind:     global_buffer
      - .offset:         16
        .size:           4
        .value_kind:     by_value
      - .offset:         20
        .size:           4
        .value_kind:     by_value
      - .offset:         24
        .size:           4
        .value_kind:     by_value
      - .address_space:  global
        .offset:         32
        .size:           8
        .value_kind:     global_buffer
      - .offset:         40
        .size:           4
        .value_kind:     by_value
      - .offset:         44
        .size:           1
        .value_kind:     by_value
      - .offset:         48
        .size:           4
        .value_kind:     hidden_block_count_x
      - .offset:         52
        .size:           4
        .value_kind:     hidden_block_count_y
      - .offset:         56
        .size:           4
        .value_kind:     hidden_block_count_z
      - .offset:         60
        .size:           2
        .value_kind:     hidden_group_size_x
      - .offset:         62
        .size:           2
        .value_kind:     hidden_group_size_y
      - .offset:         64
        .size:           2
        .value_kind:     hidden_group_size_z
      - .offset:         66
        .size:           2
        .value_kind:     hidden_remainder_x
      - .offset:         68
        .size:           2
        .value_kind:     hidden_remainder_y
      - .offset:         70
        .size:           2
        .value_kind:     hidden_remainder_z
      - .offset:         88
        .size:           8
        .value_kind:     hidden_global_offset_x
      - .offset:         96
        .size:           8
        .value_kind:     hidden_global_offset_y
      - .offset:         104
        .size:           8
        .value_kind:     hidden_global_offset_z
      - .offset:         112
        .size:           2
        .value_kind:     hidden_grid_dims
    .group_segment_fixed_size: 0
    .kernarg_segment_align: 8
    .kernarg_segment_size: 304
    .language:       OpenCL C
    .language_version:
      - 2
      - 0
    .max_flat_workgroup_size: 1024
    .name:           _ZN12_GLOBAL__N_120softmax_warp_forwardIN3c104HalfES2_fLi2ELb0ELb1ELi32EEEvPT0_PKT_iiiPKbib
    .private_segment_fixed_size: 0
    .sgpr_count:     22
    .sgpr_spill_count: 0
    .symbol:         _ZN12_GLOBAL__N_120softmax_warp_forwardIN3c104HalfES2_fLi2ELb0ELb1ELi32EEEvPT0_PKT_iiiPKbib.kd
    .uniform_work_group_size: 1
    .uses_dynamic_stack: false
    .vgpr_count:     17
    .vgpr_spill_count: 0
    .wavefront_size: 64
  - .agpr_count:     0
    .args:
      - .address_space:  global
        .offset:         0
        .size:           8
        .value_kind:     global_buffer
      - .address_space:  global
        .offset:         8
        .size:           8
        .value_kind:     global_buffer
      - .offset:         16
        .size:           4
        .value_kind:     by_value
      - .offset:         20
        .size:           4
        .value_kind:     by_value
      - .offset:         24
        .size:           4
        .value_kind:     by_value
      - .address_space:  global
        .offset:         32
        .size:           8
        .value_kind:     global_buffer
      - .offset:         40
        .size:           4
        .value_kind:     by_value
      - .offset:         44
        .size:           1
        .value_kind:     by_value
      - .offset:         48
        .size:           4
        .value_kind:     hidden_block_count_x
      - .offset:         52
        .size:           4
        .value_kind:     hidden_block_count_y
      - .offset:         56
        .size:           4
        .value_kind:     hidden_block_count_z
      - .offset:         60
        .size:           2
        .value_kind:     hidden_group_size_x
      - .offset:         62
        .size:           2
        .value_kind:     hidden_group_size_y
      - .offset:         64
        .size:           2
        .value_kind:     hidden_group_size_z
      - .offset:         66
        .size:           2
        .value_kind:     hidden_remainder_x
      - .offset:         68
        .size:           2
        .value_kind:     hidden_remainder_y
      - .offset:         70
        .size:           2
        .value_kind:     hidden_remainder_z
      - .offset:         88
        .size:           8
        .value_kind:     hidden_global_offset_x
      - .offset:         96
        .size:           8
        .value_kind:     hidden_global_offset_y
      - .offset:         104
        .size:           8
        .value_kind:     hidden_global_offset_z
      - .offset:         112
        .size:           2
        .value_kind:     hidden_grid_dims
    .group_segment_fixed_size: 0
    .kernarg_segment_align: 8
    .kernarg_segment_size: 304
    .language:       OpenCL C
    .language_version:
      - 2
      - 0
    .max_flat_workgroup_size: 1024
    .name:           _ZN12_GLOBAL__N_120softmax_warp_forwardIN3c104HalfES2_fLi3ELb0ELb1ELi64EEEvPT0_PKT_iiiPKbib
    .private_segment_fixed_size: 0
    .sgpr_count:     22
    .sgpr_spill_count: 0
    .symbol:         _ZN12_GLOBAL__N_120softmax_warp_forwardIN3c104HalfES2_fLi3ELb0ELb1ELi64EEEvPT0_PKT_iiiPKbib.kd
    .uniform_work_group_size: 1
    .uses_dynamic_stack: false
    .vgpr_count:     18
    .vgpr_spill_count: 0
    .wavefront_size: 64
  - .agpr_count:     0
    .args:
      - .address_space:  global
        .offset:         0
        .size:           8
        .value_kind:     global_buffer
      - .address_space:  global
        .offset:         8
        .size:           8
        .value_kind:     global_buffer
      - .offset:         16
        .size:           4
        .value_kind:     by_value
      - .offset:         20
        .size:           4
        .value_kind:     by_value
      - .offset:         24
        .size:           4
        .value_kind:     by_value
      - .address_space:  global
        .offset:         32
        .size:           8
        .value_kind:     global_buffer
      - .offset:         40
        .size:           4
        .value_kind:     by_value
      - .offset:         44
        .size:           1
        .value_kind:     by_value
      - .offset:         48
        .size:           4
        .value_kind:     hidden_block_count_x
      - .offset:         52
        .size:           4
        .value_kind:     hidden_block_count_y
      - .offset:         56
        .size:           4
        .value_kind:     hidden_block_count_z
      - .offset:         60
        .size:           2
        .value_kind:     hidden_group_size_x
      - .offset:         62
        .size:           2
        .value_kind:     hidden_group_size_y
      - .offset:         64
        .size:           2
        .value_kind:     hidden_group_size_z
      - .offset:         66
        .size:           2
        .value_kind:     hidden_remainder_x
      - .offset:         68
        .size:           2
        .value_kind:     hidden_remainder_y
      - .offset:         70
        .size:           2
        .value_kind:     hidden_remainder_z
      - .offset:         88
        .size:           8
        .value_kind:     hidden_global_offset_x
      - .offset:         96
        .size:           8
        .value_kind:     hidden_global_offset_y
      - .offset:         104
        .size:           8
        .value_kind:     hidden_global_offset_z
      - .offset:         112
        .size:           2
        .value_kind:     hidden_grid_dims
    .group_segment_fixed_size: 0
    .kernarg_segment_align: 8
    .kernarg_segment_size: 304
    .language:       OpenCL C
    .language_version:
      - 2
      - 0
    .max_flat_workgroup_size: 1024
    .name:           _ZN12_GLOBAL__N_120softmax_warp_forwardIN3c104HalfES2_fLi3ELb0ELb1ELi32EEEvPT0_PKT_iiiPKbib
    .private_segment_fixed_size: 0
    .sgpr_count:     22
    .sgpr_spill_count: 0
    .symbol:         _ZN12_GLOBAL__N_120softmax_warp_forwardIN3c104HalfES2_fLi3ELb0ELb1ELi32EEEvPT0_PKT_iiiPKbib.kd
    .uniform_work_group_size: 1
    .uses_dynamic_stack: false
    .vgpr_count:     18
    .vgpr_spill_count: 0
    .wavefront_size: 64
  - .agpr_count:     0
    .args:
      - .address_space:  global
        .offset:         0
        .size:           8
        .value_kind:     global_buffer
      - .address_space:  global
        .offset:         8
        .size:           8
        .value_kind:     global_buffer
      - .offset:         16
        .size:           4
        .value_kind:     by_value
      - .offset:         20
        .size:           4
        .value_kind:     by_value
      - .offset:         24
        .size:           4
        .value_kind:     by_value
      - .address_space:  global
        .offset:         32
        .size:           8
        .value_kind:     global_buffer
      - .offset:         40
        .size:           4
        .value_kind:     by_value
      - .offset:         44
        .size:           1
        .value_kind:     by_value
      - .offset:         48
        .size:           4
        .value_kind:     hidden_block_count_x
      - .offset:         52
        .size:           4
        .value_kind:     hidden_block_count_y
      - .offset:         56
        .size:           4
        .value_kind:     hidden_block_count_z
      - .offset:         60
        .size:           2
        .value_kind:     hidden_group_size_x
      - .offset:         62
        .size:           2
        .value_kind:     hidden_group_size_y
      - .offset:         64
        .size:           2
        .value_kind:     hidden_group_size_z
      - .offset:         66
        .size:           2
        .value_kind:     hidden_remainder_x
      - .offset:         68
        .size:           2
        .value_kind:     hidden_remainder_y
      - .offset:         70
        .size:           2
        .value_kind:     hidden_remainder_z
      - .offset:         88
        .size:           8
        .value_kind:     hidden_global_offset_x
      - .offset:         96
        .size:           8
        .value_kind:     hidden_global_offset_y
      - .offset:         104
        .size:           8
        .value_kind:     hidden_global_offset_z
      - .offset:         112
        .size:           2
        .value_kind:     hidden_grid_dims
    .group_segment_fixed_size: 0
    .kernarg_segment_align: 8
    .kernarg_segment_size: 304
    .language:       OpenCL C
    .language_version:
      - 2
      - 0
    .max_flat_workgroup_size: 1024
    .name:           _ZN12_GLOBAL__N_120softmax_warp_forwardIN3c104HalfES2_fLi4ELb0ELb1ELi64EEEvPT0_PKT_iiiPKbib
    .private_segment_fixed_size: 0
    .sgpr_count:     22
    .sgpr_spill_count: 0
    .symbol:         _ZN12_GLOBAL__N_120softmax_warp_forwardIN3c104HalfES2_fLi4ELb0ELb1ELi64EEEvPT0_PKT_iiiPKbib.kd
    .uniform_work_group_size: 1
    .uses_dynamic_stack: false
    .vgpr_count:     19
    .vgpr_spill_count: 0
    .wavefront_size: 64
  - .agpr_count:     0
    .args:
      - .address_space:  global
        .offset:         0
        .size:           8
        .value_kind:     global_buffer
      - .address_space:  global
        .offset:         8
        .size:           8
        .value_kind:     global_buffer
      - .offset:         16
        .size:           4
        .value_kind:     by_value
      - .offset:         20
        .size:           4
        .value_kind:     by_value
      - .offset:         24
        .size:           4
        .value_kind:     by_value
      - .address_space:  global
        .offset:         32
        .size:           8
        .value_kind:     global_buffer
      - .offset:         40
        .size:           4
        .value_kind:     by_value
      - .offset:         44
        .size:           1
        .value_kind:     by_value
      - .offset:         48
        .size:           4
        .value_kind:     hidden_block_count_x
      - .offset:         52
        .size:           4
        .value_kind:     hidden_block_count_y
      - .offset:         56
        .size:           4
        .value_kind:     hidden_block_count_z
      - .offset:         60
        .size:           2
        .value_kind:     hidden_group_size_x
      - .offset:         62
        .size:           2
        .value_kind:     hidden_group_size_y
      - .offset:         64
        .size:           2
        .value_kind:     hidden_group_size_z
      - .offset:         66
        .size:           2
        .value_kind:     hidden_remainder_x
      - .offset:         68
        .size:           2
        .value_kind:     hidden_remainder_y
      - .offset:         70
        .size:           2
        .value_kind:     hidden_remainder_z
      - .offset:         88
        .size:           8
        .value_kind:     hidden_global_offset_x
      - .offset:         96
        .size:           8
        .value_kind:     hidden_global_offset_y
      - .offset:         104
        .size:           8
        .value_kind:     hidden_global_offset_z
      - .offset:         112
        .size:           2
        .value_kind:     hidden_grid_dims
    .group_segment_fixed_size: 0
    .kernarg_segment_align: 8
    .kernarg_segment_size: 304
    .language:       OpenCL C
    .language_version:
      - 2
      - 0
    .max_flat_workgroup_size: 1024
    .name:           _ZN12_GLOBAL__N_120softmax_warp_forwardIN3c104HalfES2_fLi4ELb0ELb1ELi32EEEvPT0_PKT_iiiPKbib
    .private_segment_fixed_size: 0
    .sgpr_count:     22
    .sgpr_spill_count: 0
    .symbol:         _ZN12_GLOBAL__N_120softmax_warp_forwardIN3c104HalfES2_fLi4ELb0ELb1ELi32EEEvPT0_PKT_iiiPKbib.kd
    .uniform_work_group_size: 1
    .uses_dynamic_stack: false
    .vgpr_count:     19
    .vgpr_spill_count: 0
    .wavefront_size: 64
  - .agpr_count:     0
    .args:
      - .address_space:  global
        .offset:         0
        .size:           8
        .value_kind:     global_buffer
      - .address_space:  global
        .offset:         8
        .size:           8
        .value_kind:     global_buffer
      - .offset:         16
        .size:           4
        .value_kind:     by_value
      - .offset:         20
        .size:           4
        .value_kind:     by_value
      - .offset:         24
        .size:           4
        .value_kind:     by_value
      - .address_space:  global
        .offset:         32
        .size:           8
        .value_kind:     global_buffer
      - .offset:         40
        .size:           4
        .value_kind:     by_value
      - .offset:         44
        .size:           1
        .value_kind:     by_value
      - .offset:         48
        .size:           4
        .value_kind:     hidden_block_count_x
      - .offset:         52
        .size:           4
        .value_kind:     hidden_block_count_y
      - .offset:         56
        .size:           4
        .value_kind:     hidden_block_count_z
      - .offset:         60
        .size:           2
        .value_kind:     hidden_group_size_x
      - .offset:         62
        .size:           2
        .value_kind:     hidden_group_size_y
      - .offset:         64
        .size:           2
        .value_kind:     hidden_group_size_z
      - .offset:         66
        .size:           2
        .value_kind:     hidden_remainder_x
      - .offset:         68
        .size:           2
        .value_kind:     hidden_remainder_y
      - .offset:         70
        .size:           2
        .value_kind:     hidden_remainder_z
      - .offset:         88
        .size:           8
        .value_kind:     hidden_global_offset_x
      - .offset:         96
        .size:           8
        .value_kind:     hidden_global_offset_y
      - .offset:         104
        .size:           8
        .value_kind:     hidden_global_offset_z
      - .offset:         112
        .size:           2
        .value_kind:     hidden_grid_dims
    .group_segment_fixed_size: 0
    .kernarg_segment_align: 8
    .kernarg_segment_size: 304
    .language:       OpenCL C
    .language_version:
      - 2
      - 0
    .max_flat_workgroup_size: 1024
    .name:           _ZN12_GLOBAL__N_120softmax_warp_forwardIN3c104HalfES2_fLi5ELb0ELb1ELi64EEEvPT0_PKT_iiiPKbib
    .private_segment_fixed_size: 0
    .sgpr_count:     22
    .sgpr_spill_count: 0
    .symbol:         _ZN12_GLOBAL__N_120softmax_warp_forwardIN3c104HalfES2_fLi5ELb0ELb1ELi64EEEvPT0_PKT_iiiPKbib.kd
    .uniform_work_group_size: 1
    .uses_dynamic_stack: false
    .vgpr_count:     20
    .vgpr_spill_count: 0
    .wavefront_size: 64
  - .agpr_count:     0
    .args:
      - .address_space:  global
        .offset:         0
        .size:           8
        .value_kind:     global_buffer
      - .address_space:  global
        .offset:         8
        .size:           8
        .value_kind:     global_buffer
      - .offset:         16
        .size:           4
        .value_kind:     by_value
      - .offset:         20
        .size:           4
        .value_kind:     by_value
      - .offset:         24
        .size:           4
        .value_kind:     by_value
      - .address_space:  global
        .offset:         32
        .size:           8
        .value_kind:     global_buffer
      - .offset:         40
        .size:           4
        .value_kind:     by_value
      - .offset:         44
        .size:           1
        .value_kind:     by_value
      - .offset:         48
        .size:           4
        .value_kind:     hidden_block_count_x
      - .offset:         52
        .size:           4
        .value_kind:     hidden_block_count_y
      - .offset:         56
        .size:           4
        .value_kind:     hidden_block_count_z
      - .offset:         60
        .size:           2
        .value_kind:     hidden_group_size_x
      - .offset:         62
        .size:           2
        .value_kind:     hidden_group_size_y
      - .offset:         64
        .size:           2
        .value_kind:     hidden_group_size_z
      - .offset:         66
        .size:           2
        .value_kind:     hidden_remainder_x
      - .offset:         68
        .size:           2
        .value_kind:     hidden_remainder_y
      - .offset:         70
        .size:           2
        .value_kind:     hidden_remainder_z
      - .offset:         88
        .size:           8
        .value_kind:     hidden_global_offset_x
      - .offset:         96
        .size:           8
        .value_kind:     hidden_global_offset_y
      - .offset:         104
        .size:           8
        .value_kind:     hidden_global_offset_z
      - .offset:         112
        .size:           2
        .value_kind:     hidden_grid_dims
    .group_segment_fixed_size: 0
    .kernarg_segment_align: 8
    .kernarg_segment_size: 304
    .language:       OpenCL C
    .language_version:
      - 2
      - 0
    .max_flat_workgroup_size: 1024
    .name:           _ZN12_GLOBAL__N_120softmax_warp_forwardIN3c104HalfES2_fLi5ELb0ELb1ELi32EEEvPT0_PKT_iiiPKbib
    .private_segment_fixed_size: 0
    .sgpr_count:     22
    .sgpr_spill_count: 0
    .symbol:         _ZN12_GLOBAL__N_120softmax_warp_forwardIN3c104HalfES2_fLi5ELb0ELb1ELi32EEEvPT0_PKT_iiiPKbib.kd
    .uniform_work_group_size: 1
    .uses_dynamic_stack: false
    .vgpr_count:     20
    .vgpr_spill_count: 0
    .wavefront_size: 64
  - .agpr_count:     0
    .args:
      - .address_space:  global
        .offset:         0
        .size:           8
        .value_kind:     global_buffer
      - .address_space:  global
        .offset:         8
        .size:           8
        .value_kind:     global_buffer
      - .offset:         16
        .size:           4
        .value_kind:     by_value
      - .offset:         20
        .size:           4
        .value_kind:     by_value
      - .offset:         24
        .size:           4
        .value_kind:     by_value
      - .address_space:  global
        .offset:         32
        .size:           8
        .value_kind:     global_buffer
      - .offset:         40
        .size:           4
        .value_kind:     by_value
      - .offset:         44
        .size:           1
        .value_kind:     by_value
      - .offset:         48
        .size:           4
        .value_kind:     hidden_block_count_x
      - .offset:         52
        .size:           4
        .value_kind:     hidden_block_count_y
      - .offset:         56
        .size:           4
        .value_kind:     hidden_block_count_z
      - .offset:         60
        .size:           2
        .value_kind:     hidden_group_size_x
      - .offset:         62
        .size:           2
        .value_kind:     hidden_group_size_y
      - .offset:         64
        .size:           2
        .value_kind:     hidden_group_size_z
      - .offset:         66
        .size:           2
        .value_kind:     hidden_remainder_x
      - .offset:         68
        .size:           2
        .value_kind:     hidden_remainder_y
      - .offset:         70
        .size:           2
        .value_kind:     hidden_remainder_z
      - .offset:         88
        .size:           8
        .value_kind:     hidden_global_offset_x
      - .offset:         96
        .size:           8
        .value_kind:     hidden_global_offset_y
      - .offset:         104
        .size:           8
        .value_kind:     hidden_global_offset_z
      - .offset:         112
        .size:           2
        .value_kind:     hidden_grid_dims
    .group_segment_fixed_size: 0
    .kernarg_segment_align: 8
    .kernarg_segment_size: 304
    .language:       OpenCL C
    .language_version:
      - 2
      - 0
    .max_flat_workgroup_size: 1024
    .name:           _ZN12_GLOBAL__N_120softmax_warp_forwardIN3c104HalfES2_fLi6ELb0ELb1ELi64EEEvPT0_PKT_iiiPKbib
    .private_segment_fixed_size: 0
    .sgpr_count:     22
    .sgpr_spill_count: 0
    .symbol:         _ZN12_GLOBAL__N_120softmax_warp_forwardIN3c104HalfES2_fLi6ELb0ELb1ELi64EEEvPT0_PKT_iiiPKbib.kd
    .uniform_work_group_size: 1
    .uses_dynamic_stack: false
    .vgpr_count:     21
    .vgpr_spill_count: 0
    .wavefront_size: 64
  - .agpr_count:     0
    .args:
      - .address_space:  global
        .offset:         0
        .size:           8
        .value_kind:     global_buffer
      - .address_space:  global
        .offset:         8
        .size:           8
        .value_kind:     global_buffer
      - .offset:         16
        .size:           4
        .value_kind:     by_value
      - .offset:         20
        .size:           4
        .value_kind:     by_value
      - .offset:         24
        .size:           4
        .value_kind:     by_value
      - .address_space:  global
        .offset:         32
        .size:           8
        .value_kind:     global_buffer
      - .offset:         40
        .size:           4
        .value_kind:     by_value
      - .offset:         44
        .size:           1
        .value_kind:     by_value
      - .offset:         48
        .size:           4
        .value_kind:     hidden_block_count_x
      - .offset:         52
        .size:           4
        .value_kind:     hidden_block_count_y
      - .offset:         56
        .size:           4
        .value_kind:     hidden_block_count_z
      - .offset:         60
        .size:           2
        .value_kind:     hidden_group_size_x
      - .offset:         62
        .size:           2
        .value_kind:     hidden_group_size_y
      - .offset:         64
        .size:           2
        .value_kind:     hidden_group_size_z
      - .offset:         66
        .size:           2
        .value_kind:     hidden_remainder_x
      - .offset:         68
        .size:           2
        .value_kind:     hidden_remainder_y
      - .offset:         70
        .size:           2
        .value_kind:     hidden_remainder_z
      - .offset:         88
        .size:           8
        .value_kind:     hidden_global_offset_x
      - .offset:         96
        .size:           8
        .value_kind:     hidden_global_offset_y
      - .offset:         104
        .size:           8
        .value_kind:     hidden_global_offset_z
      - .offset:         112
        .size:           2
        .value_kind:     hidden_grid_dims
    .group_segment_fixed_size: 0
    .kernarg_segment_align: 8
    .kernarg_segment_size: 304
    .language:       OpenCL C
    .language_version:
      - 2
      - 0
    .max_flat_workgroup_size: 1024
    .name:           _ZN12_GLOBAL__N_120softmax_warp_forwardIN3c104HalfES2_fLi6ELb0ELb1ELi32EEEvPT0_PKT_iiiPKbib
    .private_segment_fixed_size: 0
    .sgpr_count:     32
    .sgpr_spill_count: 0
    .symbol:         _ZN12_GLOBAL__N_120softmax_warp_forwardIN3c104HalfES2_fLi6ELb0ELb1ELi32EEEvPT0_PKT_iiiPKbib.kd
    .uniform_work_group_size: 1
    .uses_dynamic_stack: false
    .vgpr_count:     22
    .vgpr_spill_count: 0
    .wavefront_size: 64
  - .agpr_count:     0
    .args:
      - .address_space:  global
        .offset:         0
        .size:           8
        .value_kind:     global_buffer
      - .address_space:  global
        .offset:         8
        .size:           8
        .value_kind:     global_buffer
      - .offset:         16
        .size:           4
        .value_kind:     by_value
      - .offset:         20
        .size:           4
        .value_kind:     by_value
      - .offset:         24
        .size:           4
        .value_kind:     by_value
      - .address_space:  global
        .offset:         32
        .size:           8
        .value_kind:     global_buffer
      - .offset:         40
        .size:           4
        .value_kind:     by_value
      - .offset:         44
        .size:           1
        .value_kind:     by_value
      - .offset:         48
        .size:           4
        .value_kind:     hidden_block_count_x
      - .offset:         52
        .size:           4
        .value_kind:     hidden_block_count_y
      - .offset:         56
        .size:           4
        .value_kind:     hidden_block_count_z
      - .offset:         60
        .size:           2
        .value_kind:     hidden_group_size_x
      - .offset:         62
        .size:           2
        .value_kind:     hidden_group_size_y
      - .offset:         64
        .size:           2
        .value_kind:     hidden_group_size_z
      - .offset:         66
        .size:           2
        .value_kind:     hidden_remainder_x
      - .offset:         68
        .size:           2
        .value_kind:     hidden_remainder_y
      - .offset:         70
        .size:           2
        .value_kind:     hidden_remainder_z
      - .offset:         88
        .size:           8
        .value_kind:     hidden_global_offset_x
      - .offset:         96
        .size:           8
        .value_kind:     hidden_global_offset_y
      - .offset:         104
        .size:           8
        .value_kind:     hidden_global_offset_z
      - .offset:         112
        .size:           2
        .value_kind:     hidden_grid_dims
    .group_segment_fixed_size: 0
    .kernarg_segment_align: 8
    .kernarg_segment_size: 304
    .language:       OpenCL C
    .language_version:
      - 2
      - 0
    .max_flat_workgroup_size: 1024
    .name:           _ZN12_GLOBAL__N_120softmax_warp_forwardIN3c104HalfES2_fLi7ELb0ELb1ELi64EEEvPT0_PKT_iiiPKbib
    .private_segment_fixed_size: 0
    .sgpr_count:     32
    .sgpr_spill_count: 0
    .symbol:         _ZN12_GLOBAL__N_120softmax_warp_forwardIN3c104HalfES2_fLi7ELb0ELb1ELi64EEEvPT0_PKT_iiiPKbib.kd
    .uniform_work_group_size: 1
    .uses_dynamic_stack: false
    .vgpr_count:     23
    .vgpr_spill_count: 0
    .wavefront_size: 64
  - .agpr_count:     0
    .args:
      - .address_space:  global
        .offset:         0
        .size:           8
        .value_kind:     global_buffer
      - .address_space:  global
        .offset:         8
        .size:           8
        .value_kind:     global_buffer
      - .offset:         16
        .size:           4
        .value_kind:     by_value
      - .offset:         20
        .size:           4
        .value_kind:     by_value
      - .offset:         24
        .size:           4
        .value_kind:     by_value
      - .address_space:  global
        .offset:         32
        .size:           8
        .value_kind:     global_buffer
      - .offset:         40
        .size:           4
        .value_kind:     by_value
      - .offset:         44
        .size:           1
        .value_kind:     by_value
      - .offset:         48
        .size:           4
        .value_kind:     hidden_block_count_x
      - .offset:         52
        .size:           4
        .value_kind:     hidden_block_count_y
      - .offset:         56
        .size:           4
        .value_kind:     hidden_block_count_z
      - .offset:         60
        .size:           2
        .value_kind:     hidden_group_size_x
      - .offset:         62
        .size:           2
        .value_kind:     hidden_group_size_y
      - .offset:         64
        .size:           2
        .value_kind:     hidden_group_size_z
      - .offset:         66
        .size:           2
        .value_kind:     hidden_remainder_x
      - .offset:         68
        .size:           2
        .value_kind:     hidden_remainder_y
      - .offset:         70
        .size:           2
        .value_kind:     hidden_remainder_z
      - .offset:         88
        .size:           8
        .value_kind:     hidden_global_offset_x
      - .offset:         96
        .size:           8
        .value_kind:     hidden_global_offset_y
      - .offset:         104
        .size:           8
        .value_kind:     hidden_global_offset_z
      - .offset:         112
        .size:           2
        .value_kind:     hidden_grid_dims
    .group_segment_fixed_size: 0
    .kernarg_segment_align: 8
    .kernarg_segment_size: 304
    .language:       OpenCL C
    .language_version:
      - 2
      - 0
    .max_flat_workgroup_size: 1024
    .name:           _ZN12_GLOBAL__N_120softmax_warp_forwardIN3c104HalfES2_fLi7ELb0ELb1ELi32EEEvPT0_PKT_iiiPKbib
    .private_segment_fixed_size: 0
    .sgpr_count:     46
    .sgpr_spill_count: 0
    .symbol:         _ZN12_GLOBAL__N_120softmax_warp_forwardIN3c104HalfES2_fLi7ELb0ELb1ELi32EEEvPT0_PKT_iiiPKbib.kd
    .uniform_work_group_size: 1
    .uses_dynamic_stack: false
    .vgpr_count:     27
    .vgpr_spill_count: 0
    .wavefront_size: 64
  - .agpr_count:     0
    .args:
      - .address_space:  global
        .offset:         0
        .size:           8
        .value_kind:     global_buffer
      - .address_space:  global
        .offset:         8
        .size:           8
        .value_kind:     global_buffer
      - .offset:         16
        .size:           4
        .value_kind:     by_value
      - .offset:         20
        .size:           4
        .value_kind:     by_value
      - .offset:         24
        .size:           4
        .value_kind:     by_value
      - .address_space:  global
        .offset:         32
        .size:           8
        .value_kind:     global_buffer
      - .offset:         40
        .size:           4
        .value_kind:     by_value
      - .offset:         44
        .size:           1
        .value_kind:     by_value
      - .offset:         48
        .size:           4
        .value_kind:     hidden_block_count_x
      - .offset:         52
        .size:           4
        .value_kind:     hidden_block_count_y
      - .offset:         56
        .size:           4
        .value_kind:     hidden_block_count_z
      - .offset:         60
        .size:           2
        .value_kind:     hidden_group_size_x
      - .offset:         62
        .size:           2
        .value_kind:     hidden_group_size_y
      - .offset:         64
        .size:           2
        .value_kind:     hidden_group_size_z
      - .offset:         66
        .size:           2
        .value_kind:     hidden_remainder_x
      - .offset:         68
        .size:           2
        .value_kind:     hidden_remainder_y
      - .offset:         70
        .size:           2
        .value_kind:     hidden_remainder_z
      - .offset:         88
        .size:           8
        .value_kind:     hidden_global_offset_x
      - .offset:         96
        .size:           8
        .value_kind:     hidden_global_offset_y
      - .offset:         104
        .size:           8
        .value_kind:     hidden_global_offset_z
      - .offset:         112
        .size:           2
        .value_kind:     hidden_grid_dims
    .group_segment_fixed_size: 0
    .kernarg_segment_align: 8
    .kernarg_segment_size: 304
    .language:       OpenCL C
    .language_version:
      - 2
      - 0
    .max_flat_workgroup_size: 1024
    .name:           _ZN12_GLOBAL__N_120softmax_warp_forwardIN3c104HalfES2_fLi8ELb0ELb1ELi64EEEvPT0_PKT_iiiPKbib
    .private_segment_fixed_size: 0
    .sgpr_count:     30
    .sgpr_spill_count: 0
    .symbol:         _ZN12_GLOBAL__N_120softmax_warp_forwardIN3c104HalfES2_fLi8ELb0ELb1ELi64EEEvPT0_PKT_iiiPKbib.kd
    .uniform_work_group_size: 1
    .uses_dynamic_stack: false
    .vgpr_count:     21
    .vgpr_spill_count: 0
    .wavefront_size: 64
  - .agpr_count:     0
    .args:
      - .address_space:  global
        .offset:         0
        .size:           8
        .value_kind:     global_buffer
      - .address_space:  global
        .offset:         8
        .size:           8
        .value_kind:     global_buffer
      - .offset:         16
        .size:           4
        .value_kind:     by_value
      - .offset:         20
        .size:           4
        .value_kind:     by_value
      - .offset:         24
        .size:           4
        .value_kind:     by_value
      - .address_space:  global
        .offset:         32
        .size:           8
        .value_kind:     global_buffer
      - .offset:         40
        .size:           4
        .value_kind:     by_value
      - .offset:         44
        .size:           1
        .value_kind:     by_value
      - .offset:         48
        .size:           4
        .value_kind:     hidden_block_count_x
      - .offset:         52
        .size:           4
        .value_kind:     hidden_block_count_y
      - .offset:         56
        .size:           4
        .value_kind:     hidden_block_count_z
      - .offset:         60
        .size:           2
        .value_kind:     hidden_group_size_x
      - .offset:         62
        .size:           2
        .value_kind:     hidden_group_size_y
      - .offset:         64
        .size:           2
        .value_kind:     hidden_group_size_z
      - .offset:         66
        .size:           2
        .value_kind:     hidden_remainder_x
      - .offset:         68
        .size:           2
        .value_kind:     hidden_remainder_y
      - .offset:         70
        .size:           2
        .value_kind:     hidden_remainder_z
      - .offset:         88
        .size:           8
        .value_kind:     hidden_global_offset_x
      - .offset:         96
        .size:           8
        .value_kind:     hidden_global_offset_y
      - .offset:         104
        .size:           8
        .value_kind:     hidden_global_offset_z
      - .offset:         112
        .size:           2
        .value_kind:     hidden_grid_dims
    .group_segment_fixed_size: 0
    .kernarg_segment_align: 8
    .kernarg_segment_size: 304
    .language:       OpenCL C
    .language_version:
      - 2
      - 0
    .max_flat_workgroup_size: 1024
    .name:           _ZN12_GLOBAL__N_120softmax_warp_forwardIN3c104HalfES2_fLi8ELb0ELb1ELi32EEEvPT0_PKT_iiiPKbib
    .private_segment_fixed_size: 0
    .sgpr_count:     48
    .sgpr_spill_count: 0
    .symbol:         _ZN12_GLOBAL__N_120softmax_warp_forwardIN3c104HalfES2_fLi8ELb0ELb1ELi32EEEvPT0_PKT_iiiPKbib.kd
    .uniform_work_group_size: 1
    .uses_dynamic_stack: false
    .vgpr_count:     24
    .vgpr_spill_count: 0
    .wavefront_size: 64
  - .agpr_count:     0
    .args:
      - .address_space:  global
        .offset:         0
        .size:           8
        .value_kind:     global_buffer
      - .address_space:  global
        .offset:         8
        .size:           8
        .value_kind:     global_buffer
      - .offset:         16
        .size:           4
        .value_kind:     by_value
      - .offset:         20
        .size:           4
        .value_kind:     by_value
      - .offset:         24
        .size:           4
        .value_kind:     by_value
      - .address_space:  global
        .offset:         32
        .size:           8
        .value_kind:     global_buffer
      - .offset:         40
        .size:           4
        .value_kind:     by_value
      - .offset:         44
        .size:           1
        .value_kind:     by_value
      - .offset:         48
        .size:           4
        .value_kind:     hidden_block_count_x
      - .offset:         52
        .size:           4
        .value_kind:     hidden_block_count_y
      - .offset:         56
        .size:           4
        .value_kind:     hidden_block_count_z
      - .offset:         60
        .size:           2
        .value_kind:     hidden_group_size_x
      - .offset:         62
        .size:           2
        .value_kind:     hidden_group_size_y
      - .offset:         64
        .size:           2
        .value_kind:     hidden_group_size_z
      - .offset:         66
        .size:           2
        .value_kind:     hidden_remainder_x
      - .offset:         68
        .size:           2
        .value_kind:     hidden_remainder_y
      - .offset:         70
        .size:           2
        .value_kind:     hidden_remainder_z
      - .offset:         88
        .size:           8
        .value_kind:     hidden_global_offset_x
      - .offset:         96
        .size:           8
        .value_kind:     hidden_global_offset_y
      - .offset:         104
        .size:           8
        .value_kind:     hidden_global_offset_z
      - .offset:         112
        .size:           2
        .value_kind:     hidden_grid_dims
    .group_segment_fixed_size: 0
    .kernarg_segment_align: 8
    .kernarg_segment_size: 304
    .language:       OpenCL C
    .language_version:
      - 2
      - 0
    .max_flat_workgroup_size: 1024
    .name:           _ZN12_GLOBAL__N_120softmax_warp_forwardIN3c104HalfES2_fLi9ELb0ELb1ELi64EEEvPT0_PKT_iiiPKbib
    .private_segment_fixed_size: 0
    .sgpr_count:     48
    .sgpr_spill_count: 0
    .symbol:         _ZN12_GLOBAL__N_120softmax_warp_forwardIN3c104HalfES2_fLi9ELb0ELb1ELi64EEEvPT0_PKT_iiiPKbib.kd
    .uniform_work_group_size: 1
    .uses_dynamic_stack: false
    .vgpr_count:     25
    .vgpr_spill_count: 0
    .wavefront_size: 64
  - .agpr_count:     0
    .args:
      - .address_space:  global
        .offset:         0
        .size:           8
        .value_kind:     global_buffer
      - .address_space:  global
        .offset:         8
        .size:           8
        .value_kind:     global_buffer
      - .offset:         16
        .size:           4
        .value_kind:     by_value
      - .offset:         20
        .size:           4
        .value_kind:     by_value
      - .offset:         24
        .size:           4
        .value_kind:     by_value
      - .address_space:  global
        .offset:         32
        .size:           8
        .value_kind:     global_buffer
      - .offset:         40
        .size:           4
        .value_kind:     by_value
      - .offset:         44
        .size:           1
        .value_kind:     by_value
      - .offset:         48
        .size:           4
        .value_kind:     hidden_block_count_x
      - .offset:         52
        .size:           4
        .value_kind:     hidden_block_count_y
      - .offset:         56
        .size:           4
        .value_kind:     hidden_block_count_z
      - .offset:         60
        .size:           2
        .value_kind:     hidden_group_size_x
      - .offset:         62
        .size:           2
        .value_kind:     hidden_group_size_y
      - .offset:         64
        .size:           2
        .value_kind:     hidden_group_size_z
      - .offset:         66
        .size:           2
        .value_kind:     hidden_remainder_x
      - .offset:         68
        .size:           2
        .value_kind:     hidden_remainder_y
      - .offset:         70
        .size:           2
        .value_kind:     hidden_remainder_z
      - .offset:         88
        .size:           8
        .value_kind:     hidden_global_offset_x
      - .offset:         96
        .size:           8
        .value_kind:     hidden_global_offset_y
      - .offset:         104
        .size:           8
        .value_kind:     hidden_global_offset_z
      - .offset:         112
        .size:           2
        .value_kind:     hidden_grid_dims
    .group_segment_fixed_size: 0
    .kernarg_segment_align: 8
    .kernarg_segment_size: 304
    .language:       OpenCL C
    .language_version:
      - 2
      - 0
    .max_flat_workgroup_size: 1024
    .name:           _ZN12_GLOBAL__N_120softmax_warp_forwardIN3c104HalfES2_fLi9ELb0ELb1ELi32EEEvPT0_PKT_iiiPKbib
    .private_segment_fixed_size: 0
    .sgpr_count:     80
    .sgpr_spill_count: 0
    .symbol:         _ZN12_GLOBAL__N_120softmax_warp_forwardIN3c104HalfES2_fLi9ELb0ELb1ELi32EEEvPT0_PKT_iiiPKbib.kd
    .uniform_work_group_size: 1
    .uses_dynamic_stack: false
    .vgpr_count:     32
    .vgpr_spill_count: 0
    .wavefront_size: 64
  - .agpr_count:     0
    .args:
      - .address_space:  global
        .offset:         0
        .size:           8
        .value_kind:     global_buffer
      - .address_space:  global
        .offset:         8
        .size:           8
        .value_kind:     global_buffer
      - .offset:         16
        .size:           4
        .value_kind:     by_value
      - .offset:         20
        .size:           4
        .value_kind:     by_value
      - .offset:         24
        .size:           4
        .value_kind:     by_value
      - .address_space:  global
        .offset:         32
        .size:           8
        .value_kind:     global_buffer
      - .offset:         40
        .size:           4
        .value_kind:     by_value
      - .offset:         44
        .size:           1
        .value_kind:     by_value
      - .offset:         48
        .size:           4
        .value_kind:     hidden_block_count_x
      - .offset:         52
        .size:           4
        .value_kind:     hidden_block_count_y
      - .offset:         56
        .size:           4
        .value_kind:     hidden_block_count_z
      - .offset:         60
        .size:           2
        .value_kind:     hidden_group_size_x
      - .offset:         62
        .size:           2
        .value_kind:     hidden_group_size_y
      - .offset:         64
        .size:           2
        .value_kind:     hidden_group_size_z
      - .offset:         66
        .size:           2
        .value_kind:     hidden_remainder_x
      - .offset:         68
        .size:           2
        .value_kind:     hidden_remainder_y
      - .offset:         70
        .size:           2
        .value_kind:     hidden_remainder_z
      - .offset:         88
        .size:           8
        .value_kind:     hidden_global_offset_x
      - .offset:         96
        .size:           8
        .value_kind:     hidden_global_offset_y
      - .offset:         104
        .size:           8
        .value_kind:     hidden_global_offset_z
      - .offset:         112
        .size:           2
        .value_kind:     hidden_grid_dims
    .group_segment_fixed_size: 0
    .kernarg_segment_align: 8
    .kernarg_segment_size: 304
    .language:       OpenCL C
    .language_version:
      - 2
      - 0
    .max_flat_workgroup_size: 1024
    .name:           _ZN12_GLOBAL__N_120softmax_warp_forwardIN3c104HalfES2_fLi10ELb0ELb1ELi64EEEvPT0_PKT_iiiPKbib
    .private_segment_fixed_size: 0
    .sgpr_count:     80
    .sgpr_spill_count: 0
    .symbol:         _ZN12_GLOBAL__N_120softmax_warp_forwardIN3c104HalfES2_fLi10ELb0ELb1ELi64EEEvPT0_PKT_iiiPKbib.kd
    .uniform_work_group_size: 1
    .uses_dynamic_stack: false
    .vgpr_count:     33
    .vgpr_spill_count: 0
    .wavefront_size: 64
  - .agpr_count:     0
    .args:
      - .address_space:  global
        .offset:         0
        .size:           8
        .value_kind:     global_buffer
      - .address_space:  global
        .offset:         8
        .size:           8
        .value_kind:     global_buffer
      - .offset:         16
        .size:           4
        .value_kind:     by_value
      - .offset:         20
        .size:           4
        .value_kind:     by_value
      - .offset:         24
        .size:           4
        .value_kind:     by_value
      - .address_space:  global
        .offset:         32
        .size:           8
        .value_kind:     global_buffer
      - .offset:         40
        .size:           4
        .value_kind:     by_value
      - .offset:         44
        .size:           1
        .value_kind:     by_value
      - .offset:         48
        .size:           4
        .value_kind:     hidden_block_count_x
      - .offset:         52
        .size:           4
        .value_kind:     hidden_block_count_y
      - .offset:         56
        .size:           4
        .value_kind:     hidden_block_count_z
      - .offset:         60
        .size:           2
        .value_kind:     hidden_group_size_x
      - .offset:         62
        .size:           2
        .value_kind:     hidden_group_size_y
      - .offset:         64
        .size:           2
        .value_kind:     hidden_group_size_z
      - .offset:         66
        .size:           2
        .value_kind:     hidden_remainder_x
      - .offset:         68
        .size:           2
        .value_kind:     hidden_remainder_y
      - .offset:         70
        .size:           2
        .value_kind:     hidden_remainder_z
      - .offset:         88
        .size:           8
        .value_kind:     hidden_global_offset_x
      - .offset:         96
        .size:           8
        .value_kind:     hidden_global_offset_y
      - .offset:         104
        .size:           8
        .value_kind:     hidden_global_offset_z
      - .offset:         112
        .size:           2
        .value_kind:     hidden_grid_dims
    .group_segment_fixed_size: 0
    .kernarg_segment_align: 8
    .kernarg_segment_size: 304
    .language:       OpenCL C
    .language_version:
      - 2
      - 0
    .max_flat_workgroup_size: 1024
    .name:           _ZN12_GLOBAL__N_120softmax_warp_forwardIN3c104HalfES2_fLi10ELb0ELb1ELi32EEEvPT0_PKT_iiiPKbib
    .private_segment_fixed_size: 0
    .sgpr_count:     100
    .sgpr_spill_count: 46
    .symbol:         _ZN12_GLOBAL__N_120softmax_warp_forwardIN3c104HalfES2_fLi10ELb0ELb1ELi32EEEvPT0_PKT_iiiPKbib.kd
    .uniform_work_group_size: 1
    .uses_dynamic_stack: false
    .vgpr_count:     49
    .vgpr_spill_count: 0
    .wavefront_size: 64
  - .agpr_count:     0
    .args:
      - .address_space:  global
        .offset:         0
        .size:           8
        .value_kind:     global_buffer
      - .address_space:  global
        .offset:         8
        .size:           8
        .value_kind:     global_buffer
      - .offset:         16
        .size:           4
        .value_kind:     by_value
      - .offset:         20
        .size:           4
        .value_kind:     by_value
      - .offset:         24
        .size:           4
        .value_kind:     by_value
      - .address_space:  global
        .offset:         32
        .size:           8
        .value_kind:     global_buffer
      - .offset:         40
        .size:           4
        .value_kind:     by_value
      - .offset:         44
        .size:           1
        .value_kind:     by_value
      - .offset:         48
        .size:           4
        .value_kind:     hidden_block_count_x
      - .offset:         52
        .size:           4
        .value_kind:     hidden_block_count_y
      - .offset:         56
        .size:           4
        .value_kind:     hidden_block_count_z
      - .offset:         60
        .size:           2
        .value_kind:     hidden_group_size_x
      - .offset:         62
        .size:           2
        .value_kind:     hidden_group_size_y
      - .offset:         64
        .size:           2
        .value_kind:     hidden_group_size_z
      - .offset:         66
        .size:           2
        .value_kind:     hidden_remainder_x
      - .offset:         68
        .size:           2
        .value_kind:     hidden_remainder_y
      - .offset:         70
        .size:           2
        .value_kind:     hidden_remainder_z
      - .offset:         88
        .size:           8
        .value_kind:     hidden_global_offset_x
      - .offset:         96
        .size:           8
        .value_kind:     hidden_global_offset_y
      - .offset:         104
        .size:           8
        .value_kind:     hidden_global_offset_z
      - .offset:         112
        .size:           2
        .value_kind:     hidden_grid_dims
    .group_segment_fixed_size: 0
    .kernarg_segment_align: 8
    .kernarg_segment_size: 304
    .language:       OpenCL C
    .language_version:
      - 2
      - 0
    .max_flat_workgroup_size: 1024
    .name:           _ZN12_GLOBAL__N_120softmax_warp_forwardIN3c104HalfES2_fLi11ELb0ELb1ELi64EEEvPT0_PKT_iiiPKbib
    .private_segment_fixed_size: 0
    .sgpr_count:     100
    .sgpr_spill_count: 46
    .symbol:         _ZN12_GLOBAL__N_120softmax_warp_forwardIN3c104HalfES2_fLi11ELb0ELb1ELi64EEEvPT0_PKT_iiiPKbib.kd
    .uniform_work_group_size: 1
    .uses_dynamic_stack: false
    .vgpr_count:     50
    .vgpr_spill_count: 0
    .wavefront_size: 64
  - .agpr_count:     0
    .args:
      - .address_space:  global
        .offset:         0
        .size:           8
        .value_kind:     global_buffer
      - .address_space:  global
        .offset:         8
        .size:           8
        .value_kind:     global_buffer
      - .offset:         16
        .size:           4
        .value_kind:     by_value
      - .offset:         20
        .size:           4
        .value_kind:     by_value
      - .offset:         24
        .size:           4
        .value_kind:     by_value
      - .address_space:  global
        .offset:         32
        .size:           8
        .value_kind:     global_buffer
      - .offset:         40
        .size:           4
        .value_kind:     by_value
      - .offset:         44
        .size:           1
        .value_kind:     by_value
      - .offset:         48
        .size:           4
        .value_kind:     hidden_block_count_x
      - .offset:         52
        .size:           4
        .value_kind:     hidden_block_count_y
      - .offset:         56
        .size:           4
        .value_kind:     hidden_block_count_z
      - .offset:         60
        .size:           2
        .value_kind:     hidden_group_size_x
      - .offset:         62
        .size:           2
        .value_kind:     hidden_group_size_y
      - .offset:         64
        .size:           2
        .value_kind:     hidden_group_size_z
      - .offset:         66
        .size:           2
        .value_kind:     hidden_remainder_x
      - .offset:         68
        .size:           2
        .value_kind:     hidden_remainder_y
      - .offset:         70
        .size:           2
        .value_kind:     hidden_remainder_z
      - .offset:         88
        .size:           8
        .value_kind:     hidden_global_offset_x
      - .offset:         96
        .size:           8
        .value_kind:     hidden_global_offset_y
      - .offset:         104
        .size:           8
        .value_kind:     hidden_global_offset_z
      - .offset:         112
        .size:           2
        .value_kind:     hidden_grid_dims
    .group_segment_fixed_size: 0
    .kernarg_segment_align: 8
    .kernarg_segment_size: 304
    .language:       OpenCL C
    .language_version:
      - 2
      - 0
    .max_flat_workgroup_size: 1024
    .name:           _ZN12_GLOBAL__N_120softmax_warp_forwardIN3c104HalfES2_fLi11ELb0ELb1ELi32EEEvPT0_PKT_iiiPKbib
    .private_segment_fixed_size: 0
    .sgpr_count:     100
    .sgpr_spill_count: 174
    .symbol:         _ZN12_GLOBAL__N_120softmax_warp_forwardIN3c104HalfES2_fLi11ELb0ELb1ELi32EEEvPT0_PKT_iiiPKbib.kd
    .uniform_work_group_size: 1
    .uses_dynamic_stack: false
    .vgpr_count:     83
    .vgpr_spill_count: 0
    .wavefront_size: 64
  - .agpr_count:     0
    .args:
      - .address_space:  global
        .offset:         0
        .size:           8
        .value_kind:     global_buffer
      - .address_space:  global
        .offset:         8
        .size:           8
        .value_kind:     global_buffer
      - .offset:         16
        .size:           4
        .value_kind:     by_value
      - .offset:         20
        .size:           4
        .value_kind:     by_value
      - .offset:         24
        .size:           4
        .value_kind:     by_value
      - .address_space:  global
        .offset:         32
        .size:           8
        .value_kind:     global_buffer
      - .offset:         40
        .size:           4
        .value_kind:     by_value
      - .offset:         44
        .size:           1
        .value_kind:     by_value
      - .offset:         48
        .size:           4
        .value_kind:     hidden_block_count_x
      - .offset:         52
        .size:           4
        .value_kind:     hidden_block_count_y
      - .offset:         56
        .size:           4
        .value_kind:     hidden_block_count_z
      - .offset:         60
        .size:           2
        .value_kind:     hidden_group_size_x
      - .offset:         62
        .size:           2
        .value_kind:     hidden_group_size_y
      - .offset:         64
        .size:           2
        .value_kind:     hidden_group_size_z
      - .offset:         66
        .size:           2
        .value_kind:     hidden_remainder_x
      - .offset:         68
        .size:           2
        .value_kind:     hidden_remainder_y
      - .offset:         70
        .size:           2
        .value_kind:     hidden_remainder_z
      - .offset:         88
        .size:           8
        .value_kind:     hidden_global_offset_x
      - .offset:         96
        .size:           8
        .value_kind:     hidden_global_offset_y
      - .offset:         104
        .size:           8
        .value_kind:     hidden_global_offset_z
      - .offset:         112
        .size:           2
        .value_kind:     hidden_grid_dims
    .group_segment_fixed_size: 0
    .kernarg_segment_align: 8
    .kernarg_segment_size: 304
    .language:       OpenCL C
    .language_version:
      - 2
      - 0
    .max_flat_workgroup_size: 1024
    .name:           _ZN12_GLOBAL__N_120softmax_warp_forwardIN3c108BFloat16ES2_fLi0ELb0ELb1ELi64EEEvPT0_PKT_iiiPKbib
    .private_segment_fixed_size: 0
    .sgpr_count:     22
    .sgpr_spill_count: 0
    .symbol:         _ZN12_GLOBAL__N_120softmax_warp_forwardIN3c108BFloat16ES2_fLi0ELb0ELb1ELi64EEEvPT0_PKT_iiiPKbib.kd
    .uniform_work_group_size: 1
    .uses_dynamic_stack: false
    .vgpr_count:     13
    .vgpr_spill_count: 0
    .wavefront_size: 64
  - .agpr_count:     0
    .args:
      - .address_space:  global
        .offset:         0
        .size:           8
        .value_kind:     global_buffer
      - .address_space:  global
        .offset:         8
        .size:           8
        .value_kind:     global_buffer
      - .offset:         16
        .size:           4
        .value_kind:     by_value
      - .offset:         20
        .size:           4
        .value_kind:     by_value
      - .offset:         24
        .size:           4
        .value_kind:     by_value
      - .address_space:  global
        .offset:         32
        .size:           8
        .value_kind:     global_buffer
      - .offset:         40
        .size:           4
        .value_kind:     by_value
      - .offset:         44
        .size:           1
        .value_kind:     by_value
      - .offset:         48
        .size:           4
        .value_kind:     hidden_block_count_x
      - .offset:         52
        .size:           4
        .value_kind:     hidden_block_count_y
      - .offset:         56
        .size:           4
        .value_kind:     hidden_block_count_z
      - .offset:         60
        .size:           2
        .value_kind:     hidden_group_size_x
      - .offset:         62
        .size:           2
        .value_kind:     hidden_group_size_y
      - .offset:         64
        .size:           2
        .value_kind:     hidden_group_size_z
      - .offset:         66
        .size:           2
        .value_kind:     hidden_remainder_x
      - .offset:         68
        .size:           2
        .value_kind:     hidden_remainder_y
      - .offset:         70
        .size:           2
        .value_kind:     hidden_remainder_z
      - .offset:         88
        .size:           8
        .value_kind:     hidden_global_offset_x
      - .offset:         96
        .size:           8
        .value_kind:     hidden_global_offset_y
      - .offset:         104
        .size:           8
        .value_kind:     hidden_global_offset_z
      - .offset:         112
        .size:           2
        .value_kind:     hidden_grid_dims
    .group_segment_fixed_size: 0
    .kernarg_segment_align: 8
    .kernarg_segment_size: 304
    .language:       OpenCL C
    .language_version:
      - 2
      - 0
    .max_flat_workgroup_size: 1024
    .name:           _ZN12_GLOBAL__N_120softmax_warp_forwardIN3c108BFloat16ES2_fLi0ELb0ELb1ELi32EEEvPT0_PKT_iiiPKbib
    .private_segment_fixed_size: 0
    .sgpr_count:     22
    .sgpr_spill_count: 0
    .symbol:         _ZN12_GLOBAL__N_120softmax_warp_forwardIN3c108BFloat16ES2_fLi0ELb0ELb1ELi32EEEvPT0_PKT_iiiPKbib.kd
    .uniform_work_group_size: 1
    .uses_dynamic_stack: false
    .vgpr_count:     13
    .vgpr_spill_count: 0
    .wavefront_size: 64
  - .agpr_count:     0
    .args:
      - .address_space:  global
        .offset:         0
        .size:           8
        .value_kind:     global_buffer
      - .address_space:  global
        .offset:         8
        .size:           8
        .value_kind:     global_buffer
      - .offset:         16
        .size:           4
        .value_kind:     by_value
      - .offset:         20
        .size:           4
        .value_kind:     by_value
      - .offset:         24
        .size:           4
        .value_kind:     by_value
      - .address_space:  global
        .offset:         32
        .size:           8
        .value_kind:     global_buffer
      - .offset:         40
        .size:           4
        .value_kind:     by_value
      - .offset:         44
        .size:           1
        .value_kind:     by_value
      - .offset:         48
        .size:           4
        .value_kind:     hidden_block_count_x
      - .offset:         52
        .size:           4
        .value_kind:     hidden_block_count_y
      - .offset:         56
        .size:           4
        .value_kind:     hidden_block_count_z
      - .offset:         60
        .size:           2
        .value_kind:     hidden_group_size_x
      - .offset:         62
        .size:           2
        .value_kind:     hidden_group_size_y
      - .offset:         64
        .size:           2
        .value_kind:     hidden_group_size_z
      - .offset:         66
        .size:           2
        .value_kind:     hidden_remainder_x
      - .offset:         68
        .size:           2
        .value_kind:     hidden_remainder_y
      - .offset:         70
        .size:           2
        .value_kind:     hidden_remainder_z
      - .offset:         88
        .size:           8
        .value_kind:     hidden_global_offset_x
      - .offset:         96
        .size:           8
        .value_kind:     hidden_global_offset_y
      - .offset:         104
        .size:           8
        .value_kind:     hidden_global_offset_z
      - .offset:         112
        .size:           2
        .value_kind:     hidden_grid_dims
    .group_segment_fixed_size: 0
    .kernarg_segment_align: 8
    .kernarg_segment_size: 304
    .language:       OpenCL C
    .language_version:
      - 2
      - 0
    .max_flat_workgroup_size: 1024
    .name:           _ZN12_GLOBAL__N_120softmax_warp_forwardIN3c108BFloat16ES2_fLi1ELb0ELb1ELi64EEEvPT0_PKT_iiiPKbib
    .private_segment_fixed_size: 0
    .sgpr_count:     22
    .sgpr_spill_count: 0
    .symbol:         _ZN12_GLOBAL__N_120softmax_warp_forwardIN3c108BFloat16ES2_fLi1ELb0ELb1ELi64EEEvPT0_PKT_iiiPKbib.kd
    .uniform_work_group_size: 1
    .uses_dynamic_stack: false
    .vgpr_count:     16
    .vgpr_spill_count: 0
    .wavefront_size: 64
  - .agpr_count:     0
    .args:
      - .address_space:  global
        .offset:         0
        .size:           8
        .value_kind:     global_buffer
      - .address_space:  global
        .offset:         8
        .size:           8
        .value_kind:     global_buffer
      - .offset:         16
        .size:           4
        .value_kind:     by_value
      - .offset:         20
        .size:           4
        .value_kind:     by_value
      - .offset:         24
        .size:           4
        .value_kind:     by_value
      - .address_space:  global
        .offset:         32
        .size:           8
        .value_kind:     global_buffer
      - .offset:         40
        .size:           4
        .value_kind:     by_value
      - .offset:         44
        .size:           1
        .value_kind:     by_value
      - .offset:         48
        .size:           4
        .value_kind:     hidden_block_count_x
      - .offset:         52
        .size:           4
        .value_kind:     hidden_block_count_y
      - .offset:         56
        .size:           4
        .value_kind:     hidden_block_count_z
      - .offset:         60
        .size:           2
        .value_kind:     hidden_group_size_x
      - .offset:         62
        .size:           2
        .value_kind:     hidden_group_size_y
      - .offset:         64
        .size:           2
        .value_kind:     hidden_group_size_z
      - .offset:         66
        .size:           2
        .value_kind:     hidden_remainder_x
      - .offset:         68
        .size:           2
        .value_kind:     hidden_remainder_y
      - .offset:         70
        .size:           2
        .value_kind:     hidden_remainder_z
      - .offset:         88
        .size:           8
        .value_kind:     hidden_global_offset_x
      - .offset:         96
        .size:           8
        .value_kind:     hidden_global_offset_y
      - .offset:         104
        .size:           8
        .value_kind:     hidden_global_offset_z
      - .offset:         112
        .size:           2
        .value_kind:     hidden_grid_dims
    .group_segment_fixed_size: 0
    .kernarg_segment_align: 8
    .kernarg_segment_size: 304
    .language:       OpenCL C
    .language_version:
      - 2
      - 0
    .max_flat_workgroup_size: 1024
    .name:           _ZN12_GLOBAL__N_120softmax_warp_forwardIN3c108BFloat16ES2_fLi1ELb0ELb1ELi32EEEvPT0_PKT_iiiPKbib
    .private_segment_fixed_size: 0
    .sgpr_count:     22
    .sgpr_spill_count: 0
    .symbol:         _ZN12_GLOBAL__N_120softmax_warp_forwardIN3c108BFloat16ES2_fLi1ELb0ELb1ELi32EEEvPT0_PKT_iiiPKbib.kd
    .uniform_work_group_size: 1
    .uses_dynamic_stack: false
    .vgpr_count:     16
    .vgpr_spill_count: 0
    .wavefront_size: 64
  - .agpr_count:     0
    .args:
      - .address_space:  global
        .offset:         0
        .size:           8
        .value_kind:     global_buffer
      - .address_space:  global
        .offset:         8
        .size:           8
        .value_kind:     global_buffer
      - .offset:         16
        .size:           4
        .value_kind:     by_value
      - .offset:         20
        .size:           4
        .value_kind:     by_value
      - .offset:         24
        .size:           4
        .value_kind:     by_value
      - .address_space:  global
        .offset:         32
        .size:           8
        .value_kind:     global_buffer
      - .offset:         40
        .size:           4
        .value_kind:     by_value
      - .offset:         44
        .size:           1
        .value_kind:     by_value
      - .offset:         48
        .size:           4
        .value_kind:     hidden_block_count_x
      - .offset:         52
        .size:           4
        .value_kind:     hidden_block_count_y
      - .offset:         56
        .size:           4
        .value_kind:     hidden_block_count_z
      - .offset:         60
        .size:           2
        .value_kind:     hidden_group_size_x
      - .offset:         62
        .size:           2
        .value_kind:     hidden_group_size_y
      - .offset:         64
        .size:           2
        .value_kind:     hidden_group_size_z
      - .offset:         66
        .size:           2
        .value_kind:     hidden_remainder_x
      - .offset:         68
        .size:           2
        .value_kind:     hidden_remainder_y
      - .offset:         70
        .size:           2
        .value_kind:     hidden_remainder_z
      - .offset:         88
        .size:           8
        .value_kind:     hidden_global_offset_x
      - .offset:         96
        .size:           8
        .value_kind:     hidden_global_offset_y
      - .offset:         104
        .size:           8
        .value_kind:     hidden_global_offset_z
      - .offset:         112
        .size:           2
        .value_kind:     hidden_grid_dims
    .group_segment_fixed_size: 0
    .kernarg_segment_align: 8
    .kernarg_segment_size: 304
    .language:       OpenCL C
    .language_version:
      - 2
      - 0
    .max_flat_workgroup_size: 1024
    .name:           _ZN12_GLOBAL__N_120softmax_warp_forwardIN3c108BFloat16ES2_fLi2ELb0ELb1ELi64EEEvPT0_PKT_iiiPKbib
    .private_segment_fixed_size: 0
    .sgpr_count:     22
    .sgpr_spill_count: 0
    .symbol:         _ZN12_GLOBAL__N_120softmax_warp_forwardIN3c108BFloat16ES2_fLi2ELb0ELb1ELi64EEEvPT0_PKT_iiiPKbib.kd
    .uniform_work_group_size: 1
    .uses_dynamic_stack: false
    .vgpr_count:     17
    .vgpr_spill_count: 0
    .wavefront_size: 64
  - .agpr_count:     0
    .args:
      - .address_space:  global
        .offset:         0
        .size:           8
        .value_kind:     global_buffer
      - .address_space:  global
        .offset:         8
        .size:           8
        .value_kind:     global_buffer
      - .offset:         16
        .size:           4
        .value_kind:     by_value
      - .offset:         20
        .size:           4
        .value_kind:     by_value
      - .offset:         24
        .size:           4
        .value_kind:     by_value
      - .address_space:  global
        .offset:         32
        .size:           8
        .value_kind:     global_buffer
      - .offset:         40
        .size:           4
        .value_kind:     by_value
      - .offset:         44
        .size:           1
        .value_kind:     by_value
      - .offset:         48
        .size:           4
        .value_kind:     hidden_block_count_x
      - .offset:         52
        .size:           4
        .value_kind:     hidden_block_count_y
      - .offset:         56
        .size:           4
        .value_kind:     hidden_block_count_z
      - .offset:         60
        .size:           2
        .value_kind:     hidden_group_size_x
      - .offset:         62
        .size:           2
        .value_kind:     hidden_group_size_y
      - .offset:         64
        .size:           2
        .value_kind:     hidden_group_size_z
      - .offset:         66
        .size:           2
        .value_kind:     hidden_remainder_x
      - .offset:         68
        .size:           2
        .value_kind:     hidden_remainder_y
      - .offset:         70
        .size:           2
        .value_kind:     hidden_remainder_z
      - .offset:         88
        .size:           8
        .value_kind:     hidden_global_offset_x
      - .offset:         96
        .size:           8
        .value_kind:     hidden_global_offset_y
      - .offset:         104
        .size:           8
        .value_kind:     hidden_global_offset_z
      - .offset:         112
        .size:           2
        .value_kind:     hidden_grid_dims
    .group_segment_fixed_size: 0
    .kernarg_segment_align: 8
    .kernarg_segment_size: 304
    .language:       OpenCL C
    .language_version:
      - 2
      - 0
    .max_flat_workgroup_size: 1024
    .name:           _ZN12_GLOBAL__N_120softmax_warp_forwardIN3c108BFloat16ES2_fLi2ELb0ELb1ELi32EEEvPT0_PKT_iiiPKbib
    .private_segment_fixed_size: 0
    .sgpr_count:     22
    .sgpr_spill_count: 0
    .symbol:         _ZN12_GLOBAL__N_120softmax_warp_forwardIN3c108BFloat16ES2_fLi2ELb0ELb1ELi32EEEvPT0_PKT_iiiPKbib.kd
    .uniform_work_group_size: 1
    .uses_dynamic_stack: false
    .vgpr_count:     17
    .vgpr_spill_count: 0
    .wavefront_size: 64
  - .agpr_count:     0
    .args:
      - .address_space:  global
        .offset:         0
        .size:           8
        .value_kind:     global_buffer
      - .address_space:  global
        .offset:         8
        .size:           8
        .value_kind:     global_buffer
      - .offset:         16
        .size:           4
        .value_kind:     by_value
      - .offset:         20
        .size:           4
        .value_kind:     by_value
      - .offset:         24
        .size:           4
        .value_kind:     by_value
      - .address_space:  global
        .offset:         32
        .size:           8
        .value_kind:     global_buffer
      - .offset:         40
        .size:           4
        .value_kind:     by_value
      - .offset:         44
        .size:           1
        .value_kind:     by_value
      - .offset:         48
        .size:           4
        .value_kind:     hidden_block_count_x
      - .offset:         52
        .size:           4
        .value_kind:     hidden_block_count_y
      - .offset:         56
        .size:           4
        .value_kind:     hidden_block_count_z
      - .offset:         60
        .size:           2
        .value_kind:     hidden_group_size_x
      - .offset:         62
        .size:           2
        .value_kind:     hidden_group_size_y
      - .offset:         64
        .size:           2
        .value_kind:     hidden_group_size_z
      - .offset:         66
        .size:           2
        .value_kind:     hidden_remainder_x
      - .offset:         68
        .size:           2
        .value_kind:     hidden_remainder_y
      - .offset:         70
        .size:           2
        .value_kind:     hidden_remainder_z
      - .offset:         88
        .size:           8
        .value_kind:     hidden_global_offset_x
      - .offset:         96
        .size:           8
        .value_kind:     hidden_global_offset_y
      - .offset:         104
        .size:           8
        .value_kind:     hidden_global_offset_z
      - .offset:         112
        .size:           2
        .value_kind:     hidden_grid_dims
    .group_segment_fixed_size: 0
    .kernarg_segment_align: 8
    .kernarg_segment_size: 304
    .language:       OpenCL C
    .language_version:
      - 2
      - 0
    .max_flat_workgroup_size: 1024
    .name:           _ZN12_GLOBAL__N_120softmax_warp_forwardIN3c108BFloat16ES2_fLi3ELb0ELb1ELi64EEEvPT0_PKT_iiiPKbib
    .private_segment_fixed_size: 0
    .sgpr_count:     22
    .sgpr_spill_count: 0
    .symbol:         _ZN12_GLOBAL__N_120softmax_warp_forwardIN3c108BFloat16ES2_fLi3ELb0ELb1ELi64EEEvPT0_PKT_iiiPKbib.kd
    .uniform_work_group_size: 1
    .uses_dynamic_stack: false
    .vgpr_count:     18
    .vgpr_spill_count: 0
    .wavefront_size: 64
  - .agpr_count:     0
    .args:
      - .address_space:  global
        .offset:         0
        .size:           8
        .value_kind:     global_buffer
      - .address_space:  global
        .offset:         8
        .size:           8
        .value_kind:     global_buffer
      - .offset:         16
        .size:           4
        .value_kind:     by_value
      - .offset:         20
        .size:           4
        .value_kind:     by_value
      - .offset:         24
        .size:           4
        .value_kind:     by_value
      - .address_space:  global
        .offset:         32
        .size:           8
        .value_kind:     global_buffer
      - .offset:         40
        .size:           4
        .value_kind:     by_value
      - .offset:         44
        .size:           1
        .value_kind:     by_value
      - .offset:         48
        .size:           4
        .value_kind:     hidden_block_count_x
      - .offset:         52
        .size:           4
        .value_kind:     hidden_block_count_y
      - .offset:         56
        .size:           4
        .value_kind:     hidden_block_count_z
      - .offset:         60
        .size:           2
        .value_kind:     hidden_group_size_x
      - .offset:         62
        .size:           2
        .value_kind:     hidden_group_size_y
      - .offset:         64
        .size:           2
        .value_kind:     hidden_group_size_z
      - .offset:         66
        .size:           2
        .value_kind:     hidden_remainder_x
      - .offset:         68
        .size:           2
        .value_kind:     hidden_remainder_y
      - .offset:         70
        .size:           2
        .value_kind:     hidden_remainder_z
      - .offset:         88
        .size:           8
        .value_kind:     hidden_global_offset_x
      - .offset:         96
        .size:           8
        .value_kind:     hidden_global_offset_y
      - .offset:         104
        .size:           8
        .value_kind:     hidden_global_offset_z
      - .offset:         112
        .size:           2
        .value_kind:     hidden_grid_dims
    .group_segment_fixed_size: 0
    .kernarg_segment_align: 8
    .kernarg_segment_size: 304
    .language:       OpenCL C
    .language_version:
      - 2
      - 0
    .max_flat_workgroup_size: 1024
    .name:           _ZN12_GLOBAL__N_120softmax_warp_forwardIN3c108BFloat16ES2_fLi3ELb0ELb1ELi32EEEvPT0_PKT_iiiPKbib
    .private_segment_fixed_size: 0
    .sgpr_count:     22
    .sgpr_spill_count: 0
    .symbol:         _ZN12_GLOBAL__N_120softmax_warp_forwardIN3c108BFloat16ES2_fLi3ELb0ELb1ELi32EEEvPT0_PKT_iiiPKbib.kd
    .uniform_work_group_size: 1
    .uses_dynamic_stack: false
    .vgpr_count:     18
    .vgpr_spill_count: 0
    .wavefront_size: 64
  - .agpr_count:     0
    .args:
      - .address_space:  global
        .offset:         0
        .size:           8
        .value_kind:     global_buffer
      - .address_space:  global
        .offset:         8
        .size:           8
        .value_kind:     global_buffer
      - .offset:         16
        .size:           4
        .value_kind:     by_value
      - .offset:         20
        .size:           4
        .value_kind:     by_value
      - .offset:         24
        .size:           4
        .value_kind:     by_value
      - .address_space:  global
        .offset:         32
        .size:           8
        .value_kind:     global_buffer
      - .offset:         40
        .size:           4
        .value_kind:     by_value
      - .offset:         44
        .size:           1
        .value_kind:     by_value
      - .offset:         48
        .size:           4
        .value_kind:     hidden_block_count_x
      - .offset:         52
        .size:           4
        .value_kind:     hidden_block_count_y
      - .offset:         56
        .size:           4
        .value_kind:     hidden_block_count_z
      - .offset:         60
        .size:           2
        .value_kind:     hidden_group_size_x
      - .offset:         62
        .size:           2
        .value_kind:     hidden_group_size_y
      - .offset:         64
        .size:           2
        .value_kind:     hidden_group_size_z
      - .offset:         66
        .size:           2
        .value_kind:     hidden_remainder_x
      - .offset:         68
        .size:           2
        .value_kind:     hidden_remainder_y
      - .offset:         70
        .size:           2
        .value_kind:     hidden_remainder_z
      - .offset:         88
        .size:           8
        .value_kind:     hidden_global_offset_x
      - .offset:         96
        .size:           8
        .value_kind:     hidden_global_offset_y
      - .offset:         104
        .size:           8
        .value_kind:     hidden_global_offset_z
      - .offset:         112
        .size:           2
        .value_kind:     hidden_grid_dims
    .group_segment_fixed_size: 0
    .kernarg_segment_align: 8
    .kernarg_segment_size: 304
    .language:       OpenCL C
    .language_version:
      - 2
      - 0
    .max_flat_workgroup_size: 1024
    .name:           _ZN12_GLOBAL__N_120softmax_warp_forwardIN3c108BFloat16ES2_fLi4ELb0ELb1ELi64EEEvPT0_PKT_iiiPKbib
    .private_segment_fixed_size: 0
    .sgpr_count:     22
    .sgpr_spill_count: 0
    .symbol:         _ZN12_GLOBAL__N_120softmax_warp_forwardIN3c108BFloat16ES2_fLi4ELb0ELb1ELi64EEEvPT0_PKT_iiiPKbib.kd
    .uniform_work_group_size: 1
    .uses_dynamic_stack: false
    .vgpr_count:     19
    .vgpr_spill_count: 0
    .wavefront_size: 64
  - .agpr_count:     0
    .args:
      - .address_space:  global
        .offset:         0
        .size:           8
        .value_kind:     global_buffer
      - .address_space:  global
        .offset:         8
        .size:           8
        .value_kind:     global_buffer
      - .offset:         16
        .size:           4
        .value_kind:     by_value
      - .offset:         20
        .size:           4
        .value_kind:     by_value
      - .offset:         24
        .size:           4
        .value_kind:     by_value
      - .address_space:  global
        .offset:         32
        .size:           8
        .value_kind:     global_buffer
      - .offset:         40
        .size:           4
        .value_kind:     by_value
      - .offset:         44
        .size:           1
        .value_kind:     by_value
      - .offset:         48
        .size:           4
        .value_kind:     hidden_block_count_x
      - .offset:         52
        .size:           4
        .value_kind:     hidden_block_count_y
      - .offset:         56
        .size:           4
        .value_kind:     hidden_block_count_z
      - .offset:         60
        .size:           2
        .value_kind:     hidden_group_size_x
      - .offset:         62
        .size:           2
        .value_kind:     hidden_group_size_y
      - .offset:         64
        .size:           2
        .value_kind:     hidden_group_size_z
      - .offset:         66
        .size:           2
        .value_kind:     hidden_remainder_x
      - .offset:         68
        .size:           2
        .value_kind:     hidden_remainder_y
      - .offset:         70
        .size:           2
        .value_kind:     hidden_remainder_z
      - .offset:         88
        .size:           8
        .value_kind:     hidden_global_offset_x
      - .offset:         96
        .size:           8
        .value_kind:     hidden_global_offset_y
      - .offset:         104
        .size:           8
        .value_kind:     hidden_global_offset_z
      - .offset:         112
        .size:           2
        .value_kind:     hidden_grid_dims
    .group_segment_fixed_size: 0
    .kernarg_segment_align: 8
    .kernarg_segment_size: 304
    .language:       OpenCL C
    .language_version:
      - 2
      - 0
    .max_flat_workgroup_size: 1024
    .name:           _ZN12_GLOBAL__N_120softmax_warp_forwardIN3c108BFloat16ES2_fLi4ELb0ELb1ELi32EEEvPT0_PKT_iiiPKbib
    .private_segment_fixed_size: 0
    .sgpr_count:     22
    .sgpr_spill_count: 0
    .symbol:         _ZN12_GLOBAL__N_120softmax_warp_forwardIN3c108BFloat16ES2_fLi4ELb0ELb1ELi32EEEvPT0_PKT_iiiPKbib.kd
    .uniform_work_group_size: 1
    .uses_dynamic_stack: false
    .vgpr_count:     19
    .vgpr_spill_count: 0
    .wavefront_size: 64
  - .agpr_count:     0
    .args:
      - .address_space:  global
        .offset:         0
        .size:           8
        .value_kind:     global_buffer
      - .address_space:  global
        .offset:         8
        .size:           8
        .value_kind:     global_buffer
      - .offset:         16
        .size:           4
        .value_kind:     by_value
      - .offset:         20
        .size:           4
        .value_kind:     by_value
      - .offset:         24
        .size:           4
        .value_kind:     by_value
      - .address_space:  global
        .offset:         32
        .size:           8
        .value_kind:     global_buffer
      - .offset:         40
        .size:           4
        .value_kind:     by_value
      - .offset:         44
        .size:           1
        .value_kind:     by_value
      - .offset:         48
        .size:           4
        .value_kind:     hidden_block_count_x
      - .offset:         52
        .size:           4
        .value_kind:     hidden_block_count_y
      - .offset:         56
        .size:           4
        .value_kind:     hidden_block_count_z
      - .offset:         60
        .size:           2
        .value_kind:     hidden_group_size_x
      - .offset:         62
        .size:           2
        .value_kind:     hidden_group_size_y
      - .offset:         64
        .size:           2
        .value_kind:     hidden_group_size_z
      - .offset:         66
        .size:           2
        .value_kind:     hidden_remainder_x
      - .offset:         68
        .size:           2
        .value_kind:     hidden_remainder_y
      - .offset:         70
        .size:           2
        .value_kind:     hidden_remainder_z
      - .offset:         88
        .size:           8
        .value_kind:     hidden_global_offset_x
      - .offset:         96
        .size:           8
        .value_kind:     hidden_global_offset_y
      - .offset:         104
        .size:           8
        .value_kind:     hidden_global_offset_z
      - .offset:         112
        .size:           2
        .value_kind:     hidden_grid_dims
    .group_segment_fixed_size: 0
    .kernarg_segment_align: 8
    .kernarg_segment_size: 304
    .language:       OpenCL C
    .language_version:
      - 2
      - 0
    .max_flat_workgroup_size: 1024
    .name:           _ZN12_GLOBAL__N_120softmax_warp_forwardIN3c108BFloat16ES2_fLi5ELb0ELb1ELi64EEEvPT0_PKT_iiiPKbib
    .private_segment_fixed_size: 0
    .sgpr_count:     22
    .sgpr_spill_count: 0
    .symbol:         _ZN12_GLOBAL__N_120softmax_warp_forwardIN3c108BFloat16ES2_fLi5ELb0ELb1ELi64EEEvPT0_PKT_iiiPKbib.kd
    .uniform_work_group_size: 1
    .uses_dynamic_stack: false
    .vgpr_count:     20
    .vgpr_spill_count: 0
    .wavefront_size: 64
  - .agpr_count:     0
    .args:
      - .address_space:  global
        .offset:         0
        .size:           8
        .value_kind:     global_buffer
      - .address_space:  global
        .offset:         8
        .size:           8
        .value_kind:     global_buffer
      - .offset:         16
        .size:           4
        .value_kind:     by_value
      - .offset:         20
        .size:           4
        .value_kind:     by_value
      - .offset:         24
        .size:           4
        .value_kind:     by_value
      - .address_space:  global
        .offset:         32
        .size:           8
        .value_kind:     global_buffer
      - .offset:         40
        .size:           4
        .value_kind:     by_value
      - .offset:         44
        .size:           1
        .value_kind:     by_value
      - .offset:         48
        .size:           4
        .value_kind:     hidden_block_count_x
      - .offset:         52
        .size:           4
        .value_kind:     hidden_block_count_y
      - .offset:         56
        .size:           4
        .value_kind:     hidden_block_count_z
      - .offset:         60
        .size:           2
        .value_kind:     hidden_group_size_x
      - .offset:         62
        .size:           2
        .value_kind:     hidden_group_size_y
      - .offset:         64
        .size:           2
        .value_kind:     hidden_group_size_z
      - .offset:         66
        .size:           2
        .value_kind:     hidden_remainder_x
      - .offset:         68
        .size:           2
        .value_kind:     hidden_remainder_y
      - .offset:         70
        .size:           2
        .value_kind:     hidden_remainder_z
      - .offset:         88
        .size:           8
        .value_kind:     hidden_global_offset_x
      - .offset:         96
        .size:           8
        .value_kind:     hidden_global_offset_y
      - .offset:         104
        .size:           8
        .value_kind:     hidden_global_offset_z
      - .offset:         112
        .size:           2
        .value_kind:     hidden_grid_dims
    .group_segment_fixed_size: 0
    .kernarg_segment_align: 8
    .kernarg_segment_size: 304
    .language:       OpenCL C
    .language_version:
      - 2
      - 0
    .max_flat_workgroup_size: 1024
    .name:           _ZN12_GLOBAL__N_120softmax_warp_forwardIN3c108BFloat16ES2_fLi5ELb0ELb1ELi32EEEvPT0_PKT_iiiPKbib
    .private_segment_fixed_size: 0
    .sgpr_count:     22
    .sgpr_spill_count: 0
    .symbol:         _ZN12_GLOBAL__N_120softmax_warp_forwardIN3c108BFloat16ES2_fLi5ELb0ELb1ELi32EEEvPT0_PKT_iiiPKbib.kd
    .uniform_work_group_size: 1
    .uses_dynamic_stack: false
    .vgpr_count:     20
    .vgpr_spill_count: 0
    .wavefront_size: 64
  - .agpr_count:     0
    .args:
      - .address_space:  global
        .offset:         0
        .size:           8
        .value_kind:     global_buffer
      - .address_space:  global
        .offset:         8
        .size:           8
        .value_kind:     global_buffer
      - .offset:         16
        .size:           4
        .value_kind:     by_value
      - .offset:         20
        .size:           4
        .value_kind:     by_value
      - .offset:         24
        .size:           4
        .value_kind:     by_value
      - .address_space:  global
        .offset:         32
        .size:           8
        .value_kind:     global_buffer
      - .offset:         40
        .size:           4
        .value_kind:     by_value
      - .offset:         44
        .size:           1
        .value_kind:     by_value
      - .offset:         48
        .size:           4
        .value_kind:     hidden_block_count_x
      - .offset:         52
        .size:           4
        .value_kind:     hidden_block_count_y
      - .offset:         56
        .size:           4
        .value_kind:     hidden_block_count_z
      - .offset:         60
        .size:           2
        .value_kind:     hidden_group_size_x
      - .offset:         62
        .size:           2
        .value_kind:     hidden_group_size_y
      - .offset:         64
        .size:           2
        .value_kind:     hidden_group_size_z
      - .offset:         66
        .size:           2
        .value_kind:     hidden_remainder_x
      - .offset:         68
        .size:           2
        .value_kind:     hidden_remainder_y
      - .offset:         70
        .size:           2
        .value_kind:     hidden_remainder_z
      - .offset:         88
        .size:           8
        .value_kind:     hidden_global_offset_x
      - .offset:         96
        .size:           8
        .value_kind:     hidden_global_offset_y
      - .offset:         104
        .size:           8
        .value_kind:     hidden_global_offset_z
      - .offset:         112
        .size:           2
        .value_kind:     hidden_grid_dims
    .group_segment_fixed_size: 0
    .kernarg_segment_align: 8
    .kernarg_segment_size: 304
    .language:       OpenCL C
    .language_version:
      - 2
      - 0
    .max_flat_workgroup_size: 1024
    .name:           _ZN12_GLOBAL__N_120softmax_warp_forwardIN3c108BFloat16ES2_fLi6ELb0ELb1ELi64EEEvPT0_PKT_iiiPKbib
    .private_segment_fixed_size: 0
    .sgpr_count:     22
    .sgpr_spill_count: 0
    .symbol:         _ZN12_GLOBAL__N_120softmax_warp_forwardIN3c108BFloat16ES2_fLi6ELb0ELb1ELi64EEEvPT0_PKT_iiiPKbib.kd
    .uniform_work_group_size: 1
    .uses_dynamic_stack: false
    .vgpr_count:     21
    .vgpr_spill_count: 0
    .wavefront_size: 64
  - .agpr_count:     0
    .args:
      - .address_space:  global
        .offset:         0
        .size:           8
        .value_kind:     global_buffer
      - .address_space:  global
        .offset:         8
        .size:           8
        .value_kind:     global_buffer
      - .offset:         16
        .size:           4
        .value_kind:     by_value
      - .offset:         20
        .size:           4
        .value_kind:     by_value
      - .offset:         24
        .size:           4
        .value_kind:     by_value
      - .address_space:  global
        .offset:         32
        .size:           8
        .value_kind:     global_buffer
      - .offset:         40
        .size:           4
        .value_kind:     by_value
      - .offset:         44
        .size:           1
        .value_kind:     by_value
      - .offset:         48
        .size:           4
        .value_kind:     hidden_block_count_x
      - .offset:         52
        .size:           4
        .value_kind:     hidden_block_count_y
      - .offset:         56
        .size:           4
        .value_kind:     hidden_block_count_z
      - .offset:         60
        .size:           2
        .value_kind:     hidden_group_size_x
      - .offset:         62
        .size:           2
        .value_kind:     hidden_group_size_y
      - .offset:         64
        .size:           2
        .value_kind:     hidden_group_size_z
      - .offset:         66
        .size:           2
        .value_kind:     hidden_remainder_x
      - .offset:         68
        .size:           2
        .value_kind:     hidden_remainder_y
      - .offset:         70
        .size:           2
        .value_kind:     hidden_remainder_z
      - .offset:         88
        .size:           8
        .value_kind:     hidden_global_offset_x
      - .offset:         96
        .size:           8
        .value_kind:     hidden_global_offset_y
      - .offset:         104
        .size:           8
        .value_kind:     hidden_global_offset_z
      - .offset:         112
        .size:           2
        .value_kind:     hidden_grid_dims
    .group_segment_fixed_size: 0
    .kernarg_segment_align: 8
    .kernarg_segment_size: 304
    .language:       OpenCL C
    .language_version:
      - 2
      - 0
    .max_flat_workgroup_size: 1024
    .name:           _ZN12_GLOBAL__N_120softmax_warp_forwardIN3c108BFloat16ES2_fLi6ELb0ELb1ELi32EEEvPT0_PKT_iiiPKbib
    .private_segment_fixed_size: 0
    .sgpr_count:     32
    .sgpr_spill_count: 0
    .symbol:         _ZN12_GLOBAL__N_120softmax_warp_forwardIN3c108BFloat16ES2_fLi6ELb0ELb1ELi32EEEvPT0_PKT_iiiPKbib.kd
    .uniform_work_group_size: 1
    .uses_dynamic_stack: false
    .vgpr_count:     22
    .vgpr_spill_count: 0
    .wavefront_size: 64
  - .agpr_count:     0
    .args:
      - .address_space:  global
        .offset:         0
        .size:           8
        .value_kind:     global_buffer
      - .address_space:  global
        .offset:         8
        .size:           8
        .value_kind:     global_buffer
      - .offset:         16
        .size:           4
        .value_kind:     by_value
      - .offset:         20
        .size:           4
        .value_kind:     by_value
      - .offset:         24
        .size:           4
        .value_kind:     by_value
      - .address_space:  global
        .offset:         32
        .size:           8
        .value_kind:     global_buffer
      - .offset:         40
        .size:           4
        .value_kind:     by_value
      - .offset:         44
        .size:           1
        .value_kind:     by_value
      - .offset:         48
        .size:           4
        .value_kind:     hidden_block_count_x
      - .offset:         52
        .size:           4
        .value_kind:     hidden_block_count_y
      - .offset:         56
        .size:           4
        .value_kind:     hidden_block_count_z
      - .offset:         60
        .size:           2
        .value_kind:     hidden_group_size_x
      - .offset:         62
        .size:           2
        .value_kind:     hidden_group_size_y
      - .offset:         64
        .size:           2
        .value_kind:     hidden_group_size_z
      - .offset:         66
        .size:           2
        .value_kind:     hidden_remainder_x
      - .offset:         68
        .size:           2
        .value_kind:     hidden_remainder_y
      - .offset:         70
        .size:           2
        .value_kind:     hidden_remainder_z
      - .offset:         88
        .size:           8
        .value_kind:     hidden_global_offset_x
      - .offset:         96
        .size:           8
        .value_kind:     hidden_global_offset_y
      - .offset:         104
        .size:           8
        .value_kind:     hidden_global_offset_z
      - .offset:         112
        .size:           2
        .value_kind:     hidden_grid_dims
    .group_segment_fixed_size: 0
    .kernarg_segment_align: 8
    .kernarg_segment_size: 304
    .language:       OpenCL C
    .language_version:
      - 2
      - 0
    .max_flat_workgroup_size: 1024
    .name:           _ZN12_GLOBAL__N_120softmax_warp_forwardIN3c108BFloat16ES2_fLi7ELb0ELb1ELi64EEEvPT0_PKT_iiiPKbib
    .private_segment_fixed_size: 0
    .sgpr_count:     32
    .sgpr_spill_count: 0
    .symbol:         _ZN12_GLOBAL__N_120softmax_warp_forwardIN3c108BFloat16ES2_fLi7ELb0ELb1ELi64EEEvPT0_PKT_iiiPKbib.kd
    .uniform_work_group_size: 1
    .uses_dynamic_stack: false
    .vgpr_count:     23
    .vgpr_spill_count: 0
    .wavefront_size: 64
  - .agpr_count:     0
    .args:
      - .address_space:  global
        .offset:         0
        .size:           8
        .value_kind:     global_buffer
      - .address_space:  global
        .offset:         8
        .size:           8
        .value_kind:     global_buffer
      - .offset:         16
        .size:           4
        .value_kind:     by_value
      - .offset:         20
        .size:           4
        .value_kind:     by_value
      - .offset:         24
        .size:           4
        .value_kind:     by_value
      - .address_space:  global
        .offset:         32
        .size:           8
        .value_kind:     global_buffer
      - .offset:         40
        .size:           4
        .value_kind:     by_value
      - .offset:         44
        .size:           1
        .value_kind:     by_value
      - .offset:         48
        .size:           4
        .value_kind:     hidden_block_count_x
      - .offset:         52
        .size:           4
        .value_kind:     hidden_block_count_y
      - .offset:         56
        .size:           4
        .value_kind:     hidden_block_count_z
      - .offset:         60
        .size:           2
        .value_kind:     hidden_group_size_x
      - .offset:         62
        .size:           2
        .value_kind:     hidden_group_size_y
      - .offset:         64
        .size:           2
        .value_kind:     hidden_group_size_z
      - .offset:         66
        .size:           2
        .value_kind:     hidden_remainder_x
      - .offset:         68
        .size:           2
        .value_kind:     hidden_remainder_y
      - .offset:         70
        .size:           2
        .value_kind:     hidden_remainder_z
      - .offset:         88
        .size:           8
        .value_kind:     hidden_global_offset_x
      - .offset:         96
        .size:           8
        .value_kind:     hidden_global_offset_y
      - .offset:         104
        .size:           8
        .value_kind:     hidden_global_offset_z
      - .offset:         112
        .size:           2
        .value_kind:     hidden_grid_dims
    .group_segment_fixed_size: 0
    .kernarg_segment_align: 8
    .kernarg_segment_size: 304
    .language:       OpenCL C
    .language_version:
      - 2
      - 0
    .max_flat_workgroup_size: 1024
    .name:           _ZN12_GLOBAL__N_120softmax_warp_forwardIN3c108BFloat16ES2_fLi7ELb0ELb1ELi32EEEvPT0_PKT_iiiPKbib
    .private_segment_fixed_size: 0
    .sgpr_count:     46
    .sgpr_spill_count: 0
    .symbol:         _ZN12_GLOBAL__N_120softmax_warp_forwardIN3c108BFloat16ES2_fLi7ELb0ELb1ELi32EEEvPT0_PKT_iiiPKbib.kd
    .uniform_work_group_size: 1
    .uses_dynamic_stack: false
    .vgpr_count:     27
    .vgpr_spill_count: 0
    .wavefront_size: 64
  - .agpr_count:     0
    .args:
      - .address_space:  global
        .offset:         0
        .size:           8
        .value_kind:     global_buffer
      - .address_space:  global
        .offset:         8
        .size:           8
        .value_kind:     global_buffer
      - .offset:         16
        .size:           4
        .value_kind:     by_value
      - .offset:         20
        .size:           4
        .value_kind:     by_value
      - .offset:         24
        .size:           4
        .value_kind:     by_value
      - .address_space:  global
        .offset:         32
        .size:           8
        .value_kind:     global_buffer
      - .offset:         40
        .size:           4
        .value_kind:     by_value
      - .offset:         44
        .size:           1
        .value_kind:     by_value
      - .offset:         48
        .size:           4
        .value_kind:     hidden_block_count_x
      - .offset:         52
        .size:           4
        .value_kind:     hidden_block_count_y
      - .offset:         56
        .size:           4
        .value_kind:     hidden_block_count_z
      - .offset:         60
        .size:           2
        .value_kind:     hidden_group_size_x
      - .offset:         62
        .size:           2
        .value_kind:     hidden_group_size_y
      - .offset:         64
        .size:           2
        .value_kind:     hidden_group_size_z
      - .offset:         66
        .size:           2
        .value_kind:     hidden_remainder_x
      - .offset:         68
        .size:           2
        .value_kind:     hidden_remainder_y
      - .offset:         70
        .size:           2
        .value_kind:     hidden_remainder_z
      - .offset:         88
        .size:           8
        .value_kind:     hidden_global_offset_x
      - .offset:         96
        .size:           8
        .value_kind:     hidden_global_offset_y
      - .offset:         104
        .size:           8
        .value_kind:     hidden_global_offset_z
      - .offset:         112
        .size:           2
        .value_kind:     hidden_grid_dims
    .group_segment_fixed_size: 0
    .kernarg_segment_align: 8
    .kernarg_segment_size: 304
    .language:       OpenCL C
    .language_version:
      - 2
      - 0
    .max_flat_workgroup_size: 1024
    .name:           _ZN12_GLOBAL__N_120softmax_warp_forwardIN3c108BFloat16ES2_fLi8ELb0ELb1ELi64EEEvPT0_PKT_iiiPKbib
    .private_segment_fixed_size: 0
    .sgpr_count:     30
    .sgpr_spill_count: 0
    .symbol:         _ZN12_GLOBAL__N_120softmax_warp_forwardIN3c108BFloat16ES2_fLi8ELb0ELb1ELi64EEEvPT0_PKT_iiiPKbib.kd
    .uniform_work_group_size: 1
    .uses_dynamic_stack: false
    .vgpr_count:     21
    .vgpr_spill_count: 0
    .wavefront_size: 64
  - .agpr_count:     0
    .args:
      - .address_space:  global
        .offset:         0
        .size:           8
        .value_kind:     global_buffer
      - .address_space:  global
        .offset:         8
        .size:           8
        .value_kind:     global_buffer
      - .offset:         16
        .size:           4
        .value_kind:     by_value
      - .offset:         20
        .size:           4
        .value_kind:     by_value
      - .offset:         24
        .size:           4
        .value_kind:     by_value
      - .address_space:  global
        .offset:         32
        .size:           8
        .value_kind:     global_buffer
      - .offset:         40
        .size:           4
        .value_kind:     by_value
      - .offset:         44
        .size:           1
        .value_kind:     by_value
      - .offset:         48
        .size:           4
        .value_kind:     hidden_block_count_x
      - .offset:         52
        .size:           4
        .value_kind:     hidden_block_count_y
      - .offset:         56
        .size:           4
        .value_kind:     hidden_block_count_z
      - .offset:         60
        .size:           2
        .value_kind:     hidden_group_size_x
      - .offset:         62
        .size:           2
        .value_kind:     hidden_group_size_y
      - .offset:         64
        .size:           2
        .value_kind:     hidden_group_size_z
      - .offset:         66
        .size:           2
        .value_kind:     hidden_remainder_x
      - .offset:         68
        .size:           2
        .value_kind:     hidden_remainder_y
      - .offset:         70
        .size:           2
        .value_kind:     hidden_remainder_z
      - .offset:         88
        .size:           8
        .value_kind:     hidden_global_offset_x
      - .offset:         96
        .size:           8
        .value_kind:     hidden_global_offset_y
      - .offset:         104
        .size:           8
        .value_kind:     hidden_global_offset_z
      - .offset:         112
        .size:           2
        .value_kind:     hidden_grid_dims
    .group_segment_fixed_size: 0
    .kernarg_segment_align: 8
    .kernarg_segment_size: 304
    .language:       OpenCL C
    .language_version:
      - 2
      - 0
    .max_flat_workgroup_size: 1024
    .name:           _ZN12_GLOBAL__N_120softmax_warp_forwardIN3c108BFloat16ES2_fLi8ELb0ELb1ELi32EEEvPT0_PKT_iiiPKbib
    .private_segment_fixed_size: 0
    .sgpr_count:     48
    .sgpr_spill_count: 0
    .symbol:         _ZN12_GLOBAL__N_120softmax_warp_forwardIN3c108BFloat16ES2_fLi8ELb0ELb1ELi32EEEvPT0_PKT_iiiPKbib.kd
    .uniform_work_group_size: 1
    .uses_dynamic_stack: false
    .vgpr_count:     24
    .vgpr_spill_count: 0
    .wavefront_size: 64
  - .agpr_count:     0
    .args:
      - .address_space:  global
        .offset:         0
        .size:           8
        .value_kind:     global_buffer
      - .address_space:  global
        .offset:         8
        .size:           8
        .value_kind:     global_buffer
      - .offset:         16
        .size:           4
        .value_kind:     by_value
      - .offset:         20
        .size:           4
        .value_kind:     by_value
      - .offset:         24
        .size:           4
        .value_kind:     by_value
      - .address_space:  global
        .offset:         32
        .size:           8
        .value_kind:     global_buffer
      - .offset:         40
        .size:           4
        .value_kind:     by_value
      - .offset:         44
        .size:           1
        .value_kind:     by_value
      - .offset:         48
        .size:           4
        .value_kind:     hidden_block_count_x
      - .offset:         52
        .size:           4
        .value_kind:     hidden_block_count_y
      - .offset:         56
        .size:           4
        .value_kind:     hidden_block_count_z
      - .offset:         60
        .size:           2
        .value_kind:     hidden_group_size_x
      - .offset:         62
        .size:           2
        .value_kind:     hidden_group_size_y
      - .offset:         64
        .size:           2
        .value_kind:     hidden_group_size_z
      - .offset:         66
        .size:           2
        .value_kind:     hidden_remainder_x
      - .offset:         68
        .size:           2
        .value_kind:     hidden_remainder_y
      - .offset:         70
        .size:           2
        .value_kind:     hidden_remainder_z
      - .offset:         88
        .size:           8
        .value_kind:     hidden_global_offset_x
      - .offset:         96
        .size:           8
        .value_kind:     hidden_global_offset_y
      - .offset:         104
        .size:           8
        .value_kind:     hidden_global_offset_z
      - .offset:         112
        .size:           2
        .value_kind:     hidden_grid_dims
    .group_segment_fixed_size: 0
    .kernarg_segment_align: 8
    .kernarg_segment_size: 304
    .language:       OpenCL C
    .language_version:
      - 2
      - 0
    .max_flat_workgroup_size: 1024
    .name:           _ZN12_GLOBAL__N_120softmax_warp_forwardIN3c108BFloat16ES2_fLi9ELb0ELb1ELi64EEEvPT0_PKT_iiiPKbib
    .private_segment_fixed_size: 0
    .sgpr_count:     48
    .sgpr_spill_count: 0
    .symbol:         _ZN12_GLOBAL__N_120softmax_warp_forwardIN3c108BFloat16ES2_fLi9ELb0ELb1ELi64EEEvPT0_PKT_iiiPKbib.kd
    .uniform_work_group_size: 1
    .uses_dynamic_stack: false
    .vgpr_count:     25
    .vgpr_spill_count: 0
    .wavefront_size: 64
  - .agpr_count:     0
    .args:
      - .address_space:  global
        .offset:         0
        .size:           8
        .value_kind:     global_buffer
      - .address_space:  global
        .offset:         8
        .size:           8
        .value_kind:     global_buffer
      - .offset:         16
        .size:           4
        .value_kind:     by_value
      - .offset:         20
        .size:           4
        .value_kind:     by_value
      - .offset:         24
        .size:           4
        .value_kind:     by_value
      - .address_space:  global
        .offset:         32
        .size:           8
        .value_kind:     global_buffer
      - .offset:         40
        .size:           4
        .value_kind:     by_value
      - .offset:         44
        .size:           1
        .value_kind:     by_value
      - .offset:         48
        .size:           4
        .value_kind:     hidden_block_count_x
      - .offset:         52
        .size:           4
        .value_kind:     hidden_block_count_y
      - .offset:         56
        .size:           4
        .value_kind:     hidden_block_count_z
      - .offset:         60
        .size:           2
        .value_kind:     hidden_group_size_x
      - .offset:         62
        .size:           2
        .value_kind:     hidden_group_size_y
      - .offset:         64
        .size:           2
        .value_kind:     hidden_group_size_z
      - .offset:         66
        .size:           2
        .value_kind:     hidden_remainder_x
      - .offset:         68
        .size:           2
        .value_kind:     hidden_remainder_y
      - .offset:         70
        .size:           2
        .value_kind:     hidden_remainder_z
      - .offset:         88
        .size:           8
        .value_kind:     hidden_global_offset_x
      - .offset:         96
        .size:           8
        .value_kind:     hidden_global_offset_y
      - .offset:         104
        .size:           8
        .value_kind:     hidden_global_offset_z
      - .offset:         112
        .size:           2
        .value_kind:     hidden_grid_dims
    .group_segment_fixed_size: 0
    .kernarg_segment_align: 8
    .kernarg_segment_size: 304
    .language:       OpenCL C
    .language_version:
      - 2
      - 0
    .max_flat_workgroup_size: 1024
    .name:           _ZN12_GLOBAL__N_120softmax_warp_forwardIN3c108BFloat16ES2_fLi9ELb0ELb1ELi32EEEvPT0_PKT_iiiPKbib
    .private_segment_fixed_size: 0
    .sgpr_count:     80
    .sgpr_spill_count: 0
    .symbol:         _ZN12_GLOBAL__N_120softmax_warp_forwardIN3c108BFloat16ES2_fLi9ELb0ELb1ELi32EEEvPT0_PKT_iiiPKbib.kd
    .uniform_work_group_size: 1
    .uses_dynamic_stack: false
    .vgpr_count:     32
    .vgpr_spill_count: 0
    .wavefront_size: 64
  - .agpr_count:     0
    .args:
      - .address_space:  global
        .offset:         0
        .size:           8
        .value_kind:     global_buffer
      - .address_space:  global
        .offset:         8
        .size:           8
        .value_kind:     global_buffer
      - .offset:         16
        .size:           4
        .value_kind:     by_value
      - .offset:         20
        .size:           4
        .value_kind:     by_value
      - .offset:         24
        .size:           4
        .value_kind:     by_value
      - .address_space:  global
        .offset:         32
        .size:           8
        .value_kind:     global_buffer
      - .offset:         40
        .size:           4
        .value_kind:     by_value
      - .offset:         44
        .size:           1
        .value_kind:     by_value
      - .offset:         48
        .size:           4
        .value_kind:     hidden_block_count_x
      - .offset:         52
        .size:           4
        .value_kind:     hidden_block_count_y
      - .offset:         56
        .size:           4
        .value_kind:     hidden_block_count_z
      - .offset:         60
        .size:           2
        .value_kind:     hidden_group_size_x
      - .offset:         62
        .size:           2
        .value_kind:     hidden_group_size_y
      - .offset:         64
        .size:           2
        .value_kind:     hidden_group_size_z
      - .offset:         66
        .size:           2
        .value_kind:     hidden_remainder_x
      - .offset:         68
        .size:           2
        .value_kind:     hidden_remainder_y
      - .offset:         70
        .size:           2
        .value_kind:     hidden_remainder_z
      - .offset:         88
        .size:           8
        .value_kind:     hidden_global_offset_x
      - .offset:         96
        .size:           8
        .value_kind:     hidden_global_offset_y
      - .offset:         104
        .size:           8
        .value_kind:     hidden_global_offset_z
      - .offset:         112
        .size:           2
        .value_kind:     hidden_grid_dims
    .group_segment_fixed_size: 0
    .kernarg_segment_align: 8
    .kernarg_segment_size: 304
    .language:       OpenCL C
    .language_version:
      - 2
      - 0
    .max_flat_workgroup_size: 1024
    .name:           _ZN12_GLOBAL__N_120softmax_warp_forwardIN3c108BFloat16ES2_fLi10ELb0ELb1ELi64EEEvPT0_PKT_iiiPKbib
    .private_segment_fixed_size: 0
    .sgpr_count:     80
    .sgpr_spill_count: 0
    .symbol:         _ZN12_GLOBAL__N_120softmax_warp_forwardIN3c108BFloat16ES2_fLi10ELb0ELb1ELi64EEEvPT0_PKT_iiiPKbib.kd
    .uniform_work_group_size: 1
    .uses_dynamic_stack: false
    .vgpr_count:     33
    .vgpr_spill_count: 0
    .wavefront_size: 64
  - .agpr_count:     0
    .args:
      - .address_space:  global
        .offset:         0
        .size:           8
        .value_kind:     global_buffer
      - .address_space:  global
        .offset:         8
        .size:           8
        .value_kind:     global_buffer
      - .offset:         16
        .size:           4
        .value_kind:     by_value
      - .offset:         20
        .size:           4
        .value_kind:     by_value
      - .offset:         24
        .size:           4
        .value_kind:     by_value
      - .address_space:  global
        .offset:         32
        .size:           8
        .value_kind:     global_buffer
      - .offset:         40
        .size:           4
        .value_kind:     by_value
      - .offset:         44
        .size:           1
        .value_kind:     by_value
      - .offset:         48
        .size:           4
        .value_kind:     hidden_block_count_x
      - .offset:         52
        .size:           4
        .value_kind:     hidden_block_count_y
      - .offset:         56
        .size:           4
        .value_kind:     hidden_block_count_z
      - .offset:         60
        .size:           2
        .value_kind:     hidden_group_size_x
      - .offset:         62
        .size:           2
        .value_kind:     hidden_group_size_y
      - .offset:         64
        .size:           2
        .value_kind:     hidden_group_size_z
      - .offset:         66
        .size:           2
        .value_kind:     hidden_remainder_x
      - .offset:         68
        .size:           2
        .value_kind:     hidden_remainder_y
      - .offset:         70
        .size:           2
        .value_kind:     hidden_remainder_z
      - .offset:         88
        .size:           8
        .value_kind:     hidden_global_offset_x
      - .offset:         96
        .size:           8
        .value_kind:     hidden_global_offset_y
      - .offset:         104
        .size:           8
        .value_kind:     hidden_global_offset_z
      - .offset:         112
        .size:           2
        .value_kind:     hidden_grid_dims
    .group_segment_fixed_size: 0
    .kernarg_segment_align: 8
    .kernarg_segment_size: 304
    .language:       OpenCL C
    .language_version:
      - 2
      - 0
    .max_flat_workgroup_size: 1024
    .name:           _ZN12_GLOBAL__N_120softmax_warp_forwardIN3c108BFloat16ES2_fLi10ELb0ELb1ELi32EEEvPT0_PKT_iiiPKbib
    .private_segment_fixed_size: 0
    .sgpr_count:     100
    .sgpr_spill_count: 46
    .symbol:         _ZN12_GLOBAL__N_120softmax_warp_forwardIN3c108BFloat16ES2_fLi10ELb0ELb1ELi32EEEvPT0_PKT_iiiPKbib.kd
    .uniform_work_group_size: 1
    .uses_dynamic_stack: false
    .vgpr_count:     49
    .vgpr_spill_count: 0
    .wavefront_size: 64
  - .agpr_count:     0
    .args:
      - .address_space:  global
        .offset:         0
        .size:           8
        .value_kind:     global_buffer
      - .address_space:  global
        .offset:         8
        .size:           8
        .value_kind:     global_buffer
      - .offset:         16
        .size:           4
        .value_kind:     by_value
      - .offset:         20
        .size:           4
        .value_kind:     by_value
      - .offset:         24
        .size:           4
        .value_kind:     by_value
      - .address_space:  global
        .offset:         32
        .size:           8
        .value_kind:     global_buffer
      - .offset:         40
        .size:           4
        .value_kind:     by_value
      - .offset:         44
        .size:           1
        .value_kind:     by_value
      - .offset:         48
        .size:           4
        .value_kind:     hidden_block_count_x
      - .offset:         52
        .size:           4
        .value_kind:     hidden_block_count_y
      - .offset:         56
        .size:           4
        .value_kind:     hidden_block_count_z
      - .offset:         60
        .size:           2
        .value_kind:     hidden_group_size_x
      - .offset:         62
        .size:           2
        .value_kind:     hidden_group_size_y
      - .offset:         64
        .size:           2
        .value_kind:     hidden_group_size_z
      - .offset:         66
        .size:           2
        .value_kind:     hidden_remainder_x
      - .offset:         68
        .size:           2
        .value_kind:     hidden_remainder_y
      - .offset:         70
        .size:           2
        .value_kind:     hidden_remainder_z
      - .offset:         88
        .size:           8
        .value_kind:     hidden_global_offset_x
      - .offset:         96
        .size:           8
        .value_kind:     hidden_global_offset_y
      - .offset:         104
        .size:           8
        .value_kind:     hidden_global_offset_z
      - .offset:         112
        .size:           2
        .value_kind:     hidden_grid_dims
    .group_segment_fixed_size: 0
    .kernarg_segment_align: 8
    .kernarg_segment_size: 304
    .language:       OpenCL C
    .language_version:
      - 2
      - 0
    .max_flat_workgroup_size: 1024
    .name:           _ZN12_GLOBAL__N_120softmax_warp_forwardIN3c108BFloat16ES2_fLi11ELb0ELb1ELi64EEEvPT0_PKT_iiiPKbib
    .private_segment_fixed_size: 0
    .sgpr_count:     100
    .sgpr_spill_count: 46
    .symbol:         _ZN12_GLOBAL__N_120softmax_warp_forwardIN3c108BFloat16ES2_fLi11ELb0ELb1ELi64EEEvPT0_PKT_iiiPKbib.kd
    .uniform_work_group_size: 1
    .uses_dynamic_stack: false
    .vgpr_count:     50
    .vgpr_spill_count: 0
    .wavefront_size: 64
  - .agpr_count:     0
    .args:
      - .address_space:  global
        .offset:         0
        .size:           8
        .value_kind:     global_buffer
      - .address_space:  global
        .offset:         8
        .size:           8
        .value_kind:     global_buffer
      - .offset:         16
        .size:           4
        .value_kind:     by_value
      - .offset:         20
        .size:           4
        .value_kind:     by_value
      - .offset:         24
        .size:           4
        .value_kind:     by_value
      - .address_space:  global
        .offset:         32
        .size:           8
        .value_kind:     global_buffer
      - .offset:         40
        .size:           4
        .value_kind:     by_value
      - .offset:         44
        .size:           1
        .value_kind:     by_value
      - .offset:         48
        .size:           4
        .value_kind:     hidden_block_count_x
      - .offset:         52
        .size:           4
        .value_kind:     hidden_block_count_y
      - .offset:         56
        .size:           4
        .value_kind:     hidden_block_count_z
      - .offset:         60
        .size:           2
        .value_kind:     hidden_group_size_x
      - .offset:         62
        .size:           2
        .value_kind:     hidden_group_size_y
      - .offset:         64
        .size:           2
        .value_kind:     hidden_group_size_z
      - .offset:         66
        .size:           2
        .value_kind:     hidden_remainder_x
      - .offset:         68
        .size:           2
        .value_kind:     hidden_remainder_y
      - .offset:         70
        .size:           2
        .value_kind:     hidden_remainder_z
      - .offset:         88
        .size:           8
        .value_kind:     hidden_global_offset_x
      - .offset:         96
        .size:           8
        .value_kind:     hidden_global_offset_y
      - .offset:         104
        .size:           8
        .value_kind:     hidden_global_offset_z
      - .offset:         112
        .size:           2
        .value_kind:     hidden_grid_dims
    .group_segment_fixed_size: 0
    .kernarg_segment_align: 8
    .kernarg_segment_size: 304
    .language:       OpenCL C
    .language_version:
      - 2
      - 0
    .max_flat_workgroup_size: 1024
    .name:           _ZN12_GLOBAL__N_120softmax_warp_forwardIN3c108BFloat16ES2_fLi11ELb0ELb1ELi32EEEvPT0_PKT_iiiPKbib
    .private_segment_fixed_size: 0
    .sgpr_count:     100
    .sgpr_spill_count: 174
    .symbol:         _ZN12_GLOBAL__N_120softmax_warp_forwardIN3c108BFloat16ES2_fLi11ELb0ELb1ELi32EEEvPT0_PKT_iiiPKbib.kd
    .uniform_work_group_size: 1
    .uses_dynamic_stack: false
    .vgpr_count:     83
    .vgpr_spill_count: 0
    .wavefront_size: 64
  - .agpr_count:     0
    .args:
      - .address_space:  global
        .offset:         0
        .size:           8
        .value_kind:     global_buffer
      - .address_space:  global
        .offset:         8
        .size:           8
        .value_kind:     global_buffer
      - .address_space:  global
        .offset:         16
        .size:           8
        .value_kind:     global_buffer
      - .offset:         24
        .size:           4
        .value_kind:     by_value
      - .offset:         28
        .size:           4
        .value_kind:     by_value
      - .offset:         32
        .size:           4
        .value_kind:     by_value
      - .address_space:  global
        .offset:         40
        .size:           8
        .value_kind:     global_buffer
      - .offset:         48
        .size:           4
        .value_kind:     hidden_block_count_x
      - .offset:         52
        .size:           4
        .value_kind:     hidden_block_count_y
      - .offset:         56
        .size:           4
        .value_kind:     hidden_block_count_z
      - .offset:         60
        .size:           2
        .value_kind:     hidden_group_size_x
      - .offset:         62
        .size:           2
        .value_kind:     hidden_group_size_y
      - .offset:         64
        .size:           2
        .value_kind:     hidden_group_size_z
      - .offset:         66
        .size:           2
        .value_kind:     hidden_remainder_x
      - .offset:         68
        .size:           2
        .value_kind:     hidden_remainder_y
      - .offset:         70
        .size:           2
        .value_kind:     hidden_remainder_z
      - .offset:         88
        .size:           8
        .value_kind:     hidden_global_offset_x
      - .offset:         96
        .size:           8
        .value_kind:     hidden_global_offset_y
      - .offset:         104
        .size:           8
        .value_kind:     hidden_global_offset_z
      - .offset:         112
        .size:           2
        .value_kind:     hidden_grid_dims
    .group_segment_fixed_size: 0
    .kernarg_segment_align: 8
    .kernarg_segment_size: 304
    .language:       OpenCL C
    .language_version:
      - 2
      - 0
    .max_flat_workgroup_size: 1024
    .name:           _ZN12_GLOBAL__N_121softmax_warp_backwardIdddLi0ELb0ELb1ELi64EEEvPT0_PKT_S5_iiiPKb
    .private_segment_fixed_size: 0
    .sgpr_count:     20
    .sgpr_spill_count: 0
    .symbol:         _ZN12_GLOBAL__N_121softmax_warp_backwardIdddLi0ELb0ELb1ELi64EEEvPT0_PKT_S5_iiiPKb.kd
    .uniform_work_group_size: 1
    .uses_dynamic_stack: false
    .vgpr_count:     19
    .vgpr_spill_count: 0
    .wavefront_size: 64
  - .agpr_count:     0
    .args:
      - .address_space:  global
        .offset:         0
        .size:           8
        .value_kind:     global_buffer
      - .address_space:  global
        .offset:         8
        .size:           8
        .value_kind:     global_buffer
      - .address_space:  global
        .offset:         16
        .size:           8
        .value_kind:     global_buffer
      - .offset:         24
        .size:           4
        .value_kind:     by_value
      - .offset:         28
        .size:           4
        .value_kind:     by_value
      - .offset:         32
        .size:           4
        .value_kind:     by_value
      - .address_space:  global
        .offset:         40
        .size:           8
        .value_kind:     global_buffer
      - .offset:         48
        .size:           4
        .value_kind:     hidden_block_count_x
      - .offset:         52
        .size:           4
        .value_kind:     hidden_block_count_y
      - .offset:         56
        .size:           4
        .value_kind:     hidden_block_count_z
      - .offset:         60
        .size:           2
        .value_kind:     hidden_group_size_x
      - .offset:         62
        .size:           2
        .value_kind:     hidden_group_size_y
      - .offset:         64
        .size:           2
        .value_kind:     hidden_group_size_z
      - .offset:         66
        .size:           2
        .value_kind:     hidden_remainder_x
      - .offset:         68
        .size:           2
        .value_kind:     hidden_remainder_y
      - .offset:         70
        .size:           2
        .value_kind:     hidden_remainder_z
      - .offset:         88
        .size:           8
        .value_kind:     hidden_global_offset_x
      - .offset:         96
        .size:           8
        .value_kind:     hidden_global_offset_y
      - .offset:         104
        .size:           8
        .value_kind:     hidden_global_offset_z
      - .offset:         112
        .size:           2
        .value_kind:     hidden_grid_dims
    .group_segment_fixed_size: 0
    .kernarg_segment_align: 8
    .kernarg_segment_size: 304
    .language:       OpenCL C
    .language_version:
      - 2
      - 0
    .max_flat_workgroup_size: 1024
    .name:           _ZN12_GLOBAL__N_121softmax_warp_backwardIdddLi0ELb0ELb1ELi32EEEvPT0_PKT_S5_iiiPKb
    .private_segment_fixed_size: 0
    .sgpr_count:     20
    .sgpr_spill_count: 0
    .symbol:         _ZN12_GLOBAL__N_121softmax_warp_backwardIdddLi0ELb0ELb1ELi32EEEvPT0_PKT_S5_iiiPKb.kd
    .uniform_work_group_size: 1
    .uses_dynamic_stack: false
    .vgpr_count:     19
    .vgpr_spill_count: 0
    .wavefront_size: 64
  - .agpr_count:     0
    .args:
      - .address_space:  global
        .offset:         0
        .size:           8
        .value_kind:     global_buffer
      - .address_space:  global
        .offset:         8
        .size:           8
        .value_kind:     global_buffer
      - .address_space:  global
        .offset:         16
        .size:           8
        .value_kind:     global_buffer
      - .offset:         24
        .size:           4
        .value_kind:     by_value
      - .offset:         28
        .size:           4
        .value_kind:     by_value
      - .offset:         32
        .size:           4
        .value_kind:     by_value
      - .address_space:  global
        .offset:         40
        .size:           8
        .value_kind:     global_buffer
      - .offset:         48
        .size:           4
        .value_kind:     hidden_block_count_x
      - .offset:         52
        .size:           4
        .value_kind:     hidden_block_count_y
      - .offset:         56
        .size:           4
        .value_kind:     hidden_block_count_z
      - .offset:         60
        .size:           2
        .value_kind:     hidden_group_size_x
      - .offset:         62
        .size:           2
        .value_kind:     hidden_group_size_y
      - .offset:         64
        .size:           2
        .value_kind:     hidden_group_size_z
      - .offset:         66
        .size:           2
        .value_kind:     hidden_remainder_x
      - .offset:         68
        .size:           2
        .value_kind:     hidden_remainder_y
      - .offset:         70
        .size:           2
        .value_kind:     hidden_remainder_z
      - .offset:         88
        .size:           8
        .value_kind:     hidden_global_offset_x
      - .offset:         96
        .size:           8
        .value_kind:     hidden_global_offset_y
      - .offset:         104
        .size:           8
        .value_kind:     hidden_global_offset_z
      - .offset:         112
        .size:           2
        .value_kind:     hidden_grid_dims
    .group_segment_fixed_size: 0
    .kernarg_segment_align: 8
    .kernarg_segment_size: 304
    .language:       OpenCL C
    .language_version:
      - 2
      - 0
    .max_flat_workgroup_size: 1024
    .name:           _ZN12_GLOBAL__N_121softmax_warp_backwardIdddLi1ELb0ELb1ELi64EEEvPT0_PKT_S5_iiiPKb
    .private_segment_fixed_size: 0
    .sgpr_count:     20
    .sgpr_spill_count: 0
    .symbol:         _ZN12_GLOBAL__N_121softmax_warp_backwardIdddLi1ELb0ELb1ELi64EEEvPT0_PKT_S5_iiiPKb.kd
    .uniform_work_group_size: 1
    .uses_dynamic_stack: false
    .vgpr_count:     20
    .vgpr_spill_count: 0
    .wavefront_size: 64
  - .agpr_count:     0
    .args:
      - .address_space:  global
        .offset:         0
        .size:           8
        .value_kind:     global_buffer
      - .address_space:  global
        .offset:         8
        .size:           8
        .value_kind:     global_buffer
      - .address_space:  global
        .offset:         16
        .size:           8
        .value_kind:     global_buffer
      - .offset:         24
        .size:           4
        .value_kind:     by_value
      - .offset:         28
        .size:           4
        .value_kind:     by_value
      - .offset:         32
        .size:           4
        .value_kind:     by_value
      - .address_space:  global
        .offset:         40
        .size:           8
        .value_kind:     global_buffer
      - .offset:         48
        .size:           4
        .value_kind:     hidden_block_count_x
      - .offset:         52
        .size:           4
        .value_kind:     hidden_block_count_y
      - .offset:         56
        .size:           4
        .value_kind:     hidden_block_count_z
      - .offset:         60
        .size:           2
        .value_kind:     hidden_group_size_x
      - .offset:         62
        .size:           2
        .value_kind:     hidden_group_size_y
      - .offset:         64
        .size:           2
        .value_kind:     hidden_group_size_z
      - .offset:         66
        .size:           2
        .value_kind:     hidden_remainder_x
      - .offset:         68
        .size:           2
        .value_kind:     hidden_remainder_y
      - .offset:         70
        .size:           2
        .value_kind:     hidden_remainder_z
      - .offset:         88
        .size:           8
        .value_kind:     hidden_global_offset_x
      - .offset:         96
        .size:           8
        .value_kind:     hidden_global_offset_y
      - .offset:         104
        .size:           8
        .value_kind:     hidden_global_offset_z
      - .offset:         112
        .size:           2
        .value_kind:     hidden_grid_dims
    .group_segment_fixed_size: 0
    .kernarg_segment_align: 8
    .kernarg_segment_size: 304
    .language:       OpenCL C
    .language_version:
      - 2
      - 0
    .max_flat_workgroup_size: 1024
    .name:           _ZN12_GLOBAL__N_121softmax_warp_backwardIdddLi1ELb0ELb1ELi32EEEvPT0_PKT_S5_iiiPKb
    .private_segment_fixed_size: 0
    .sgpr_count:     20
    .sgpr_spill_count: 0
    .symbol:         _ZN12_GLOBAL__N_121softmax_warp_backwardIdddLi1ELb0ELb1ELi32EEEvPT0_PKT_S5_iiiPKb.kd
    .uniform_work_group_size: 1
    .uses_dynamic_stack: false
    .vgpr_count:     20
    .vgpr_spill_count: 0
    .wavefront_size: 64
  - .agpr_count:     0
    .args:
      - .address_space:  global
        .offset:         0
        .size:           8
        .value_kind:     global_buffer
      - .address_space:  global
        .offset:         8
        .size:           8
        .value_kind:     global_buffer
      - .address_space:  global
        .offset:         16
        .size:           8
        .value_kind:     global_buffer
      - .offset:         24
        .size:           4
        .value_kind:     by_value
      - .offset:         28
        .size:           4
        .value_kind:     by_value
      - .offset:         32
        .size:           4
        .value_kind:     by_value
      - .address_space:  global
        .offset:         40
        .size:           8
        .value_kind:     global_buffer
      - .offset:         48
        .size:           4
        .value_kind:     hidden_block_count_x
      - .offset:         52
        .size:           4
        .value_kind:     hidden_block_count_y
      - .offset:         56
        .size:           4
        .value_kind:     hidden_block_count_z
      - .offset:         60
        .size:           2
        .value_kind:     hidden_group_size_x
      - .offset:         62
        .size:           2
        .value_kind:     hidden_group_size_y
      - .offset:         64
        .size:           2
        .value_kind:     hidden_group_size_z
      - .offset:         66
        .size:           2
        .value_kind:     hidden_remainder_x
      - .offset:         68
        .size:           2
        .value_kind:     hidden_remainder_y
      - .offset:         70
        .size:           2
        .value_kind:     hidden_remainder_z
      - .offset:         88
        .size:           8
        .value_kind:     hidden_global_offset_x
      - .offset:         96
        .size:           8
        .value_kind:     hidden_global_offset_y
      - .offset:         104
        .size:           8
        .value_kind:     hidden_global_offset_z
      - .offset:         112
        .size:           2
        .value_kind:     hidden_grid_dims
    .group_segment_fixed_size: 0
    .kernarg_segment_align: 8
    .kernarg_segment_size: 304
    .language:       OpenCL C
    .language_version:
      - 2
      - 0
    .max_flat_workgroup_size: 1024
    .name:           _ZN12_GLOBAL__N_121softmax_warp_backwardIdddLi2ELb0ELb1ELi64EEEvPT0_PKT_S5_iiiPKb
    .private_segment_fixed_size: 0
    .sgpr_count:     20
    .sgpr_spill_count: 0
    .symbol:         _ZN12_GLOBAL__N_121softmax_warp_backwardIdddLi2ELb0ELb1ELi64EEEvPT0_PKT_S5_iiiPKb.kd
    .uniform_work_group_size: 1
    .uses_dynamic_stack: false
    .vgpr_count:     22
    .vgpr_spill_count: 0
    .wavefront_size: 64
  - .agpr_count:     0
    .args:
      - .address_space:  global
        .offset:         0
        .size:           8
        .value_kind:     global_buffer
      - .address_space:  global
        .offset:         8
        .size:           8
        .value_kind:     global_buffer
      - .address_space:  global
        .offset:         16
        .size:           8
        .value_kind:     global_buffer
      - .offset:         24
        .size:           4
        .value_kind:     by_value
      - .offset:         28
        .size:           4
        .value_kind:     by_value
      - .offset:         32
        .size:           4
        .value_kind:     by_value
      - .address_space:  global
        .offset:         40
        .size:           8
        .value_kind:     global_buffer
      - .offset:         48
        .size:           4
        .value_kind:     hidden_block_count_x
      - .offset:         52
        .size:           4
        .value_kind:     hidden_block_count_y
      - .offset:         56
        .size:           4
        .value_kind:     hidden_block_count_z
      - .offset:         60
        .size:           2
        .value_kind:     hidden_group_size_x
      - .offset:         62
        .size:           2
        .value_kind:     hidden_group_size_y
      - .offset:         64
        .size:           2
        .value_kind:     hidden_group_size_z
      - .offset:         66
        .size:           2
        .value_kind:     hidden_remainder_x
      - .offset:         68
        .size:           2
        .value_kind:     hidden_remainder_y
      - .offset:         70
        .size:           2
        .value_kind:     hidden_remainder_z
      - .offset:         88
        .size:           8
        .value_kind:     hidden_global_offset_x
      - .offset:         96
        .size:           8
        .value_kind:     hidden_global_offset_y
      - .offset:         104
        .size:           8
        .value_kind:     hidden_global_offset_z
      - .offset:         112
        .size:           2
        .value_kind:     hidden_grid_dims
    .group_segment_fixed_size: 0
    .kernarg_segment_align: 8
    .kernarg_segment_size: 304
    .language:       OpenCL C
    .language_version:
      - 2
      - 0
    .max_flat_workgroup_size: 1024
    .name:           _ZN12_GLOBAL__N_121softmax_warp_backwardIdddLi2ELb0ELb1ELi32EEEvPT0_PKT_S5_iiiPKb
    .private_segment_fixed_size: 0
    .sgpr_count:     20
    .sgpr_spill_count: 0
    .symbol:         _ZN12_GLOBAL__N_121softmax_warp_backwardIdddLi2ELb0ELb1ELi32EEEvPT0_PKT_S5_iiiPKb.kd
    .uniform_work_group_size: 1
    .uses_dynamic_stack: false
    .vgpr_count:     22
    .vgpr_spill_count: 0
    .wavefront_size: 64
  - .agpr_count:     0
    .args:
      - .address_space:  global
        .offset:         0
        .size:           8
        .value_kind:     global_buffer
      - .address_space:  global
        .offset:         8
        .size:           8
        .value_kind:     global_buffer
      - .address_space:  global
        .offset:         16
        .size:           8
        .value_kind:     global_buffer
      - .offset:         24
        .size:           4
        .value_kind:     by_value
      - .offset:         28
        .size:           4
        .value_kind:     by_value
      - .offset:         32
        .size:           4
        .value_kind:     by_value
      - .address_space:  global
        .offset:         40
        .size:           8
        .value_kind:     global_buffer
      - .offset:         48
        .size:           4
        .value_kind:     hidden_block_count_x
      - .offset:         52
        .size:           4
        .value_kind:     hidden_block_count_y
      - .offset:         56
        .size:           4
        .value_kind:     hidden_block_count_z
      - .offset:         60
        .size:           2
        .value_kind:     hidden_group_size_x
      - .offset:         62
        .size:           2
        .value_kind:     hidden_group_size_y
      - .offset:         64
        .size:           2
        .value_kind:     hidden_group_size_z
      - .offset:         66
        .size:           2
        .value_kind:     hidden_remainder_x
      - .offset:         68
        .size:           2
        .value_kind:     hidden_remainder_y
      - .offset:         70
        .size:           2
        .value_kind:     hidden_remainder_z
      - .offset:         88
        .size:           8
        .value_kind:     hidden_global_offset_x
      - .offset:         96
        .size:           8
        .value_kind:     hidden_global_offset_y
      - .offset:         104
        .size:           8
        .value_kind:     hidden_global_offset_z
      - .offset:         112
        .size:           2
        .value_kind:     hidden_grid_dims
    .group_segment_fixed_size: 0
    .kernarg_segment_align: 8
    .kernarg_segment_size: 304
    .language:       OpenCL C
    .language_version:
      - 2
      - 0
    .max_flat_workgroup_size: 1024
    .name:           _ZN12_GLOBAL__N_121softmax_warp_backwardIdddLi3ELb0ELb1ELi64EEEvPT0_PKT_S5_iiiPKb
    .private_segment_fixed_size: 0
    .sgpr_count:     20
    .sgpr_spill_count: 0
    .symbol:         _ZN12_GLOBAL__N_121softmax_warp_backwardIdddLi3ELb0ELb1ELi64EEEvPT0_PKT_S5_iiiPKb.kd
    .uniform_work_group_size: 1
    .uses_dynamic_stack: false
    .vgpr_count:     23
    .vgpr_spill_count: 0
    .wavefront_size: 64
  - .agpr_count:     0
    .args:
      - .address_space:  global
        .offset:         0
        .size:           8
        .value_kind:     global_buffer
      - .address_space:  global
        .offset:         8
        .size:           8
        .value_kind:     global_buffer
      - .address_space:  global
        .offset:         16
        .size:           8
        .value_kind:     global_buffer
      - .offset:         24
        .size:           4
        .value_kind:     by_value
      - .offset:         28
        .size:           4
        .value_kind:     by_value
      - .offset:         32
        .size:           4
        .value_kind:     by_value
      - .address_space:  global
        .offset:         40
        .size:           8
        .value_kind:     global_buffer
      - .offset:         48
        .size:           4
        .value_kind:     hidden_block_count_x
      - .offset:         52
        .size:           4
        .value_kind:     hidden_block_count_y
      - .offset:         56
        .size:           4
        .value_kind:     hidden_block_count_z
      - .offset:         60
        .size:           2
        .value_kind:     hidden_group_size_x
      - .offset:         62
        .size:           2
        .value_kind:     hidden_group_size_y
      - .offset:         64
        .size:           2
        .value_kind:     hidden_group_size_z
      - .offset:         66
        .size:           2
        .value_kind:     hidden_remainder_x
      - .offset:         68
        .size:           2
        .value_kind:     hidden_remainder_y
      - .offset:         70
        .size:           2
        .value_kind:     hidden_remainder_z
      - .offset:         88
        .size:           8
        .value_kind:     hidden_global_offset_x
      - .offset:         96
        .size:           8
        .value_kind:     hidden_global_offset_y
      - .offset:         104
        .size:           8
        .value_kind:     hidden_global_offset_z
      - .offset:         112
        .size:           2
        .value_kind:     hidden_grid_dims
    .group_segment_fixed_size: 0
    .kernarg_segment_align: 8
    .kernarg_segment_size: 304
    .language:       OpenCL C
    .language_version:
      - 2
      - 0
    .max_flat_workgroup_size: 1024
    .name:           _ZN12_GLOBAL__N_121softmax_warp_backwardIdddLi3ELb0ELb1ELi32EEEvPT0_PKT_S5_iiiPKb
    .private_segment_fixed_size: 0
    .sgpr_count:     20
    .sgpr_spill_count: 0
    .symbol:         _ZN12_GLOBAL__N_121softmax_warp_backwardIdddLi3ELb0ELb1ELi32EEEvPT0_PKT_S5_iiiPKb.kd
    .uniform_work_group_size: 1
    .uses_dynamic_stack: false
    .vgpr_count:     23
    .vgpr_spill_count: 0
    .wavefront_size: 64
  - .agpr_count:     0
    .args:
      - .address_space:  global
        .offset:         0
        .size:           8
        .value_kind:     global_buffer
      - .address_space:  global
        .offset:         8
        .size:           8
        .value_kind:     global_buffer
      - .address_space:  global
        .offset:         16
        .size:           8
        .value_kind:     global_buffer
      - .offset:         24
        .size:           4
        .value_kind:     by_value
      - .offset:         28
        .size:           4
        .value_kind:     by_value
      - .offset:         32
        .size:           4
        .value_kind:     by_value
      - .address_space:  global
        .offset:         40
        .size:           8
        .value_kind:     global_buffer
      - .offset:         48
        .size:           4
        .value_kind:     hidden_block_count_x
      - .offset:         52
        .size:           4
        .value_kind:     hidden_block_count_y
      - .offset:         56
        .size:           4
        .value_kind:     hidden_block_count_z
      - .offset:         60
        .size:           2
        .value_kind:     hidden_group_size_x
      - .offset:         62
        .size:           2
        .value_kind:     hidden_group_size_y
      - .offset:         64
        .size:           2
        .value_kind:     hidden_group_size_z
      - .offset:         66
        .size:           2
        .value_kind:     hidden_remainder_x
      - .offset:         68
        .size:           2
        .value_kind:     hidden_remainder_y
      - .offset:         70
        .size:           2
        .value_kind:     hidden_remainder_z
      - .offset:         88
        .size:           8
        .value_kind:     hidden_global_offset_x
      - .offset:         96
        .size:           8
        .value_kind:     hidden_global_offset_y
      - .offset:         104
        .size:           8
        .value_kind:     hidden_global_offset_z
      - .offset:         112
        .size:           2
        .value_kind:     hidden_grid_dims
    .group_segment_fixed_size: 0
    .kernarg_segment_align: 8
    .kernarg_segment_size: 304
    .language:       OpenCL C
    .language_version:
      - 2
      - 0
    .max_flat_workgroup_size: 1024
    .name:           _ZN12_GLOBAL__N_121softmax_warp_backwardIdddLi4ELb0ELb1ELi64EEEvPT0_PKT_S5_iiiPKb
    .private_segment_fixed_size: 0
    .sgpr_count:     20
    .sgpr_spill_count: 0
    .symbol:         _ZN12_GLOBAL__N_121softmax_warp_backwardIdddLi4ELb0ELb1ELi64EEEvPT0_PKT_S5_iiiPKb.kd
    .uniform_work_group_size: 1
    .uses_dynamic_stack: false
    .vgpr_count:     27
    .vgpr_spill_count: 0
    .wavefront_size: 64
  - .agpr_count:     0
    .args:
      - .address_space:  global
        .offset:         0
        .size:           8
        .value_kind:     global_buffer
      - .address_space:  global
        .offset:         8
        .size:           8
        .value_kind:     global_buffer
      - .address_space:  global
        .offset:         16
        .size:           8
        .value_kind:     global_buffer
      - .offset:         24
        .size:           4
        .value_kind:     by_value
      - .offset:         28
        .size:           4
        .value_kind:     by_value
      - .offset:         32
        .size:           4
        .value_kind:     by_value
      - .address_space:  global
        .offset:         40
        .size:           8
        .value_kind:     global_buffer
      - .offset:         48
        .size:           4
        .value_kind:     hidden_block_count_x
      - .offset:         52
        .size:           4
        .value_kind:     hidden_block_count_y
      - .offset:         56
        .size:           4
        .value_kind:     hidden_block_count_z
      - .offset:         60
        .size:           2
        .value_kind:     hidden_group_size_x
      - .offset:         62
        .size:           2
        .value_kind:     hidden_group_size_y
      - .offset:         64
        .size:           2
        .value_kind:     hidden_group_size_z
      - .offset:         66
        .size:           2
        .value_kind:     hidden_remainder_x
      - .offset:         68
        .size:           2
        .value_kind:     hidden_remainder_y
      - .offset:         70
        .size:           2
        .value_kind:     hidden_remainder_z
      - .offset:         88
        .size:           8
        .value_kind:     hidden_global_offset_x
      - .offset:         96
        .size:           8
        .value_kind:     hidden_global_offset_y
      - .offset:         104
        .size:           8
        .value_kind:     hidden_global_offset_z
      - .offset:         112
        .size:           2
        .value_kind:     hidden_grid_dims
    .group_segment_fixed_size: 0
    .kernarg_segment_align: 8
    .kernarg_segment_size: 304
    .language:       OpenCL C
    .language_version:
      - 2
      - 0
    .max_flat_workgroup_size: 1024
    .name:           _ZN12_GLOBAL__N_121softmax_warp_backwardIdddLi4ELb0ELb1ELi32EEEvPT0_PKT_S5_iiiPKb
    .private_segment_fixed_size: 0
    .sgpr_count:     20
    .sgpr_spill_count: 0
    .symbol:         _ZN12_GLOBAL__N_121softmax_warp_backwardIdddLi4ELb0ELb1ELi32EEEvPT0_PKT_S5_iiiPKb.kd
    .uniform_work_group_size: 1
    .uses_dynamic_stack: false
    .vgpr_count:     27
    .vgpr_spill_count: 0
    .wavefront_size: 64
  - .agpr_count:     0
    .args:
      - .address_space:  global
        .offset:         0
        .size:           8
        .value_kind:     global_buffer
      - .address_space:  global
        .offset:         8
        .size:           8
        .value_kind:     global_buffer
      - .address_space:  global
        .offset:         16
        .size:           8
        .value_kind:     global_buffer
      - .offset:         24
        .size:           4
        .value_kind:     by_value
      - .offset:         28
        .size:           4
        .value_kind:     by_value
      - .offset:         32
        .size:           4
        .value_kind:     by_value
      - .address_space:  global
        .offset:         40
        .size:           8
        .value_kind:     global_buffer
      - .offset:         48
        .size:           4
        .value_kind:     hidden_block_count_x
      - .offset:         52
        .size:           4
        .value_kind:     hidden_block_count_y
      - .offset:         56
        .size:           4
        .value_kind:     hidden_block_count_z
      - .offset:         60
        .size:           2
        .value_kind:     hidden_group_size_x
      - .offset:         62
        .size:           2
        .value_kind:     hidden_group_size_y
      - .offset:         64
        .size:           2
        .value_kind:     hidden_group_size_z
      - .offset:         66
        .size:           2
        .value_kind:     hidden_remainder_x
      - .offset:         68
        .size:           2
        .value_kind:     hidden_remainder_y
      - .offset:         70
        .size:           2
        .value_kind:     hidden_remainder_z
      - .offset:         88
        .size:           8
        .value_kind:     hidden_global_offset_x
      - .offset:         96
        .size:           8
        .value_kind:     hidden_global_offset_y
      - .offset:         104
        .size:           8
        .value_kind:     hidden_global_offset_z
      - .offset:         112
        .size:           2
        .value_kind:     hidden_grid_dims
    .group_segment_fixed_size: 0
    .kernarg_segment_align: 8
    .kernarg_segment_size: 304
    .language:       OpenCL C
    .language_version:
      - 2
      - 0
    .max_flat_workgroup_size: 1024
    .name:           _ZN12_GLOBAL__N_121softmax_warp_backwardIdddLi5ELb0ELb1ELi64EEEvPT0_PKT_S5_iiiPKb
    .private_segment_fixed_size: 0
    .sgpr_count:     20
    .sgpr_spill_count: 0
    .symbol:         _ZN12_GLOBAL__N_121softmax_warp_backwardIdddLi5ELb0ELb1ELi64EEEvPT0_PKT_S5_iiiPKb.kd
    .uniform_work_group_size: 1
    .uses_dynamic_stack: false
    .vgpr_count:     28
    .vgpr_spill_count: 0
    .wavefront_size: 64
  - .agpr_count:     0
    .args:
      - .address_space:  global
        .offset:         0
        .size:           8
        .value_kind:     global_buffer
      - .address_space:  global
        .offset:         8
        .size:           8
        .value_kind:     global_buffer
      - .address_space:  global
        .offset:         16
        .size:           8
        .value_kind:     global_buffer
      - .offset:         24
        .size:           4
        .value_kind:     by_value
      - .offset:         28
        .size:           4
        .value_kind:     by_value
      - .offset:         32
        .size:           4
        .value_kind:     by_value
      - .address_space:  global
        .offset:         40
        .size:           8
        .value_kind:     global_buffer
      - .offset:         48
        .size:           4
        .value_kind:     hidden_block_count_x
      - .offset:         52
        .size:           4
        .value_kind:     hidden_block_count_y
      - .offset:         56
        .size:           4
        .value_kind:     hidden_block_count_z
      - .offset:         60
        .size:           2
        .value_kind:     hidden_group_size_x
      - .offset:         62
        .size:           2
        .value_kind:     hidden_group_size_y
      - .offset:         64
        .size:           2
        .value_kind:     hidden_group_size_z
      - .offset:         66
        .size:           2
        .value_kind:     hidden_remainder_x
      - .offset:         68
        .size:           2
        .value_kind:     hidden_remainder_y
      - .offset:         70
        .size:           2
        .value_kind:     hidden_remainder_z
      - .offset:         88
        .size:           8
        .value_kind:     hidden_global_offset_x
      - .offset:         96
        .size:           8
        .value_kind:     hidden_global_offset_y
      - .offset:         104
        .size:           8
        .value_kind:     hidden_global_offset_z
      - .offset:         112
        .size:           2
        .value_kind:     hidden_grid_dims
    .group_segment_fixed_size: 0
    .kernarg_segment_align: 8
    .kernarg_segment_size: 304
    .language:       OpenCL C
    .language_version:
      - 2
      - 0
    .max_flat_workgroup_size: 1024
    .name:           _ZN12_GLOBAL__N_121softmax_warp_backwardIdddLi5ELb0ELb1ELi32EEEvPT0_PKT_S5_iiiPKb
    .private_segment_fixed_size: 0
    .sgpr_count:     20
    .sgpr_spill_count: 0
    .symbol:         _ZN12_GLOBAL__N_121softmax_warp_backwardIdddLi5ELb0ELb1ELi32EEEvPT0_PKT_S5_iiiPKb.kd
    .uniform_work_group_size: 1
    .uses_dynamic_stack: false
    .vgpr_count:     28
    .vgpr_spill_count: 0
    .wavefront_size: 64
  - .agpr_count:     0
    .args:
      - .address_space:  global
        .offset:         0
        .size:           8
        .value_kind:     global_buffer
      - .address_space:  global
        .offset:         8
        .size:           8
        .value_kind:     global_buffer
      - .address_space:  global
        .offset:         16
        .size:           8
        .value_kind:     global_buffer
      - .offset:         24
        .size:           4
        .value_kind:     by_value
      - .offset:         28
        .size:           4
        .value_kind:     by_value
      - .offset:         32
        .size:           4
        .value_kind:     by_value
      - .address_space:  global
        .offset:         40
        .size:           8
        .value_kind:     global_buffer
      - .offset:         48
        .size:           4
        .value_kind:     hidden_block_count_x
      - .offset:         52
        .size:           4
        .value_kind:     hidden_block_count_y
      - .offset:         56
        .size:           4
        .value_kind:     hidden_block_count_z
      - .offset:         60
        .size:           2
        .value_kind:     hidden_group_size_x
      - .offset:         62
        .size:           2
        .value_kind:     hidden_group_size_y
      - .offset:         64
        .size:           2
        .value_kind:     hidden_group_size_z
      - .offset:         66
        .size:           2
        .value_kind:     hidden_remainder_x
      - .offset:         68
        .size:           2
        .value_kind:     hidden_remainder_y
      - .offset:         70
        .size:           2
        .value_kind:     hidden_remainder_z
      - .offset:         88
        .size:           8
        .value_kind:     hidden_global_offset_x
      - .offset:         96
        .size:           8
        .value_kind:     hidden_global_offset_y
      - .offset:         104
        .size:           8
        .value_kind:     hidden_global_offset_z
      - .offset:         112
        .size:           2
        .value_kind:     hidden_grid_dims
    .group_segment_fixed_size: 0
    .kernarg_segment_align: 8
    .kernarg_segment_size: 304
    .language:       OpenCL C
    .language_version:
      - 2
      - 0
    .max_flat_workgroup_size: 1024
    .name:           _ZN12_GLOBAL__N_121softmax_warp_backwardIdddLi6ELb0ELb1ELi64EEEvPT0_PKT_S5_iiiPKb
    .private_segment_fixed_size: 0
    .sgpr_count:     20
    .sgpr_spill_count: 0
    .symbol:         _ZN12_GLOBAL__N_121softmax_warp_backwardIdddLi6ELb0ELb1ELi64EEEvPT0_PKT_S5_iiiPKb.kd
    .uniform_work_group_size: 1
    .uses_dynamic_stack: false
    .vgpr_count:     29
    .vgpr_spill_count: 0
    .wavefront_size: 64
  - .agpr_count:     0
    .args:
      - .address_space:  global
        .offset:         0
        .size:           8
        .value_kind:     global_buffer
      - .address_space:  global
        .offset:         8
        .size:           8
        .value_kind:     global_buffer
      - .address_space:  global
        .offset:         16
        .size:           8
        .value_kind:     global_buffer
      - .offset:         24
        .size:           4
        .value_kind:     by_value
      - .offset:         28
        .size:           4
        .value_kind:     by_value
      - .offset:         32
        .size:           4
        .value_kind:     by_value
      - .address_space:  global
        .offset:         40
        .size:           8
        .value_kind:     global_buffer
      - .offset:         48
        .size:           4
        .value_kind:     hidden_block_count_x
      - .offset:         52
        .size:           4
        .value_kind:     hidden_block_count_y
      - .offset:         56
        .size:           4
        .value_kind:     hidden_block_count_z
      - .offset:         60
        .size:           2
        .value_kind:     hidden_group_size_x
      - .offset:         62
        .size:           2
        .value_kind:     hidden_group_size_y
      - .offset:         64
        .size:           2
        .value_kind:     hidden_group_size_z
      - .offset:         66
        .size:           2
        .value_kind:     hidden_remainder_x
      - .offset:         68
        .size:           2
        .value_kind:     hidden_remainder_y
      - .offset:         70
        .size:           2
        .value_kind:     hidden_remainder_z
      - .offset:         88
        .size:           8
        .value_kind:     hidden_global_offset_x
      - .offset:         96
        .size:           8
        .value_kind:     hidden_global_offset_y
      - .offset:         104
        .size:           8
        .value_kind:     hidden_global_offset_z
      - .offset:         112
        .size:           2
        .value_kind:     hidden_grid_dims
    .group_segment_fixed_size: 0
    .kernarg_segment_align: 8
    .kernarg_segment_size: 304
    .language:       OpenCL C
    .language_version:
      - 2
      - 0
    .max_flat_workgroup_size: 1024
    .name:           _ZN12_GLOBAL__N_121softmax_warp_backwardIdddLi6ELb0ELb1ELi32EEEvPT0_PKT_S5_iiiPKb
    .private_segment_fixed_size: 0
    .sgpr_count:     22
    .sgpr_spill_count: 0
    .symbol:         _ZN12_GLOBAL__N_121softmax_warp_backwardIdddLi6ELb0ELb1ELi32EEEvPT0_PKT_S5_iiiPKb.kd
    .uniform_work_group_size: 1
    .uses_dynamic_stack: false
    .vgpr_count:     38
    .vgpr_spill_count: 0
    .wavefront_size: 64
  - .agpr_count:     0
    .args:
      - .address_space:  global
        .offset:         0
        .size:           8
        .value_kind:     global_buffer
      - .address_space:  global
        .offset:         8
        .size:           8
        .value_kind:     global_buffer
      - .address_space:  global
        .offset:         16
        .size:           8
        .value_kind:     global_buffer
      - .offset:         24
        .size:           4
        .value_kind:     by_value
      - .offset:         28
        .size:           4
        .value_kind:     by_value
      - .offset:         32
        .size:           4
        .value_kind:     by_value
      - .address_space:  global
        .offset:         40
        .size:           8
        .value_kind:     global_buffer
      - .offset:         48
        .size:           4
        .value_kind:     hidden_block_count_x
      - .offset:         52
        .size:           4
        .value_kind:     hidden_block_count_y
      - .offset:         56
        .size:           4
        .value_kind:     hidden_block_count_z
      - .offset:         60
        .size:           2
        .value_kind:     hidden_group_size_x
      - .offset:         62
        .size:           2
        .value_kind:     hidden_group_size_y
      - .offset:         64
        .size:           2
        .value_kind:     hidden_group_size_z
      - .offset:         66
        .size:           2
        .value_kind:     hidden_remainder_x
      - .offset:         68
        .size:           2
        .value_kind:     hidden_remainder_y
      - .offset:         70
        .size:           2
        .value_kind:     hidden_remainder_z
      - .offset:         88
        .size:           8
        .value_kind:     hidden_global_offset_x
      - .offset:         96
        .size:           8
        .value_kind:     hidden_global_offset_y
      - .offset:         104
        .size:           8
        .value_kind:     hidden_global_offset_z
      - .offset:         112
        .size:           2
        .value_kind:     hidden_grid_dims
    .group_segment_fixed_size: 0
    .kernarg_segment_align: 8
    .kernarg_segment_size: 304
    .language:       OpenCL C
    .language_version:
      - 2
      - 0
    .max_flat_workgroup_size: 1024
    .name:           _ZN12_GLOBAL__N_121softmax_warp_backwardIdddLi7ELb0ELb1ELi64EEEvPT0_PKT_S5_iiiPKb
    .private_segment_fixed_size: 0
    .sgpr_count:     22
    .sgpr_spill_count: 0
    .symbol:         _ZN12_GLOBAL__N_121softmax_warp_backwardIdddLi7ELb0ELb1ELi64EEEvPT0_PKT_S5_iiiPKb.kd
    .uniform_work_group_size: 1
    .uses_dynamic_stack: false
    .vgpr_count:     39
    .vgpr_spill_count: 0
    .wavefront_size: 64
  - .agpr_count:     0
    .args:
      - .address_space:  global
        .offset:         0
        .size:           8
        .value_kind:     global_buffer
      - .address_space:  global
        .offset:         8
        .size:           8
        .value_kind:     global_buffer
      - .address_space:  global
        .offset:         16
        .size:           8
        .value_kind:     global_buffer
      - .offset:         24
        .size:           4
        .value_kind:     by_value
      - .offset:         28
        .size:           4
        .value_kind:     by_value
      - .offset:         32
        .size:           4
        .value_kind:     by_value
      - .address_space:  global
        .offset:         40
        .size:           8
        .value_kind:     global_buffer
      - .offset:         48
        .size:           4
        .value_kind:     hidden_block_count_x
      - .offset:         52
        .size:           4
        .value_kind:     hidden_block_count_y
      - .offset:         56
        .size:           4
        .value_kind:     hidden_block_count_z
      - .offset:         60
        .size:           2
        .value_kind:     hidden_group_size_x
      - .offset:         62
        .size:           2
        .value_kind:     hidden_group_size_y
      - .offset:         64
        .size:           2
        .value_kind:     hidden_group_size_z
      - .offset:         66
        .size:           2
        .value_kind:     hidden_remainder_x
      - .offset:         68
        .size:           2
        .value_kind:     hidden_remainder_y
      - .offset:         70
        .size:           2
        .value_kind:     hidden_remainder_z
      - .offset:         88
        .size:           8
        .value_kind:     hidden_global_offset_x
      - .offset:         96
        .size:           8
        .value_kind:     hidden_global_offset_y
      - .offset:         104
        .size:           8
        .value_kind:     hidden_global_offset_z
      - .offset:         112
        .size:           2
        .value_kind:     hidden_grid_dims
    .group_segment_fixed_size: 0
    .kernarg_segment_align: 8
    .kernarg_segment_size: 304
    .language:       OpenCL C
    .language_version:
      - 2
      - 0
    .max_flat_workgroup_size: 1024
    .name:           _ZN12_GLOBAL__N_121softmax_warp_backwardIdddLi7ELb0ELb1ELi32EEEvPT0_PKT_S5_iiiPKb
    .private_segment_fixed_size: 0
    .sgpr_count:     26
    .sgpr_spill_count: 0
    .symbol:         _ZN12_GLOBAL__N_121softmax_warp_backwardIdddLi7ELb0ELb1ELi32EEEvPT0_PKT_S5_iiiPKb.kd
    .uniform_work_group_size: 1
    .uses_dynamic_stack: false
    .vgpr_count:     61
    .vgpr_spill_count: 0
    .wavefront_size: 64
  - .agpr_count:     0
    .args:
      - .address_space:  global
        .offset:         0
        .size:           8
        .value_kind:     global_buffer
      - .address_space:  global
        .offset:         8
        .size:           8
        .value_kind:     global_buffer
      - .address_space:  global
        .offset:         16
        .size:           8
        .value_kind:     global_buffer
      - .offset:         24
        .size:           4
        .value_kind:     by_value
      - .offset:         28
        .size:           4
        .value_kind:     by_value
      - .offset:         32
        .size:           4
        .value_kind:     by_value
      - .address_space:  global
        .offset:         40
        .size:           8
        .value_kind:     global_buffer
      - .offset:         48
        .size:           4
        .value_kind:     hidden_block_count_x
      - .offset:         52
        .size:           4
        .value_kind:     hidden_block_count_y
      - .offset:         56
        .size:           4
        .value_kind:     hidden_block_count_z
      - .offset:         60
        .size:           2
        .value_kind:     hidden_group_size_x
      - .offset:         62
        .size:           2
        .value_kind:     hidden_group_size_y
      - .offset:         64
        .size:           2
        .value_kind:     hidden_group_size_z
      - .offset:         66
        .size:           2
        .value_kind:     hidden_remainder_x
      - .offset:         68
        .size:           2
        .value_kind:     hidden_remainder_y
      - .offset:         70
        .size:           2
        .value_kind:     hidden_remainder_z
      - .offset:         88
        .size:           8
        .value_kind:     hidden_global_offset_x
      - .offset:         96
        .size:           8
        .value_kind:     hidden_global_offset_y
      - .offset:         104
        .size:           8
        .value_kind:     hidden_global_offset_z
      - .offset:         112
        .size:           2
        .value_kind:     hidden_grid_dims
    .group_segment_fixed_size: 0
    .kernarg_segment_align: 8
    .kernarg_segment_size: 304
    .language:       OpenCL C
    .language_version:
      - 2
      - 0
    .max_flat_workgroup_size: 1024
    .name:           _ZN12_GLOBAL__N_121softmax_warp_backwardIdddLi8ELb0ELb1ELi64EEEvPT0_PKT_S5_iiiPKb
    .private_segment_fixed_size: 0
    .sgpr_count:     20
    .sgpr_spill_count: 0
    .symbol:         _ZN12_GLOBAL__N_121softmax_warp_backwardIdddLi8ELb0ELb1ELi64EEEvPT0_PKT_S5_iiiPKb.kd
    .uniform_work_group_size: 1
    .uses_dynamic_stack: false
    .vgpr_count:     31
    .vgpr_spill_count: 0
    .wavefront_size: 64
  - .agpr_count:     0
    .args:
      - .address_space:  global
        .offset:         0
        .size:           8
        .value_kind:     global_buffer
      - .address_space:  global
        .offset:         8
        .size:           8
        .value_kind:     global_buffer
      - .address_space:  global
        .offset:         16
        .size:           8
        .value_kind:     global_buffer
      - .offset:         24
        .size:           4
        .value_kind:     by_value
      - .offset:         28
        .size:           4
        .value_kind:     by_value
      - .offset:         32
        .size:           4
        .value_kind:     by_value
      - .address_space:  global
        .offset:         40
        .size:           8
        .value_kind:     global_buffer
      - .offset:         48
        .size:           4
        .value_kind:     hidden_block_count_x
      - .offset:         52
        .size:           4
        .value_kind:     hidden_block_count_y
      - .offset:         56
        .size:           4
        .value_kind:     hidden_block_count_z
      - .offset:         60
        .size:           2
        .value_kind:     hidden_group_size_x
      - .offset:         62
        .size:           2
        .value_kind:     hidden_group_size_y
      - .offset:         64
        .size:           2
        .value_kind:     hidden_group_size_z
      - .offset:         66
        .size:           2
        .value_kind:     hidden_remainder_x
      - .offset:         68
        .size:           2
        .value_kind:     hidden_remainder_y
      - .offset:         70
        .size:           2
        .value_kind:     hidden_remainder_z
      - .offset:         88
        .size:           8
        .value_kind:     hidden_global_offset_x
      - .offset:         96
        .size:           8
        .value_kind:     hidden_global_offset_y
      - .offset:         104
        .size:           8
        .value_kind:     hidden_global_offset_z
      - .offset:         112
        .size:           2
        .value_kind:     hidden_grid_dims
    .group_segment_fixed_size: 0
    .kernarg_segment_align: 8
    .kernarg_segment_size: 304
    .language:       OpenCL C
    .language_version:
      - 2
      - 0
    .max_flat_workgroup_size: 1024
    .name:           _ZN12_GLOBAL__N_121softmax_warp_backwardIdddLi8ELb0ELb1ELi32EEEvPT0_PKT_S5_iiiPKb
    .private_segment_fixed_size: 0
    .sgpr_count:     44
    .sgpr_spill_count: 0
    .symbol:         _ZN12_GLOBAL__N_121softmax_warp_backwardIdddLi8ELb0ELb1ELi32EEEvPT0_PKT_S5_iiiPKb.kd
    .uniform_work_group_size: 1
    .uses_dynamic_stack: false
    .vgpr_count:     49
    .vgpr_spill_count: 0
    .wavefront_size: 64
  - .agpr_count:     0
    .args:
      - .address_space:  global
        .offset:         0
        .size:           8
        .value_kind:     global_buffer
      - .address_space:  global
        .offset:         8
        .size:           8
        .value_kind:     global_buffer
      - .address_space:  global
        .offset:         16
        .size:           8
        .value_kind:     global_buffer
      - .offset:         24
        .size:           4
        .value_kind:     by_value
      - .offset:         28
        .size:           4
        .value_kind:     by_value
      - .offset:         32
        .size:           4
        .value_kind:     by_value
      - .address_space:  global
        .offset:         40
        .size:           8
        .value_kind:     global_buffer
      - .offset:         48
        .size:           4
        .value_kind:     hidden_block_count_x
      - .offset:         52
        .size:           4
        .value_kind:     hidden_block_count_y
      - .offset:         56
        .size:           4
        .value_kind:     hidden_block_count_z
      - .offset:         60
        .size:           2
        .value_kind:     hidden_group_size_x
      - .offset:         62
        .size:           2
        .value_kind:     hidden_group_size_y
      - .offset:         64
        .size:           2
        .value_kind:     hidden_group_size_z
      - .offset:         66
        .size:           2
        .value_kind:     hidden_remainder_x
      - .offset:         68
        .size:           2
        .value_kind:     hidden_remainder_y
      - .offset:         70
        .size:           2
        .value_kind:     hidden_remainder_z
      - .offset:         88
        .size:           8
        .value_kind:     hidden_global_offset_x
      - .offset:         96
        .size:           8
        .value_kind:     hidden_global_offset_y
      - .offset:         104
        .size:           8
        .value_kind:     hidden_global_offset_z
      - .offset:         112
        .size:           2
        .value_kind:     hidden_grid_dims
    .group_segment_fixed_size: 0
    .kernarg_segment_align: 8
    .kernarg_segment_size: 304
    .language:       OpenCL C
    .language_version:
      - 2
      - 0
    .max_flat_workgroup_size: 1024
    .name:           _ZN12_GLOBAL__N_121softmax_warp_backwardIdddLi9ELb0ELb1ELi64EEEvPT0_PKT_S5_iiiPKb
    .private_segment_fixed_size: 0
    .sgpr_count:     28
    .sgpr_spill_count: 0
    .symbol:         _ZN12_GLOBAL__N_121softmax_warp_backwardIdddLi9ELb0ELb1ELi64EEEvPT0_PKT_S5_iiiPKb.kd
    .uniform_work_group_size: 1
    .uses_dynamic_stack: false
    .vgpr_count:     51
    .vgpr_spill_count: 0
    .wavefront_size: 64
  - .agpr_count:     0
    .args:
      - .address_space:  global
        .offset:         0
        .size:           8
        .value_kind:     global_buffer
      - .address_space:  global
        .offset:         8
        .size:           8
        .value_kind:     global_buffer
      - .address_space:  global
        .offset:         16
        .size:           8
        .value_kind:     global_buffer
      - .offset:         24
        .size:           4
        .value_kind:     by_value
      - .offset:         28
        .size:           4
        .value_kind:     by_value
      - .offset:         32
        .size:           4
        .value_kind:     by_value
      - .address_space:  global
        .offset:         40
        .size:           8
        .value_kind:     global_buffer
      - .offset:         48
        .size:           4
        .value_kind:     hidden_block_count_x
      - .offset:         52
        .size:           4
        .value_kind:     hidden_block_count_y
      - .offset:         56
        .size:           4
        .value_kind:     hidden_block_count_z
      - .offset:         60
        .size:           2
        .value_kind:     hidden_group_size_x
      - .offset:         62
        .size:           2
        .value_kind:     hidden_group_size_y
      - .offset:         64
        .size:           2
        .value_kind:     hidden_group_size_z
      - .offset:         66
        .size:           2
        .value_kind:     hidden_remainder_x
      - .offset:         68
        .size:           2
        .value_kind:     hidden_remainder_y
      - .offset:         70
        .size:           2
        .value_kind:     hidden_remainder_z
      - .offset:         88
        .size:           8
        .value_kind:     hidden_global_offset_x
      - .offset:         96
        .size:           8
        .value_kind:     hidden_global_offset_y
      - .offset:         104
        .size:           8
        .value_kind:     hidden_global_offset_z
      - .offset:         112
        .size:           2
        .value_kind:     hidden_grid_dims
    .group_segment_fixed_size: 0
    .kernarg_segment_align: 8
    .kernarg_segment_size: 304
    .language:       OpenCL C
    .language_version:
      - 2
      - 0
    .max_flat_workgroup_size: 1024
    .name:           _ZN12_GLOBAL__N_121softmax_warp_backwardIdddLi9ELb0ELb1ELi32EEEvPT0_PKT_S5_iiiPKb
    .private_segment_fixed_size: 0
    .sgpr_count:     76
    .sgpr_spill_count: 0
    .symbol:         _ZN12_GLOBAL__N_121softmax_warp_backwardIdddLi9ELb0ELb1ELi32EEEvPT0_PKT_S5_iiiPKb.kd
    .uniform_work_group_size: 1
    .uses_dynamic_stack: false
    .vgpr_count:     73
    .vgpr_spill_count: 0
    .wavefront_size: 64
  - .agpr_count:     0
    .args:
      - .address_space:  global
        .offset:         0
        .size:           8
        .value_kind:     global_buffer
      - .address_space:  global
        .offset:         8
        .size:           8
        .value_kind:     global_buffer
      - .address_space:  global
        .offset:         16
        .size:           8
        .value_kind:     global_buffer
      - .offset:         24
        .size:           4
        .value_kind:     by_value
      - .offset:         28
        .size:           4
        .value_kind:     by_value
      - .offset:         32
        .size:           4
        .value_kind:     by_value
      - .address_space:  global
        .offset:         40
        .size:           8
        .value_kind:     global_buffer
      - .offset:         48
        .size:           4
        .value_kind:     hidden_block_count_x
      - .offset:         52
        .size:           4
        .value_kind:     hidden_block_count_y
      - .offset:         56
        .size:           4
        .value_kind:     hidden_block_count_z
      - .offset:         60
        .size:           2
        .value_kind:     hidden_group_size_x
      - .offset:         62
        .size:           2
        .value_kind:     hidden_group_size_y
      - .offset:         64
        .size:           2
        .value_kind:     hidden_group_size_z
      - .offset:         66
        .size:           2
        .value_kind:     hidden_remainder_x
      - .offset:         68
        .size:           2
        .value_kind:     hidden_remainder_y
      - .offset:         70
        .size:           2
        .value_kind:     hidden_remainder_z
      - .offset:         88
        .size:           8
        .value_kind:     hidden_global_offset_x
      - .offset:         96
        .size:           8
        .value_kind:     hidden_global_offset_y
      - .offset:         104
        .size:           8
        .value_kind:     hidden_global_offset_z
      - .offset:         112
        .size:           2
        .value_kind:     hidden_grid_dims
    .group_segment_fixed_size: 0
    .kernarg_segment_align: 8
    .kernarg_segment_size: 304
    .language:       OpenCL C
    .language_version:
      - 2
      - 0
    .max_flat_workgroup_size: 1024
    .name:           _ZN12_GLOBAL__N_121softmax_warp_backwardIdddLi10ELb0ELb1ELi64EEEvPT0_PKT_S5_iiiPKb
    .private_segment_fixed_size: 0
    .sgpr_count:     48
    .sgpr_spill_count: 0
    .symbol:         _ZN12_GLOBAL__N_121softmax_warp_backwardIdddLi10ELb0ELb1ELi64EEEvPT0_PKT_S5_iiiPKb.kd
    .uniform_work_group_size: 1
    .uses_dynamic_stack: false
    .vgpr_count:     75
    .vgpr_spill_count: 0
    .wavefront_size: 64
  - .agpr_count:     0
    .args:
      - .address_space:  global
        .offset:         0
        .size:           8
        .value_kind:     global_buffer
      - .address_space:  global
        .offset:         8
        .size:           8
        .value_kind:     global_buffer
      - .address_space:  global
        .offset:         16
        .size:           8
        .value_kind:     global_buffer
      - .offset:         24
        .size:           4
        .value_kind:     by_value
      - .offset:         28
        .size:           4
        .value_kind:     by_value
      - .offset:         32
        .size:           4
        .value_kind:     by_value
      - .address_space:  global
        .offset:         40
        .size:           8
        .value_kind:     global_buffer
      - .offset:         48
        .size:           4
        .value_kind:     hidden_block_count_x
      - .offset:         52
        .size:           4
        .value_kind:     hidden_block_count_y
      - .offset:         56
        .size:           4
        .value_kind:     hidden_block_count_z
      - .offset:         60
        .size:           2
        .value_kind:     hidden_group_size_x
      - .offset:         62
        .size:           2
        .value_kind:     hidden_group_size_y
      - .offset:         64
        .size:           2
        .value_kind:     hidden_group_size_z
      - .offset:         66
        .size:           2
        .value_kind:     hidden_remainder_x
      - .offset:         68
        .size:           2
        .value_kind:     hidden_remainder_y
      - .offset:         70
        .size:           2
        .value_kind:     hidden_remainder_z
      - .offset:         88
        .size:           8
        .value_kind:     hidden_global_offset_x
      - .offset:         96
        .size:           8
        .value_kind:     hidden_global_offset_y
      - .offset:         104
        .size:           8
        .value_kind:     hidden_global_offset_z
      - .offset:         112
        .size:           2
        .value_kind:     hidden_grid_dims
    .group_segment_fixed_size: 0
    .kernarg_segment_align: 8
    .kernarg_segment_size: 304
    .language:       OpenCL C
    .language_version:
      - 2
      - 0
    .max_flat_workgroup_size: 1024
    .name:           _ZN12_GLOBAL__N_121softmax_warp_backwardIdddLi10ELb0ELb1ELi32EEEvPT0_PKT_S5_iiiPKb
    .private_segment_fixed_size: 44
    .sgpr_count:     104
    .sgpr_spill_count: 42
    .symbol:         _ZN12_GLOBAL__N_121softmax_warp_backwardIdddLi10ELb0ELb1ELi32EEEvPT0_PKT_S5_iiiPKb.kd
    .uniform_work_group_size: 1
    .uses_dynamic_stack: false
    .vgpr_count:     128
    .vgpr_spill_count: 20
    .wavefront_size: 64
  - .agpr_count:     0
    .args:
      - .address_space:  global
        .offset:         0
        .size:           8
        .value_kind:     global_buffer
      - .address_space:  global
        .offset:         8
        .size:           8
        .value_kind:     global_buffer
      - .address_space:  global
        .offset:         16
        .size:           8
        .value_kind:     global_buffer
      - .offset:         24
        .size:           4
        .value_kind:     by_value
      - .offset:         28
        .size:           4
        .value_kind:     by_value
      - .offset:         32
        .size:           4
        .value_kind:     by_value
      - .address_space:  global
        .offset:         40
        .size:           8
        .value_kind:     global_buffer
      - .offset:         48
        .size:           4
        .value_kind:     hidden_block_count_x
      - .offset:         52
        .size:           4
        .value_kind:     hidden_block_count_y
      - .offset:         56
        .size:           4
        .value_kind:     hidden_block_count_z
      - .offset:         60
        .size:           2
        .value_kind:     hidden_group_size_x
      - .offset:         62
        .size:           2
        .value_kind:     hidden_group_size_y
      - .offset:         64
        .size:           2
        .value_kind:     hidden_group_size_z
      - .offset:         66
        .size:           2
        .value_kind:     hidden_remainder_x
      - .offset:         68
        .size:           2
        .value_kind:     hidden_remainder_y
      - .offset:         70
        .size:           2
        .value_kind:     hidden_remainder_z
      - .offset:         88
        .size:           8
        .value_kind:     hidden_global_offset_x
      - .offset:         96
        .size:           8
        .value_kind:     hidden_global_offset_y
      - .offset:         104
        .size:           8
        .value_kind:     hidden_global_offset_z
      - .offset:         112
        .size:           2
        .value_kind:     hidden_grid_dims
    .group_segment_fixed_size: 0
    .kernarg_segment_align: 8
    .kernarg_segment_size: 304
    .language:       OpenCL C
    .language_version:
      - 2
      - 0
    .max_flat_workgroup_size: 1024
    .name:           _ZN12_GLOBAL__N_121softmax_warp_backwardIfffLi0ELb0ELb1ELi64EEEvPT0_PKT_S5_iiiPKb
    .private_segment_fixed_size: 0
    .sgpr_count:     20
    .sgpr_spill_count: 0
    .symbol:         _ZN12_GLOBAL__N_121softmax_warp_backwardIfffLi0ELb0ELb1ELi64EEEvPT0_PKT_S5_iiiPKb.kd
    .uniform_work_group_size: 1
    .uses_dynamic_stack: false
    .vgpr_count:     13
    .vgpr_spill_count: 0
    .wavefront_size: 64
  - .agpr_count:     0
    .args:
      - .address_space:  global
        .offset:         0
        .size:           8
        .value_kind:     global_buffer
      - .address_space:  global
        .offset:         8
        .size:           8
        .value_kind:     global_buffer
      - .address_space:  global
        .offset:         16
        .size:           8
        .value_kind:     global_buffer
      - .offset:         24
        .size:           4
        .value_kind:     by_value
      - .offset:         28
        .size:           4
        .value_kind:     by_value
      - .offset:         32
        .size:           4
        .value_kind:     by_value
      - .address_space:  global
        .offset:         40
        .size:           8
        .value_kind:     global_buffer
      - .offset:         48
        .size:           4
        .value_kind:     hidden_block_count_x
      - .offset:         52
        .size:           4
        .value_kind:     hidden_block_count_y
      - .offset:         56
        .size:           4
        .value_kind:     hidden_block_count_z
      - .offset:         60
        .size:           2
        .value_kind:     hidden_group_size_x
      - .offset:         62
        .size:           2
        .value_kind:     hidden_group_size_y
      - .offset:         64
        .size:           2
        .value_kind:     hidden_group_size_z
      - .offset:         66
        .size:           2
        .value_kind:     hidden_remainder_x
      - .offset:         68
        .size:           2
        .value_kind:     hidden_remainder_y
      - .offset:         70
        .size:           2
        .value_kind:     hidden_remainder_z
      - .offset:         88
        .size:           8
        .value_kind:     hidden_global_offset_x
      - .offset:         96
        .size:           8
        .value_kind:     hidden_global_offset_y
      - .offset:         104
        .size:           8
        .value_kind:     hidden_global_offset_z
      - .offset:         112
        .size:           2
        .value_kind:     hidden_grid_dims
    .group_segment_fixed_size: 0
    .kernarg_segment_align: 8
    .kernarg_segment_size: 304
    .language:       OpenCL C
    .language_version:
      - 2
      - 0
    .max_flat_workgroup_size: 1024
    .name:           _ZN12_GLOBAL__N_121softmax_warp_backwardIfffLi0ELb0ELb1ELi32EEEvPT0_PKT_S5_iiiPKb
    .private_segment_fixed_size: 0
    .sgpr_count:     20
    .sgpr_spill_count: 0
    .symbol:         _ZN12_GLOBAL__N_121softmax_warp_backwardIfffLi0ELb0ELb1ELi32EEEvPT0_PKT_S5_iiiPKb.kd
    .uniform_work_group_size: 1
    .uses_dynamic_stack: false
    .vgpr_count:     13
    .vgpr_spill_count: 0
    .wavefront_size: 64
  - .agpr_count:     0
    .args:
      - .address_space:  global
        .offset:         0
        .size:           8
        .value_kind:     global_buffer
      - .address_space:  global
        .offset:         8
        .size:           8
        .value_kind:     global_buffer
      - .address_space:  global
        .offset:         16
        .size:           8
        .value_kind:     global_buffer
      - .offset:         24
        .size:           4
        .value_kind:     by_value
      - .offset:         28
        .size:           4
        .value_kind:     by_value
      - .offset:         32
        .size:           4
        .value_kind:     by_value
      - .address_space:  global
        .offset:         40
        .size:           8
        .value_kind:     global_buffer
      - .offset:         48
        .size:           4
        .value_kind:     hidden_block_count_x
      - .offset:         52
        .size:           4
        .value_kind:     hidden_block_count_y
      - .offset:         56
        .size:           4
        .value_kind:     hidden_block_count_z
      - .offset:         60
        .size:           2
        .value_kind:     hidden_group_size_x
      - .offset:         62
        .size:           2
        .value_kind:     hidden_group_size_y
      - .offset:         64
        .size:           2
        .value_kind:     hidden_group_size_z
      - .offset:         66
        .size:           2
        .value_kind:     hidden_remainder_x
      - .offset:         68
        .size:           2
        .value_kind:     hidden_remainder_y
      - .offset:         70
        .size:           2
        .value_kind:     hidden_remainder_z
      - .offset:         88
        .size:           8
        .value_kind:     hidden_global_offset_x
      - .offset:         96
        .size:           8
        .value_kind:     hidden_global_offset_y
      - .offset:         104
        .size:           8
        .value_kind:     hidden_global_offset_z
      - .offset:         112
        .size:           2
        .value_kind:     hidden_grid_dims
    .group_segment_fixed_size: 0
    .kernarg_segment_align: 8
    .kernarg_segment_size: 304
    .language:       OpenCL C
    .language_version:
      - 2
      - 0
    .max_flat_workgroup_size: 1024
    .name:           _ZN12_GLOBAL__N_121softmax_warp_backwardIfffLi1ELb0ELb1ELi64EEEvPT0_PKT_S5_iiiPKb
    .private_segment_fixed_size: 0
    .sgpr_count:     20
    .sgpr_spill_count: 0
    .symbol:         _ZN12_GLOBAL__N_121softmax_warp_backwardIfffLi1ELb0ELb1ELi64EEEvPT0_PKT_S5_iiiPKb.kd
    .uniform_work_group_size: 1
    .uses_dynamic_stack: false
    .vgpr_count:     14
    .vgpr_spill_count: 0
    .wavefront_size: 64
  - .agpr_count:     0
    .args:
      - .address_space:  global
        .offset:         0
        .size:           8
        .value_kind:     global_buffer
      - .address_space:  global
        .offset:         8
        .size:           8
        .value_kind:     global_buffer
      - .address_space:  global
        .offset:         16
        .size:           8
        .value_kind:     global_buffer
      - .offset:         24
        .size:           4
        .value_kind:     by_value
      - .offset:         28
        .size:           4
        .value_kind:     by_value
      - .offset:         32
        .size:           4
        .value_kind:     by_value
      - .address_space:  global
        .offset:         40
        .size:           8
        .value_kind:     global_buffer
      - .offset:         48
        .size:           4
        .value_kind:     hidden_block_count_x
      - .offset:         52
        .size:           4
        .value_kind:     hidden_block_count_y
      - .offset:         56
        .size:           4
        .value_kind:     hidden_block_count_z
      - .offset:         60
        .size:           2
        .value_kind:     hidden_group_size_x
      - .offset:         62
        .size:           2
        .value_kind:     hidden_group_size_y
      - .offset:         64
        .size:           2
        .value_kind:     hidden_group_size_z
      - .offset:         66
        .size:           2
        .value_kind:     hidden_remainder_x
      - .offset:         68
        .size:           2
        .value_kind:     hidden_remainder_y
      - .offset:         70
        .size:           2
        .value_kind:     hidden_remainder_z
      - .offset:         88
        .size:           8
        .value_kind:     hidden_global_offset_x
      - .offset:         96
        .size:           8
        .value_kind:     hidden_global_offset_y
      - .offset:         104
        .size:           8
        .value_kind:     hidden_global_offset_z
      - .offset:         112
        .size:           2
        .value_kind:     hidden_grid_dims
    .group_segment_fixed_size: 0
    .kernarg_segment_align: 8
    .kernarg_segment_size: 304
    .language:       OpenCL C
    .language_version:
      - 2
      - 0
    .max_flat_workgroup_size: 1024
    .name:           _ZN12_GLOBAL__N_121softmax_warp_backwardIfffLi1ELb0ELb1ELi32EEEvPT0_PKT_S5_iiiPKb
    .private_segment_fixed_size: 0
    .sgpr_count:     20
    .sgpr_spill_count: 0
    .symbol:         _ZN12_GLOBAL__N_121softmax_warp_backwardIfffLi1ELb0ELb1ELi32EEEvPT0_PKT_S5_iiiPKb.kd
    .uniform_work_group_size: 1
    .uses_dynamic_stack: false
    .vgpr_count:     14
    .vgpr_spill_count: 0
    .wavefront_size: 64
  - .agpr_count:     0
    .args:
      - .address_space:  global
        .offset:         0
        .size:           8
        .value_kind:     global_buffer
      - .address_space:  global
        .offset:         8
        .size:           8
        .value_kind:     global_buffer
      - .address_space:  global
        .offset:         16
        .size:           8
        .value_kind:     global_buffer
      - .offset:         24
        .size:           4
        .value_kind:     by_value
      - .offset:         28
        .size:           4
        .value_kind:     by_value
      - .offset:         32
        .size:           4
        .value_kind:     by_value
      - .address_space:  global
        .offset:         40
        .size:           8
        .value_kind:     global_buffer
      - .offset:         48
        .size:           4
        .value_kind:     hidden_block_count_x
      - .offset:         52
        .size:           4
        .value_kind:     hidden_block_count_y
      - .offset:         56
        .size:           4
        .value_kind:     hidden_block_count_z
      - .offset:         60
        .size:           2
        .value_kind:     hidden_group_size_x
      - .offset:         62
        .size:           2
        .value_kind:     hidden_group_size_y
      - .offset:         64
        .size:           2
        .value_kind:     hidden_group_size_z
      - .offset:         66
        .size:           2
        .value_kind:     hidden_remainder_x
      - .offset:         68
        .size:           2
        .value_kind:     hidden_remainder_y
      - .offset:         70
        .size:           2
        .value_kind:     hidden_remainder_z
      - .offset:         88
        .size:           8
        .value_kind:     hidden_global_offset_x
      - .offset:         96
        .size:           8
        .value_kind:     hidden_global_offset_y
      - .offset:         104
        .size:           8
        .value_kind:     hidden_global_offset_z
      - .offset:         112
        .size:           2
        .value_kind:     hidden_grid_dims
    .group_segment_fixed_size: 0
    .kernarg_segment_align: 8
    .kernarg_segment_size: 304
    .language:       OpenCL C
    .language_version:
      - 2
      - 0
    .max_flat_workgroup_size: 1024
    .name:           _ZN12_GLOBAL__N_121softmax_warp_backwardIfffLi2ELb0ELb1ELi64EEEvPT0_PKT_S5_iiiPKb
    .private_segment_fixed_size: 0
    .sgpr_count:     20
    .sgpr_spill_count: 0
    .symbol:         _ZN12_GLOBAL__N_121softmax_warp_backwardIfffLi2ELb0ELb1ELi64EEEvPT0_PKT_S5_iiiPKb.kd
    .uniform_work_group_size: 1
    .uses_dynamic_stack: false
    .vgpr_count:     14
    .vgpr_spill_count: 0
    .wavefront_size: 64
  - .agpr_count:     0
    .args:
      - .address_space:  global
        .offset:         0
        .size:           8
        .value_kind:     global_buffer
      - .address_space:  global
        .offset:         8
        .size:           8
        .value_kind:     global_buffer
      - .address_space:  global
        .offset:         16
        .size:           8
        .value_kind:     global_buffer
      - .offset:         24
        .size:           4
        .value_kind:     by_value
      - .offset:         28
        .size:           4
        .value_kind:     by_value
      - .offset:         32
        .size:           4
        .value_kind:     by_value
      - .address_space:  global
        .offset:         40
        .size:           8
        .value_kind:     global_buffer
      - .offset:         48
        .size:           4
        .value_kind:     hidden_block_count_x
      - .offset:         52
        .size:           4
        .value_kind:     hidden_block_count_y
      - .offset:         56
        .size:           4
        .value_kind:     hidden_block_count_z
      - .offset:         60
        .size:           2
        .value_kind:     hidden_group_size_x
      - .offset:         62
        .size:           2
        .value_kind:     hidden_group_size_y
      - .offset:         64
        .size:           2
        .value_kind:     hidden_group_size_z
      - .offset:         66
        .size:           2
        .value_kind:     hidden_remainder_x
      - .offset:         68
        .size:           2
        .value_kind:     hidden_remainder_y
      - .offset:         70
        .size:           2
        .value_kind:     hidden_remainder_z
      - .offset:         88
        .size:           8
        .value_kind:     hidden_global_offset_x
      - .offset:         96
        .size:           8
        .value_kind:     hidden_global_offset_y
      - .offset:         104
        .size:           8
        .value_kind:     hidden_global_offset_z
      - .offset:         112
        .size:           2
        .value_kind:     hidden_grid_dims
    .group_segment_fixed_size: 0
    .kernarg_segment_align: 8
    .kernarg_segment_size: 304
    .language:       OpenCL C
    .language_version:
      - 2
      - 0
    .max_flat_workgroup_size: 1024
    .name:           _ZN12_GLOBAL__N_121softmax_warp_backwardIfffLi2ELb0ELb1ELi32EEEvPT0_PKT_S5_iiiPKb
    .private_segment_fixed_size: 0
    .sgpr_count:     20
    .sgpr_spill_count: 0
    .symbol:         _ZN12_GLOBAL__N_121softmax_warp_backwardIfffLi2ELb0ELb1ELi32EEEvPT0_PKT_S5_iiiPKb.kd
    .uniform_work_group_size: 1
    .uses_dynamic_stack: false
    .vgpr_count:     14
    .vgpr_spill_count: 0
    .wavefront_size: 64
  - .agpr_count:     0
    .args:
      - .address_space:  global
        .offset:         0
        .size:           8
        .value_kind:     global_buffer
      - .address_space:  global
        .offset:         8
        .size:           8
        .value_kind:     global_buffer
      - .address_space:  global
        .offset:         16
        .size:           8
        .value_kind:     global_buffer
      - .offset:         24
        .size:           4
        .value_kind:     by_value
      - .offset:         28
        .size:           4
        .value_kind:     by_value
      - .offset:         32
        .size:           4
        .value_kind:     by_value
      - .address_space:  global
        .offset:         40
        .size:           8
        .value_kind:     global_buffer
      - .offset:         48
        .size:           4
        .value_kind:     hidden_block_count_x
      - .offset:         52
        .size:           4
        .value_kind:     hidden_block_count_y
      - .offset:         56
        .size:           4
        .value_kind:     hidden_block_count_z
      - .offset:         60
        .size:           2
        .value_kind:     hidden_group_size_x
      - .offset:         62
        .size:           2
        .value_kind:     hidden_group_size_y
      - .offset:         64
        .size:           2
        .value_kind:     hidden_group_size_z
      - .offset:         66
        .size:           2
        .value_kind:     hidden_remainder_x
      - .offset:         68
        .size:           2
        .value_kind:     hidden_remainder_y
      - .offset:         70
        .size:           2
        .value_kind:     hidden_remainder_z
      - .offset:         88
        .size:           8
        .value_kind:     hidden_global_offset_x
      - .offset:         96
        .size:           8
        .value_kind:     hidden_global_offset_y
      - .offset:         104
        .size:           8
        .value_kind:     hidden_global_offset_z
      - .offset:         112
        .size:           2
        .value_kind:     hidden_grid_dims
    .group_segment_fixed_size: 0
    .kernarg_segment_align: 8
    .kernarg_segment_size: 304
    .language:       OpenCL C
    .language_version:
      - 2
      - 0
    .max_flat_workgroup_size: 1024
    .name:           _ZN12_GLOBAL__N_121softmax_warp_backwardIfffLi3ELb0ELb1ELi64EEEvPT0_PKT_S5_iiiPKb
    .private_segment_fixed_size: 0
    .sgpr_count:     20
    .sgpr_spill_count: 0
    .symbol:         _ZN12_GLOBAL__N_121softmax_warp_backwardIfffLi3ELb0ELb1ELi64EEEvPT0_PKT_S5_iiiPKb.kd
    .uniform_work_group_size: 1
    .uses_dynamic_stack: false
    .vgpr_count:     14
    .vgpr_spill_count: 0
    .wavefront_size: 64
  - .agpr_count:     0
    .args:
      - .address_space:  global
        .offset:         0
        .size:           8
        .value_kind:     global_buffer
      - .address_space:  global
        .offset:         8
        .size:           8
        .value_kind:     global_buffer
      - .address_space:  global
        .offset:         16
        .size:           8
        .value_kind:     global_buffer
      - .offset:         24
        .size:           4
        .value_kind:     by_value
      - .offset:         28
        .size:           4
        .value_kind:     by_value
      - .offset:         32
        .size:           4
        .value_kind:     by_value
      - .address_space:  global
        .offset:         40
        .size:           8
        .value_kind:     global_buffer
      - .offset:         48
        .size:           4
        .value_kind:     hidden_block_count_x
      - .offset:         52
        .size:           4
        .value_kind:     hidden_block_count_y
      - .offset:         56
        .size:           4
        .value_kind:     hidden_block_count_z
      - .offset:         60
        .size:           2
        .value_kind:     hidden_group_size_x
      - .offset:         62
        .size:           2
        .value_kind:     hidden_group_size_y
      - .offset:         64
        .size:           2
        .value_kind:     hidden_group_size_z
      - .offset:         66
        .size:           2
        .value_kind:     hidden_remainder_x
      - .offset:         68
        .size:           2
        .value_kind:     hidden_remainder_y
      - .offset:         70
        .size:           2
        .value_kind:     hidden_remainder_z
      - .offset:         88
        .size:           8
        .value_kind:     hidden_global_offset_x
      - .offset:         96
        .size:           8
        .value_kind:     hidden_global_offset_y
      - .offset:         104
        .size:           8
        .value_kind:     hidden_global_offset_z
      - .offset:         112
        .size:           2
        .value_kind:     hidden_grid_dims
    .group_segment_fixed_size: 0
    .kernarg_segment_align: 8
    .kernarg_segment_size: 304
    .language:       OpenCL C
    .language_version:
      - 2
      - 0
    .max_flat_workgroup_size: 1024
    .name:           _ZN12_GLOBAL__N_121softmax_warp_backwardIfffLi3ELb0ELb1ELi32EEEvPT0_PKT_S5_iiiPKb
    .private_segment_fixed_size: 0
    .sgpr_count:     20
    .sgpr_spill_count: 0
    .symbol:         _ZN12_GLOBAL__N_121softmax_warp_backwardIfffLi3ELb0ELb1ELi32EEEvPT0_PKT_S5_iiiPKb.kd
    .uniform_work_group_size: 1
    .uses_dynamic_stack: false
    .vgpr_count:     14
    .vgpr_spill_count: 0
    .wavefront_size: 64
  - .agpr_count:     0
    .args:
      - .address_space:  global
        .offset:         0
        .size:           8
        .value_kind:     global_buffer
      - .address_space:  global
        .offset:         8
        .size:           8
        .value_kind:     global_buffer
      - .address_space:  global
        .offset:         16
        .size:           8
        .value_kind:     global_buffer
      - .offset:         24
        .size:           4
        .value_kind:     by_value
      - .offset:         28
        .size:           4
        .value_kind:     by_value
      - .offset:         32
        .size:           4
        .value_kind:     by_value
      - .address_space:  global
        .offset:         40
        .size:           8
        .value_kind:     global_buffer
      - .offset:         48
        .size:           4
        .value_kind:     hidden_block_count_x
      - .offset:         52
        .size:           4
        .value_kind:     hidden_block_count_y
      - .offset:         56
        .size:           4
        .value_kind:     hidden_block_count_z
      - .offset:         60
        .size:           2
        .value_kind:     hidden_group_size_x
      - .offset:         62
        .size:           2
        .value_kind:     hidden_group_size_y
      - .offset:         64
        .size:           2
        .value_kind:     hidden_group_size_z
      - .offset:         66
        .size:           2
        .value_kind:     hidden_remainder_x
      - .offset:         68
        .size:           2
        .value_kind:     hidden_remainder_y
      - .offset:         70
        .size:           2
        .value_kind:     hidden_remainder_z
      - .offset:         88
        .size:           8
        .value_kind:     hidden_global_offset_x
      - .offset:         96
        .size:           8
        .value_kind:     hidden_global_offset_y
      - .offset:         104
        .size:           8
        .value_kind:     hidden_global_offset_z
      - .offset:         112
        .size:           2
        .value_kind:     hidden_grid_dims
    .group_segment_fixed_size: 0
    .kernarg_segment_align: 8
    .kernarg_segment_size: 304
    .language:       OpenCL C
    .language_version:
      - 2
      - 0
    .max_flat_workgroup_size: 1024
    .name:           _ZN12_GLOBAL__N_121softmax_warp_backwardIfffLi4ELb0ELb1ELi64EEEvPT0_PKT_S5_iiiPKb
    .private_segment_fixed_size: 0
    .sgpr_count:     20
    .sgpr_spill_count: 0
    .symbol:         _ZN12_GLOBAL__N_121softmax_warp_backwardIfffLi4ELb0ELb1ELi64EEEvPT0_PKT_S5_iiiPKb.kd
    .uniform_work_group_size: 1
    .uses_dynamic_stack: false
    .vgpr_count:     14
    .vgpr_spill_count: 0
    .wavefront_size: 64
  - .agpr_count:     0
    .args:
      - .address_space:  global
        .offset:         0
        .size:           8
        .value_kind:     global_buffer
      - .address_space:  global
        .offset:         8
        .size:           8
        .value_kind:     global_buffer
      - .address_space:  global
        .offset:         16
        .size:           8
        .value_kind:     global_buffer
      - .offset:         24
        .size:           4
        .value_kind:     by_value
      - .offset:         28
        .size:           4
        .value_kind:     by_value
      - .offset:         32
        .size:           4
        .value_kind:     by_value
      - .address_space:  global
        .offset:         40
        .size:           8
        .value_kind:     global_buffer
      - .offset:         48
        .size:           4
        .value_kind:     hidden_block_count_x
      - .offset:         52
        .size:           4
        .value_kind:     hidden_block_count_y
      - .offset:         56
        .size:           4
        .value_kind:     hidden_block_count_z
      - .offset:         60
        .size:           2
        .value_kind:     hidden_group_size_x
      - .offset:         62
        .size:           2
        .value_kind:     hidden_group_size_y
      - .offset:         64
        .size:           2
        .value_kind:     hidden_group_size_z
      - .offset:         66
        .size:           2
        .value_kind:     hidden_remainder_x
      - .offset:         68
        .size:           2
        .value_kind:     hidden_remainder_y
      - .offset:         70
        .size:           2
        .value_kind:     hidden_remainder_z
      - .offset:         88
        .size:           8
        .value_kind:     hidden_global_offset_x
      - .offset:         96
        .size:           8
        .value_kind:     hidden_global_offset_y
      - .offset:         104
        .size:           8
        .value_kind:     hidden_global_offset_z
      - .offset:         112
        .size:           2
        .value_kind:     hidden_grid_dims
    .group_segment_fixed_size: 0
    .kernarg_segment_align: 8
    .kernarg_segment_size: 304
    .language:       OpenCL C
    .language_version:
      - 2
      - 0
    .max_flat_workgroup_size: 1024
    .name:           _ZN12_GLOBAL__N_121softmax_warp_backwardIfffLi4ELb0ELb1ELi32EEEvPT0_PKT_S5_iiiPKb
    .private_segment_fixed_size: 0
    .sgpr_count:     20
    .sgpr_spill_count: 0
    .symbol:         _ZN12_GLOBAL__N_121softmax_warp_backwardIfffLi4ELb0ELb1ELi32EEEvPT0_PKT_S5_iiiPKb.kd
    .uniform_work_group_size: 1
    .uses_dynamic_stack: false
    .vgpr_count:     14
    .vgpr_spill_count: 0
    .wavefront_size: 64
  - .agpr_count:     0
    .args:
      - .address_space:  global
        .offset:         0
        .size:           8
        .value_kind:     global_buffer
      - .address_space:  global
        .offset:         8
        .size:           8
        .value_kind:     global_buffer
      - .address_space:  global
        .offset:         16
        .size:           8
        .value_kind:     global_buffer
      - .offset:         24
        .size:           4
        .value_kind:     by_value
      - .offset:         28
        .size:           4
        .value_kind:     by_value
      - .offset:         32
        .size:           4
        .value_kind:     by_value
      - .address_space:  global
        .offset:         40
        .size:           8
        .value_kind:     global_buffer
      - .offset:         48
        .size:           4
        .value_kind:     hidden_block_count_x
      - .offset:         52
        .size:           4
        .value_kind:     hidden_block_count_y
      - .offset:         56
        .size:           4
        .value_kind:     hidden_block_count_z
      - .offset:         60
        .size:           2
        .value_kind:     hidden_group_size_x
      - .offset:         62
        .size:           2
        .value_kind:     hidden_group_size_y
      - .offset:         64
        .size:           2
        .value_kind:     hidden_group_size_z
      - .offset:         66
        .size:           2
        .value_kind:     hidden_remainder_x
      - .offset:         68
        .size:           2
        .value_kind:     hidden_remainder_y
      - .offset:         70
        .size:           2
        .value_kind:     hidden_remainder_z
      - .offset:         88
        .size:           8
        .value_kind:     hidden_global_offset_x
      - .offset:         96
        .size:           8
        .value_kind:     hidden_global_offset_y
      - .offset:         104
        .size:           8
        .value_kind:     hidden_global_offset_z
      - .offset:         112
        .size:           2
        .value_kind:     hidden_grid_dims
    .group_segment_fixed_size: 0
    .kernarg_segment_align: 8
    .kernarg_segment_size: 304
    .language:       OpenCL C
    .language_version:
      - 2
      - 0
    .max_flat_workgroup_size: 1024
    .name:           _ZN12_GLOBAL__N_121softmax_warp_backwardIfffLi5ELb0ELb1ELi64EEEvPT0_PKT_S5_iiiPKb
    .private_segment_fixed_size: 0
    .sgpr_count:     20
    .sgpr_spill_count: 0
    .symbol:         _ZN12_GLOBAL__N_121softmax_warp_backwardIfffLi5ELb0ELb1ELi64EEEvPT0_PKT_S5_iiiPKb.kd
    .uniform_work_group_size: 1
    .uses_dynamic_stack: false
    .vgpr_count:     14
    .vgpr_spill_count: 0
    .wavefront_size: 64
  - .agpr_count:     0
    .args:
      - .address_space:  global
        .offset:         0
        .size:           8
        .value_kind:     global_buffer
      - .address_space:  global
        .offset:         8
        .size:           8
        .value_kind:     global_buffer
      - .address_space:  global
        .offset:         16
        .size:           8
        .value_kind:     global_buffer
      - .offset:         24
        .size:           4
        .value_kind:     by_value
      - .offset:         28
        .size:           4
        .value_kind:     by_value
      - .offset:         32
        .size:           4
        .value_kind:     by_value
      - .address_space:  global
        .offset:         40
        .size:           8
        .value_kind:     global_buffer
      - .offset:         48
        .size:           4
        .value_kind:     hidden_block_count_x
      - .offset:         52
        .size:           4
        .value_kind:     hidden_block_count_y
      - .offset:         56
        .size:           4
        .value_kind:     hidden_block_count_z
      - .offset:         60
        .size:           2
        .value_kind:     hidden_group_size_x
      - .offset:         62
        .size:           2
        .value_kind:     hidden_group_size_y
      - .offset:         64
        .size:           2
        .value_kind:     hidden_group_size_z
      - .offset:         66
        .size:           2
        .value_kind:     hidden_remainder_x
      - .offset:         68
        .size:           2
        .value_kind:     hidden_remainder_y
      - .offset:         70
        .size:           2
        .value_kind:     hidden_remainder_z
      - .offset:         88
        .size:           8
        .value_kind:     hidden_global_offset_x
      - .offset:         96
        .size:           8
        .value_kind:     hidden_global_offset_y
      - .offset:         104
        .size:           8
        .value_kind:     hidden_global_offset_z
      - .offset:         112
        .size:           2
        .value_kind:     hidden_grid_dims
    .group_segment_fixed_size: 0
    .kernarg_segment_align: 8
    .kernarg_segment_size: 304
    .language:       OpenCL C
    .language_version:
      - 2
      - 0
    .max_flat_workgroup_size: 1024
    .name:           _ZN12_GLOBAL__N_121softmax_warp_backwardIfffLi5ELb0ELb1ELi32EEEvPT0_PKT_S5_iiiPKb
    .private_segment_fixed_size: 0
    .sgpr_count:     20
    .sgpr_spill_count: 0
    .symbol:         _ZN12_GLOBAL__N_121softmax_warp_backwardIfffLi5ELb0ELb1ELi32EEEvPT0_PKT_S5_iiiPKb.kd
    .uniform_work_group_size: 1
    .uses_dynamic_stack: false
    .vgpr_count:     14
    .vgpr_spill_count: 0
    .wavefront_size: 64
  - .agpr_count:     0
    .args:
      - .address_space:  global
        .offset:         0
        .size:           8
        .value_kind:     global_buffer
      - .address_space:  global
        .offset:         8
        .size:           8
        .value_kind:     global_buffer
      - .address_space:  global
        .offset:         16
        .size:           8
        .value_kind:     global_buffer
      - .offset:         24
        .size:           4
        .value_kind:     by_value
      - .offset:         28
        .size:           4
        .value_kind:     by_value
      - .offset:         32
        .size:           4
        .value_kind:     by_value
      - .address_space:  global
        .offset:         40
        .size:           8
        .value_kind:     global_buffer
      - .offset:         48
        .size:           4
        .value_kind:     hidden_block_count_x
      - .offset:         52
        .size:           4
        .value_kind:     hidden_block_count_y
      - .offset:         56
        .size:           4
        .value_kind:     hidden_block_count_z
      - .offset:         60
        .size:           2
        .value_kind:     hidden_group_size_x
      - .offset:         62
        .size:           2
        .value_kind:     hidden_group_size_y
      - .offset:         64
        .size:           2
        .value_kind:     hidden_group_size_z
      - .offset:         66
        .size:           2
        .value_kind:     hidden_remainder_x
      - .offset:         68
        .size:           2
        .value_kind:     hidden_remainder_y
      - .offset:         70
        .size:           2
        .value_kind:     hidden_remainder_z
      - .offset:         88
        .size:           8
        .value_kind:     hidden_global_offset_x
      - .offset:         96
        .size:           8
        .value_kind:     hidden_global_offset_y
      - .offset:         104
        .size:           8
        .value_kind:     hidden_global_offset_z
      - .offset:         112
        .size:           2
        .value_kind:     hidden_grid_dims
    .group_segment_fixed_size: 0
    .kernarg_segment_align: 8
    .kernarg_segment_size: 304
    .language:       OpenCL C
    .language_version:
      - 2
      - 0
    .max_flat_workgroup_size: 1024
    .name:           _ZN12_GLOBAL__N_121softmax_warp_backwardIfffLi6ELb0ELb1ELi64EEEvPT0_PKT_S5_iiiPKb
    .private_segment_fixed_size: 0
    .sgpr_count:     20
    .sgpr_spill_count: 0
    .symbol:         _ZN12_GLOBAL__N_121softmax_warp_backwardIfffLi6ELb0ELb1ELi64EEEvPT0_PKT_S5_iiiPKb.kd
    .uniform_work_group_size: 1
    .uses_dynamic_stack: false
    .vgpr_count:     14
    .vgpr_spill_count: 0
    .wavefront_size: 64
  - .agpr_count:     0
    .args:
      - .address_space:  global
        .offset:         0
        .size:           8
        .value_kind:     global_buffer
      - .address_space:  global
        .offset:         8
        .size:           8
        .value_kind:     global_buffer
      - .address_space:  global
        .offset:         16
        .size:           8
        .value_kind:     global_buffer
      - .offset:         24
        .size:           4
        .value_kind:     by_value
      - .offset:         28
        .size:           4
        .value_kind:     by_value
      - .offset:         32
        .size:           4
        .value_kind:     by_value
      - .address_space:  global
        .offset:         40
        .size:           8
        .value_kind:     global_buffer
      - .offset:         48
        .size:           4
        .value_kind:     hidden_block_count_x
      - .offset:         52
        .size:           4
        .value_kind:     hidden_block_count_y
      - .offset:         56
        .size:           4
        .value_kind:     hidden_block_count_z
      - .offset:         60
        .size:           2
        .value_kind:     hidden_group_size_x
      - .offset:         62
        .size:           2
        .value_kind:     hidden_group_size_y
      - .offset:         64
        .size:           2
        .value_kind:     hidden_group_size_z
      - .offset:         66
        .size:           2
        .value_kind:     hidden_remainder_x
      - .offset:         68
        .size:           2
        .value_kind:     hidden_remainder_y
      - .offset:         70
        .size:           2
        .value_kind:     hidden_remainder_z
      - .offset:         88
        .size:           8
        .value_kind:     hidden_global_offset_x
      - .offset:         96
        .size:           8
        .value_kind:     hidden_global_offset_y
      - .offset:         104
        .size:           8
        .value_kind:     hidden_global_offset_z
      - .offset:         112
        .size:           2
        .value_kind:     hidden_grid_dims
    .group_segment_fixed_size: 0
    .kernarg_segment_align: 8
    .kernarg_segment_size: 304
    .language:       OpenCL C
    .language_version:
      - 2
      - 0
    .max_flat_workgroup_size: 1024
    .name:           _ZN12_GLOBAL__N_121softmax_warp_backwardIfffLi6ELb0ELb1ELi32EEEvPT0_PKT_S5_iiiPKb
    .private_segment_fixed_size: 0
    .sgpr_count:     24
    .sgpr_spill_count: 0
    .symbol:         _ZN12_GLOBAL__N_121softmax_warp_backwardIfffLi6ELb0ELb1ELi32EEEvPT0_PKT_S5_iiiPKb.kd
    .uniform_work_group_size: 1
    .uses_dynamic_stack: false
    .vgpr_count:     20
    .vgpr_spill_count: 0
    .wavefront_size: 64
  - .agpr_count:     0
    .args:
      - .address_space:  global
        .offset:         0
        .size:           8
        .value_kind:     global_buffer
      - .address_space:  global
        .offset:         8
        .size:           8
        .value_kind:     global_buffer
      - .address_space:  global
        .offset:         16
        .size:           8
        .value_kind:     global_buffer
      - .offset:         24
        .size:           4
        .value_kind:     by_value
      - .offset:         28
        .size:           4
        .value_kind:     by_value
      - .offset:         32
        .size:           4
        .value_kind:     by_value
      - .address_space:  global
        .offset:         40
        .size:           8
        .value_kind:     global_buffer
      - .offset:         48
        .size:           4
        .value_kind:     hidden_block_count_x
      - .offset:         52
        .size:           4
        .value_kind:     hidden_block_count_y
      - .offset:         56
        .size:           4
        .value_kind:     hidden_block_count_z
      - .offset:         60
        .size:           2
        .value_kind:     hidden_group_size_x
      - .offset:         62
        .size:           2
        .value_kind:     hidden_group_size_y
      - .offset:         64
        .size:           2
        .value_kind:     hidden_group_size_z
      - .offset:         66
        .size:           2
        .value_kind:     hidden_remainder_x
      - .offset:         68
        .size:           2
        .value_kind:     hidden_remainder_y
      - .offset:         70
        .size:           2
        .value_kind:     hidden_remainder_z
      - .offset:         88
        .size:           8
        .value_kind:     hidden_global_offset_x
      - .offset:         96
        .size:           8
        .value_kind:     hidden_global_offset_y
      - .offset:         104
        .size:           8
        .value_kind:     hidden_global_offset_z
      - .offset:         112
        .size:           2
        .value_kind:     hidden_grid_dims
    .group_segment_fixed_size: 0
    .kernarg_segment_align: 8
    .kernarg_segment_size: 304
    .language:       OpenCL C
    .language_version:
      - 2
      - 0
    .max_flat_workgroup_size: 1024
    .name:           _ZN12_GLOBAL__N_121softmax_warp_backwardIfffLi7ELb0ELb1ELi64EEEvPT0_PKT_S5_iiiPKb
    .private_segment_fixed_size: 0
    .sgpr_count:     24
    .sgpr_spill_count: 0
    .symbol:         _ZN12_GLOBAL__N_121softmax_warp_backwardIfffLi7ELb0ELb1ELi64EEEvPT0_PKT_S5_iiiPKb.kd
    .uniform_work_group_size: 1
    .uses_dynamic_stack: false
    .vgpr_count:     22
    .vgpr_spill_count: 0
    .wavefront_size: 64
  - .agpr_count:     0
    .args:
      - .address_space:  global
        .offset:         0
        .size:           8
        .value_kind:     global_buffer
      - .address_space:  global
        .offset:         8
        .size:           8
        .value_kind:     global_buffer
      - .address_space:  global
        .offset:         16
        .size:           8
        .value_kind:     global_buffer
      - .offset:         24
        .size:           4
        .value_kind:     by_value
      - .offset:         28
        .size:           4
        .value_kind:     by_value
      - .offset:         32
        .size:           4
        .value_kind:     by_value
      - .address_space:  global
        .offset:         40
        .size:           8
        .value_kind:     global_buffer
      - .offset:         48
        .size:           4
        .value_kind:     hidden_block_count_x
      - .offset:         52
        .size:           4
        .value_kind:     hidden_block_count_y
      - .offset:         56
        .size:           4
        .value_kind:     hidden_block_count_z
      - .offset:         60
        .size:           2
        .value_kind:     hidden_group_size_x
      - .offset:         62
        .size:           2
        .value_kind:     hidden_group_size_y
      - .offset:         64
        .size:           2
        .value_kind:     hidden_group_size_z
      - .offset:         66
        .size:           2
        .value_kind:     hidden_remainder_x
      - .offset:         68
        .size:           2
        .value_kind:     hidden_remainder_y
      - .offset:         70
        .size:           2
        .value_kind:     hidden_remainder_z
      - .offset:         88
        .size:           8
        .value_kind:     hidden_global_offset_x
      - .offset:         96
        .size:           8
        .value_kind:     hidden_global_offset_y
      - .offset:         104
        .size:           8
        .value_kind:     hidden_global_offset_z
      - .offset:         112
        .size:           2
        .value_kind:     hidden_grid_dims
    .group_segment_fixed_size: 0
    .kernarg_segment_align: 8
    .kernarg_segment_size: 304
    .language:       OpenCL C
    .language_version:
      - 2
      - 0
    .max_flat_workgroup_size: 1024
    .name:           _ZN12_GLOBAL__N_121softmax_warp_backwardIfffLi7ELb0ELb1ELi32EEEvPT0_PKT_S5_iiiPKb
    .private_segment_fixed_size: 0
    .sgpr_count:     32
    .sgpr_spill_count: 0
    .symbol:         _ZN12_GLOBAL__N_121softmax_warp_backwardIfffLi7ELb0ELb1ELi32EEEvPT0_PKT_S5_iiiPKb.kd
    .uniform_work_group_size: 1
    .uses_dynamic_stack: false
    .vgpr_count:     34
    .vgpr_spill_count: 0
    .wavefront_size: 64
  - .agpr_count:     0
    .args:
      - .address_space:  global
        .offset:         0
        .size:           8
        .value_kind:     global_buffer
      - .address_space:  global
        .offset:         8
        .size:           8
        .value_kind:     global_buffer
      - .address_space:  global
        .offset:         16
        .size:           8
        .value_kind:     global_buffer
      - .offset:         24
        .size:           4
        .value_kind:     by_value
      - .offset:         28
        .size:           4
        .value_kind:     by_value
      - .offset:         32
        .size:           4
        .value_kind:     by_value
      - .address_space:  global
        .offset:         40
        .size:           8
        .value_kind:     global_buffer
      - .offset:         48
        .size:           4
        .value_kind:     hidden_block_count_x
      - .offset:         52
        .size:           4
        .value_kind:     hidden_block_count_y
      - .offset:         56
        .size:           4
        .value_kind:     hidden_block_count_z
      - .offset:         60
        .size:           2
        .value_kind:     hidden_group_size_x
      - .offset:         62
        .size:           2
        .value_kind:     hidden_group_size_y
      - .offset:         64
        .size:           2
        .value_kind:     hidden_group_size_z
      - .offset:         66
        .size:           2
        .value_kind:     hidden_remainder_x
      - .offset:         68
        .size:           2
        .value_kind:     hidden_remainder_y
      - .offset:         70
        .size:           2
        .value_kind:     hidden_remainder_z
      - .offset:         88
        .size:           8
        .value_kind:     hidden_global_offset_x
      - .offset:         96
        .size:           8
        .value_kind:     hidden_global_offset_y
      - .offset:         104
        .size:           8
        .value_kind:     hidden_global_offset_z
      - .offset:         112
        .size:           2
        .value_kind:     hidden_grid_dims
    .group_segment_fixed_size: 0
    .kernarg_segment_align: 8
    .kernarg_segment_size: 304
    .language:       OpenCL C
    .language_version:
      - 2
      - 0
    .max_flat_workgroup_size: 1024
    .name:           _ZN12_GLOBAL__N_121softmax_warp_backwardIfffLi8ELb0ELb1ELi64EEEvPT0_PKT_S5_iiiPKb
    .private_segment_fixed_size: 0
    .sgpr_count:     24
    .sgpr_spill_count: 0
    .symbol:         _ZN12_GLOBAL__N_121softmax_warp_backwardIfffLi8ELb0ELb1ELi64EEEvPT0_PKT_S5_iiiPKb.kd
    .uniform_work_group_size: 1
    .uses_dynamic_stack: false
    .vgpr_count:     19
    .vgpr_spill_count: 0
    .wavefront_size: 64
  - .agpr_count:     0
    .args:
      - .address_space:  global
        .offset:         0
        .size:           8
        .value_kind:     global_buffer
      - .address_space:  global
        .offset:         8
        .size:           8
        .value_kind:     global_buffer
      - .address_space:  global
        .offset:         16
        .size:           8
        .value_kind:     global_buffer
      - .offset:         24
        .size:           4
        .value_kind:     by_value
      - .offset:         28
        .size:           4
        .value_kind:     by_value
      - .offset:         32
        .size:           4
        .value_kind:     by_value
      - .address_space:  global
        .offset:         40
        .size:           8
        .value_kind:     global_buffer
      - .offset:         48
        .size:           4
        .value_kind:     hidden_block_count_x
      - .offset:         52
        .size:           4
        .value_kind:     hidden_block_count_y
      - .offset:         56
        .size:           4
        .value_kind:     hidden_block_count_z
      - .offset:         60
        .size:           2
        .value_kind:     hidden_group_size_x
      - .offset:         62
        .size:           2
        .value_kind:     hidden_group_size_y
      - .offset:         64
        .size:           2
        .value_kind:     hidden_group_size_z
      - .offset:         66
        .size:           2
        .value_kind:     hidden_remainder_x
      - .offset:         68
        .size:           2
        .value_kind:     hidden_remainder_y
      - .offset:         70
        .size:           2
        .value_kind:     hidden_remainder_z
      - .offset:         88
        .size:           8
        .value_kind:     hidden_global_offset_x
      - .offset:         96
        .size:           8
        .value_kind:     hidden_global_offset_y
      - .offset:         104
        .size:           8
        .value_kind:     hidden_global_offset_z
      - .offset:         112
        .size:           2
        .value_kind:     hidden_grid_dims
    .group_segment_fixed_size: 0
    .kernarg_segment_align: 8
    .kernarg_segment_size: 304
    .language:       OpenCL C
    .language_version:
      - 2
      - 0
    .max_flat_workgroup_size: 1024
    .name:           _ZN12_GLOBAL__N_121softmax_warp_backwardIfffLi8ELb0ELb1ELi32EEEvPT0_PKT_S5_iiiPKb
    .private_segment_fixed_size: 0
    .sgpr_count:     44
    .sgpr_spill_count: 0
    .symbol:         _ZN12_GLOBAL__N_121softmax_warp_backwardIfffLi8ELb0ELb1ELi32EEEvPT0_PKT_S5_iiiPKb.kd
    .uniform_work_group_size: 1
    .uses_dynamic_stack: false
    .vgpr_count:     31
    .vgpr_spill_count: 0
    .wavefront_size: 64
  - .agpr_count:     0
    .args:
      - .address_space:  global
        .offset:         0
        .size:           8
        .value_kind:     global_buffer
      - .address_space:  global
        .offset:         8
        .size:           8
        .value_kind:     global_buffer
      - .address_space:  global
        .offset:         16
        .size:           8
        .value_kind:     global_buffer
      - .offset:         24
        .size:           4
        .value_kind:     by_value
      - .offset:         28
        .size:           4
        .value_kind:     by_value
      - .offset:         32
        .size:           4
        .value_kind:     by_value
      - .address_space:  global
        .offset:         40
        .size:           8
        .value_kind:     global_buffer
      - .offset:         48
        .size:           4
        .value_kind:     hidden_block_count_x
      - .offset:         52
        .size:           4
        .value_kind:     hidden_block_count_y
      - .offset:         56
        .size:           4
        .value_kind:     hidden_block_count_z
      - .offset:         60
        .size:           2
        .value_kind:     hidden_group_size_x
      - .offset:         62
        .size:           2
        .value_kind:     hidden_group_size_y
      - .offset:         64
        .size:           2
        .value_kind:     hidden_group_size_z
      - .offset:         66
        .size:           2
        .value_kind:     hidden_remainder_x
      - .offset:         68
        .size:           2
        .value_kind:     hidden_remainder_y
      - .offset:         70
        .size:           2
        .value_kind:     hidden_remainder_z
      - .offset:         88
        .size:           8
        .value_kind:     hidden_global_offset_x
      - .offset:         96
        .size:           8
        .value_kind:     hidden_global_offset_y
      - .offset:         104
        .size:           8
        .value_kind:     hidden_global_offset_z
      - .offset:         112
        .size:           2
        .value_kind:     hidden_grid_dims
    .group_segment_fixed_size: 0
    .kernarg_segment_align: 8
    .kernarg_segment_size: 304
    .language:       OpenCL C
    .language_version:
      - 2
      - 0
    .max_flat_workgroup_size: 1024
    .name:           _ZN12_GLOBAL__N_121softmax_warp_backwardIfffLi9ELb0ELb1ELi64EEEvPT0_PKT_S5_iiiPKb
    .private_segment_fixed_size: 0
    .sgpr_count:     44
    .sgpr_spill_count: 0
    .symbol:         _ZN12_GLOBAL__N_121softmax_warp_backwardIfffLi9ELb0ELb1ELi64EEEvPT0_PKT_S5_iiiPKb.kd
    .uniform_work_group_size: 1
    .uses_dynamic_stack: false
    .vgpr_count:     31
    .vgpr_spill_count: 0
    .wavefront_size: 64
  - .agpr_count:     0
    .args:
      - .address_space:  global
        .offset:         0
        .size:           8
        .value_kind:     global_buffer
      - .address_space:  global
        .offset:         8
        .size:           8
        .value_kind:     global_buffer
      - .address_space:  global
        .offset:         16
        .size:           8
        .value_kind:     global_buffer
      - .offset:         24
        .size:           4
        .value_kind:     by_value
      - .offset:         28
        .size:           4
        .value_kind:     by_value
      - .offset:         32
        .size:           4
        .value_kind:     by_value
      - .address_space:  global
        .offset:         40
        .size:           8
        .value_kind:     global_buffer
      - .offset:         48
        .size:           4
        .value_kind:     hidden_block_count_x
      - .offset:         52
        .size:           4
        .value_kind:     hidden_block_count_y
      - .offset:         56
        .size:           4
        .value_kind:     hidden_block_count_z
      - .offset:         60
        .size:           2
        .value_kind:     hidden_group_size_x
      - .offset:         62
        .size:           2
        .value_kind:     hidden_group_size_y
      - .offset:         64
        .size:           2
        .value_kind:     hidden_group_size_z
      - .offset:         66
        .size:           2
        .value_kind:     hidden_remainder_x
      - .offset:         68
        .size:           2
        .value_kind:     hidden_remainder_y
      - .offset:         70
        .size:           2
        .value_kind:     hidden_remainder_z
      - .offset:         88
        .size:           8
        .value_kind:     hidden_global_offset_x
      - .offset:         96
        .size:           8
        .value_kind:     hidden_global_offset_y
      - .offset:         104
        .size:           8
        .value_kind:     hidden_global_offset_z
      - .offset:         112
        .size:           2
        .value_kind:     hidden_grid_dims
    .group_segment_fixed_size: 0
    .kernarg_segment_align: 8
    .kernarg_segment_size: 304
    .language:       OpenCL C
    .language_version:
      - 2
      - 0
    .max_flat_workgroup_size: 1024
    .name:           _ZN12_GLOBAL__N_121softmax_warp_backwardIfffLi9ELb0ELb1ELi32EEEvPT0_PKT_S5_iiiPKb
    .private_segment_fixed_size: 0
    .sgpr_count:     76
    .sgpr_spill_count: 0
    .symbol:         _ZN12_GLOBAL__N_121softmax_warp_backwardIfffLi9ELb0ELb1ELi32EEEvPT0_PKT_S5_iiiPKb.kd
    .uniform_work_group_size: 1
    .uses_dynamic_stack: false
    .vgpr_count:     55
    .vgpr_spill_count: 0
    .wavefront_size: 64
  - .agpr_count:     0
    .args:
      - .address_space:  global
        .offset:         0
        .size:           8
        .value_kind:     global_buffer
      - .address_space:  global
        .offset:         8
        .size:           8
        .value_kind:     global_buffer
      - .address_space:  global
        .offset:         16
        .size:           8
        .value_kind:     global_buffer
      - .offset:         24
        .size:           4
        .value_kind:     by_value
      - .offset:         28
        .size:           4
        .value_kind:     by_value
      - .offset:         32
        .size:           4
        .value_kind:     by_value
      - .address_space:  global
        .offset:         40
        .size:           8
        .value_kind:     global_buffer
      - .offset:         48
        .size:           4
        .value_kind:     hidden_block_count_x
      - .offset:         52
        .size:           4
        .value_kind:     hidden_block_count_y
      - .offset:         56
        .size:           4
        .value_kind:     hidden_block_count_z
      - .offset:         60
        .size:           2
        .value_kind:     hidden_group_size_x
      - .offset:         62
        .size:           2
        .value_kind:     hidden_group_size_y
      - .offset:         64
        .size:           2
        .value_kind:     hidden_group_size_z
      - .offset:         66
        .size:           2
        .value_kind:     hidden_remainder_x
      - .offset:         68
        .size:           2
        .value_kind:     hidden_remainder_y
      - .offset:         70
        .size:           2
        .value_kind:     hidden_remainder_z
      - .offset:         88
        .size:           8
        .value_kind:     hidden_global_offset_x
      - .offset:         96
        .size:           8
        .value_kind:     hidden_global_offset_y
      - .offset:         104
        .size:           8
        .value_kind:     hidden_global_offset_z
      - .offset:         112
        .size:           2
        .value_kind:     hidden_grid_dims
    .group_segment_fixed_size: 0
    .kernarg_segment_align: 8
    .kernarg_segment_size: 304
    .language:       OpenCL C
    .language_version:
      - 2
      - 0
    .max_flat_workgroup_size: 1024
    .name:           _ZN12_GLOBAL__N_121softmax_warp_backwardIfffLi10ELb0ELb1ELi64EEEvPT0_PKT_S5_iiiPKb
    .private_segment_fixed_size: 0
    .sgpr_count:     76
    .sgpr_spill_count: 0
    .symbol:         _ZN12_GLOBAL__N_121softmax_warp_backwardIfffLi10ELb0ELb1ELi64EEEvPT0_PKT_S5_iiiPKb.kd
    .uniform_work_group_size: 1
    .uses_dynamic_stack: false
    .vgpr_count:     55
    .vgpr_spill_count: 0
    .wavefront_size: 64
  - .agpr_count:     0
    .args:
      - .address_space:  global
        .offset:         0
        .size:           8
        .value_kind:     global_buffer
      - .address_space:  global
        .offset:         8
        .size:           8
        .value_kind:     global_buffer
      - .address_space:  global
        .offset:         16
        .size:           8
        .value_kind:     global_buffer
      - .offset:         24
        .size:           4
        .value_kind:     by_value
      - .offset:         28
        .size:           4
        .value_kind:     by_value
      - .offset:         32
        .size:           4
        .value_kind:     by_value
      - .address_space:  global
        .offset:         40
        .size:           8
        .value_kind:     global_buffer
      - .offset:         48
        .size:           4
        .value_kind:     hidden_block_count_x
      - .offset:         52
        .size:           4
        .value_kind:     hidden_block_count_y
      - .offset:         56
        .size:           4
        .value_kind:     hidden_block_count_z
      - .offset:         60
        .size:           2
        .value_kind:     hidden_group_size_x
      - .offset:         62
        .size:           2
        .value_kind:     hidden_group_size_y
      - .offset:         64
        .size:           2
        .value_kind:     hidden_group_size_z
      - .offset:         66
        .size:           2
        .value_kind:     hidden_remainder_x
      - .offset:         68
        .size:           2
        .value_kind:     hidden_remainder_y
      - .offset:         70
        .size:           2
        .value_kind:     hidden_remainder_z
      - .offset:         88
        .size:           8
        .value_kind:     hidden_global_offset_x
      - .offset:         96
        .size:           8
        .value_kind:     hidden_global_offset_y
      - .offset:         104
        .size:           8
        .value_kind:     hidden_global_offset_z
      - .offset:         112
        .size:           2
        .value_kind:     hidden_grid_dims
    .group_segment_fixed_size: 0
    .kernarg_segment_align: 8
    .kernarg_segment_size: 304
    .language:       OpenCL C
    .language_version:
      - 2
      - 0
    .max_flat_workgroup_size: 1024
    .name:           _ZN12_GLOBAL__N_121softmax_warp_backwardIfffLi10ELb0ELb1ELi32EEEvPT0_PKT_S5_iiiPKb
    .private_segment_fixed_size: 0
    .sgpr_count:     100
    .sgpr_spill_count: 42
    .symbol:         _ZN12_GLOBAL__N_121softmax_warp_backwardIfffLi10ELb0ELb1ELi32EEEvPT0_PKT_S5_iiiPKb.kd
    .uniform_work_group_size: 1
    .uses_dynamic_stack: false
    .vgpr_count:     74
    .vgpr_spill_count: 0
    .wavefront_size: 64
  - .agpr_count:     0
    .args:
      - .address_space:  global
        .offset:         0
        .size:           8
        .value_kind:     global_buffer
      - .address_space:  global
        .offset:         8
        .size:           8
        .value_kind:     global_buffer
      - .address_space:  global
        .offset:         16
        .size:           8
        .value_kind:     global_buffer
      - .offset:         24
        .size:           4
        .value_kind:     by_value
      - .offset:         28
        .size:           4
        .value_kind:     by_value
      - .offset:         32
        .size:           4
        .value_kind:     by_value
      - .address_space:  global
        .offset:         40
        .size:           8
        .value_kind:     global_buffer
      - .offset:         48
        .size:           4
        .value_kind:     hidden_block_count_x
      - .offset:         52
        .size:           4
        .value_kind:     hidden_block_count_y
      - .offset:         56
        .size:           4
        .value_kind:     hidden_block_count_z
      - .offset:         60
        .size:           2
        .value_kind:     hidden_group_size_x
      - .offset:         62
        .size:           2
        .value_kind:     hidden_group_size_y
      - .offset:         64
        .size:           2
        .value_kind:     hidden_group_size_z
      - .offset:         66
        .size:           2
        .value_kind:     hidden_remainder_x
      - .offset:         68
        .size:           2
        .value_kind:     hidden_remainder_y
      - .offset:         70
        .size:           2
        .value_kind:     hidden_remainder_z
      - .offset:         88
        .size:           8
        .value_kind:     hidden_global_offset_x
      - .offset:         96
        .size:           8
        .value_kind:     hidden_global_offset_y
      - .offset:         104
        .size:           8
        .value_kind:     hidden_global_offset_z
      - .offset:         112
        .size:           2
        .value_kind:     hidden_grid_dims
    .group_segment_fixed_size: 0
    .kernarg_segment_align: 8
    .kernarg_segment_size: 304
    .language:       OpenCL C
    .language_version:
      - 2
      - 0
    .max_flat_workgroup_size: 1024
    .name:           _ZN12_GLOBAL__N_121softmax_warp_backwardIN3c104HalfES2_fLi0ELb0ELb1ELi64EEEvPT0_PKT_S7_iiiPKb
    .private_segment_fixed_size: 0
    .sgpr_count:     20
    .sgpr_spill_count: 0
    .symbol:         _ZN12_GLOBAL__N_121softmax_warp_backwardIN3c104HalfES2_fLi0ELb0ELb1ELi64EEEvPT0_PKT_S7_iiiPKb.kd
    .uniform_work_group_size: 1
    .uses_dynamic_stack: false
    .vgpr_count:     13
    .vgpr_spill_count: 0
    .wavefront_size: 64
  - .agpr_count:     0
    .args:
      - .address_space:  global
        .offset:         0
        .size:           8
        .value_kind:     global_buffer
      - .address_space:  global
        .offset:         8
        .size:           8
        .value_kind:     global_buffer
      - .address_space:  global
        .offset:         16
        .size:           8
        .value_kind:     global_buffer
      - .offset:         24
        .size:           4
        .value_kind:     by_value
      - .offset:         28
        .size:           4
        .value_kind:     by_value
      - .offset:         32
        .size:           4
        .value_kind:     by_value
      - .address_space:  global
        .offset:         40
        .size:           8
        .value_kind:     global_buffer
      - .offset:         48
        .size:           4
        .value_kind:     hidden_block_count_x
      - .offset:         52
        .size:           4
        .value_kind:     hidden_block_count_y
      - .offset:         56
        .size:           4
        .value_kind:     hidden_block_count_z
      - .offset:         60
        .size:           2
        .value_kind:     hidden_group_size_x
      - .offset:         62
        .size:           2
        .value_kind:     hidden_group_size_y
      - .offset:         64
        .size:           2
        .value_kind:     hidden_group_size_z
      - .offset:         66
        .size:           2
        .value_kind:     hidden_remainder_x
      - .offset:         68
        .size:           2
        .value_kind:     hidden_remainder_y
      - .offset:         70
        .size:           2
        .value_kind:     hidden_remainder_z
      - .offset:         88
        .size:           8
        .value_kind:     hidden_global_offset_x
      - .offset:         96
        .size:           8
        .value_kind:     hidden_global_offset_y
      - .offset:         104
        .size:           8
        .value_kind:     hidden_global_offset_z
      - .offset:         112
        .size:           2
        .value_kind:     hidden_grid_dims
    .group_segment_fixed_size: 0
    .kernarg_segment_align: 8
    .kernarg_segment_size: 304
    .language:       OpenCL C
    .language_version:
      - 2
      - 0
    .max_flat_workgroup_size: 1024
    .name:           _ZN12_GLOBAL__N_121softmax_warp_backwardIN3c104HalfES2_fLi0ELb0ELb1ELi32EEEvPT0_PKT_S7_iiiPKb
    .private_segment_fixed_size: 0
    .sgpr_count:     20
    .sgpr_spill_count: 0
    .symbol:         _ZN12_GLOBAL__N_121softmax_warp_backwardIN3c104HalfES2_fLi0ELb0ELb1ELi32EEEvPT0_PKT_S7_iiiPKb.kd
    .uniform_work_group_size: 1
    .uses_dynamic_stack: false
    .vgpr_count:     13
    .vgpr_spill_count: 0
    .wavefront_size: 64
  - .agpr_count:     0
    .args:
      - .address_space:  global
        .offset:         0
        .size:           8
        .value_kind:     global_buffer
      - .address_space:  global
        .offset:         8
        .size:           8
        .value_kind:     global_buffer
      - .address_space:  global
        .offset:         16
        .size:           8
        .value_kind:     global_buffer
      - .offset:         24
        .size:           4
        .value_kind:     by_value
      - .offset:         28
        .size:           4
        .value_kind:     by_value
      - .offset:         32
        .size:           4
        .value_kind:     by_value
      - .address_space:  global
        .offset:         40
        .size:           8
        .value_kind:     global_buffer
      - .offset:         48
        .size:           4
        .value_kind:     hidden_block_count_x
      - .offset:         52
        .size:           4
        .value_kind:     hidden_block_count_y
      - .offset:         56
        .size:           4
        .value_kind:     hidden_block_count_z
      - .offset:         60
        .size:           2
        .value_kind:     hidden_group_size_x
      - .offset:         62
        .size:           2
        .value_kind:     hidden_group_size_y
      - .offset:         64
        .size:           2
        .value_kind:     hidden_group_size_z
      - .offset:         66
        .size:           2
        .value_kind:     hidden_remainder_x
      - .offset:         68
        .size:           2
        .value_kind:     hidden_remainder_y
      - .offset:         70
        .size:           2
        .value_kind:     hidden_remainder_z
      - .offset:         88
        .size:           8
        .value_kind:     hidden_global_offset_x
      - .offset:         96
        .size:           8
        .value_kind:     hidden_global_offset_y
      - .offset:         104
        .size:           8
        .value_kind:     hidden_global_offset_z
      - .offset:         112
        .size:           2
        .value_kind:     hidden_grid_dims
    .group_segment_fixed_size: 0
    .kernarg_segment_align: 8
    .kernarg_segment_size: 304
    .language:       OpenCL C
    .language_version:
      - 2
      - 0
    .max_flat_workgroup_size: 1024
    .name:           _ZN12_GLOBAL__N_121softmax_warp_backwardIN3c104HalfES2_fLi1ELb0ELb1ELi64EEEvPT0_PKT_S7_iiiPKb
    .private_segment_fixed_size: 0
    .sgpr_count:     20
    .sgpr_spill_count: 0
    .symbol:         _ZN12_GLOBAL__N_121softmax_warp_backwardIN3c104HalfES2_fLi1ELb0ELb1ELi64EEEvPT0_PKT_S7_iiiPKb.kd
    .uniform_work_group_size: 1
    .uses_dynamic_stack: false
    .vgpr_count:     14
    .vgpr_spill_count: 0
    .wavefront_size: 64
  - .agpr_count:     0
    .args:
      - .address_space:  global
        .offset:         0
        .size:           8
        .value_kind:     global_buffer
      - .address_space:  global
        .offset:         8
        .size:           8
        .value_kind:     global_buffer
      - .address_space:  global
        .offset:         16
        .size:           8
        .value_kind:     global_buffer
      - .offset:         24
        .size:           4
        .value_kind:     by_value
      - .offset:         28
        .size:           4
        .value_kind:     by_value
      - .offset:         32
        .size:           4
        .value_kind:     by_value
      - .address_space:  global
        .offset:         40
        .size:           8
        .value_kind:     global_buffer
      - .offset:         48
        .size:           4
        .value_kind:     hidden_block_count_x
      - .offset:         52
        .size:           4
        .value_kind:     hidden_block_count_y
      - .offset:         56
        .size:           4
        .value_kind:     hidden_block_count_z
      - .offset:         60
        .size:           2
        .value_kind:     hidden_group_size_x
      - .offset:         62
        .size:           2
        .value_kind:     hidden_group_size_y
      - .offset:         64
        .size:           2
        .value_kind:     hidden_group_size_z
      - .offset:         66
        .size:           2
        .value_kind:     hidden_remainder_x
      - .offset:         68
        .size:           2
        .value_kind:     hidden_remainder_y
      - .offset:         70
        .size:           2
        .value_kind:     hidden_remainder_z
      - .offset:         88
        .size:           8
        .value_kind:     hidden_global_offset_x
      - .offset:         96
        .size:           8
        .value_kind:     hidden_global_offset_y
      - .offset:         104
        .size:           8
        .value_kind:     hidden_global_offset_z
      - .offset:         112
        .size:           2
        .value_kind:     hidden_grid_dims
    .group_segment_fixed_size: 0
    .kernarg_segment_align: 8
    .kernarg_segment_size: 304
    .language:       OpenCL C
    .language_version:
      - 2
      - 0
    .max_flat_workgroup_size: 1024
    .name:           _ZN12_GLOBAL__N_121softmax_warp_backwardIN3c104HalfES2_fLi1ELb0ELb1ELi32EEEvPT0_PKT_S7_iiiPKb
    .private_segment_fixed_size: 0
    .sgpr_count:     20
    .sgpr_spill_count: 0
    .symbol:         _ZN12_GLOBAL__N_121softmax_warp_backwardIN3c104HalfES2_fLi1ELb0ELb1ELi32EEEvPT0_PKT_S7_iiiPKb.kd
    .uniform_work_group_size: 1
    .uses_dynamic_stack: false
    .vgpr_count:     14
    .vgpr_spill_count: 0
    .wavefront_size: 64
  - .agpr_count:     0
    .args:
      - .address_space:  global
        .offset:         0
        .size:           8
        .value_kind:     global_buffer
      - .address_space:  global
        .offset:         8
        .size:           8
        .value_kind:     global_buffer
      - .address_space:  global
        .offset:         16
        .size:           8
        .value_kind:     global_buffer
      - .offset:         24
        .size:           4
        .value_kind:     by_value
      - .offset:         28
        .size:           4
        .value_kind:     by_value
      - .offset:         32
        .size:           4
        .value_kind:     by_value
      - .address_space:  global
        .offset:         40
        .size:           8
        .value_kind:     global_buffer
      - .offset:         48
        .size:           4
        .value_kind:     hidden_block_count_x
      - .offset:         52
        .size:           4
        .value_kind:     hidden_block_count_y
      - .offset:         56
        .size:           4
        .value_kind:     hidden_block_count_z
      - .offset:         60
        .size:           2
        .value_kind:     hidden_group_size_x
      - .offset:         62
        .size:           2
        .value_kind:     hidden_group_size_y
      - .offset:         64
        .size:           2
        .value_kind:     hidden_group_size_z
      - .offset:         66
        .size:           2
        .value_kind:     hidden_remainder_x
      - .offset:         68
        .size:           2
        .value_kind:     hidden_remainder_y
      - .offset:         70
        .size:           2
        .value_kind:     hidden_remainder_z
      - .offset:         88
        .size:           8
        .value_kind:     hidden_global_offset_x
      - .offset:         96
        .size:           8
        .value_kind:     hidden_global_offset_y
      - .offset:         104
        .size:           8
        .value_kind:     hidden_global_offset_z
      - .offset:         112
        .size:           2
        .value_kind:     hidden_grid_dims
    .group_segment_fixed_size: 0
    .kernarg_segment_align: 8
    .kernarg_segment_size: 304
    .language:       OpenCL C
    .language_version:
      - 2
      - 0
    .max_flat_workgroup_size: 1024
    .name:           _ZN12_GLOBAL__N_121softmax_warp_backwardIN3c104HalfES2_fLi2ELb0ELb1ELi64EEEvPT0_PKT_S7_iiiPKb
    .private_segment_fixed_size: 0
    .sgpr_count:     20
    .sgpr_spill_count: 0
    .symbol:         _ZN12_GLOBAL__N_121softmax_warp_backwardIN3c104HalfES2_fLi2ELb0ELb1ELi64EEEvPT0_PKT_S7_iiiPKb.kd
    .uniform_work_group_size: 1
    .uses_dynamic_stack: false
    .vgpr_count:     14
    .vgpr_spill_count: 0
    .wavefront_size: 64
  - .agpr_count:     0
    .args:
      - .address_space:  global
        .offset:         0
        .size:           8
        .value_kind:     global_buffer
      - .address_space:  global
        .offset:         8
        .size:           8
        .value_kind:     global_buffer
      - .address_space:  global
        .offset:         16
        .size:           8
        .value_kind:     global_buffer
      - .offset:         24
        .size:           4
        .value_kind:     by_value
      - .offset:         28
        .size:           4
        .value_kind:     by_value
      - .offset:         32
        .size:           4
        .value_kind:     by_value
      - .address_space:  global
        .offset:         40
        .size:           8
        .value_kind:     global_buffer
      - .offset:         48
        .size:           4
        .value_kind:     hidden_block_count_x
      - .offset:         52
        .size:           4
        .value_kind:     hidden_block_count_y
      - .offset:         56
        .size:           4
        .value_kind:     hidden_block_count_z
      - .offset:         60
        .size:           2
        .value_kind:     hidden_group_size_x
      - .offset:         62
        .size:           2
        .value_kind:     hidden_group_size_y
      - .offset:         64
        .size:           2
        .value_kind:     hidden_group_size_z
      - .offset:         66
        .size:           2
        .value_kind:     hidden_remainder_x
      - .offset:         68
        .size:           2
        .value_kind:     hidden_remainder_y
      - .offset:         70
        .size:           2
        .value_kind:     hidden_remainder_z
      - .offset:         88
        .size:           8
        .value_kind:     hidden_global_offset_x
      - .offset:         96
        .size:           8
        .value_kind:     hidden_global_offset_y
      - .offset:         104
        .size:           8
        .value_kind:     hidden_global_offset_z
      - .offset:         112
        .size:           2
        .value_kind:     hidden_grid_dims
    .group_segment_fixed_size: 0
    .kernarg_segment_align: 8
    .kernarg_segment_size: 304
    .language:       OpenCL C
    .language_version:
      - 2
      - 0
    .max_flat_workgroup_size: 1024
    .name:           _ZN12_GLOBAL__N_121softmax_warp_backwardIN3c104HalfES2_fLi2ELb0ELb1ELi32EEEvPT0_PKT_S7_iiiPKb
    .private_segment_fixed_size: 0
    .sgpr_count:     20
    .sgpr_spill_count: 0
    .symbol:         _ZN12_GLOBAL__N_121softmax_warp_backwardIN3c104HalfES2_fLi2ELb0ELb1ELi32EEEvPT0_PKT_S7_iiiPKb.kd
    .uniform_work_group_size: 1
    .uses_dynamic_stack: false
    .vgpr_count:     14
    .vgpr_spill_count: 0
    .wavefront_size: 64
  - .agpr_count:     0
    .args:
      - .address_space:  global
        .offset:         0
        .size:           8
        .value_kind:     global_buffer
      - .address_space:  global
        .offset:         8
        .size:           8
        .value_kind:     global_buffer
      - .address_space:  global
        .offset:         16
        .size:           8
        .value_kind:     global_buffer
      - .offset:         24
        .size:           4
        .value_kind:     by_value
      - .offset:         28
        .size:           4
        .value_kind:     by_value
      - .offset:         32
        .size:           4
        .value_kind:     by_value
      - .address_space:  global
        .offset:         40
        .size:           8
        .value_kind:     global_buffer
      - .offset:         48
        .size:           4
        .value_kind:     hidden_block_count_x
      - .offset:         52
        .size:           4
        .value_kind:     hidden_block_count_y
      - .offset:         56
        .size:           4
        .value_kind:     hidden_block_count_z
      - .offset:         60
        .size:           2
        .value_kind:     hidden_group_size_x
      - .offset:         62
        .size:           2
        .value_kind:     hidden_group_size_y
      - .offset:         64
        .size:           2
        .value_kind:     hidden_group_size_z
      - .offset:         66
        .size:           2
        .value_kind:     hidden_remainder_x
      - .offset:         68
        .size:           2
        .value_kind:     hidden_remainder_y
      - .offset:         70
        .size:           2
        .value_kind:     hidden_remainder_z
      - .offset:         88
        .size:           8
        .value_kind:     hidden_global_offset_x
      - .offset:         96
        .size:           8
        .value_kind:     hidden_global_offset_y
      - .offset:         104
        .size:           8
        .value_kind:     hidden_global_offset_z
      - .offset:         112
        .size:           2
        .value_kind:     hidden_grid_dims
    .group_segment_fixed_size: 0
    .kernarg_segment_align: 8
    .kernarg_segment_size: 304
    .language:       OpenCL C
    .language_version:
      - 2
      - 0
    .max_flat_workgroup_size: 1024
    .name:           _ZN12_GLOBAL__N_121softmax_warp_backwardIN3c104HalfES2_fLi3ELb0ELb1ELi64EEEvPT0_PKT_S7_iiiPKb
    .private_segment_fixed_size: 0
    .sgpr_count:     20
    .sgpr_spill_count: 0
    .symbol:         _ZN12_GLOBAL__N_121softmax_warp_backwardIN3c104HalfES2_fLi3ELb0ELb1ELi64EEEvPT0_PKT_S7_iiiPKb.kd
    .uniform_work_group_size: 1
    .uses_dynamic_stack: false
    .vgpr_count:     14
    .vgpr_spill_count: 0
    .wavefront_size: 64
  - .agpr_count:     0
    .args:
      - .address_space:  global
        .offset:         0
        .size:           8
        .value_kind:     global_buffer
      - .address_space:  global
        .offset:         8
        .size:           8
        .value_kind:     global_buffer
      - .address_space:  global
        .offset:         16
        .size:           8
        .value_kind:     global_buffer
      - .offset:         24
        .size:           4
        .value_kind:     by_value
      - .offset:         28
        .size:           4
        .value_kind:     by_value
      - .offset:         32
        .size:           4
        .value_kind:     by_value
      - .address_space:  global
        .offset:         40
        .size:           8
        .value_kind:     global_buffer
      - .offset:         48
        .size:           4
        .value_kind:     hidden_block_count_x
      - .offset:         52
        .size:           4
        .value_kind:     hidden_block_count_y
      - .offset:         56
        .size:           4
        .value_kind:     hidden_block_count_z
      - .offset:         60
        .size:           2
        .value_kind:     hidden_group_size_x
      - .offset:         62
        .size:           2
        .value_kind:     hidden_group_size_y
      - .offset:         64
        .size:           2
        .value_kind:     hidden_group_size_z
      - .offset:         66
        .size:           2
        .value_kind:     hidden_remainder_x
      - .offset:         68
        .size:           2
        .value_kind:     hidden_remainder_y
      - .offset:         70
        .size:           2
        .value_kind:     hidden_remainder_z
      - .offset:         88
        .size:           8
        .value_kind:     hidden_global_offset_x
      - .offset:         96
        .size:           8
        .value_kind:     hidden_global_offset_y
      - .offset:         104
        .size:           8
        .value_kind:     hidden_global_offset_z
      - .offset:         112
        .size:           2
        .value_kind:     hidden_grid_dims
    .group_segment_fixed_size: 0
    .kernarg_segment_align: 8
    .kernarg_segment_size: 304
    .language:       OpenCL C
    .language_version:
      - 2
      - 0
    .max_flat_workgroup_size: 1024
    .name:           _ZN12_GLOBAL__N_121softmax_warp_backwardIN3c104HalfES2_fLi3ELb0ELb1ELi32EEEvPT0_PKT_S7_iiiPKb
    .private_segment_fixed_size: 0
    .sgpr_count:     20
    .sgpr_spill_count: 0
    .symbol:         _ZN12_GLOBAL__N_121softmax_warp_backwardIN3c104HalfES2_fLi3ELb0ELb1ELi32EEEvPT0_PKT_S7_iiiPKb.kd
    .uniform_work_group_size: 1
    .uses_dynamic_stack: false
    .vgpr_count:     14
    .vgpr_spill_count: 0
    .wavefront_size: 64
  - .agpr_count:     0
    .args:
      - .address_space:  global
        .offset:         0
        .size:           8
        .value_kind:     global_buffer
      - .address_space:  global
        .offset:         8
        .size:           8
        .value_kind:     global_buffer
      - .address_space:  global
        .offset:         16
        .size:           8
        .value_kind:     global_buffer
      - .offset:         24
        .size:           4
        .value_kind:     by_value
      - .offset:         28
        .size:           4
        .value_kind:     by_value
      - .offset:         32
        .size:           4
        .value_kind:     by_value
      - .address_space:  global
        .offset:         40
        .size:           8
        .value_kind:     global_buffer
      - .offset:         48
        .size:           4
        .value_kind:     hidden_block_count_x
      - .offset:         52
        .size:           4
        .value_kind:     hidden_block_count_y
      - .offset:         56
        .size:           4
        .value_kind:     hidden_block_count_z
      - .offset:         60
        .size:           2
        .value_kind:     hidden_group_size_x
      - .offset:         62
        .size:           2
        .value_kind:     hidden_group_size_y
      - .offset:         64
        .size:           2
        .value_kind:     hidden_group_size_z
      - .offset:         66
        .size:           2
        .value_kind:     hidden_remainder_x
      - .offset:         68
        .size:           2
        .value_kind:     hidden_remainder_y
      - .offset:         70
        .size:           2
        .value_kind:     hidden_remainder_z
      - .offset:         88
        .size:           8
        .value_kind:     hidden_global_offset_x
      - .offset:         96
        .size:           8
        .value_kind:     hidden_global_offset_y
      - .offset:         104
        .size:           8
        .value_kind:     hidden_global_offset_z
      - .offset:         112
        .size:           2
        .value_kind:     hidden_grid_dims
    .group_segment_fixed_size: 0
    .kernarg_segment_align: 8
    .kernarg_segment_size: 304
    .language:       OpenCL C
    .language_version:
      - 2
      - 0
    .max_flat_workgroup_size: 1024
    .name:           _ZN12_GLOBAL__N_121softmax_warp_backwardIN3c104HalfES2_fLi4ELb0ELb1ELi64EEEvPT0_PKT_S7_iiiPKb
    .private_segment_fixed_size: 0
    .sgpr_count:     20
    .sgpr_spill_count: 0
    .symbol:         _ZN12_GLOBAL__N_121softmax_warp_backwardIN3c104HalfES2_fLi4ELb0ELb1ELi64EEEvPT0_PKT_S7_iiiPKb.kd
    .uniform_work_group_size: 1
    .uses_dynamic_stack: false
    .vgpr_count:     14
    .vgpr_spill_count: 0
    .wavefront_size: 64
  - .agpr_count:     0
    .args:
      - .address_space:  global
        .offset:         0
        .size:           8
        .value_kind:     global_buffer
      - .address_space:  global
        .offset:         8
        .size:           8
        .value_kind:     global_buffer
      - .address_space:  global
        .offset:         16
        .size:           8
        .value_kind:     global_buffer
      - .offset:         24
        .size:           4
        .value_kind:     by_value
      - .offset:         28
        .size:           4
        .value_kind:     by_value
      - .offset:         32
        .size:           4
        .value_kind:     by_value
      - .address_space:  global
        .offset:         40
        .size:           8
        .value_kind:     global_buffer
      - .offset:         48
        .size:           4
        .value_kind:     hidden_block_count_x
      - .offset:         52
        .size:           4
        .value_kind:     hidden_block_count_y
      - .offset:         56
        .size:           4
        .value_kind:     hidden_block_count_z
      - .offset:         60
        .size:           2
        .value_kind:     hidden_group_size_x
      - .offset:         62
        .size:           2
        .value_kind:     hidden_group_size_y
      - .offset:         64
        .size:           2
        .value_kind:     hidden_group_size_z
      - .offset:         66
        .size:           2
        .value_kind:     hidden_remainder_x
      - .offset:         68
        .size:           2
        .value_kind:     hidden_remainder_y
      - .offset:         70
        .size:           2
        .value_kind:     hidden_remainder_z
      - .offset:         88
        .size:           8
        .value_kind:     hidden_global_offset_x
      - .offset:         96
        .size:           8
        .value_kind:     hidden_global_offset_y
      - .offset:         104
        .size:           8
        .value_kind:     hidden_global_offset_z
      - .offset:         112
        .size:           2
        .value_kind:     hidden_grid_dims
    .group_segment_fixed_size: 0
    .kernarg_segment_align: 8
    .kernarg_segment_size: 304
    .language:       OpenCL C
    .language_version:
      - 2
      - 0
    .max_flat_workgroup_size: 1024
    .name:           _ZN12_GLOBAL__N_121softmax_warp_backwardIN3c104HalfES2_fLi4ELb0ELb1ELi32EEEvPT0_PKT_S7_iiiPKb
    .private_segment_fixed_size: 0
    .sgpr_count:     20
    .sgpr_spill_count: 0
    .symbol:         _ZN12_GLOBAL__N_121softmax_warp_backwardIN3c104HalfES2_fLi4ELb0ELb1ELi32EEEvPT0_PKT_S7_iiiPKb.kd
    .uniform_work_group_size: 1
    .uses_dynamic_stack: false
    .vgpr_count:     14
    .vgpr_spill_count: 0
    .wavefront_size: 64
  - .agpr_count:     0
    .args:
      - .address_space:  global
        .offset:         0
        .size:           8
        .value_kind:     global_buffer
      - .address_space:  global
        .offset:         8
        .size:           8
        .value_kind:     global_buffer
      - .address_space:  global
        .offset:         16
        .size:           8
        .value_kind:     global_buffer
      - .offset:         24
        .size:           4
        .value_kind:     by_value
      - .offset:         28
        .size:           4
        .value_kind:     by_value
      - .offset:         32
        .size:           4
        .value_kind:     by_value
      - .address_space:  global
        .offset:         40
        .size:           8
        .value_kind:     global_buffer
      - .offset:         48
        .size:           4
        .value_kind:     hidden_block_count_x
      - .offset:         52
        .size:           4
        .value_kind:     hidden_block_count_y
      - .offset:         56
        .size:           4
        .value_kind:     hidden_block_count_z
      - .offset:         60
        .size:           2
        .value_kind:     hidden_group_size_x
      - .offset:         62
        .size:           2
        .value_kind:     hidden_group_size_y
      - .offset:         64
        .size:           2
        .value_kind:     hidden_group_size_z
      - .offset:         66
        .size:           2
        .value_kind:     hidden_remainder_x
      - .offset:         68
        .size:           2
        .value_kind:     hidden_remainder_y
      - .offset:         70
        .size:           2
        .value_kind:     hidden_remainder_z
      - .offset:         88
        .size:           8
        .value_kind:     hidden_global_offset_x
      - .offset:         96
        .size:           8
        .value_kind:     hidden_global_offset_y
      - .offset:         104
        .size:           8
        .value_kind:     hidden_global_offset_z
      - .offset:         112
        .size:           2
        .value_kind:     hidden_grid_dims
    .group_segment_fixed_size: 0
    .kernarg_segment_align: 8
    .kernarg_segment_size: 304
    .language:       OpenCL C
    .language_version:
      - 2
      - 0
    .max_flat_workgroup_size: 1024
    .name:           _ZN12_GLOBAL__N_121softmax_warp_backwardIN3c104HalfES2_fLi5ELb0ELb1ELi64EEEvPT0_PKT_S7_iiiPKb
    .private_segment_fixed_size: 0
    .sgpr_count:     20
    .sgpr_spill_count: 0
    .symbol:         _ZN12_GLOBAL__N_121softmax_warp_backwardIN3c104HalfES2_fLi5ELb0ELb1ELi64EEEvPT0_PKT_S7_iiiPKb.kd
    .uniform_work_group_size: 1
    .uses_dynamic_stack: false
    .vgpr_count:     14
    .vgpr_spill_count: 0
    .wavefront_size: 64
  - .agpr_count:     0
    .args:
      - .address_space:  global
        .offset:         0
        .size:           8
        .value_kind:     global_buffer
      - .address_space:  global
        .offset:         8
        .size:           8
        .value_kind:     global_buffer
      - .address_space:  global
        .offset:         16
        .size:           8
        .value_kind:     global_buffer
      - .offset:         24
        .size:           4
        .value_kind:     by_value
      - .offset:         28
        .size:           4
        .value_kind:     by_value
      - .offset:         32
        .size:           4
        .value_kind:     by_value
      - .address_space:  global
        .offset:         40
        .size:           8
        .value_kind:     global_buffer
      - .offset:         48
        .size:           4
        .value_kind:     hidden_block_count_x
      - .offset:         52
        .size:           4
        .value_kind:     hidden_block_count_y
      - .offset:         56
        .size:           4
        .value_kind:     hidden_block_count_z
      - .offset:         60
        .size:           2
        .value_kind:     hidden_group_size_x
      - .offset:         62
        .size:           2
        .value_kind:     hidden_group_size_y
      - .offset:         64
        .size:           2
        .value_kind:     hidden_group_size_z
      - .offset:         66
        .size:           2
        .value_kind:     hidden_remainder_x
      - .offset:         68
        .size:           2
        .value_kind:     hidden_remainder_y
      - .offset:         70
        .size:           2
        .value_kind:     hidden_remainder_z
      - .offset:         88
        .size:           8
        .value_kind:     hidden_global_offset_x
      - .offset:         96
        .size:           8
        .value_kind:     hidden_global_offset_y
      - .offset:         104
        .size:           8
        .value_kind:     hidden_global_offset_z
      - .offset:         112
        .size:           2
        .value_kind:     hidden_grid_dims
    .group_segment_fixed_size: 0
    .kernarg_segment_align: 8
    .kernarg_segment_size: 304
    .language:       OpenCL C
    .language_version:
      - 2
      - 0
    .max_flat_workgroup_size: 1024
    .name:           _ZN12_GLOBAL__N_121softmax_warp_backwardIN3c104HalfES2_fLi5ELb0ELb1ELi32EEEvPT0_PKT_S7_iiiPKb
    .private_segment_fixed_size: 0
    .sgpr_count:     20
    .sgpr_spill_count: 0
    .symbol:         _ZN12_GLOBAL__N_121softmax_warp_backwardIN3c104HalfES2_fLi5ELb0ELb1ELi32EEEvPT0_PKT_S7_iiiPKb.kd
    .uniform_work_group_size: 1
    .uses_dynamic_stack: false
    .vgpr_count:     14
    .vgpr_spill_count: 0
    .wavefront_size: 64
  - .agpr_count:     0
    .args:
      - .address_space:  global
        .offset:         0
        .size:           8
        .value_kind:     global_buffer
      - .address_space:  global
        .offset:         8
        .size:           8
        .value_kind:     global_buffer
      - .address_space:  global
        .offset:         16
        .size:           8
        .value_kind:     global_buffer
      - .offset:         24
        .size:           4
        .value_kind:     by_value
      - .offset:         28
        .size:           4
        .value_kind:     by_value
      - .offset:         32
        .size:           4
        .value_kind:     by_value
      - .address_space:  global
        .offset:         40
        .size:           8
        .value_kind:     global_buffer
      - .offset:         48
        .size:           4
        .value_kind:     hidden_block_count_x
      - .offset:         52
        .size:           4
        .value_kind:     hidden_block_count_y
      - .offset:         56
        .size:           4
        .value_kind:     hidden_block_count_z
      - .offset:         60
        .size:           2
        .value_kind:     hidden_group_size_x
      - .offset:         62
        .size:           2
        .value_kind:     hidden_group_size_y
      - .offset:         64
        .size:           2
        .value_kind:     hidden_group_size_z
      - .offset:         66
        .size:           2
        .value_kind:     hidden_remainder_x
      - .offset:         68
        .size:           2
        .value_kind:     hidden_remainder_y
      - .offset:         70
        .size:           2
        .value_kind:     hidden_remainder_z
      - .offset:         88
        .size:           8
        .value_kind:     hidden_global_offset_x
      - .offset:         96
        .size:           8
        .value_kind:     hidden_global_offset_y
      - .offset:         104
        .size:           8
        .value_kind:     hidden_global_offset_z
      - .offset:         112
        .size:           2
        .value_kind:     hidden_grid_dims
    .group_segment_fixed_size: 0
    .kernarg_segment_align: 8
    .kernarg_segment_size: 304
    .language:       OpenCL C
    .language_version:
      - 2
      - 0
    .max_flat_workgroup_size: 1024
    .name:           _ZN12_GLOBAL__N_121softmax_warp_backwardIN3c104HalfES2_fLi6ELb0ELb1ELi64EEEvPT0_PKT_S7_iiiPKb
    .private_segment_fixed_size: 0
    .sgpr_count:     20
    .sgpr_spill_count: 0
    .symbol:         _ZN12_GLOBAL__N_121softmax_warp_backwardIN3c104HalfES2_fLi6ELb0ELb1ELi64EEEvPT0_PKT_S7_iiiPKb.kd
    .uniform_work_group_size: 1
    .uses_dynamic_stack: false
    .vgpr_count:     14
    .vgpr_spill_count: 0
    .wavefront_size: 64
  - .agpr_count:     0
    .args:
      - .address_space:  global
        .offset:         0
        .size:           8
        .value_kind:     global_buffer
      - .address_space:  global
        .offset:         8
        .size:           8
        .value_kind:     global_buffer
      - .address_space:  global
        .offset:         16
        .size:           8
        .value_kind:     global_buffer
      - .offset:         24
        .size:           4
        .value_kind:     by_value
      - .offset:         28
        .size:           4
        .value_kind:     by_value
      - .offset:         32
        .size:           4
        .value_kind:     by_value
      - .address_space:  global
        .offset:         40
        .size:           8
        .value_kind:     global_buffer
      - .offset:         48
        .size:           4
        .value_kind:     hidden_block_count_x
      - .offset:         52
        .size:           4
        .value_kind:     hidden_block_count_y
      - .offset:         56
        .size:           4
        .value_kind:     hidden_block_count_z
      - .offset:         60
        .size:           2
        .value_kind:     hidden_group_size_x
      - .offset:         62
        .size:           2
        .value_kind:     hidden_group_size_y
      - .offset:         64
        .size:           2
        .value_kind:     hidden_group_size_z
      - .offset:         66
        .size:           2
        .value_kind:     hidden_remainder_x
      - .offset:         68
        .size:           2
        .value_kind:     hidden_remainder_y
      - .offset:         70
        .size:           2
        .value_kind:     hidden_remainder_z
      - .offset:         88
        .size:           8
        .value_kind:     hidden_global_offset_x
      - .offset:         96
        .size:           8
        .value_kind:     hidden_global_offset_y
      - .offset:         104
        .size:           8
        .value_kind:     hidden_global_offset_z
      - .offset:         112
        .size:           2
        .value_kind:     hidden_grid_dims
    .group_segment_fixed_size: 0
    .kernarg_segment_align: 8
    .kernarg_segment_size: 304
    .language:       OpenCL C
    .language_version:
      - 2
      - 0
    .max_flat_workgroup_size: 1024
    .name:           _ZN12_GLOBAL__N_121softmax_warp_backwardIN3c104HalfES2_fLi6ELb0ELb1ELi32EEEvPT0_PKT_S7_iiiPKb
    .private_segment_fixed_size: 0
    .sgpr_count:     24
    .sgpr_spill_count: 0
    .symbol:         _ZN12_GLOBAL__N_121softmax_warp_backwardIN3c104HalfES2_fLi6ELb0ELb1ELi32EEEvPT0_PKT_S7_iiiPKb.kd
    .uniform_work_group_size: 1
    .uses_dynamic_stack: false
    .vgpr_count:     20
    .vgpr_spill_count: 0
    .wavefront_size: 64
  - .agpr_count:     0
    .args:
      - .address_space:  global
        .offset:         0
        .size:           8
        .value_kind:     global_buffer
      - .address_space:  global
        .offset:         8
        .size:           8
        .value_kind:     global_buffer
      - .address_space:  global
        .offset:         16
        .size:           8
        .value_kind:     global_buffer
      - .offset:         24
        .size:           4
        .value_kind:     by_value
      - .offset:         28
        .size:           4
        .value_kind:     by_value
      - .offset:         32
        .size:           4
        .value_kind:     by_value
      - .address_space:  global
        .offset:         40
        .size:           8
        .value_kind:     global_buffer
      - .offset:         48
        .size:           4
        .value_kind:     hidden_block_count_x
      - .offset:         52
        .size:           4
        .value_kind:     hidden_block_count_y
      - .offset:         56
        .size:           4
        .value_kind:     hidden_block_count_z
      - .offset:         60
        .size:           2
        .value_kind:     hidden_group_size_x
      - .offset:         62
        .size:           2
        .value_kind:     hidden_group_size_y
      - .offset:         64
        .size:           2
        .value_kind:     hidden_group_size_z
      - .offset:         66
        .size:           2
        .value_kind:     hidden_remainder_x
      - .offset:         68
        .size:           2
        .value_kind:     hidden_remainder_y
      - .offset:         70
        .size:           2
        .value_kind:     hidden_remainder_z
      - .offset:         88
        .size:           8
        .value_kind:     hidden_global_offset_x
      - .offset:         96
        .size:           8
        .value_kind:     hidden_global_offset_y
      - .offset:         104
        .size:           8
        .value_kind:     hidden_global_offset_z
      - .offset:         112
        .size:           2
        .value_kind:     hidden_grid_dims
    .group_segment_fixed_size: 0
    .kernarg_segment_align: 8
    .kernarg_segment_size: 304
    .language:       OpenCL C
    .language_version:
      - 2
      - 0
    .max_flat_workgroup_size: 1024
    .name:           _ZN12_GLOBAL__N_121softmax_warp_backwardIN3c104HalfES2_fLi7ELb0ELb1ELi64EEEvPT0_PKT_S7_iiiPKb
    .private_segment_fixed_size: 0
    .sgpr_count:     24
    .sgpr_spill_count: 0
    .symbol:         _ZN12_GLOBAL__N_121softmax_warp_backwardIN3c104HalfES2_fLi7ELb0ELb1ELi64EEEvPT0_PKT_S7_iiiPKb.kd
    .uniform_work_group_size: 1
    .uses_dynamic_stack: false
    .vgpr_count:     22
    .vgpr_spill_count: 0
    .wavefront_size: 64
  - .agpr_count:     0
    .args:
      - .address_space:  global
        .offset:         0
        .size:           8
        .value_kind:     global_buffer
      - .address_space:  global
        .offset:         8
        .size:           8
        .value_kind:     global_buffer
      - .address_space:  global
        .offset:         16
        .size:           8
        .value_kind:     global_buffer
      - .offset:         24
        .size:           4
        .value_kind:     by_value
      - .offset:         28
        .size:           4
        .value_kind:     by_value
      - .offset:         32
        .size:           4
        .value_kind:     by_value
      - .address_space:  global
        .offset:         40
        .size:           8
        .value_kind:     global_buffer
      - .offset:         48
        .size:           4
        .value_kind:     hidden_block_count_x
      - .offset:         52
        .size:           4
        .value_kind:     hidden_block_count_y
      - .offset:         56
        .size:           4
        .value_kind:     hidden_block_count_z
      - .offset:         60
        .size:           2
        .value_kind:     hidden_group_size_x
      - .offset:         62
        .size:           2
        .value_kind:     hidden_group_size_y
      - .offset:         64
        .size:           2
        .value_kind:     hidden_group_size_z
      - .offset:         66
        .size:           2
        .value_kind:     hidden_remainder_x
      - .offset:         68
        .size:           2
        .value_kind:     hidden_remainder_y
      - .offset:         70
        .size:           2
        .value_kind:     hidden_remainder_z
      - .offset:         88
        .size:           8
        .value_kind:     hidden_global_offset_x
      - .offset:         96
        .size:           8
        .value_kind:     hidden_global_offset_y
      - .offset:         104
        .size:           8
        .value_kind:     hidden_global_offset_z
      - .offset:         112
        .size:           2
        .value_kind:     hidden_grid_dims
    .group_segment_fixed_size: 0
    .kernarg_segment_align: 8
    .kernarg_segment_size: 304
    .language:       OpenCL C
    .language_version:
      - 2
      - 0
    .max_flat_workgroup_size: 1024
    .name:           _ZN12_GLOBAL__N_121softmax_warp_backwardIN3c104HalfES2_fLi7ELb0ELb1ELi32EEEvPT0_PKT_S7_iiiPKb
    .private_segment_fixed_size: 0
    .sgpr_count:     32
    .sgpr_spill_count: 0
    .symbol:         _ZN12_GLOBAL__N_121softmax_warp_backwardIN3c104HalfES2_fLi7ELb0ELb1ELi32EEEvPT0_PKT_S7_iiiPKb.kd
    .uniform_work_group_size: 1
    .uses_dynamic_stack: false
    .vgpr_count:     34
    .vgpr_spill_count: 0
    .wavefront_size: 64
  - .agpr_count:     0
    .args:
      - .address_space:  global
        .offset:         0
        .size:           8
        .value_kind:     global_buffer
      - .address_space:  global
        .offset:         8
        .size:           8
        .value_kind:     global_buffer
      - .address_space:  global
        .offset:         16
        .size:           8
        .value_kind:     global_buffer
      - .offset:         24
        .size:           4
        .value_kind:     by_value
      - .offset:         28
        .size:           4
        .value_kind:     by_value
      - .offset:         32
        .size:           4
        .value_kind:     by_value
      - .address_space:  global
        .offset:         40
        .size:           8
        .value_kind:     global_buffer
      - .offset:         48
        .size:           4
        .value_kind:     hidden_block_count_x
      - .offset:         52
        .size:           4
        .value_kind:     hidden_block_count_y
      - .offset:         56
        .size:           4
        .value_kind:     hidden_block_count_z
      - .offset:         60
        .size:           2
        .value_kind:     hidden_group_size_x
      - .offset:         62
        .size:           2
        .value_kind:     hidden_group_size_y
      - .offset:         64
        .size:           2
        .value_kind:     hidden_group_size_z
      - .offset:         66
        .size:           2
        .value_kind:     hidden_remainder_x
      - .offset:         68
        .size:           2
        .value_kind:     hidden_remainder_y
      - .offset:         70
        .size:           2
        .value_kind:     hidden_remainder_z
      - .offset:         88
        .size:           8
        .value_kind:     hidden_global_offset_x
      - .offset:         96
        .size:           8
        .value_kind:     hidden_global_offset_y
      - .offset:         104
        .size:           8
        .value_kind:     hidden_global_offset_z
      - .offset:         112
        .size:           2
        .value_kind:     hidden_grid_dims
    .group_segment_fixed_size: 0
    .kernarg_segment_align: 8
    .kernarg_segment_size: 304
    .language:       OpenCL C
    .language_version:
      - 2
      - 0
    .max_flat_workgroup_size: 1024
    .name:           _ZN12_GLOBAL__N_121softmax_warp_backwardIN3c104HalfES2_fLi8ELb0ELb1ELi64EEEvPT0_PKT_S7_iiiPKb
    .private_segment_fixed_size: 0
    .sgpr_count:     24
    .sgpr_spill_count: 0
    .symbol:         _ZN12_GLOBAL__N_121softmax_warp_backwardIN3c104HalfES2_fLi8ELb0ELb1ELi64EEEvPT0_PKT_S7_iiiPKb.kd
    .uniform_work_group_size: 1
    .uses_dynamic_stack: false
    .vgpr_count:     19
    .vgpr_spill_count: 0
    .wavefront_size: 64
  - .agpr_count:     0
    .args:
      - .address_space:  global
        .offset:         0
        .size:           8
        .value_kind:     global_buffer
      - .address_space:  global
        .offset:         8
        .size:           8
        .value_kind:     global_buffer
      - .address_space:  global
        .offset:         16
        .size:           8
        .value_kind:     global_buffer
      - .offset:         24
        .size:           4
        .value_kind:     by_value
      - .offset:         28
        .size:           4
        .value_kind:     by_value
      - .offset:         32
        .size:           4
        .value_kind:     by_value
      - .address_space:  global
        .offset:         40
        .size:           8
        .value_kind:     global_buffer
      - .offset:         48
        .size:           4
        .value_kind:     hidden_block_count_x
      - .offset:         52
        .size:           4
        .value_kind:     hidden_block_count_y
      - .offset:         56
        .size:           4
        .value_kind:     hidden_block_count_z
      - .offset:         60
        .size:           2
        .value_kind:     hidden_group_size_x
      - .offset:         62
        .size:           2
        .value_kind:     hidden_group_size_y
      - .offset:         64
        .size:           2
        .value_kind:     hidden_group_size_z
      - .offset:         66
        .size:           2
        .value_kind:     hidden_remainder_x
      - .offset:         68
        .size:           2
        .value_kind:     hidden_remainder_y
      - .offset:         70
        .size:           2
        .value_kind:     hidden_remainder_z
      - .offset:         88
        .size:           8
        .value_kind:     hidden_global_offset_x
      - .offset:         96
        .size:           8
        .value_kind:     hidden_global_offset_y
      - .offset:         104
        .size:           8
        .value_kind:     hidden_global_offset_z
      - .offset:         112
        .size:           2
        .value_kind:     hidden_grid_dims
    .group_segment_fixed_size: 0
    .kernarg_segment_align: 8
    .kernarg_segment_size: 304
    .language:       OpenCL C
    .language_version:
      - 2
      - 0
    .max_flat_workgroup_size: 1024
    .name:           _ZN12_GLOBAL__N_121softmax_warp_backwardIN3c104HalfES2_fLi8ELb0ELb1ELi32EEEvPT0_PKT_S7_iiiPKb
    .private_segment_fixed_size: 0
    .sgpr_count:     44
    .sgpr_spill_count: 0
    .symbol:         _ZN12_GLOBAL__N_121softmax_warp_backwardIN3c104HalfES2_fLi8ELb0ELb1ELi32EEEvPT0_PKT_S7_iiiPKb.kd
    .uniform_work_group_size: 1
    .uses_dynamic_stack: false
    .vgpr_count:     31
    .vgpr_spill_count: 0
    .wavefront_size: 64
  - .agpr_count:     0
    .args:
      - .address_space:  global
        .offset:         0
        .size:           8
        .value_kind:     global_buffer
      - .address_space:  global
        .offset:         8
        .size:           8
        .value_kind:     global_buffer
      - .address_space:  global
        .offset:         16
        .size:           8
        .value_kind:     global_buffer
      - .offset:         24
        .size:           4
        .value_kind:     by_value
      - .offset:         28
        .size:           4
        .value_kind:     by_value
      - .offset:         32
        .size:           4
        .value_kind:     by_value
      - .address_space:  global
        .offset:         40
        .size:           8
        .value_kind:     global_buffer
      - .offset:         48
        .size:           4
        .value_kind:     hidden_block_count_x
      - .offset:         52
        .size:           4
        .value_kind:     hidden_block_count_y
      - .offset:         56
        .size:           4
        .value_kind:     hidden_block_count_z
      - .offset:         60
        .size:           2
        .value_kind:     hidden_group_size_x
      - .offset:         62
        .size:           2
        .value_kind:     hidden_group_size_y
      - .offset:         64
        .size:           2
        .value_kind:     hidden_group_size_z
      - .offset:         66
        .size:           2
        .value_kind:     hidden_remainder_x
      - .offset:         68
        .size:           2
        .value_kind:     hidden_remainder_y
      - .offset:         70
        .size:           2
        .value_kind:     hidden_remainder_z
      - .offset:         88
        .size:           8
        .value_kind:     hidden_global_offset_x
      - .offset:         96
        .size:           8
        .value_kind:     hidden_global_offset_y
      - .offset:         104
        .size:           8
        .value_kind:     hidden_global_offset_z
      - .offset:         112
        .size:           2
        .value_kind:     hidden_grid_dims
    .group_segment_fixed_size: 0
    .kernarg_segment_align: 8
    .kernarg_segment_size: 304
    .language:       OpenCL C
    .language_version:
      - 2
      - 0
    .max_flat_workgroup_size: 1024
    .name:           _ZN12_GLOBAL__N_121softmax_warp_backwardIN3c104HalfES2_fLi9ELb0ELb1ELi64EEEvPT0_PKT_S7_iiiPKb
    .private_segment_fixed_size: 0
    .sgpr_count:     44
    .sgpr_spill_count: 0
    .symbol:         _ZN12_GLOBAL__N_121softmax_warp_backwardIN3c104HalfES2_fLi9ELb0ELb1ELi64EEEvPT0_PKT_S7_iiiPKb.kd
    .uniform_work_group_size: 1
    .uses_dynamic_stack: false
    .vgpr_count:     31
    .vgpr_spill_count: 0
    .wavefront_size: 64
  - .agpr_count:     0
    .args:
      - .address_space:  global
        .offset:         0
        .size:           8
        .value_kind:     global_buffer
      - .address_space:  global
        .offset:         8
        .size:           8
        .value_kind:     global_buffer
      - .address_space:  global
        .offset:         16
        .size:           8
        .value_kind:     global_buffer
      - .offset:         24
        .size:           4
        .value_kind:     by_value
      - .offset:         28
        .size:           4
        .value_kind:     by_value
      - .offset:         32
        .size:           4
        .value_kind:     by_value
      - .address_space:  global
        .offset:         40
        .size:           8
        .value_kind:     global_buffer
      - .offset:         48
        .size:           4
        .value_kind:     hidden_block_count_x
      - .offset:         52
        .size:           4
        .value_kind:     hidden_block_count_y
      - .offset:         56
        .size:           4
        .value_kind:     hidden_block_count_z
      - .offset:         60
        .size:           2
        .value_kind:     hidden_group_size_x
      - .offset:         62
        .size:           2
        .value_kind:     hidden_group_size_y
      - .offset:         64
        .size:           2
        .value_kind:     hidden_group_size_z
      - .offset:         66
        .size:           2
        .value_kind:     hidden_remainder_x
      - .offset:         68
        .size:           2
        .value_kind:     hidden_remainder_y
      - .offset:         70
        .size:           2
        .value_kind:     hidden_remainder_z
      - .offset:         88
        .size:           8
        .value_kind:     hidden_global_offset_x
      - .offset:         96
        .size:           8
        .value_kind:     hidden_global_offset_y
      - .offset:         104
        .size:           8
        .value_kind:     hidden_global_offset_z
      - .offset:         112
        .size:           2
        .value_kind:     hidden_grid_dims
    .group_segment_fixed_size: 0
    .kernarg_segment_align: 8
    .kernarg_segment_size: 304
    .language:       OpenCL C
    .language_version:
      - 2
      - 0
    .max_flat_workgroup_size: 1024
    .name:           _ZN12_GLOBAL__N_121softmax_warp_backwardIN3c104HalfES2_fLi9ELb0ELb1ELi32EEEvPT0_PKT_S7_iiiPKb
    .private_segment_fixed_size: 0
    .sgpr_count:     76
    .sgpr_spill_count: 0
    .symbol:         _ZN12_GLOBAL__N_121softmax_warp_backwardIN3c104HalfES2_fLi9ELb0ELb1ELi32EEEvPT0_PKT_S7_iiiPKb.kd
    .uniform_work_group_size: 1
    .uses_dynamic_stack: false
    .vgpr_count:     55
    .vgpr_spill_count: 0
    .wavefront_size: 64
  - .agpr_count:     0
    .args:
      - .address_space:  global
        .offset:         0
        .size:           8
        .value_kind:     global_buffer
      - .address_space:  global
        .offset:         8
        .size:           8
        .value_kind:     global_buffer
      - .address_space:  global
        .offset:         16
        .size:           8
        .value_kind:     global_buffer
      - .offset:         24
        .size:           4
        .value_kind:     by_value
      - .offset:         28
        .size:           4
        .value_kind:     by_value
      - .offset:         32
        .size:           4
        .value_kind:     by_value
      - .address_space:  global
        .offset:         40
        .size:           8
        .value_kind:     global_buffer
      - .offset:         48
        .size:           4
        .value_kind:     hidden_block_count_x
      - .offset:         52
        .size:           4
        .value_kind:     hidden_block_count_y
      - .offset:         56
        .size:           4
        .value_kind:     hidden_block_count_z
      - .offset:         60
        .size:           2
        .value_kind:     hidden_group_size_x
      - .offset:         62
        .size:           2
        .value_kind:     hidden_group_size_y
      - .offset:         64
        .size:           2
        .value_kind:     hidden_group_size_z
      - .offset:         66
        .size:           2
        .value_kind:     hidden_remainder_x
      - .offset:         68
        .size:           2
        .value_kind:     hidden_remainder_y
      - .offset:         70
        .size:           2
        .value_kind:     hidden_remainder_z
      - .offset:         88
        .size:           8
        .value_kind:     hidden_global_offset_x
      - .offset:         96
        .size:           8
        .value_kind:     hidden_global_offset_y
      - .offset:         104
        .size:           8
        .value_kind:     hidden_global_offset_z
      - .offset:         112
        .size:           2
        .value_kind:     hidden_grid_dims
    .group_segment_fixed_size: 0
    .kernarg_segment_align: 8
    .kernarg_segment_size: 304
    .language:       OpenCL C
    .language_version:
      - 2
      - 0
    .max_flat_workgroup_size: 1024
    .name:           _ZN12_GLOBAL__N_121softmax_warp_backwardIN3c104HalfES2_fLi10ELb0ELb1ELi64EEEvPT0_PKT_S7_iiiPKb
    .private_segment_fixed_size: 0
    .sgpr_count:     76
    .sgpr_spill_count: 0
    .symbol:         _ZN12_GLOBAL__N_121softmax_warp_backwardIN3c104HalfES2_fLi10ELb0ELb1ELi64EEEvPT0_PKT_S7_iiiPKb.kd
    .uniform_work_group_size: 1
    .uses_dynamic_stack: false
    .vgpr_count:     55
    .vgpr_spill_count: 0
    .wavefront_size: 64
  - .agpr_count:     0
    .args:
      - .address_space:  global
        .offset:         0
        .size:           8
        .value_kind:     global_buffer
      - .address_space:  global
        .offset:         8
        .size:           8
        .value_kind:     global_buffer
      - .address_space:  global
        .offset:         16
        .size:           8
        .value_kind:     global_buffer
      - .offset:         24
        .size:           4
        .value_kind:     by_value
      - .offset:         28
        .size:           4
        .value_kind:     by_value
      - .offset:         32
        .size:           4
        .value_kind:     by_value
      - .address_space:  global
        .offset:         40
        .size:           8
        .value_kind:     global_buffer
      - .offset:         48
        .size:           4
        .value_kind:     hidden_block_count_x
      - .offset:         52
        .size:           4
        .value_kind:     hidden_block_count_y
      - .offset:         56
        .size:           4
        .value_kind:     hidden_block_count_z
      - .offset:         60
        .size:           2
        .value_kind:     hidden_group_size_x
      - .offset:         62
        .size:           2
        .value_kind:     hidden_group_size_y
      - .offset:         64
        .size:           2
        .value_kind:     hidden_group_size_z
      - .offset:         66
        .size:           2
        .value_kind:     hidden_remainder_x
      - .offset:         68
        .size:           2
        .value_kind:     hidden_remainder_y
      - .offset:         70
        .size:           2
        .value_kind:     hidden_remainder_z
      - .offset:         88
        .size:           8
        .value_kind:     hidden_global_offset_x
      - .offset:         96
        .size:           8
        .value_kind:     hidden_global_offset_y
      - .offset:         104
        .size:           8
        .value_kind:     hidden_global_offset_z
      - .offset:         112
        .size:           2
        .value_kind:     hidden_grid_dims
    .group_segment_fixed_size: 0
    .kernarg_segment_align: 8
    .kernarg_segment_size: 304
    .language:       OpenCL C
    .language_version:
      - 2
      - 0
    .max_flat_workgroup_size: 1024
    .name:           _ZN12_GLOBAL__N_121softmax_warp_backwardIN3c104HalfES2_fLi10ELb0ELb1ELi32EEEvPT0_PKT_S7_iiiPKb
    .private_segment_fixed_size: 0
    .sgpr_count:     100
    .sgpr_spill_count: 40
    .symbol:         _ZN12_GLOBAL__N_121softmax_warp_backwardIN3c104HalfES2_fLi10ELb0ELb1ELi32EEEvPT0_PKT_S7_iiiPKb.kd
    .uniform_work_group_size: 1
    .uses_dynamic_stack: false
    .vgpr_count:     74
    .vgpr_spill_count: 0
    .wavefront_size: 64
  - .agpr_count:     0
    .args:
      - .address_space:  global
        .offset:         0
        .size:           8
        .value_kind:     global_buffer
      - .address_space:  global
        .offset:         8
        .size:           8
        .value_kind:     global_buffer
      - .address_space:  global
        .offset:         16
        .size:           8
        .value_kind:     global_buffer
      - .offset:         24
        .size:           4
        .value_kind:     by_value
      - .offset:         28
        .size:           4
        .value_kind:     by_value
      - .offset:         32
        .size:           4
        .value_kind:     by_value
      - .address_space:  global
        .offset:         40
        .size:           8
        .value_kind:     global_buffer
      - .offset:         48
        .size:           4
        .value_kind:     hidden_block_count_x
      - .offset:         52
        .size:           4
        .value_kind:     hidden_block_count_y
      - .offset:         56
        .size:           4
        .value_kind:     hidden_block_count_z
      - .offset:         60
        .size:           2
        .value_kind:     hidden_group_size_x
      - .offset:         62
        .size:           2
        .value_kind:     hidden_group_size_y
      - .offset:         64
        .size:           2
        .value_kind:     hidden_group_size_z
      - .offset:         66
        .size:           2
        .value_kind:     hidden_remainder_x
      - .offset:         68
        .size:           2
        .value_kind:     hidden_remainder_y
      - .offset:         70
        .size:           2
        .value_kind:     hidden_remainder_z
      - .offset:         88
        .size:           8
        .value_kind:     hidden_global_offset_x
      - .offset:         96
        .size:           8
        .value_kind:     hidden_global_offset_y
      - .offset:         104
        .size:           8
        .value_kind:     hidden_global_offset_z
      - .offset:         112
        .size:           2
        .value_kind:     hidden_grid_dims
    .group_segment_fixed_size: 0
    .kernarg_segment_align: 8
    .kernarg_segment_size: 304
    .language:       OpenCL C
    .language_version:
      - 2
      - 0
    .max_flat_workgroup_size: 1024
    .name:           _ZN12_GLOBAL__N_121softmax_warp_backwardIN3c108BFloat16ES2_fLi0ELb0ELb1ELi64EEEvPT0_PKT_S7_iiiPKb
    .private_segment_fixed_size: 0
    .sgpr_count:     20
    .sgpr_spill_count: 0
    .symbol:         _ZN12_GLOBAL__N_121softmax_warp_backwardIN3c108BFloat16ES2_fLi0ELb0ELb1ELi64EEEvPT0_PKT_S7_iiiPKb.kd
    .uniform_work_group_size: 1
    .uses_dynamic_stack: false
    .vgpr_count:     14
    .vgpr_spill_count: 0
    .wavefront_size: 64
  - .agpr_count:     0
    .args:
      - .address_space:  global
        .offset:         0
        .size:           8
        .value_kind:     global_buffer
      - .address_space:  global
        .offset:         8
        .size:           8
        .value_kind:     global_buffer
      - .address_space:  global
        .offset:         16
        .size:           8
        .value_kind:     global_buffer
      - .offset:         24
        .size:           4
        .value_kind:     by_value
      - .offset:         28
        .size:           4
        .value_kind:     by_value
      - .offset:         32
        .size:           4
        .value_kind:     by_value
      - .address_space:  global
        .offset:         40
        .size:           8
        .value_kind:     global_buffer
      - .offset:         48
        .size:           4
        .value_kind:     hidden_block_count_x
      - .offset:         52
        .size:           4
        .value_kind:     hidden_block_count_y
      - .offset:         56
        .size:           4
        .value_kind:     hidden_block_count_z
      - .offset:         60
        .size:           2
        .value_kind:     hidden_group_size_x
      - .offset:         62
        .size:           2
        .value_kind:     hidden_group_size_y
      - .offset:         64
        .size:           2
        .value_kind:     hidden_group_size_z
      - .offset:         66
        .size:           2
        .value_kind:     hidden_remainder_x
      - .offset:         68
        .size:           2
        .value_kind:     hidden_remainder_y
      - .offset:         70
        .size:           2
        .value_kind:     hidden_remainder_z
      - .offset:         88
        .size:           8
        .value_kind:     hidden_global_offset_x
      - .offset:         96
        .size:           8
        .value_kind:     hidden_global_offset_y
      - .offset:         104
        .size:           8
        .value_kind:     hidden_global_offset_z
      - .offset:         112
        .size:           2
        .value_kind:     hidden_grid_dims
    .group_segment_fixed_size: 0
    .kernarg_segment_align: 8
    .kernarg_segment_size: 304
    .language:       OpenCL C
    .language_version:
      - 2
      - 0
    .max_flat_workgroup_size: 1024
    .name:           _ZN12_GLOBAL__N_121softmax_warp_backwardIN3c108BFloat16ES2_fLi0ELb0ELb1ELi32EEEvPT0_PKT_S7_iiiPKb
    .private_segment_fixed_size: 0
    .sgpr_count:     20
    .sgpr_spill_count: 0
    .symbol:         _ZN12_GLOBAL__N_121softmax_warp_backwardIN3c108BFloat16ES2_fLi0ELb0ELb1ELi32EEEvPT0_PKT_S7_iiiPKb.kd
    .uniform_work_group_size: 1
    .uses_dynamic_stack: false
    .vgpr_count:     14
    .vgpr_spill_count: 0
    .wavefront_size: 64
  - .agpr_count:     0
    .args:
      - .address_space:  global
        .offset:         0
        .size:           8
        .value_kind:     global_buffer
      - .address_space:  global
        .offset:         8
        .size:           8
        .value_kind:     global_buffer
      - .address_space:  global
        .offset:         16
        .size:           8
        .value_kind:     global_buffer
      - .offset:         24
        .size:           4
        .value_kind:     by_value
      - .offset:         28
        .size:           4
        .value_kind:     by_value
      - .offset:         32
        .size:           4
        .value_kind:     by_value
      - .address_space:  global
        .offset:         40
        .size:           8
        .value_kind:     global_buffer
      - .offset:         48
        .size:           4
        .value_kind:     hidden_block_count_x
      - .offset:         52
        .size:           4
        .value_kind:     hidden_block_count_y
      - .offset:         56
        .size:           4
        .value_kind:     hidden_block_count_z
      - .offset:         60
        .size:           2
        .value_kind:     hidden_group_size_x
      - .offset:         62
        .size:           2
        .value_kind:     hidden_group_size_y
      - .offset:         64
        .size:           2
        .value_kind:     hidden_group_size_z
      - .offset:         66
        .size:           2
        .value_kind:     hidden_remainder_x
      - .offset:         68
        .size:           2
        .value_kind:     hidden_remainder_y
      - .offset:         70
        .size:           2
        .value_kind:     hidden_remainder_z
      - .offset:         88
        .size:           8
        .value_kind:     hidden_global_offset_x
      - .offset:         96
        .size:           8
        .value_kind:     hidden_global_offset_y
      - .offset:         104
        .size:           8
        .value_kind:     hidden_global_offset_z
      - .offset:         112
        .size:           2
        .value_kind:     hidden_grid_dims
    .group_segment_fixed_size: 0
    .kernarg_segment_align: 8
    .kernarg_segment_size: 304
    .language:       OpenCL C
    .language_version:
      - 2
      - 0
    .max_flat_workgroup_size: 1024
    .name:           _ZN12_GLOBAL__N_121softmax_warp_backwardIN3c108BFloat16ES2_fLi1ELb0ELb1ELi64EEEvPT0_PKT_S7_iiiPKb
    .private_segment_fixed_size: 0
    .sgpr_count:     20
    .sgpr_spill_count: 0
    .symbol:         _ZN12_GLOBAL__N_121softmax_warp_backwardIN3c108BFloat16ES2_fLi1ELb0ELb1ELi64EEEvPT0_PKT_S7_iiiPKb.kd
    .uniform_work_group_size: 1
    .uses_dynamic_stack: false
    .vgpr_count:     14
    .vgpr_spill_count: 0
    .wavefront_size: 64
  - .agpr_count:     0
    .args:
      - .address_space:  global
        .offset:         0
        .size:           8
        .value_kind:     global_buffer
      - .address_space:  global
        .offset:         8
        .size:           8
        .value_kind:     global_buffer
      - .address_space:  global
        .offset:         16
        .size:           8
        .value_kind:     global_buffer
      - .offset:         24
        .size:           4
        .value_kind:     by_value
      - .offset:         28
        .size:           4
        .value_kind:     by_value
      - .offset:         32
        .size:           4
        .value_kind:     by_value
      - .address_space:  global
        .offset:         40
        .size:           8
        .value_kind:     global_buffer
      - .offset:         48
        .size:           4
        .value_kind:     hidden_block_count_x
      - .offset:         52
        .size:           4
        .value_kind:     hidden_block_count_y
      - .offset:         56
        .size:           4
        .value_kind:     hidden_block_count_z
      - .offset:         60
        .size:           2
        .value_kind:     hidden_group_size_x
      - .offset:         62
        .size:           2
        .value_kind:     hidden_group_size_y
      - .offset:         64
        .size:           2
        .value_kind:     hidden_group_size_z
      - .offset:         66
        .size:           2
        .value_kind:     hidden_remainder_x
      - .offset:         68
        .size:           2
        .value_kind:     hidden_remainder_y
      - .offset:         70
        .size:           2
        .value_kind:     hidden_remainder_z
      - .offset:         88
        .size:           8
        .value_kind:     hidden_global_offset_x
      - .offset:         96
        .size:           8
        .value_kind:     hidden_global_offset_y
      - .offset:         104
        .size:           8
        .value_kind:     hidden_global_offset_z
      - .offset:         112
        .size:           2
        .value_kind:     hidden_grid_dims
    .group_segment_fixed_size: 0
    .kernarg_segment_align: 8
    .kernarg_segment_size: 304
    .language:       OpenCL C
    .language_version:
      - 2
      - 0
    .max_flat_workgroup_size: 1024
    .name:           _ZN12_GLOBAL__N_121softmax_warp_backwardIN3c108BFloat16ES2_fLi1ELb0ELb1ELi32EEEvPT0_PKT_S7_iiiPKb
    .private_segment_fixed_size: 0
    .sgpr_count:     20
    .sgpr_spill_count: 0
    .symbol:         _ZN12_GLOBAL__N_121softmax_warp_backwardIN3c108BFloat16ES2_fLi1ELb0ELb1ELi32EEEvPT0_PKT_S7_iiiPKb.kd
    .uniform_work_group_size: 1
    .uses_dynamic_stack: false
    .vgpr_count:     14
    .vgpr_spill_count: 0
    .wavefront_size: 64
  - .agpr_count:     0
    .args:
      - .address_space:  global
        .offset:         0
        .size:           8
        .value_kind:     global_buffer
      - .address_space:  global
        .offset:         8
        .size:           8
        .value_kind:     global_buffer
      - .address_space:  global
        .offset:         16
        .size:           8
        .value_kind:     global_buffer
      - .offset:         24
        .size:           4
        .value_kind:     by_value
      - .offset:         28
        .size:           4
        .value_kind:     by_value
      - .offset:         32
        .size:           4
        .value_kind:     by_value
      - .address_space:  global
        .offset:         40
        .size:           8
        .value_kind:     global_buffer
      - .offset:         48
        .size:           4
        .value_kind:     hidden_block_count_x
      - .offset:         52
        .size:           4
        .value_kind:     hidden_block_count_y
      - .offset:         56
        .size:           4
        .value_kind:     hidden_block_count_z
      - .offset:         60
        .size:           2
        .value_kind:     hidden_group_size_x
      - .offset:         62
        .size:           2
        .value_kind:     hidden_group_size_y
      - .offset:         64
        .size:           2
        .value_kind:     hidden_group_size_z
      - .offset:         66
        .size:           2
        .value_kind:     hidden_remainder_x
      - .offset:         68
        .size:           2
        .value_kind:     hidden_remainder_y
      - .offset:         70
        .size:           2
        .value_kind:     hidden_remainder_z
      - .offset:         88
        .size:           8
        .value_kind:     hidden_global_offset_x
      - .offset:         96
        .size:           8
        .value_kind:     hidden_global_offset_y
      - .offset:         104
        .size:           8
        .value_kind:     hidden_global_offset_z
      - .offset:         112
        .size:           2
        .value_kind:     hidden_grid_dims
    .group_segment_fixed_size: 0
    .kernarg_segment_align: 8
    .kernarg_segment_size: 304
    .language:       OpenCL C
    .language_version:
      - 2
      - 0
    .max_flat_workgroup_size: 1024
    .name:           _ZN12_GLOBAL__N_121softmax_warp_backwardIN3c108BFloat16ES2_fLi2ELb0ELb1ELi64EEEvPT0_PKT_S7_iiiPKb
    .private_segment_fixed_size: 0
    .sgpr_count:     20
    .sgpr_spill_count: 0
    .symbol:         _ZN12_GLOBAL__N_121softmax_warp_backwardIN3c108BFloat16ES2_fLi2ELb0ELb1ELi64EEEvPT0_PKT_S7_iiiPKb.kd
    .uniform_work_group_size: 1
    .uses_dynamic_stack: false
    .vgpr_count:     15
    .vgpr_spill_count: 0
    .wavefront_size: 64
  - .agpr_count:     0
    .args:
      - .address_space:  global
        .offset:         0
        .size:           8
        .value_kind:     global_buffer
      - .address_space:  global
        .offset:         8
        .size:           8
        .value_kind:     global_buffer
      - .address_space:  global
        .offset:         16
        .size:           8
        .value_kind:     global_buffer
      - .offset:         24
        .size:           4
        .value_kind:     by_value
      - .offset:         28
        .size:           4
        .value_kind:     by_value
      - .offset:         32
        .size:           4
        .value_kind:     by_value
      - .address_space:  global
        .offset:         40
        .size:           8
        .value_kind:     global_buffer
      - .offset:         48
        .size:           4
        .value_kind:     hidden_block_count_x
      - .offset:         52
        .size:           4
        .value_kind:     hidden_block_count_y
      - .offset:         56
        .size:           4
        .value_kind:     hidden_block_count_z
      - .offset:         60
        .size:           2
        .value_kind:     hidden_group_size_x
      - .offset:         62
        .size:           2
        .value_kind:     hidden_group_size_y
      - .offset:         64
        .size:           2
        .value_kind:     hidden_group_size_z
      - .offset:         66
        .size:           2
        .value_kind:     hidden_remainder_x
      - .offset:         68
        .size:           2
        .value_kind:     hidden_remainder_y
      - .offset:         70
        .size:           2
        .value_kind:     hidden_remainder_z
      - .offset:         88
        .size:           8
        .value_kind:     hidden_global_offset_x
      - .offset:         96
        .size:           8
        .value_kind:     hidden_global_offset_y
      - .offset:         104
        .size:           8
        .value_kind:     hidden_global_offset_z
      - .offset:         112
        .size:           2
        .value_kind:     hidden_grid_dims
    .group_segment_fixed_size: 0
    .kernarg_segment_align: 8
    .kernarg_segment_size: 304
    .language:       OpenCL C
    .language_version:
      - 2
      - 0
    .max_flat_workgroup_size: 1024
    .name:           _ZN12_GLOBAL__N_121softmax_warp_backwardIN3c108BFloat16ES2_fLi2ELb0ELb1ELi32EEEvPT0_PKT_S7_iiiPKb
    .private_segment_fixed_size: 0
    .sgpr_count:     20
    .sgpr_spill_count: 0
    .symbol:         _ZN12_GLOBAL__N_121softmax_warp_backwardIN3c108BFloat16ES2_fLi2ELb0ELb1ELi32EEEvPT0_PKT_S7_iiiPKb.kd
    .uniform_work_group_size: 1
    .uses_dynamic_stack: false
    .vgpr_count:     15
    .vgpr_spill_count: 0
    .wavefront_size: 64
  - .agpr_count:     0
    .args:
      - .address_space:  global
        .offset:         0
        .size:           8
        .value_kind:     global_buffer
      - .address_space:  global
        .offset:         8
        .size:           8
        .value_kind:     global_buffer
      - .address_space:  global
        .offset:         16
        .size:           8
        .value_kind:     global_buffer
      - .offset:         24
        .size:           4
        .value_kind:     by_value
      - .offset:         28
        .size:           4
        .value_kind:     by_value
      - .offset:         32
        .size:           4
        .value_kind:     by_value
      - .address_space:  global
        .offset:         40
        .size:           8
        .value_kind:     global_buffer
      - .offset:         48
        .size:           4
        .value_kind:     hidden_block_count_x
      - .offset:         52
        .size:           4
        .value_kind:     hidden_block_count_y
      - .offset:         56
        .size:           4
        .value_kind:     hidden_block_count_z
      - .offset:         60
        .size:           2
        .value_kind:     hidden_group_size_x
      - .offset:         62
        .size:           2
        .value_kind:     hidden_group_size_y
      - .offset:         64
        .size:           2
        .value_kind:     hidden_group_size_z
      - .offset:         66
        .size:           2
        .value_kind:     hidden_remainder_x
      - .offset:         68
        .size:           2
        .value_kind:     hidden_remainder_y
      - .offset:         70
        .size:           2
        .value_kind:     hidden_remainder_z
      - .offset:         88
        .size:           8
        .value_kind:     hidden_global_offset_x
      - .offset:         96
        .size:           8
        .value_kind:     hidden_global_offset_y
      - .offset:         104
        .size:           8
        .value_kind:     hidden_global_offset_z
      - .offset:         112
        .size:           2
        .value_kind:     hidden_grid_dims
    .group_segment_fixed_size: 0
    .kernarg_segment_align: 8
    .kernarg_segment_size: 304
    .language:       OpenCL C
    .language_version:
      - 2
      - 0
    .max_flat_workgroup_size: 1024
    .name:           _ZN12_GLOBAL__N_121softmax_warp_backwardIN3c108BFloat16ES2_fLi3ELb0ELb1ELi64EEEvPT0_PKT_S7_iiiPKb
    .private_segment_fixed_size: 0
    .sgpr_count:     20
    .sgpr_spill_count: 0
    .symbol:         _ZN12_GLOBAL__N_121softmax_warp_backwardIN3c108BFloat16ES2_fLi3ELb0ELb1ELi64EEEvPT0_PKT_S7_iiiPKb.kd
    .uniform_work_group_size: 1
    .uses_dynamic_stack: false
    .vgpr_count:     15
    .vgpr_spill_count: 0
    .wavefront_size: 64
  - .agpr_count:     0
    .args:
      - .address_space:  global
        .offset:         0
        .size:           8
        .value_kind:     global_buffer
      - .address_space:  global
        .offset:         8
        .size:           8
        .value_kind:     global_buffer
      - .address_space:  global
        .offset:         16
        .size:           8
        .value_kind:     global_buffer
      - .offset:         24
        .size:           4
        .value_kind:     by_value
      - .offset:         28
        .size:           4
        .value_kind:     by_value
      - .offset:         32
        .size:           4
        .value_kind:     by_value
      - .address_space:  global
        .offset:         40
        .size:           8
        .value_kind:     global_buffer
      - .offset:         48
        .size:           4
        .value_kind:     hidden_block_count_x
      - .offset:         52
        .size:           4
        .value_kind:     hidden_block_count_y
      - .offset:         56
        .size:           4
        .value_kind:     hidden_block_count_z
      - .offset:         60
        .size:           2
        .value_kind:     hidden_group_size_x
      - .offset:         62
        .size:           2
        .value_kind:     hidden_group_size_y
      - .offset:         64
        .size:           2
        .value_kind:     hidden_group_size_z
      - .offset:         66
        .size:           2
        .value_kind:     hidden_remainder_x
      - .offset:         68
        .size:           2
        .value_kind:     hidden_remainder_y
      - .offset:         70
        .size:           2
        .value_kind:     hidden_remainder_z
      - .offset:         88
        .size:           8
        .value_kind:     hidden_global_offset_x
      - .offset:         96
        .size:           8
        .value_kind:     hidden_global_offset_y
      - .offset:         104
        .size:           8
        .value_kind:     hidden_global_offset_z
      - .offset:         112
        .size:           2
        .value_kind:     hidden_grid_dims
    .group_segment_fixed_size: 0
    .kernarg_segment_align: 8
    .kernarg_segment_size: 304
    .language:       OpenCL C
    .language_version:
      - 2
      - 0
    .max_flat_workgroup_size: 1024
    .name:           _ZN12_GLOBAL__N_121softmax_warp_backwardIN3c108BFloat16ES2_fLi3ELb0ELb1ELi32EEEvPT0_PKT_S7_iiiPKb
    .private_segment_fixed_size: 0
    .sgpr_count:     20
    .sgpr_spill_count: 0
    .symbol:         _ZN12_GLOBAL__N_121softmax_warp_backwardIN3c108BFloat16ES2_fLi3ELb0ELb1ELi32EEEvPT0_PKT_S7_iiiPKb.kd
    .uniform_work_group_size: 1
    .uses_dynamic_stack: false
    .vgpr_count:     15
    .vgpr_spill_count: 0
    .wavefront_size: 64
  - .agpr_count:     0
    .args:
      - .address_space:  global
        .offset:         0
        .size:           8
        .value_kind:     global_buffer
      - .address_space:  global
        .offset:         8
        .size:           8
        .value_kind:     global_buffer
      - .address_space:  global
        .offset:         16
        .size:           8
        .value_kind:     global_buffer
      - .offset:         24
        .size:           4
        .value_kind:     by_value
      - .offset:         28
        .size:           4
        .value_kind:     by_value
      - .offset:         32
        .size:           4
        .value_kind:     by_value
      - .address_space:  global
        .offset:         40
        .size:           8
        .value_kind:     global_buffer
      - .offset:         48
        .size:           4
        .value_kind:     hidden_block_count_x
      - .offset:         52
        .size:           4
        .value_kind:     hidden_block_count_y
      - .offset:         56
        .size:           4
        .value_kind:     hidden_block_count_z
      - .offset:         60
        .size:           2
        .value_kind:     hidden_group_size_x
      - .offset:         62
        .size:           2
        .value_kind:     hidden_group_size_y
      - .offset:         64
        .size:           2
        .value_kind:     hidden_group_size_z
      - .offset:         66
        .size:           2
        .value_kind:     hidden_remainder_x
      - .offset:         68
        .size:           2
        .value_kind:     hidden_remainder_y
      - .offset:         70
        .size:           2
        .value_kind:     hidden_remainder_z
      - .offset:         88
        .size:           8
        .value_kind:     hidden_global_offset_x
      - .offset:         96
        .size:           8
        .value_kind:     hidden_global_offset_y
      - .offset:         104
        .size:           8
        .value_kind:     hidden_global_offset_z
      - .offset:         112
        .size:           2
        .value_kind:     hidden_grid_dims
    .group_segment_fixed_size: 0
    .kernarg_segment_align: 8
    .kernarg_segment_size: 304
    .language:       OpenCL C
    .language_version:
      - 2
      - 0
    .max_flat_workgroup_size: 1024
    .name:           _ZN12_GLOBAL__N_121softmax_warp_backwardIN3c108BFloat16ES2_fLi4ELb0ELb1ELi64EEEvPT0_PKT_S7_iiiPKb
    .private_segment_fixed_size: 0
    .sgpr_count:     20
    .sgpr_spill_count: 0
    .symbol:         _ZN12_GLOBAL__N_121softmax_warp_backwardIN3c108BFloat16ES2_fLi4ELb0ELb1ELi64EEEvPT0_PKT_S7_iiiPKb.kd
    .uniform_work_group_size: 1
    .uses_dynamic_stack: false
    .vgpr_count:     15
    .vgpr_spill_count: 0
    .wavefront_size: 64
  - .agpr_count:     0
    .args:
      - .address_space:  global
        .offset:         0
        .size:           8
        .value_kind:     global_buffer
      - .address_space:  global
        .offset:         8
        .size:           8
        .value_kind:     global_buffer
      - .address_space:  global
        .offset:         16
        .size:           8
        .value_kind:     global_buffer
      - .offset:         24
        .size:           4
        .value_kind:     by_value
      - .offset:         28
        .size:           4
        .value_kind:     by_value
      - .offset:         32
        .size:           4
        .value_kind:     by_value
      - .address_space:  global
        .offset:         40
        .size:           8
        .value_kind:     global_buffer
      - .offset:         48
        .size:           4
        .value_kind:     hidden_block_count_x
      - .offset:         52
        .size:           4
        .value_kind:     hidden_block_count_y
      - .offset:         56
        .size:           4
        .value_kind:     hidden_block_count_z
      - .offset:         60
        .size:           2
        .value_kind:     hidden_group_size_x
      - .offset:         62
        .size:           2
        .value_kind:     hidden_group_size_y
      - .offset:         64
        .size:           2
        .value_kind:     hidden_group_size_z
      - .offset:         66
        .size:           2
        .value_kind:     hidden_remainder_x
      - .offset:         68
        .size:           2
        .value_kind:     hidden_remainder_y
      - .offset:         70
        .size:           2
        .value_kind:     hidden_remainder_z
      - .offset:         88
        .size:           8
        .value_kind:     hidden_global_offset_x
      - .offset:         96
        .size:           8
        .value_kind:     hidden_global_offset_y
      - .offset:         104
        .size:           8
        .value_kind:     hidden_global_offset_z
      - .offset:         112
        .size:           2
        .value_kind:     hidden_grid_dims
    .group_segment_fixed_size: 0
    .kernarg_segment_align: 8
    .kernarg_segment_size: 304
    .language:       OpenCL C
    .language_version:
      - 2
      - 0
    .max_flat_workgroup_size: 1024
    .name:           _ZN12_GLOBAL__N_121softmax_warp_backwardIN3c108BFloat16ES2_fLi4ELb0ELb1ELi32EEEvPT0_PKT_S7_iiiPKb
    .private_segment_fixed_size: 0
    .sgpr_count:     20
    .sgpr_spill_count: 0
    .symbol:         _ZN12_GLOBAL__N_121softmax_warp_backwardIN3c108BFloat16ES2_fLi4ELb0ELb1ELi32EEEvPT0_PKT_S7_iiiPKb.kd
    .uniform_work_group_size: 1
    .uses_dynamic_stack: false
    .vgpr_count:     15
    .vgpr_spill_count: 0
    .wavefront_size: 64
  - .agpr_count:     0
    .args:
      - .address_space:  global
        .offset:         0
        .size:           8
        .value_kind:     global_buffer
      - .address_space:  global
        .offset:         8
        .size:           8
        .value_kind:     global_buffer
      - .address_space:  global
        .offset:         16
        .size:           8
        .value_kind:     global_buffer
      - .offset:         24
        .size:           4
        .value_kind:     by_value
      - .offset:         28
        .size:           4
        .value_kind:     by_value
      - .offset:         32
        .size:           4
        .value_kind:     by_value
      - .address_space:  global
        .offset:         40
        .size:           8
        .value_kind:     global_buffer
      - .offset:         48
        .size:           4
        .value_kind:     hidden_block_count_x
      - .offset:         52
        .size:           4
        .value_kind:     hidden_block_count_y
      - .offset:         56
        .size:           4
        .value_kind:     hidden_block_count_z
      - .offset:         60
        .size:           2
        .value_kind:     hidden_group_size_x
      - .offset:         62
        .size:           2
        .value_kind:     hidden_group_size_y
      - .offset:         64
        .size:           2
        .value_kind:     hidden_group_size_z
      - .offset:         66
        .size:           2
        .value_kind:     hidden_remainder_x
      - .offset:         68
        .size:           2
        .value_kind:     hidden_remainder_y
      - .offset:         70
        .size:           2
        .value_kind:     hidden_remainder_z
      - .offset:         88
        .size:           8
        .value_kind:     hidden_global_offset_x
      - .offset:         96
        .size:           8
        .value_kind:     hidden_global_offset_y
      - .offset:         104
        .size:           8
        .value_kind:     hidden_global_offset_z
      - .offset:         112
        .size:           2
        .value_kind:     hidden_grid_dims
    .group_segment_fixed_size: 0
    .kernarg_segment_align: 8
    .kernarg_segment_size: 304
    .language:       OpenCL C
    .language_version:
      - 2
      - 0
    .max_flat_workgroup_size: 1024
    .name:           _ZN12_GLOBAL__N_121softmax_warp_backwardIN3c108BFloat16ES2_fLi5ELb0ELb1ELi64EEEvPT0_PKT_S7_iiiPKb
    .private_segment_fixed_size: 0
    .sgpr_count:     20
    .sgpr_spill_count: 0
    .symbol:         _ZN12_GLOBAL__N_121softmax_warp_backwardIN3c108BFloat16ES2_fLi5ELb0ELb1ELi64EEEvPT0_PKT_S7_iiiPKb.kd
    .uniform_work_group_size: 1
    .uses_dynamic_stack: false
    .vgpr_count:     15
    .vgpr_spill_count: 0
    .wavefront_size: 64
  - .agpr_count:     0
    .args:
      - .address_space:  global
        .offset:         0
        .size:           8
        .value_kind:     global_buffer
      - .address_space:  global
        .offset:         8
        .size:           8
        .value_kind:     global_buffer
      - .address_space:  global
        .offset:         16
        .size:           8
        .value_kind:     global_buffer
      - .offset:         24
        .size:           4
        .value_kind:     by_value
      - .offset:         28
        .size:           4
        .value_kind:     by_value
      - .offset:         32
        .size:           4
        .value_kind:     by_value
      - .address_space:  global
        .offset:         40
        .size:           8
        .value_kind:     global_buffer
      - .offset:         48
        .size:           4
        .value_kind:     hidden_block_count_x
      - .offset:         52
        .size:           4
        .value_kind:     hidden_block_count_y
      - .offset:         56
        .size:           4
        .value_kind:     hidden_block_count_z
      - .offset:         60
        .size:           2
        .value_kind:     hidden_group_size_x
      - .offset:         62
        .size:           2
        .value_kind:     hidden_group_size_y
      - .offset:         64
        .size:           2
        .value_kind:     hidden_group_size_z
      - .offset:         66
        .size:           2
        .value_kind:     hidden_remainder_x
      - .offset:         68
        .size:           2
        .value_kind:     hidden_remainder_y
      - .offset:         70
        .size:           2
        .value_kind:     hidden_remainder_z
      - .offset:         88
        .size:           8
        .value_kind:     hidden_global_offset_x
      - .offset:         96
        .size:           8
        .value_kind:     hidden_global_offset_y
      - .offset:         104
        .size:           8
        .value_kind:     hidden_global_offset_z
      - .offset:         112
        .size:           2
        .value_kind:     hidden_grid_dims
    .group_segment_fixed_size: 0
    .kernarg_segment_align: 8
    .kernarg_segment_size: 304
    .language:       OpenCL C
    .language_version:
      - 2
      - 0
    .max_flat_workgroup_size: 1024
    .name:           _ZN12_GLOBAL__N_121softmax_warp_backwardIN3c108BFloat16ES2_fLi5ELb0ELb1ELi32EEEvPT0_PKT_S7_iiiPKb
    .private_segment_fixed_size: 0
    .sgpr_count:     20
    .sgpr_spill_count: 0
    .symbol:         _ZN12_GLOBAL__N_121softmax_warp_backwardIN3c108BFloat16ES2_fLi5ELb0ELb1ELi32EEEvPT0_PKT_S7_iiiPKb.kd
    .uniform_work_group_size: 1
    .uses_dynamic_stack: false
    .vgpr_count:     15
    .vgpr_spill_count: 0
    .wavefront_size: 64
  - .agpr_count:     0
    .args:
      - .address_space:  global
        .offset:         0
        .size:           8
        .value_kind:     global_buffer
      - .address_space:  global
        .offset:         8
        .size:           8
        .value_kind:     global_buffer
      - .address_space:  global
        .offset:         16
        .size:           8
        .value_kind:     global_buffer
      - .offset:         24
        .size:           4
        .value_kind:     by_value
      - .offset:         28
        .size:           4
        .value_kind:     by_value
      - .offset:         32
        .size:           4
        .value_kind:     by_value
      - .address_space:  global
        .offset:         40
        .size:           8
        .value_kind:     global_buffer
      - .offset:         48
        .size:           4
        .value_kind:     hidden_block_count_x
      - .offset:         52
        .size:           4
        .value_kind:     hidden_block_count_y
      - .offset:         56
        .size:           4
        .value_kind:     hidden_block_count_z
      - .offset:         60
        .size:           2
        .value_kind:     hidden_group_size_x
      - .offset:         62
        .size:           2
        .value_kind:     hidden_group_size_y
      - .offset:         64
        .size:           2
        .value_kind:     hidden_group_size_z
      - .offset:         66
        .size:           2
        .value_kind:     hidden_remainder_x
      - .offset:         68
        .size:           2
        .value_kind:     hidden_remainder_y
      - .offset:         70
        .size:           2
        .value_kind:     hidden_remainder_z
      - .offset:         88
        .size:           8
        .value_kind:     hidden_global_offset_x
      - .offset:         96
        .size:           8
        .value_kind:     hidden_global_offset_y
      - .offset:         104
        .size:           8
        .value_kind:     hidden_global_offset_z
      - .offset:         112
        .size:           2
        .value_kind:     hidden_grid_dims
    .group_segment_fixed_size: 0
    .kernarg_segment_align: 8
    .kernarg_segment_size: 304
    .language:       OpenCL C
    .language_version:
      - 2
      - 0
    .max_flat_workgroup_size: 1024
    .name:           _ZN12_GLOBAL__N_121softmax_warp_backwardIN3c108BFloat16ES2_fLi6ELb0ELb1ELi64EEEvPT0_PKT_S7_iiiPKb
    .private_segment_fixed_size: 0
    .sgpr_count:     20
    .sgpr_spill_count: 0
    .symbol:         _ZN12_GLOBAL__N_121softmax_warp_backwardIN3c108BFloat16ES2_fLi6ELb0ELb1ELi64EEEvPT0_PKT_S7_iiiPKb.kd
    .uniform_work_group_size: 1
    .uses_dynamic_stack: false
    .vgpr_count:     15
    .vgpr_spill_count: 0
    .wavefront_size: 64
  - .agpr_count:     0
    .args:
      - .address_space:  global
        .offset:         0
        .size:           8
        .value_kind:     global_buffer
      - .address_space:  global
        .offset:         8
        .size:           8
        .value_kind:     global_buffer
      - .address_space:  global
        .offset:         16
        .size:           8
        .value_kind:     global_buffer
      - .offset:         24
        .size:           4
        .value_kind:     by_value
      - .offset:         28
        .size:           4
        .value_kind:     by_value
      - .offset:         32
        .size:           4
        .value_kind:     by_value
      - .address_space:  global
        .offset:         40
        .size:           8
        .value_kind:     global_buffer
      - .offset:         48
        .size:           4
        .value_kind:     hidden_block_count_x
      - .offset:         52
        .size:           4
        .value_kind:     hidden_block_count_y
      - .offset:         56
        .size:           4
        .value_kind:     hidden_block_count_z
      - .offset:         60
        .size:           2
        .value_kind:     hidden_group_size_x
      - .offset:         62
        .size:           2
        .value_kind:     hidden_group_size_y
      - .offset:         64
        .size:           2
        .value_kind:     hidden_group_size_z
      - .offset:         66
        .size:           2
        .value_kind:     hidden_remainder_x
      - .offset:         68
        .size:           2
        .value_kind:     hidden_remainder_y
      - .offset:         70
        .size:           2
        .value_kind:     hidden_remainder_z
      - .offset:         88
        .size:           8
        .value_kind:     hidden_global_offset_x
      - .offset:         96
        .size:           8
        .value_kind:     hidden_global_offset_y
      - .offset:         104
        .size:           8
        .value_kind:     hidden_global_offset_z
      - .offset:         112
        .size:           2
        .value_kind:     hidden_grid_dims
    .group_segment_fixed_size: 0
    .kernarg_segment_align: 8
    .kernarg_segment_size: 304
    .language:       OpenCL C
    .language_version:
      - 2
      - 0
    .max_flat_workgroup_size: 1024
    .name:           _ZN12_GLOBAL__N_121softmax_warp_backwardIN3c108BFloat16ES2_fLi6ELb0ELb1ELi32EEEvPT0_PKT_S7_iiiPKb
    .private_segment_fixed_size: 0
    .sgpr_count:     24
    .sgpr_spill_count: 0
    .symbol:         _ZN12_GLOBAL__N_121softmax_warp_backwardIN3c108BFloat16ES2_fLi6ELb0ELb1ELi32EEEvPT0_PKT_S7_iiiPKb.kd
    .uniform_work_group_size: 1
    .uses_dynamic_stack: false
    .vgpr_count:     23
    .vgpr_spill_count: 0
    .wavefront_size: 64
  - .agpr_count:     0
    .args:
      - .address_space:  global
        .offset:         0
        .size:           8
        .value_kind:     global_buffer
      - .address_space:  global
        .offset:         8
        .size:           8
        .value_kind:     global_buffer
      - .address_space:  global
        .offset:         16
        .size:           8
        .value_kind:     global_buffer
      - .offset:         24
        .size:           4
        .value_kind:     by_value
      - .offset:         28
        .size:           4
        .value_kind:     by_value
      - .offset:         32
        .size:           4
        .value_kind:     by_value
      - .address_space:  global
        .offset:         40
        .size:           8
        .value_kind:     global_buffer
      - .offset:         48
        .size:           4
        .value_kind:     hidden_block_count_x
      - .offset:         52
        .size:           4
        .value_kind:     hidden_block_count_y
      - .offset:         56
        .size:           4
        .value_kind:     hidden_block_count_z
      - .offset:         60
        .size:           2
        .value_kind:     hidden_group_size_x
      - .offset:         62
        .size:           2
        .value_kind:     hidden_group_size_y
      - .offset:         64
        .size:           2
        .value_kind:     hidden_group_size_z
      - .offset:         66
        .size:           2
        .value_kind:     hidden_remainder_x
      - .offset:         68
        .size:           2
        .value_kind:     hidden_remainder_y
      - .offset:         70
        .size:           2
        .value_kind:     hidden_remainder_z
      - .offset:         88
        .size:           8
        .value_kind:     hidden_global_offset_x
      - .offset:         96
        .size:           8
        .value_kind:     hidden_global_offset_y
      - .offset:         104
        .size:           8
        .value_kind:     hidden_global_offset_z
      - .offset:         112
        .size:           2
        .value_kind:     hidden_grid_dims
    .group_segment_fixed_size: 0
    .kernarg_segment_align: 8
    .kernarg_segment_size: 304
    .language:       OpenCL C
    .language_version:
      - 2
      - 0
    .max_flat_workgroup_size: 1024
    .name:           _ZN12_GLOBAL__N_121softmax_warp_backwardIN3c108BFloat16ES2_fLi7ELb0ELb1ELi64EEEvPT0_PKT_S7_iiiPKb
    .private_segment_fixed_size: 0
    .sgpr_count:     24
    .sgpr_spill_count: 0
    .symbol:         _ZN12_GLOBAL__N_121softmax_warp_backwardIN3c108BFloat16ES2_fLi7ELb0ELb1ELi64EEEvPT0_PKT_S7_iiiPKb.kd
    .uniform_work_group_size: 1
    .uses_dynamic_stack: false
    .vgpr_count:     25
    .vgpr_spill_count: 0
    .wavefront_size: 64
  - .agpr_count:     0
    .args:
      - .address_space:  global
        .offset:         0
        .size:           8
        .value_kind:     global_buffer
      - .address_space:  global
        .offset:         8
        .size:           8
        .value_kind:     global_buffer
      - .address_space:  global
        .offset:         16
        .size:           8
        .value_kind:     global_buffer
      - .offset:         24
        .size:           4
        .value_kind:     by_value
      - .offset:         28
        .size:           4
        .value_kind:     by_value
      - .offset:         32
        .size:           4
        .value_kind:     by_value
      - .address_space:  global
        .offset:         40
        .size:           8
        .value_kind:     global_buffer
      - .offset:         48
        .size:           4
        .value_kind:     hidden_block_count_x
      - .offset:         52
        .size:           4
        .value_kind:     hidden_block_count_y
      - .offset:         56
        .size:           4
        .value_kind:     hidden_block_count_z
      - .offset:         60
        .size:           2
        .value_kind:     hidden_group_size_x
      - .offset:         62
        .size:           2
        .value_kind:     hidden_group_size_y
      - .offset:         64
        .size:           2
        .value_kind:     hidden_group_size_z
      - .offset:         66
        .size:           2
        .value_kind:     hidden_remainder_x
      - .offset:         68
        .size:           2
        .value_kind:     hidden_remainder_y
      - .offset:         70
        .size:           2
        .value_kind:     hidden_remainder_z
      - .offset:         88
        .size:           8
        .value_kind:     hidden_global_offset_x
      - .offset:         96
        .size:           8
        .value_kind:     hidden_global_offset_y
      - .offset:         104
        .size:           8
        .value_kind:     hidden_global_offset_z
      - .offset:         112
        .size:           2
        .value_kind:     hidden_grid_dims
    .group_segment_fixed_size: 0
    .kernarg_segment_align: 8
    .kernarg_segment_size: 304
    .language:       OpenCL C
    .language_version:
      - 2
      - 0
    .max_flat_workgroup_size: 1024
    .name:           _ZN12_GLOBAL__N_121softmax_warp_backwardIN3c108BFloat16ES2_fLi7ELb0ELb1ELi32EEEvPT0_PKT_S7_iiiPKb
    .private_segment_fixed_size: 0
    .sgpr_count:     32
    .sgpr_spill_count: 0
    .symbol:         _ZN12_GLOBAL__N_121softmax_warp_backwardIN3c108BFloat16ES2_fLi7ELb0ELb1ELi32EEEvPT0_PKT_S7_iiiPKb.kd
    .uniform_work_group_size: 1
    .uses_dynamic_stack: false
    .vgpr_count:     38
    .vgpr_spill_count: 0
    .wavefront_size: 64
  - .agpr_count:     0
    .args:
      - .address_space:  global
        .offset:         0
        .size:           8
        .value_kind:     global_buffer
      - .address_space:  global
        .offset:         8
        .size:           8
        .value_kind:     global_buffer
      - .address_space:  global
        .offset:         16
        .size:           8
        .value_kind:     global_buffer
      - .offset:         24
        .size:           4
        .value_kind:     by_value
      - .offset:         28
        .size:           4
        .value_kind:     by_value
      - .offset:         32
        .size:           4
        .value_kind:     by_value
      - .address_space:  global
        .offset:         40
        .size:           8
        .value_kind:     global_buffer
      - .offset:         48
        .size:           4
        .value_kind:     hidden_block_count_x
      - .offset:         52
        .size:           4
        .value_kind:     hidden_block_count_y
      - .offset:         56
        .size:           4
        .value_kind:     hidden_block_count_z
      - .offset:         60
        .size:           2
        .value_kind:     hidden_group_size_x
      - .offset:         62
        .size:           2
        .value_kind:     hidden_group_size_y
      - .offset:         64
        .size:           2
        .value_kind:     hidden_group_size_z
      - .offset:         66
        .size:           2
        .value_kind:     hidden_remainder_x
      - .offset:         68
        .size:           2
        .value_kind:     hidden_remainder_y
      - .offset:         70
        .size:           2
        .value_kind:     hidden_remainder_z
      - .offset:         88
        .size:           8
        .value_kind:     hidden_global_offset_x
      - .offset:         96
        .size:           8
        .value_kind:     hidden_global_offset_y
      - .offset:         104
        .size:           8
        .value_kind:     hidden_global_offset_z
      - .offset:         112
        .size:           2
        .value_kind:     hidden_grid_dims
    .group_segment_fixed_size: 0
    .kernarg_segment_align: 8
    .kernarg_segment_size: 304
    .language:       OpenCL C
    .language_version:
      - 2
      - 0
    .max_flat_workgroup_size: 1024
    .name:           _ZN12_GLOBAL__N_121softmax_warp_backwardIN3c108BFloat16ES2_fLi8ELb0ELb1ELi64EEEvPT0_PKT_S7_iiiPKb
    .private_segment_fixed_size: 0
    .sgpr_count:     24
    .sgpr_spill_count: 0
    .symbol:         _ZN12_GLOBAL__N_121softmax_warp_backwardIN3c108BFloat16ES2_fLi8ELb0ELb1ELi64EEEvPT0_PKT_S7_iiiPKb.kd
    .uniform_work_group_size: 1
    .uses_dynamic_stack: false
    .vgpr_count:     19
    .vgpr_spill_count: 0
    .wavefront_size: 64
  - .agpr_count:     0
    .args:
      - .address_space:  global
        .offset:         0
        .size:           8
        .value_kind:     global_buffer
      - .address_space:  global
        .offset:         8
        .size:           8
        .value_kind:     global_buffer
      - .address_space:  global
        .offset:         16
        .size:           8
        .value_kind:     global_buffer
      - .offset:         24
        .size:           4
        .value_kind:     by_value
      - .offset:         28
        .size:           4
        .value_kind:     by_value
      - .offset:         32
        .size:           4
        .value_kind:     by_value
      - .address_space:  global
        .offset:         40
        .size:           8
        .value_kind:     global_buffer
      - .offset:         48
        .size:           4
        .value_kind:     hidden_block_count_x
      - .offset:         52
        .size:           4
        .value_kind:     hidden_block_count_y
      - .offset:         56
        .size:           4
        .value_kind:     hidden_block_count_z
      - .offset:         60
        .size:           2
        .value_kind:     hidden_group_size_x
      - .offset:         62
        .size:           2
        .value_kind:     hidden_group_size_y
      - .offset:         64
        .size:           2
        .value_kind:     hidden_group_size_z
      - .offset:         66
        .size:           2
        .value_kind:     hidden_remainder_x
      - .offset:         68
        .size:           2
        .value_kind:     hidden_remainder_y
      - .offset:         70
        .size:           2
        .value_kind:     hidden_remainder_z
      - .offset:         88
        .size:           8
        .value_kind:     hidden_global_offset_x
      - .offset:         96
        .size:           8
        .value_kind:     hidden_global_offset_y
      - .offset:         104
        .size:           8
        .value_kind:     hidden_global_offset_z
      - .offset:         112
        .size:           2
        .value_kind:     hidden_grid_dims
    .group_segment_fixed_size: 0
    .kernarg_segment_align: 8
    .kernarg_segment_size: 304
    .language:       OpenCL C
    .language_version:
      - 2
      - 0
    .max_flat_workgroup_size: 1024
    .name:           _ZN12_GLOBAL__N_121softmax_warp_backwardIN3c108BFloat16ES2_fLi8ELb0ELb1ELi32EEEvPT0_PKT_S7_iiiPKb
    .private_segment_fixed_size: 0
    .sgpr_count:     44
    .sgpr_spill_count: 0
    .symbol:         _ZN12_GLOBAL__N_121softmax_warp_backwardIN3c108BFloat16ES2_fLi8ELb0ELb1ELi32EEEvPT0_PKT_S7_iiiPKb.kd
    .uniform_work_group_size: 1
    .uses_dynamic_stack: false
    .vgpr_count:     31
    .vgpr_spill_count: 0
    .wavefront_size: 64
  - .agpr_count:     0
    .args:
      - .address_space:  global
        .offset:         0
        .size:           8
        .value_kind:     global_buffer
      - .address_space:  global
        .offset:         8
        .size:           8
        .value_kind:     global_buffer
      - .address_space:  global
        .offset:         16
        .size:           8
        .value_kind:     global_buffer
      - .offset:         24
        .size:           4
        .value_kind:     by_value
      - .offset:         28
        .size:           4
        .value_kind:     by_value
      - .offset:         32
        .size:           4
        .value_kind:     by_value
      - .address_space:  global
        .offset:         40
        .size:           8
        .value_kind:     global_buffer
      - .offset:         48
        .size:           4
        .value_kind:     hidden_block_count_x
      - .offset:         52
        .size:           4
        .value_kind:     hidden_block_count_y
      - .offset:         56
        .size:           4
        .value_kind:     hidden_block_count_z
      - .offset:         60
        .size:           2
        .value_kind:     hidden_group_size_x
      - .offset:         62
        .size:           2
        .value_kind:     hidden_group_size_y
      - .offset:         64
        .size:           2
        .value_kind:     hidden_group_size_z
      - .offset:         66
        .size:           2
        .value_kind:     hidden_remainder_x
      - .offset:         68
        .size:           2
        .value_kind:     hidden_remainder_y
      - .offset:         70
        .size:           2
        .value_kind:     hidden_remainder_z
      - .offset:         88
        .size:           8
        .value_kind:     hidden_global_offset_x
      - .offset:         96
        .size:           8
        .value_kind:     hidden_global_offset_y
      - .offset:         104
        .size:           8
        .value_kind:     hidden_global_offset_z
      - .offset:         112
        .size:           2
        .value_kind:     hidden_grid_dims
    .group_segment_fixed_size: 0
    .kernarg_segment_align: 8
    .kernarg_segment_size: 304
    .language:       OpenCL C
    .language_version:
      - 2
      - 0
    .max_flat_workgroup_size: 1024
    .name:           _ZN12_GLOBAL__N_121softmax_warp_backwardIN3c108BFloat16ES2_fLi9ELb0ELb1ELi64EEEvPT0_PKT_S7_iiiPKb
    .private_segment_fixed_size: 0
    .sgpr_count:     44
    .sgpr_spill_count: 0
    .symbol:         _ZN12_GLOBAL__N_121softmax_warp_backwardIN3c108BFloat16ES2_fLi9ELb0ELb1ELi64EEEvPT0_PKT_S7_iiiPKb.kd
    .uniform_work_group_size: 1
    .uses_dynamic_stack: false
    .vgpr_count:     31
    .vgpr_spill_count: 0
    .wavefront_size: 64
  - .agpr_count:     0
    .args:
      - .address_space:  global
        .offset:         0
        .size:           8
        .value_kind:     global_buffer
      - .address_space:  global
        .offset:         8
        .size:           8
        .value_kind:     global_buffer
      - .address_space:  global
        .offset:         16
        .size:           8
        .value_kind:     global_buffer
      - .offset:         24
        .size:           4
        .value_kind:     by_value
      - .offset:         28
        .size:           4
        .value_kind:     by_value
      - .offset:         32
        .size:           4
        .value_kind:     by_value
      - .address_space:  global
        .offset:         40
        .size:           8
        .value_kind:     global_buffer
      - .offset:         48
        .size:           4
        .value_kind:     hidden_block_count_x
      - .offset:         52
        .size:           4
        .value_kind:     hidden_block_count_y
      - .offset:         56
        .size:           4
        .value_kind:     hidden_block_count_z
      - .offset:         60
        .size:           2
        .value_kind:     hidden_group_size_x
      - .offset:         62
        .size:           2
        .value_kind:     hidden_group_size_y
      - .offset:         64
        .size:           2
        .value_kind:     hidden_group_size_z
      - .offset:         66
        .size:           2
        .value_kind:     hidden_remainder_x
      - .offset:         68
        .size:           2
        .value_kind:     hidden_remainder_y
      - .offset:         70
        .size:           2
        .value_kind:     hidden_remainder_z
      - .offset:         88
        .size:           8
        .value_kind:     hidden_global_offset_x
      - .offset:         96
        .size:           8
        .value_kind:     hidden_global_offset_y
      - .offset:         104
        .size:           8
        .value_kind:     hidden_global_offset_z
      - .offset:         112
        .size:           2
        .value_kind:     hidden_grid_dims
    .group_segment_fixed_size: 0
    .kernarg_segment_align: 8
    .kernarg_segment_size: 304
    .language:       OpenCL C
    .language_version:
      - 2
      - 0
    .max_flat_workgroup_size: 1024
    .name:           _ZN12_GLOBAL__N_121softmax_warp_backwardIN3c108BFloat16ES2_fLi9ELb0ELb1ELi32EEEvPT0_PKT_S7_iiiPKb
    .private_segment_fixed_size: 0
    .sgpr_count:     78
    .sgpr_spill_count: 0
    .symbol:         _ZN12_GLOBAL__N_121softmax_warp_backwardIN3c108BFloat16ES2_fLi9ELb0ELb1ELi32EEEvPT0_PKT_S7_iiiPKb.kd
    .uniform_work_group_size: 1
    .uses_dynamic_stack: false
    .vgpr_count:     55
    .vgpr_spill_count: 0
    .wavefront_size: 64
  - .agpr_count:     0
    .args:
      - .address_space:  global
        .offset:         0
        .size:           8
        .value_kind:     global_buffer
      - .address_space:  global
        .offset:         8
        .size:           8
        .value_kind:     global_buffer
      - .address_space:  global
        .offset:         16
        .size:           8
        .value_kind:     global_buffer
      - .offset:         24
        .size:           4
        .value_kind:     by_value
      - .offset:         28
        .size:           4
        .value_kind:     by_value
      - .offset:         32
        .size:           4
        .value_kind:     by_value
      - .address_space:  global
        .offset:         40
        .size:           8
        .value_kind:     global_buffer
      - .offset:         48
        .size:           4
        .value_kind:     hidden_block_count_x
      - .offset:         52
        .size:           4
        .value_kind:     hidden_block_count_y
      - .offset:         56
        .size:           4
        .value_kind:     hidden_block_count_z
      - .offset:         60
        .size:           2
        .value_kind:     hidden_group_size_x
      - .offset:         62
        .size:           2
        .value_kind:     hidden_group_size_y
      - .offset:         64
        .size:           2
        .value_kind:     hidden_group_size_z
      - .offset:         66
        .size:           2
        .value_kind:     hidden_remainder_x
      - .offset:         68
        .size:           2
        .value_kind:     hidden_remainder_y
      - .offset:         70
        .size:           2
        .value_kind:     hidden_remainder_z
      - .offset:         88
        .size:           8
        .value_kind:     hidden_global_offset_x
      - .offset:         96
        .size:           8
        .value_kind:     hidden_global_offset_y
      - .offset:         104
        .size:           8
        .value_kind:     hidden_global_offset_z
      - .offset:         112
        .size:           2
        .value_kind:     hidden_grid_dims
    .group_segment_fixed_size: 0
    .kernarg_segment_align: 8
    .kernarg_segment_size: 304
    .language:       OpenCL C
    .language_version:
      - 2
      - 0
    .max_flat_workgroup_size: 1024
    .name:           _ZN12_GLOBAL__N_121softmax_warp_backwardIN3c108BFloat16ES2_fLi10ELb0ELb1ELi64EEEvPT0_PKT_S7_iiiPKb
    .private_segment_fixed_size: 0
    .sgpr_count:     78
    .sgpr_spill_count: 0
    .symbol:         _ZN12_GLOBAL__N_121softmax_warp_backwardIN3c108BFloat16ES2_fLi10ELb0ELb1ELi64EEEvPT0_PKT_S7_iiiPKb.kd
    .uniform_work_group_size: 1
    .uses_dynamic_stack: false
    .vgpr_count:     55
    .vgpr_spill_count: 0
    .wavefront_size: 64
  - .agpr_count:     0
    .args:
      - .address_space:  global
        .offset:         0
        .size:           8
        .value_kind:     global_buffer
      - .address_space:  global
        .offset:         8
        .size:           8
        .value_kind:     global_buffer
      - .address_space:  global
        .offset:         16
        .size:           8
        .value_kind:     global_buffer
      - .offset:         24
        .size:           4
        .value_kind:     by_value
      - .offset:         28
        .size:           4
        .value_kind:     by_value
      - .offset:         32
        .size:           4
        .value_kind:     by_value
      - .address_space:  global
        .offset:         40
        .size:           8
        .value_kind:     global_buffer
      - .offset:         48
        .size:           4
        .value_kind:     hidden_block_count_x
      - .offset:         52
        .size:           4
        .value_kind:     hidden_block_count_y
      - .offset:         56
        .size:           4
        .value_kind:     hidden_block_count_z
      - .offset:         60
        .size:           2
        .value_kind:     hidden_group_size_x
      - .offset:         62
        .size:           2
        .value_kind:     hidden_group_size_y
      - .offset:         64
        .size:           2
        .value_kind:     hidden_group_size_z
      - .offset:         66
        .size:           2
        .value_kind:     hidden_remainder_x
      - .offset:         68
        .size:           2
        .value_kind:     hidden_remainder_y
      - .offset:         70
        .size:           2
        .value_kind:     hidden_remainder_z
      - .offset:         88
        .size:           8
        .value_kind:     hidden_global_offset_x
      - .offset:         96
        .size:           8
        .value_kind:     hidden_global_offset_y
      - .offset:         104
        .size:           8
        .value_kind:     hidden_global_offset_z
      - .offset:         112
        .size:           2
        .value_kind:     hidden_grid_dims
    .group_segment_fixed_size: 0
    .kernarg_segment_align: 8
    .kernarg_segment_size: 304
    .language:       OpenCL C
    .language_version:
      - 2
      - 0
    .max_flat_workgroup_size: 1024
    .name:           _ZN12_GLOBAL__N_121softmax_warp_backwardIN3c108BFloat16ES2_fLi10ELb0ELb1ELi32EEEvPT0_PKT_S7_iiiPKb
    .private_segment_fixed_size: 0
    .sgpr_count:     100
    .sgpr_spill_count: 44
    .symbol:         _ZN12_GLOBAL__N_121softmax_warp_backwardIN3c108BFloat16ES2_fLi10ELb0ELb1ELi32EEEvPT0_PKT_S7_iiiPKb.kd
    .uniform_work_group_size: 1
    .uses_dynamic_stack: false
    .vgpr_count:     74
    .vgpr_spill_count: 0
    .wavefront_size: 64
amdhsa.target:   amdgcn-amd-amdhsa--gfx90a
amdhsa.version:
  - 1
  - 2
...

	.end_amdgpu_metadata
